;; amdgpu-corpus repo=ROCm/rocBLAS kind=compiled arch=gfx942 opt=O3
	.text
	.amdgcn_target "amdgcn-amd-amdhsa--gfx942"
	.amdhsa_code_object_version 6
	.section	.text._ZN12_GLOBAL__N_120geam_ex_scale_kernelILi32ELi32EffPKPKfPKPfEEviiT2_T3_lilT4_lil,"axG",@progbits,_ZN12_GLOBAL__N_120geam_ex_scale_kernelILi32ELi32EffPKPKfPKPfEEviiT2_T3_lilT4_lil,comdat
	.globl	_ZN12_GLOBAL__N_120geam_ex_scale_kernelILi32ELi32EffPKPKfPKPfEEviiT2_T3_lilT4_lil ; -- Begin function _ZN12_GLOBAL__N_120geam_ex_scale_kernelILi32ELi32EffPKPKfPKPfEEviiT2_T3_lilT4_lil
	.p2align	8
	.type	_ZN12_GLOBAL__N_120geam_ex_scale_kernelILi32ELi32EffPKPKfPKPfEEviiT2_T3_lilT4_lil,@function
_ZN12_GLOBAL__N_120geam_ex_scale_kernelILi32ELi32EffPKPKfPKPfEEviiT2_T3_lilT4_lil: ; @_ZN12_GLOBAL__N_120geam_ex_scale_kernelILi32ELi32EffPKPKfPKPfEEviiT2_T3_lilT4_lil
; %bb.0:
	s_load_dwordx4 s[4:7], s[0:1], 0x0
	s_mov_b32 s16, s3
	s_mov_b32 s17, 0
	s_waitcnt lgkmcnt(0)
	v_cmp_eq_f32_e64 s[14:15], s6, 0
	s_and_b64 vcc, exec, s[14:15]
	s_cbranch_vccnz .LBB0_2
; %bb.1:
	s_load_dwordx4 s[8:11], s[0:1], 0x10
	s_lshl_b64 s[12:13], s[16:17], 3
	s_waitcnt lgkmcnt(0)
	s_add_u32 s8, s8, s12
	s_addc_u32 s9, s9, s13
	s_load_dwordx2 s[8:9], s[8:9], 0x0
	s_lshl_b64 s[10:11], s[10:11], 2
	s_waitcnt lgkmcnt(0)
	s_add_u32 s12, s8, s10
	s_addc_u32 s13, s9, s11
	s_branch .LBB0_3
.LBB0_2:
	s_mov_b64 s[12:13], 0
.LBB0_3:
	s_add_i32 s3, s4, -1
	s_ashr_i32 s7, s3, 31
	s_lshr_b32 s7, s7, 27
	s_add_i32 s3, s3, s7
	s_ashr_i32 s3, s3, 5
	s_add_i32 s7, s3, 1
	v_cvt_f32_u32_e32 v1, s7
	s_not_b32 s3, s3
	v_and_b32_e32 v3, 0x3ff, v0
	v_bfe_u32 v0, v0, 10, 10
	v_rcp_iflag_f32_e32 v1, v1
	s_nop 0
	v_mul_f32_e32 v1, 0x4f7ffffe, v1
	v_cvt_u32_f32_e32 v1, v1
	s_nop 0
	v_readfirstlane_b32 s8, v1
	s_mul_i32 s3, s3, s8
	s_mul_hi_u32 s3, s8, s3
	s_add_i32 s8, s8, s3
	s_mul_hi_u32 s3, s2, s8
	s_mul_i32 s8, s3, s7
	s_sub_i32 s8, s2, s8
	s_add_i32 s9, s3, 1
	s_sub_i32 s10, s8, s7
	s_cmp_ge_u32 s8, s7
	s_cselect_b32 s3, s9, s3
	s_cselect_b32 s8, s10, s8
	s_add_i32 s9, s3, 1
	s_cmp_ge_u32 s8, s7
	s_cselect_b32 s3, s9, s3
	s_mul_i32 s7, s3, s7
	s_sub_i32 s2, s2, s7
	v_lshl_add_u32 v2, s3, 5, v0
	v_lshl_add_u32 v0, s2, 5, v3
	v_cmp_gt_u32_e32 vcc, s4, v0
	v_cmp_gt_u32_e64 s[2:3], s5, v2
	s_and_b64 s[2:3], vcc, s[2:3]
	s_and_saveexec_b64 s[4:5], s[2:3]
	s_cbranch_execz .LBB0_9
; %bb.4:
	s_load_dwordx4 s[8:11], s[0:1], 0x30
	s_lshl_b64 s[2:3], s[16:17], 3
	v_mov_b32_e32 v1, 0
	s_waitcnt lgkmcnt(0)
	s_add_u32 s2, s8, s2
	s_addc_u32 s3, s9, s3
	s_load_dwordx2 s[2:3], s[2:3], 0x0
	s_andn2_b64 vcc, exec, s[14:15]
	s_cbranch_vccnz .LBB0_6
; %bb.5:
	s_mov_b32 s7, 0
	v_mov_b32_e32 v3, s7
	s_cbranch_execz .LBB0_7
	s_branch .LBB0_8
.LBB0_6:
                                        ; implicit-def: $sgpr7
	v_mov_b32_e32 v3, s7
.LBB0_7:
	s_load_dword s4, s[0:1], 0x20
	v_mov_b32_e32 v1, 0
	s_waitcnt lgkmcnt(0)
	s_ashr_i32 s7, s4, 31
	v_mad_u64_u32 v[4:5], s[4:5], v2, s4, v[0:1]
	v_mov_b32_e32 v6, v5
	v_mad_u64_u32 v[6:7], s[4:5], v2, s7, v[6:7]
	v_mov_b32_e32 v5, v6
	v_lshl_add_u64 v[4:5], v[4:5], 2, s[12:13]
	flat_load_dword v3, v[4:5]
	s_waitcnt vmcnt(0) lgkmcnt(0)
	v_mul_f32_e32 v3, s6, v3
.LBB0_8:
	s_load_dword s4, s[0:1], 0x40
	s_lshl_b64 s[0:1], s[10:11], 2
	s_waitcnt lgkmcnt(0)
	s_add_u32 s0, s2, s0
	s_addc_u32 s1, s3, s1
	v_mad_u64_u32 v[4:5], s[2:3], v2, s4, 0
	s_ashr_i32 s5, s4, 31
	v_mov_b32_e32 v6, v5
	v_mad_u64_u32 v[6:7], s[2:3], v2, s5, v[6:7]
	v_mov_b32_e32 v5, v6
	v_lshl_add_u64 v[4:5], v[4:5], 2, s[0:1]
	v_lshl_add_u64 v[0:1], v[0:1], 2, v[4:5]
	global_store_dword v[0:1], v3, off
.LBB0_9:
	s_endpgm
	.section	.rodata,"a",@progbits
	.p2align	6, 0x0
	.amdhsa_kernel _ZN12_GLOBAL__N_120geam_ex_scale_kernelILi32ELi32EffPKPKfPKPfEEviiT2_T3_lilT4_lil
		.amdhsa_group_segment_fixed_size 0
		.amdhsa_private_segment_fixed_size 0
		.amdhsa_kernarg_size 80
		.amdhsa_user_sgpr_count 2
		.amdhsa_user_sgpr_dispatch_ptr 0
		.amdhsa_user_sgpr_queue_ptr 0
		.amdhsa_user_sgpr_kernarg_segment_ptr 1
		.amdhsa_user_sgpr_dispatch_id 0
		.amdhsa_user_sgpr_kernarg_preload_length 0
		.amdhsa_user_sgpr_kernarg_preload_offset 0
		.amdhsa_user_sgpr_private_segment_size 0
		.amdhsa_uses_dynamic_stack 0
		.amdhsa_enable_private_segment 0
		.amdhsa_system_sgpr_workgroup_id_x 1
		.amdhsa_system_sgpr_workgroup_id_y 0
		.amdhsa_system_sgpr_workgroup_id_z 1
		.amdhsa_system_sgpr_workgroup_info 0
		.amdhsa_system_vgpr_workitem_id 1
		.amdhsa_next_free_vgpr 8
		.amdhsa_next_free_sgpr 18
		.amdhsa_accum_offset 8
		.amdhsa_reserve_vcc 1
		.amdhsa_float_round_mode_32 0
		.amdhsa_float_round_mode_16_64 0
		.amdhsa_float_denorm_mode_32 3
		.amdhsa_float_denorm_mode_16_64 3
		.amdhsa_dx10_clamp 1
		.amdhsa_ieee_mode 1
		.amdhsa_fp16_overflow 0
		.amdhsa_tg_split 0
		.amdhsa_exception_fp_ieee_invalid_op 0
		.amdhsa_exception_fp_denorm_src 0
		.amdhsa_exception_fp_ieee_div_zero 0
		.amdhsa_exception_fp_ieee_overflow 0
		.amdhsa_exception_fp_ieee_underflow 0
		.amdhsa_exception_fp_ieee_inexact 0
		.amdhsa_exception_int_div_zero 0
	.end_amdhsa_kernel
	.section	.text._ZN12_GLOBAL__N_120geam_ex_scale_kernelILi32ELi32EffPKPKfPKPfEEviiT2_T3_lilT4_lil,"axG",@progbits,_ZN12_GLOBAL__N_120geam_ex_scale_kernelILi32ELi32EffPKPKfPKPfEEviiT2_T3_lilT4_lil,comdat
.Lfunc_end0:
	.size	_ZN12_GLOBAL__N_120geam_ex_scale_kernelILi32ELi32EffPKPKfPKPfEEviiT2_T3_lilT4_lil, .Lfunc_end0-_ZN12_GLOBAL__N_120geam_ex_scale_kernelILi32ELi32EffPKPKfPKPfEEviiT2_T3_lilT4_lil
                                        ; -- End function
	.section	.AMDGPU.csdata,"",@progbits
; Kernel info:
; codeLenInByte = 484
; NumSgprs: 24
; NumVgprs: 8
; NumAgprs: 0
; TotalNumVgprs: 8
; ScratchSize: 0
; MemoryBound: 0
; FloatMode: 240
; IeeeMode: 1
; LDSByteSize: 0 bytes/workgroup (compile time only)
; SGPRBlocks: 2
; VGPRBlocks: 0
; NumSGPRsForWavesPerEU: 24
; NumVGPRsForWavesPerEU: 8
; AccumOffset: 8
; Occupancy: 8
; WaveLimiterHint : 1
; COMPUTE_PGM_RSRC2:SCRATCH_EN: 0
; COMPUTE_PGM_RSRC2:USER_SGPR: 2
; COMPUTE_PGM_RSRC2:TRAP_HANDLER: 0
; COMPUTE_PGM_RSRC2:TGID_X_EN: 1
; COMPUTE_PGM_RSRC2:TGID_Y_EN: 0
; COMPUTE_PGM_RSRC2:TGID_Z_EN: 1
; COMPUTE_PGM_RSRC2:TIDIG_COMP_CNT: 1
; COMPUTE_PGM_RSRC3_GFX90A:ACCUM_OFFSET: 1
; COMPUTE_PGM_RSRC3_GFX90A:TG_SPLIT: 0
	.section	.text._ZN12_GLOBAL__N_120geam_ex_scale_kernelILi32ELi32EfPKfPKS2_PKPfEEviiT2_T3_lilT4_lil,"axG",@progbits,_ZN12_GLOBAL__N_120geam_ex_scale_kernelILi32ELi32EfPKfPKS2_PKPfEEviiT2_T3_lilT4_lil,comdat
	.globl	_ZN12_GLOBAL__N_120geam_ex_scale_kernelILi32ELi32EfPKfPKS2_PKPfEEviiT2_T3_lilT4_lil ; -- Begin function _ZN12_GLOBAL__N_120geam_ex_scale_kernelILi32ELi32EfPKfPKS2_PKPfEEviiT2_T3_lilT4_lil
	.p2align	8
	.type	_ZN12_GLOBAL__N_120geam_ex_scale_kernelILi32ELi32EfPKfPKS2_PKPfEEviiT2_T3_lilT4_lil,@function
_ZN12_GLOBAL__N_120geam_ex_scale_kernelILi32ELi32EfPKfPKS2_PKPfEEviiT2_T3_lilT4_lil: ; @_ZN12_GLOBAL__N_120geam_ex_scale_kernelILi32ELi32EfPKfPKS2_PKPfEEviiT2_T3_lilT4_lil
; %bb.0:
	s_load_dwordx4 s[4:7], s[0:1], 0x8
	s_mov_b32 s10, s3
	s_mov_b32 s11, 0
	s_waitcnt lgkmcnt(0)
	s_load_dword s14, s[4:5], 0x0
	s_waitcnt lgkmcnt(0)
	v_cmp_eq_f32_e64 s[12:13], s14, 0
	s_and_b64 vcc, exec, s[12:13]
	s_cbranch_vccnz .LBB1_2
; %bb.1:
	s_lshl_b64 s[8:9], s[10:11], 3
	s_add_u32 s6, s6, s8
	s_load_dwordx2 s[4:5], s[0:1], 0x18
	s_addc_u32 s7, s7, s9
	s_load_dwordx2 s[6:7], s[6:7], 0x0
	s_waitcnt lgkmcnt(0)
	s_lshl_b64 s[4:5], s[4:5], 2
	s_add_u32 s8, s6, s4
	s_addc_u32 s9, s7, s5
	s_branch .LBB1_3
.LBB1_2:
	s_mov_b64 s[8:9], 0
.LBB1_3:
	s_load_dwordx2 s[4:5], s[0:1], 0x0
	v_and_b32_e32 v3, 0x3ff, v0
	v_bfe_u32 v0, v0, 10, 10
	s_waitcnt lgkmcnt(0)
	s_add_i32 s3, s4, -1
	s_ashr_i32 s6, s3, 31
	s_lshr_b32 s6, s6, 27
	s_add_i32 s3, s3, s6
	s_ashr_i32 s3, s3, 5
	s_add_i32 s6, s3, 1
	v_cvt_f32_u32_e32 v1, s6
	s_not_b32 s3, s3
	v_rcp_iflag_f32_e32 v1, v1
	s_nop 0
	v_mul_f32_e32 v1, 0x4f7ffffe, v1
	v_cvt_u32_f32_e32 v1, v1
	s_nop 0
	v_readfirstlane_b32 s7, v1
	s_mul_i32 s3, s3, s7
	s_mul_hi_u32 s3, s7, s3
	s_add_i32 s7, s7, s3
	s_mul_hi_u32 s3, s2, s7
	s_mul_i32 s7, s3, s6
	s_sub_i32 s7, s2, s7
	s_add_i32 s15, s3, 1
	s_sub_i32 s16, s7, s6
	s_cmp_ge_u32 s7, s6
	s_cselect_b32 s3, s15, s3
	s_cselect_b32 s7, s16, s7
	s_add_i32 s15, s3, 1
	s_cmp_ge_u32 s7, s6
	s_cselect_b32 s3, s15, s3
	s_mul_i32 s6, s3, s6
	s_sub_i32 s2, s2, s6
	v_lshl_add_u32 v2, s3, 5, v0
	v_lshl_add_u32 v0, s2, 5, v3
	v_cmp_gt_u32_e32 vcc, s4, v0
	v_cmp_gt_u32_e64 s[2:3], s5, v2
	s_and_b64 s[2:3], vcc, s[2:3]
	s_and_saveexec_b64 s[4:5], s[2:3]
	s_cbranch_execz .LBB1_9
; %bb.4:
	s_load_dwordx4 s[4:7], s[0:1], 0x30
	s_lshl_b64 s[2:3], s[10:11], 3
	v_mov_b32_e32 v1, 0
	s_waitcnt lgkmcnt(0)
	s_add_u32 s2, s4, s2
	s_addc_u32 s3, s5, s3
	s_load_dwordx2 s[2:3], s[2:3], 0x0
	s_andn2_b64 vcc, exec, s[12:13]
	s_cbranch_vccnz .LBB1_6
; %bb.5:
	s_mov_b32 s10, 0
	v_mov_b32_e32 v3, s10
	s_cbranch_execz .LBB1_7
	s_branch .LBB1_8
.LBB1_6:
                                        ; implicit-def: $sgpr10
	v_mov_b32_e32 v3, s10
.LBB1_7:
	s_load_dword s4, s[0:1], 0x20
	v_mov_b32_e32 v1, 0
	s_waitcnt lgkmcnt(0)
	s_ashr_i32 s10, s4, 31
	v_mad_u64_u32 v[4:5], s[4:5], v2, s4, v[0:1]
	v_mov_b32_e32 v6, v5
	v_mad_u64_u32 v[6:7], s[4:5], v2, s10, v[6:7]
	v_mov_b32_e32 v5, v6
	v_lshl_add_u64 v[4:5], v[4:5], 2, s[8:9]
	flat_load_dword v3, v[4:5]
	s_waitcnt vmcnt(0) lgkmcnt(0)
	v_mul_f32_e32 v3, s14, v3
.LBB1_8:
	s_load_dword s4, s[0:1], 0x40
	s_lshl_b64 s[0:1], s[6:7], 2
	s_waitcnt lgkmcnt(0)
	s_add_u32 s0, s2, s0
	s_addc_u32 s1, s3, s1
	v_mad_u64_u32 v[4:5], s[2:3], v2, s4, 0
	s_ashr_i32 s5, s4, 31
	v_mov_b32_e32 v6, v5
	v_mad_u64_u32 v[6:7], s[2:3], v2, s5, v[6:7]
	v_mov_b32_e32 v5, v6
	v_lshl_add_u64 v[4:5], v[4:5], 2, s[0:1]
	v_lshl_add_u64 v[0:1], v[0:1], 2, v[4:5]
	global_store_dword v[0:1], v3, off
.LBB1_9:
	s_endpgm
	.section	.rodata,"a",@progbits
	.p2align	6, 0x0
	.amdhsa_kernel _ZN12_GLOBAL__N_120geam_ex_scale_kernelILi32ELi32EfPKfPKS2_PKPfEEviiT2_T3_lilT4_lil
		.amdhsa_group_segment_fixed_size 0
		.amdhsa_private_segment_fixed_size 0
		.amdhsa_kernarg_size 80
		.amdhsa_user_sgpr_count 2
		.amdhsa_user_sgpr_dispatch_ptr 0
		.amdhsa_user_sgpr_queue_ptr 0
		.amdhsa_user_sgpr_kernarg_segment_ptr 1
		.amdhsa_user_sgpr_dispatch_id 0
		.amdhsa_user_sgpr_kernarg_preload_length 0
		.amdhsa_user_sgpr_kernarg_preload_offset 0
		.amdhsa_user_sgpr_private_segment_size 0
		.amdhsa_uses_dynamic_stack 0
		.amdhsa_enable_private_segment 0
		.amdhsa_system_sgpr_workgroup_id_x 1
		.amdhsa_system_sgpr_workgroup_id_y 0
		.amdhsa_system_sgpr_workgroup_id_z 1
		.amdhsa_system_sgpr_workgroup_info 0
		.amdhsa_system_vgpr_workitem_id 1
		.amdhsa_next_free_vgpr 8
		.amdhsa_next_free_sgpr 17
		.amdhsa_accum_offset 8
		.amdhsa_reserve_vcc 1
		.amdhsa_float_round_mode_32 0
		.amdhsa_float_round_mode_16_64 0
		.amdhsa_float_denorm_mode_32 3
		.amdhsa_float_denorm_mode_16_64 3
		.amdhsa_dx10_clamp 1
		.amdhsa_ieee_mode 1
		.amdhsa_fp16_overflow 0
		.amdhsa_tg_split 0
		.amdhsa_exception_fp_ieee_invalid_op 0
		.amdhsa_exception_fp_denorm_src 0
		.amdhsa_exception_fp_ieee_div_zero 0
		.amdhsa_exception_fp_ieee_overflow 0
		.amdhsa_exception_fp_ieee_underflow 0
		.amdhsa_exception_fp_ieee_inexact 0
		.amdhsa_exception_int_div_zero 0
	.end_amdhsa_kernel
	.section	.text._ZN12_GLOBAL__N_120geam_ex_scale_kernelILi32ELi32EfPKfPKS2_PKPfEEviiT2_T3_lilT4_lil,"axG",@progbits,_ZN12_GLOBAL__N_120geam_ex_scale_kernelILi32ELi32EfPKfPKS2_PKPfEEviiT2_T3_lilT4_lil,comdat
.Lfunc_end1:
	.size	_ZN12_GLOBAL__N_120geam_ex_scale_kernelILi32ELi32EfPKfPKS2_PKPfEEviiT2_T3_lilT4_lil, .Lfunc_end1-_ZN12_GLOBAL__N_120geam_ex_scale_kernelILi32ELi32EfPKfPKS2_PKPfEEviiT2_T3_lilT4_lil
                                        ; -- End function
	.section	.AMDGPU.csdata,"",@progbits
; Kernel info:
; codeLenInByte = 504
; NumSgprs: 23
; NumVgprs: 8
; NumAgprs: 0
; TotalNumVgprs: 8
; ScratchSize: 0
; MemoryBound: 0
; FloatMode: 240
; IeeeMode: 1
; LDSByteSize: 0 bytes/workgroup (compile time only)
; SGPRBlocks: 2
; VGPRBlocks: 0
; NumSGPRsForWavesPerEU: 23
; NumVGPRsForWavesPerEU: 8
; AccumOffset: 8
; Occupancy: 8
; WaveLimiterHint : 1
; COMPUTE_PGM_RSRC2:SCRATCH_EN: 0
; COMPUTE_PGM_RSRC2:USER_SGPR: 2
; COMPUTE_PGM_RSRC2:TRAP_HANDLER: 0
; COMPUTE_PGM_RSRC2:TGID_X_EN: 1
; COMPUTE_PGM_RSRC2:TGID_Y_EN: 0
; COMPUTE_PGM_RSRC2:TGID_Z_EN: 1
; COMPUTE_PGM_RSRC2:TIDIG_COMP_CNT: 1
; COMPUTE_PGM_RSRC3_GFX90A:ACCUM_OFFSET: 1
; COMPUTE_PGM_RSRC3_GFX90A:TG_SPLIT: 0
	.section	.text._ZN12_GLOBAL__N_120geam_ex_round_kernelILi32ELi32EffPKPKfPKPfEEviiT2_T3_lilT4_lil,"axG",@progbits,_ZN12_GLOBAL__N_120geam_ex_round_kernelILi32ELi32EffPKPKfPKPfEEviiT2_T3_lilT4_lil,comdat
	.globl	_ZN12_GLOBAL__N_120geam_ex_round_kernelILi32ELi32EffPKPKfPKPfEEviiT2_T3_lilT4_lil ; -- Begin function _ZN12_GLOBAL__N_120geam_ex_round_kernelILi32ELi32EffPKPKfPKPfEEviiT2_T3_lilT4_lil
	.p2align	8
	.type	_ZN12_GLOBAL__N_120geam_ex_round_kernelILi32ELi32EffPKPKfPKPfEEviiT2_T3_lilT4_lil,@function
_ZN12_GLOBAL__N_120geam_ex_round_kernelILi32ELi32EffPKPKfPKPfEEviiT2_T3_lilT4_lil: ; @_ZN12_GLOBAL__N_120geam_ex_round_kernelILi32ELi32EffPKPKfPKPfEEviiT2_T3_lilT4_lil
; %bb.0:
	s_load_dwordx4 s[4:7], s[0:1], 0x0
	s_mov_b32 s16, s3
	s_mov_b32 s17, 0
	s_waitcnt lgkmcnt(0)
	v_cmp_eq_f32_e64 s[14:15], s6, 0
	s_and_b64 vcc, exec, s[14:15]
	s_cbranch_vccnz .LBB2_2
; %bb.1:
	s_load_dwordx4 s[8:11], s[0:1], 0x10
	s_lshl_b64 s[12:13], s[16:17], 3
	s_waitcnt lgkmcnt(0)
	s_add_u32 s8, s8, s12
	s_addc_u32 s9, s9, s13
	s_load_dwordx2 s[8:9], s[8:9], 0x0
	s_lshl_b64 s[10:11], s[10:11], 2
	s_waitcnt lgkmcnt(0)
	s_add_u32 s12, s8, s10
	s_addc_u32 s13, s9, s11
	s_branch .LBB2_3
.LBB2_2:
	s_mov_b64 s[12:13], 0
.LBB2_3:
	s_add_i32 s3, s4, -1
	s_ashr_i32 s7, s3, 31
	s_lshr_b32 s7, s7, 27
	s_add_i32 s3, s3, s7
	s_ashr_i32 s3, s3, 5
	s_add_i32 s7, s3, 1
	v_cvt_f32_u32_e32 v1, s7
	s_not_b32 s3, s3
	v_and_b32_e32 v3, 0x3ff, v0
	v_bfe_u32 v0, v0, 10, 10
	v_rcp_iflag_f32_e32 v1, v1
	s_nop 0
	v_mul_f32_e32 v1, 0x4f7ffffe, v1
	v_cvt_u32_f32_e32 v1, v1
	s_nop 0
	v_readfirstlane_b32 s8, v1
	s_mul_i32 s3, s3, s8
	s_mul_hi_u32 s3, s8, s3
	s_add_i32 s8, s8, s3
	s_mul_hi_u32 s3, s2, s8
	s_mul_i32 s8, s3, s7
	s_sub_i32 s8, s2, s8
	s_add_i32 s9, s3, 1
	s_sub_i32 s10, s8, s7
	s_cmp_ge_u32 s8, s7
	s_cselect_b32 s3, s9, s3
	s_cselect_b32 s8, s10, s8
	s_add_i32 s9, s3, 1
	s_cmp_ge_u32 s8, s7
	s_cselect_b32 s3, s9, s3
	s_mul_i32 s7, s3, s7
	s_sub_i32 s2, s2, s7
	v_lshl_add_u32 v2, s3, 5, v0
	v_lshl_add_u32 v0, s2, 5, v3
	v_cmp_gt_u32_e32 vcc, s4, v0
	v_cmp_gt_u32_e64 s[2:3], s5, v2
	s_and_b64 s[2:3], vcc, s[2:3]
	s_and_saveexec_b64 s[4:5], s[2:3]
	s_cbranch_execz .LBB2_9
; %bb.4:
	s_load_dwordx4 s[8:11], s[0:1], 0x30
	s_lshl_b64 s[2:3], s[16:17], 3
	s_waitcnt lgkmcnt(0)
	s_add_u32 s2, s8, s2
	s_addc_u32 s3, s9, s3
	s_load_dwordx2 s[2:3], s[2:3], 0x0
	s_andn2_b64 vcc, exec, s[14:15]
	s_cbranch_vccnz .LBB2_6
; %bb.5:
	v_mov_b32_e32 v5, 0
	s_mov_b32 s7, 0
	v_mov_b32_e32 v1, v5
	v_mov_b32_e32 v3, s7
	s_cbranch_execz .LBB2_7
	s_branch .LBB2_8
.LBB2_6:
                                        ; implicit-def: $sgpr7
                                        ; implicit-def: $vgpr4_vgpr5
	v_mov_b32_e32 v3, s7
.LBB2_7:
	s_load_dword s4, s[0:1], 0x20
	v_mov_b32_e32 v5, 0
	v_mov_b32_e32 v1, v5
	s_waitcnt lgkmcnt(0)
	s_ashr_i32 s7, s4, 31
	v_mad_u64_u32 v[6:7], s[4:5], v2, s4, v[0:1]
	v_mov_b32_e32 v4, v7
	v_mad_u64_u32 v[8:9], s[4:5], v2, s7, v[4:5]
	v_mov_b32_e32 v7, v8
	v_lshl_add_u64 v[6:7], v[6:7], 2, s[12:13]
	flat_load_dword v3, v[6:7]
	s_waitcnt vmcnt(0) lgkmcnt(0)
	v_mul_f32_e32 v3, s6, v3
.LBB2_8:
	s_load_dword s4, s[0:1], 0x40
	s_lshl_b64 s[0:1], s[10:11], 2
	s_waitcnt lgkmcnt(0)
	s_add_u32 s0, s2, s0
	s_addc_u32 s1, s3, s1
	v_cmp_nlt_f32_e32 vcc, 0, v3
	s_ashr_i32 s2, s4, 31
	v_mul_lo_u32 v6, v5, s4
	v_mul_lo_u32 v7, v2, s2
	v_mad_u64_u32 v[4:5], s[2:3], v2, s4, 0
	v_add3_u32 v5, v5, v7, v6
	v_lshl_add_u64 v[4:5], v[4:5], 2, s[0:1]
	v_lshl_add_u64 v[0:1], v[0:1], 2, v[4:5]
	v_cndmask_b32_e32 v2, 0, v3, vcc
	global_store_dword v[0:1], v2, off
.LBB2_9:
	s_endpgm
	.section	.rodata,"a",@progbits
	.p2align	6, 0x0
	.amdhsa_kernel _ZN12_GLOBAL__N_120geam_ex_round_kernelILi32ELi32EffPKPKfPKPfEEviiT2_T3_lilT4_lil
		.amdhsa_group_segment_fixed_size 0
		.amdhsa_private_segment_fixed_size 0
		.amdhsa_kernarg_size 80
		.amdhsa_user_sgpr_count 2
		.amdhsa_user_sgpr_dispatch_ptr 0
		.amdhsa_user_sgpr_queue_ptr 0
		.amdhsa_user_sgpr_kernarg_segment_ptr 1
		.amdhsa_user_sgpr_dispatch_id 0
		.amdhsa_user_sgpr_kernarg_preload_length 0
		.amdhsa_user_sgpr_kernarg_preload_offset 0
		.amdhsa_user_sgpr_private_segment_size 0
		.amdhsa_uses_dynamic_stack 0
		.amdhsa_enable_private_segment 0
		.amdhsa_system_sgpr_workgroup_id_x 1
		.amdhsa_system_sgpr_workgroup_id_y 0
		.amdhsa_system_sgpr_workgroup_id_z 1
		.amdhsa_system_sgpr_workgroup_info 0
		.amdhsa_system_vgpr_workitem_id 1
		.amdhsa_next_free_vgpr 10
		.amdhsa_next_free_sgpr 18
		.amdhsa_accum_offset 12
		.amdhsa_reserve_vcc 1
		.amdhsa_float_round_mode_32 0
		.amdhsa_float_round_mode_16_64 0
		.amdhsa_float_denorm_mode_32 3
		.amdhsa_float_denorm_mode_16_64 3
		.amdhsa_dx10_clamp 1
		.amdhsa_ieee_mode 1
		.amdhsa_fp16_overflow 0
		.amdhsa_tg_split 0
		.amdhsa_exception_fp_ieee_invalid_op 0
		.amdhsa_exception_fp_denorm_src 0
		.amdhsa_exception_fp_ieee_div_zero 0
		.amdhsa_exception_fp_ieee_overflow 0
		.amdhsa_exception_fp_ieee_underflow 0
		.amdhsa_exception_fp_ieee_inexact 0
		.amdhsa_exception_int_div_zero 0
	.end_amdhsa_kernel
	.section	.text._ZN12_GLOBAL__N_120geam_ex_round_kernelILi32ELi32EffPKPKfPKPfEEviiT2_T3_lilT4_lil,"axG",@progbits,_ZN12_GLOBAL__N_120geam_ex_round_kernelILi32ELi32EffPKPKfPKPfEEviiT2_T3_lilT4_lil,comdat
.Lfunc_end2:
	.size	_ZN12_GLOBAL__N_120geam_ex_round_kernelILi32ELi32EffPKPKfPKPfEEviiT2_T3_lilT4_lil, .Lfunc_end2-_ZN12_GLOBAL__N_120geam_ex_round_kernelILi32ELi32EffPKPKfPKPfEEviiT2_T3_lilT4_lil
                                        ; -- End function
	.section	.AMDGPU.csdata,"",@progbits
; Kernel info:
; codeLenInByte = 508
; NumSgprs: 24
; NumVgprs: 10
; NumAgprs: 0
; TotalNumVgprs: 10
; ScratchSize: 0
; MemoryBound: 0
; FloatMode: 240
; IeeeMode: 1
; LDSByteSize: 0 bytes/workgroup (compile time only)
; SGPRBlocks: 2
; VGPRBlocks: 1
; NumSGPRsForWavesPerEU: 24
; NumVGPRsForWavesPerEU: 10
; AccumOffset: 12
; Occupancy: 8
; WaveLimiterHint : 1
; COMPUTE_PGM_RSRC2:SCRATCH_EN: 0
; COMPUTE_PGM_RSRC2:USER_SGPR: 2
; COMPUTE_PGM_RSRC2:TRAP_HANDLER: 0
; COMPUTE_PGM_RSRC2:TGID_X_EN: 1
; COMPUTE_PGM_RSRC2:TGID_Y_EN: 0
; COMPUTE_PGM_RSRC2:TGID_Z_EN: 1
; COMPUTE_PGM_RSRC2:TIDIG_COMP_CNT: 1
; COMPUTE_PGM_RSRC3_GFX90A:ACCUM_OFFSET: 2
; COMPUTE_PGM_RSRC3_GFX90A:TG_SPLIT: 0
	.section	.text._ZN12_GLOBAL__N_120geam_min_plus_kernelIf15HIP_vector_typeIfLj2EEfLi32ELi8ELi256ELi64ELi4ELi64ELi4ELi4ELi64ELc78ELc78ELb0ELb0ELb1EPKfKS4_KPfEEviiiT16_PT17_ilSA_ilS8_SA_ilPT18_ili26rocblas_geam_ex_operation_,"axG",@progbits,_ZN12_GLOBAL__N_120geam_min_plus_kernelIf15HIP_vector_typeIfLj2EEfLi32ELi8ELi256ELi64ELi4ELi64ELi4ELi4ELi64ELc78ELc78ELb0ELb0ELb1EPKfKS4_KPfEEviiiT16_PT17_ilSA_ilS8_SA_ilPT18_ili26rocblas_geam_ex_operation_,comdat
	.globl	_ZN12_GLOBAL__N_120geam_min_plus_kernelIf15HIP_vector_typeIfLj2EEfLi32ELi8ELi256ELi64ELi4ELi64ELi4ELi4ELi64ELc78ELc78ELb0ELb0ELb1EPKfKS4_KPfEEviiiT16_PT17_ilSA_ilS8_SA_ilPT18_ili26rocblas_geam_ex_operation_ ; -- Begin function _ZN12_GLOBAL__N_120geam_min_plus_kernelIf15HIP_vector_typeIfLj2EEfLi32ELi8ELi256ELi64ELi4ELi64ELi4ELi4ELi64ELc78ELc78ELb0ELb0ELb1EPKfKS4_KPfEEviiiT16_PT17_ilSA_ilS8_SA_ilPT18_ili26rocblas_geam_ex_operation_
	.p2align	8
	.type	_ZN12_GLOBAL__N_120geam_min_plus_kernelIf15HIP_vector_typeIfLj2EEfLi32ELi8ELi256ELi64ELi4ELi64ELi4ELi4ELi64ELc78ELc78ELb0ELb0ELb1EPKfKS4_KPfEEviiiT16_PT17_ilSA_ilS8_SA_ilPT18_ili26rocblas_geam_ex_operation_,@function
_ZN12_GLOBAL__N_120geam_min_plus_kernelIf15HIP_vector_typeIfLj2EEfLi32ELi8ELi256ELi64ELi4ELi64ELi4ELi4ELi64ELc78ELc78ELb0ELb0ELb1EPKfKS4_KPfEEviiiT16_PT17_ilSA_ilS8_SA_ilPT18_ili26rocblas_geam_ex_operation_: ; @_ZN12_GLOBAL__N_120geam_min_plus_kernelIf15HIP_vector_typeIfLj2EEfLi32ELi8ELi256ELi64ELi4ELi64ELi4ELi4ELi64ELc78ELc78ELb0ELb0ELb1EPKfKS4_KPfEEviiiT16_PT17_ilSA_ilS8_SA_ilPT18_ili26rocblas_geam_ex_operation_
; %bb.0:
	s_load_dwordx4 s[12:15], s[0:1], 0x10
	s_load_dwordx4 s[4:7], s[0:1], 0x28
	s_mov_b32 s20, s3
	s_mov_b32 s21, 0
	s_lshl_b64 s[16:17], s[20:21], 2
	s_waitcnt lgkmcnt(0)
	s_add_u32 s18, s12, s16
	s_load_dwordx4 s[8:11], s[0:1], 0x40
	s_addc_u32 s19, s13, s17
	s_load_dword s12, s[18:19], 0x0
	s_load_dwordx2 s[22:23], s[0:1], 0x50
	s_mov_b64 s[18:19], 0
	s_waitcnt lgkmcnt(0)
	s_add_u32 s10, s10, s16
	s_addc_u32 s11, s11, s17
	v_cmp_eq_f32_e64 s[16:17], s12, 0
	v_cmp_neq_f32_e64 s[24:25], s12, 0
	s_and_b64 vcc, exec, s[16:17]
	s_mov_b64 s[16:17], 0
	s_cbranch_vccnz .LBB3_2
; %bb.1:
	s_lshl_b64 s[16:17], s[20:21], 3
	s_add_u32 s14, s14, s16
	s_addc_u32 s15, s15, s17
	s_load_dwordx2 s[14:15], s[14:15], 0x0
	s_lshl_b64 s[4:5], s[4:5], 2
	s_waitcnt lgkmcnt(0)
	s_add_u32 s16, s14, s4
	s_addc_u32 s17, s15, s5
.LBB3_2:
	s_load_dword s26, s[10:11], 0x0
	v_cndmask_b32_e64 v1, 0, 1, s[24:25]
	v_cmp_ne_u32_e64 s[4:5], 1, v1
	s_andn2_b64 vcc, exec, s[24:25]
	s_cbranch_vccnz .LBB3_4
; %bb.3:
	s_lshl_b64 s[10:11], s[20:21], 3
	s_add_u32 s6, s6, s10
	s_addc_u32 s7, s7, s11
	s_load_dwordx2 s[6:7], s[6:7], 0x0
	s_lshl_b64 s[8:9], s[8:9], 2
	s_waitcnt lgkmcnt(0)
	s_add_u32 s18, s6, s8
	s_addc_u32 s19, s7, s9
.LBB3_4:
	s_load_dwordx4 s[8:11], s[0:1], 0x60
	s_waitcnt lgkmcnt(0)
	v_cmp_eq_f32_e64 s[6:7], s26, 0
	s_and_b64 s[6:7], exec, s[6:7]
	s_mov_b64 vcc, s[6:7]
	s_cbranch_vccnz .LBB3_6
; %bb.5:
	s_lshl_b64 s[14:15], s[20:21], 3
	s_add_u32 s14, s22, s14
	s_addc_u32 s15, s23, s15
	s_load_dwordx2 s[14:15], s[14:15], 0x0
	s_lshl_b64 s[8:9], s[8:9], 2
	s_waitcnt lgkmcnt(0)
	s_add_u32 s8, s14, s8
	s_addc_u32 s9, s15, s9
	s_branch .LBB3_7
.LBB3_6:
	s_mov_b64 s[8:9], 0
.LBB3_7:
	s_load_dword s14, s[0:1], 0x20
	s_load_dword s3, s[0:1], 0x0
	s_lshl_b64 s[20:21], s[20:21], 3
	v_and_b32_e32 v76, 0x3ff, v0
	v_bfe_u32 v77, v0, 10, 10
	s_waitcnt lgkmcnt(0)
	s_ashr_i32 s15, s14, 31
	s_add_u32 s10, s10, s20
	s_addc_u32 s11, s11, s21
	s_add_i32 s3, s3, -1
	s_ashr_i32 s13, s3, 31
	s_lshr_b32 s13, s13, 24
	s_add_i32 s3, s3, s13
	s_ashr_i32 s3, s3, 8
	s_add_i32 s20, s3, 1
	v_cvt_f32_u32_e32 v1, s20
	s_not_b32 s3, s3
	s_load_dwordx2 s[10:11], s[10:11], 0x0
	v_lshl_add_u32 v6, v77, 5, v76
	v_rcp_iflag_f32_e32 v1, v1
	v_and_b32_e32 v63, 63, v6
	v_lshrrev_b32_e32 v62, 6, v6
	v_mul_f32_e32 v0, 0x4f7ffffe, v1
	v_cvt_u32_f32_e32 v0, v0
	s_nop 0
	v_readfirstlane_b32 s13, v0
	s_mul_i32 s3, s3, s13
	s_mul_hi_u32 s3, s13, s3
	s_add_i32 s13, s13, s3
	s_mul_hi_u32 s3, s2, s13
	s_mul_i32 s13, s3, s20
	s_sub_i32 s13, s2, s13
	s_add_i32 s21, s3, 1
	s_sub_i32 s22, s13, s20
	s_cmp_ge_u32 s13, s20
	s_cselect_b32 s3, s21, s3
	s_cselect_b32 s13, s22, s13
	s_add_i32 s21, s3, 1
	s_cmp_ge_u32 s13, s20
	s_cselect_b32 s13, s21, s3
	s_mul_i32 s3, s13, s20
	s_sub_i32 s20, s2, s3
	s_lshl_b32 s20, s20, 8
	v_or_b32_e32 v2, s20, v63
	v_mad_i64_i32 v[0:1], s[22:23], s14, v62, 0
	v_lshl_add_u64 v[4:5], v[0:1], 2, s[16:17]
	s_and_b64 vcc, exec, s[4:5]
	v_ashrrev_i32_e32 v3, 31, v2
	s_cbranch_vccnz .LBB3_10
; %bb.8:
	v_lshl_add_u64 v[0:1], v[2:3], 2, v[4:5]
	flat_load_dword v8, v[0:1]
	flat_load_dword v9, v[0:1] offset:256
	s_waitcnt vmcnt(0) lgkmcnt(0)
	v_pk_mul_f32 v[0:1], s[12:13], v[8:9] op_sel_hi:[0,1]
	s_and_b64 vcc, exec, s[4:5]
	s_cbranch_vccnz .LBB3_11
.LBB3_9:
	v_lshl_add_u64 v[4:5], v[2:3], 2, v[4:5]
	flat_load_dword v8, v[4:5] offset:512
	flat_load_dword v9, v[4:5] offset:768
	s_waitcnt vmcnt(0) lgkmcnt(0)
	v_pk_mul_f32 v[4:5], s[12:13], v[8:9] op_sel_hi:[0,1]
	s_branch .LBB3_12
.LBB3_10:
	v_mov_b32_e32 v0, 0
	v_mov_b32_e32 v1, 0
	s_and_b64 vcc, exec, s[4:5]
	s_cbranch_vccz .LBB3_9
.LBB3_11:
	v_mov_b32_e32 v4, 0
	v_mov_b32_e32 v5, 0
.LBB3_12:
	s_load_dword s23, s[0:1], 0x38
	v_and_b32_e32 v7, 3, v76
	v_lshrrev_b32_e32 v8, 2, v6
	s_lshl_b32 s21, s13, 6
	s_and_b64 vcc, exec, s[4:5]
	v_add_u32_e32 v64, s21, v8
	v_lshlrev_b32_e32 v56, 2, v7
	s_cbranch_vccnz .LBB3_14
; %bb.13:
	s_waitcnt lgkmcnt(0)
	v_mad_i64_i32 v[6:7], s[24:25], v64, s23, 0
	v_lshl_add_u64 v[6:7], v[6:7], 2, s[18:19]
	v_mov_b32_e32 v57, 0
	v_lshl_add_u64 v[6:7], v[6:7], 0, v[56:57]
	flat_load_dword v6, v[6:7]
	s_waitcnt vmcnt(0) lgkmcnt(0)
	v_mul_f32_e32 v9, s12, v6
	s_branch .LBB3_15
.LBB3_14:
	v_mov_b32_e32 v9, 0
.LBB3_15:
	v_add_u32_e32 v6, 4, v62
	v_mad_i64_i32 v[6:7], s[24:25], s14, v6, 0
	s_and_b64 vcc, exec, s[4:5]
	v_lshl_add_u64 v[6:7], v[6:7], 2, s[16:17]
	s_cbranch_vccnz .LBB3_19
; %bb.16:
	v_lshl_add_u64 v[10:11], v[2:3], 2, v[6:7]
	flat_load_dword v12, v[10:11]
	flat_load_dword v13, v[10:11] offset:256
	s_waitcnt vmcnt(0) lgkmcnt(0)
	v_pk_mul_f32 v[58:59], s[12:13], v[12:13] op_sel_hi:[0,1]
	s_and_b64 vcc, exec, s[4:5]
	s_cbranch_vccnz .LBB3_20
.LBB3_17:
	v_lshl_add_u64 v[2:3], v[2:3], 2, v[6:7]
	flat_load_dword v6, v[2:3] offset:512
	flat_load_dword v7, v[2:3] offset:768
	s_waitcnt vmcnt(0) lgkmcnt(0)
	v_pk_mul_f32 v[60:61], s[12:13], v[6:7] op_sel_hi:[0,1]
	s_and_b64 vcc, exec, s[4:5]
	s_cbranch_vccnz .LBB3_21
.LBB3_18:
	s_waitcnt lgkmcnt(0)
	v_mad_i64_i32 v[2:3], s[24:25], v64, s23, 0
	v_lshl_add_u64 v[2:3], v[2:3], 2, s[18:19]
	v_mov_b32_e32 v57, 0
	v_lshl_add_u64 v[2:3], v[2:3], 0, v[56:57]
	flat_load_dword v2, v[2:3] offset:16
	s_waitcnt vmcnt(0) lgkmcnt(0)
	v_mul_f32_e32 v65, s12, v2
	s_branch .LBB3_22
.LBB3_19:
	v_mov_b32_e32 v58, 0
	v_mov_b32_e32 v59, 0
	s_and_b64 vcc, exec, s[4:5]
	s_cbranch_vccz .LBB3_17
.LBB3_20:
	v_mov_b32_e32 v60, 0
	v_mov_b32_e32 v61, 0
	s_and_b64 vcc, exec, s[4:5]
	s_cbranch_vccz .LBB3_18
.LBB3_21:
	v_mov_b32_e32 v65, 0
.LBB3_22:
	v_lshlrev_b32_e32 v2, 2, v62
	v_lshl_add_u32 v80, v63, 4, v2
	v_lshl_or_b32 v57, v8, 4, v56
	v_lshlrev_b32_e32 v78, 4, v76
	v_lshlrev_b32_e32 v79, 4, v77
	ds_write2st64_b32 v80, v0, v1 offset1:4
	ds_write2st64_b32 v80, v4, v5 offset0:8 offset1:12
	ds_write_b32 v57, v9 offset:8192
	s_waitcnt lgkmcnt(0)
	s_barrier
	ds_read_b128 v[12:15], v78
	ds_read_b128 v[20:23], v78 offset:512
	ds_read_b128 v[24:27], v78 offset:1024
	;; [unrolled: 1-line block ×13, first 2 shown]
	s_waitcnt lgkmcnt(5)
	v_pk_add_f32 v[66:67], v[12:13], v[52:53]
	s_mov_b32 s13, 0x7f7fffff
	v_min3_f32 v68, v66, v67, s13
	v_pk_add_f32 v[66:67], v[20:21], v[52:53]
	s_load_dword s22, s[0:1], 0x8
	v_min3_f32 v69, v66, v67, s13
	v_pk_add_f32 v[66:67], v[24:25], v[52:53]
	s_waitcnt lgkmcnt(0)
	s_cmp_lt_i32 s22, 9
	v_min3_f32 v70, v66, v67, s13
	v_pk_add_f32 v[66:67], v[28:29], v[52:53]
	s_nop 0
	v_min3_f32 v71, v66, v67, s13
	v_pk_add_f32 v[66:67], v[16:17], v[52:53]
	s_nop 0
	v_min3_f32 v72, v66, v67, s13
	v_pk_add_f32 v[66:67], v[8:9], v[52:53]
	s_nop 0
	v_min3_f32 v73, v66, v67, s13
	v_pk_add_f32 v[66:67], v[4:5], v[52:53]
	v_pk_add_f32 v[52:53], v[0:1], v[52:53]
	v_min3_f32 v66, v66, v67, s13
	v_min3_f32 v67, v52, v53, s13
	v_pk_add_f32 v[52:53], v[12:13], v[48:49]
	s_nop 0
	v_min3_f32 v74, v52, v53, s13
	v_pk_add_f32 v[52:53], v[20:21], v[48:49]
	s_nop 0
	v_min3_f32 v75, v52, v53, s13
	v_pk_add_f32 v[52:53], v[24:25], v[48:49]
	s_nop 0
	v_min3_f32 v88, v52, v53, s13
	v_pk_add_f32 v[52:53], v[28:29], v[48:49]
	s_nop 0
	v_min3_f32 v89, v52, v53, s13
	v_pk_add_f32 v[52:53], v[16:17], v[48:49]
	s_nop 0
	v_min3_f32 v90, v52, v53, s13
	v_pk_add_f32 v[52:53], v[8:9], v[48:49]
	s_nop 0
	v_min3_f32 v91, v52, v53, s13
	v_pk_add_f32 v[52:53], v[4:5], v[48:49]
	v_pk_add_f32 v[48:49], v[0:1], v[48:49]
	v_min3_f32 v52, v52, v53, s13
	v_min3_f32 v53, v48, v49, s13
	v_pk_add_f32 v[48:49], v[12:13], v[44:45]
	s_nop 0
	v_min3_f32 v92, v48, v49, s13
	v_pk_add_f32 v[48:49], v[20:21], v[44:45]
	s_nop 0
	v_min3_f32 v93, v48, v49, s13
	v_pk_add_f32 v[48:49], v[24:25], v[44:45]
	s_nop 0
	;; [unrolled: 22-line block ×4, first 2 shown]
	v_min3_f32 v108, v40, v41, s13
	v_pk_add_f32 v[40:41], v[28:29], v[36:37]
	s_nop 0
	v_min3_f32 v109, v40, v41, s13
	v_pk_add_f32 v[40:41], v[16:17], v[36:37]
	s_nop 0
	;; [unrolled: 3-line block ×3, first 2 shown]
	v_min3_f32 v111, v40, v41, s13
	v_pk_add_f32 v[40:41], v[4:5], v[36:37]
	v_pk_add_f32 v[36:37], v[0:1], v[36:37]
	v_min3_f32 v112, v40, v41, s13
	v_min3_f32 v113, v36, v37, s13
	v_pk_add_f32 v[36:37], v[12:13], v[32:33]
	v_pk_add_f32 v[40:41], v[4:5], v[32:33]
	v_min3_f32 v114, v36, v37, s13
	v_pk_add_f32 v[36:37], v[20:21], v[32:33]
	v_min3_f32 v40, v40, v41, s13
	v_min3_f32 v141, v36, v37, s13
	v_pk_add_f32 v[36:37], v[24:25], v[32:33]
	s_nop 0
	v_min3_f32 v150, v36, v37, s13
	v_pk_add_f32 v[36:37], v[28:29], v[32:33]
	s_nop 0
	;; [unrolled: 3-line block ×10, first 2 shown]
	v_min3_f32 v66, v36, v37, s13
	v_pk_add_f32 v[36:37], v[8:9], v[32:33]
	v_pk_add_f32 v[32:33], v[0:1], v[32:33]
	v_min3_f32 v68, v36, v37, s13
	v_min3_f32 v41, v32, v33, s13
	v_pk_add_f32 v[32:33], v[14:15], v[50:51]
	v_pk_add_f32 v[36:37], v[2:3], v[54:55]
	v_min3_f32 v149, v32, v33, v74
	v_pk_add_f32 v[32:33], v[22:23], v[50:51]
	v_min3_f32 v148, v36, v37, v67
	v_min3_f32 v146, v32, v33, v75
	v_pk_add_f32 v[32:33], v[26:27], v[50:51]
	s_nop 0
	v_min3_f32 v147, v32, v33, v88
	v_pk_add_f32 v[32:33], v[30:31], v[50:51]
	s_nop 0
	;; [unrolled: 3-line block ×5, first 2 shown]
	v_min3_f32 v143, v32, v33, v52
	v_pk_add_f32 v[32:33], v[2:3], v[50:51]
	ds_read_b128 v[48:51], v79 offset:8960
	v_min3_f32 v139, v32, v33, v53
	ds_read_b128 v[52:55], v79 offset:9088
	v_pk_add_f32 v[32:33], v[14:15], v[46:47]
	ds_write2st64_b32 v80, v58, v59 offset0:16 offset1:20
	ds_write2st64_b32 v80, v60, v61 offset0:24 offset1:28
	ds_write_b32 v57, v65 offset:9216
	v_min3_f32 v140, v32, v33, v92
	v_pk_add_f32 v[32:33], v[22:23], v[46:47]
	s_waitcnt lgkmcnt(4)
	v_pk_add_f32 v[36:37], v[24:25], v[48:49]
	v_min3_f32 v137, v32, v33, v93
	v_pk_add_f32 v[32:33], v[26:27], v[46:47]
	s_waitcnt lgkmcnt(0)
	v_min3_f32 v138, v32, v33, v94
	v_pk_add_f32 v[32:33], v[30:31], v[46:47]
	s_barrier
	v_min3_f32 v135, v32, v33, v95
	v_pk_add_f32 v[32:33], v[18:19], v[46:47]
	s_nop 0
	v_min3_f32 v136, v32, v33, v96
	v_pk_add_f32 v[32:33], v[10:11], v[46:47]
	s_nop 0
	;; [unrolled: 3-line block ×3, first 2 shown]
	v_min3_f32 v132, v32, v33, v98
	v_pk_add_f32 v[32:33], v[12:13], v[48:49]
	v_pk_add_f32 v[12:13], v[12:13], v[52:53]
	v_min3_f32 v67, v32, v33, s13
	v_pk_add_f32 v[32:33], v[20:21], v[48:49]
	s_nop 0
	v_min3_f32 v69, v32, v33, s13
	v_pk_add_f32 v[32:33], v[2:3], v[46:47]
	v_min3_f32 v46, v36, v37, s13
	v_min3_f32 v134, v32, v33, v99
	v_pk_add_f32 v[32:33], v[14:15], v[42:43]
	v_pk_add_f32 v[36:37], v[28:29], v[48:49]
	v_min3_f32 v133, v32, v33, v100
	v_pk_add_f32 v[32:33], v[22:23], v[42:43]
	v_min3_f32 v47, v36, v37, s13
	v_min3_f32 v130, v32, v33, v101
	v_pk_add_f32 v[32:33], v[26:27], v[42:43]
	v_pk_add_f32 v[36:37], v[4:5], v[48:49]
	v_min3_f32 v129, v32, v33, v102
	v_pk_add_f32 v[32:33], v[30:31], v[42:43]
	v_pk_add_f32 v[4:5], v[4:5], v[52:53]
	v_min3_f32 v128, v32, v33, v103
	v_pk_add_f32 v[32:33], v[18:19], v[42:43]
	v_min3_f32 v4, v4, v5, s13
	v_min3_f32 v127, v32, v33, v104
	v_pk_add_f32 v[32:33], v[10:11], v[42:43]
	s_nop 0
	v_min3_f32 v126, v32, v33, v105
	v_pk_add_f32 v[32:33], v[6:7], v[42:43]
	s_nop 0
	;; [unrolled: 3-line block ×3, first 2 shown]
	v_min3_f32 v44, v32, v33, s13
	v_pk_add_f32 v[32:33], v[8:9], v[48:49]
	v_pk_add_f32 v[8:9], v[8:9], v[52:53]
	v_min3_f32 v70, v32, v33, s13
	v_pk_add_f32 v[32:33], v[2:3], v[42:43]
	v_min3_f32 v42, v36, v37, s13
	v_min3_f32 v124, v32, v33, v45
	v_pk_add_f32 v[32:33], v[14:15], v[38:39]
	v_pk_add_f32 v[36:37], v[0:1], v[48:49]
	v_min3_f32 v123, v32, v33, v106
	v_pk_add_f32 v[32:33], v[22:23], v[38:39]
	v_pk_add_f32 v[0:1], v[0:1], v[52:53]
	v_min3_f32 v122, v32, v33, v107
	v_pk_add_f32 v[32:33], v[26:27], v[38:39]
	v_min3_f32 v5, v0, v1, s13
	v_min3_f32 v121, v32, v33, v108
	v_pk_add_f32 v[32:33], v[30:31], v[38:39]
	v_pk_add_f32 v[0:1], v[14:15], v[54:55]
	v_min3_f32 v120, v32, v33, v109
	v_pk_add_f32 v[32:33], v[18:19], v[38:39]
	v_min3_f32 v36, v36, v37, s13
	v_min3_f32 v119, v32, v33, v110
	v_pk_add_f32 v[32:33], v[10:11], v[38:39]
	s_nop 0
	v_min3_f32 v118, v32, v33, v111
	v_pk_add_f32 v[32:33], v[6:7], v[38:39]
	s_nop 0
	;; [unrolled: 3-line block ×10, first 2 shown]
	v_min3_f32 v110, v32, v33, v40
	v_min3_f32 v32, v12, v13, s13
	v_pk_add_f32 v[12:13], v[20:21], v[52:53]
	v_pk_add_f32 v[20:21], v[24:25], v[52:53]
	v_min3_f32 v33, v12, v13, s13
	v_pk_add_f32 v[12:13], v[2:3], v[34:35]
	v_min3_f32 v100, v0, v1, v32
	v_min3_f32 v107, v12, v13, v41
	v_pk_add_f32 v[12:13], v[14:15], v[50:51]
	v_pk_add_f32 v[0:1], v[22:23], v[54:55]
	v_min3_f32 v108, v12, v13, v67
	v_pk_add_f32 v[12:13], v[22:23], v[50:51]
	;; [unrolled: 6-line block ×4, first 2 shown]
	v_min3_f32 v20, v20, v21, s13
	v_min3_f32 v101, v12, v13, v70
	v_pk_add_f32 v[12:13], v[6:7], v[50:51]
	v_min3_f32 v98, v0, v1, v24
	v_min3_f32 v102, v12, v13, v42
	v_pk_add_f32 v[12:13], v[16:17], v[52:53]
	v_pk_add_f32 v[0:1], v[30:31], v[54:55]
	v_min3_f32 v12, v12, v13, s13
	v_min3_f32 v94, v0, v1, v20
	v_pk_add_f32 v[0:1], v[18:19], v[54:55]
	v_min3_f32 v13, v8, v9, s13
	v_min3_f32 v95, v0, v1, v12
	v_pk_add_f32 v[0:1], v[10:11], v[54:55]
	v_pk_add_f32 v[8:9], v[2:3], v[50:51]
	v_min3_f32 v92, v0, v1, v13
	v_pk_add_f32 v[0:1], v[6:7], v[54:55]
	v_min3_f32 v99, v8, v9, v36
	v_min3_f32 v93, v0, v1, v4
	v_pk_add_f32 v[0:1], v[2:3], v[54:55]
	s_nop 0
	v_min3_f32 v96, v0, v1, v5
	s_cbranch_scc1 .LBB3_40
; %bb.23:
	v_mov_b32_e32 v0, 0x1000
	v_lshl_add_u32 v141, v76, 4, v0
	v_mov_b32_e32 v0, 0x2400
	v_add_u32_e32 v88, 0x2000, v57
	v_add_u32_e32 v91, 0x2400, v57
	v_lshl_add_u32 v150, v77, 4, v0
	v_mad_i64_i32 v[0:1], s[24:25], s23, v64, 0
	v_mov_b32_e32 v57, 0
	v_lshl_add_u64 v[0:1], v[0:1], 2, v[56:57]
	v_lshl_add_u64 v[0:1], v[0:1], 0, s[18:19]
	v_lshl_add_u64 v[64:65], v[0:1], 0, 32
	v_add_u32_e32 v0, 12, v62
	v_mad_i64_i32 v[0:1], s[18:19], v0, s14, 0
	v_lshlrev_b64 v[66:67], 2, v[0:1]
	v_lshl_or_b32 v0, s2, 8, v63
	s_lshl_b32 s2, s3, 8
	v_subrev_u32_e32 v0, s2, v0
	v_ashrrev_i32_e32 v1, 31, v0
	v_lshl_add_u64 v[68:69], v[0:1], 2, s[16:17]
	v_add_u32_e32 v0, 8, v62
	s_lshl_b64 s[2:3], s[14:15], 5
	v_mad_i64_i32 v[0:1], s[14:15], v0, s14, 0
	v_add_u32_e32 v89, 0x2000, v79
	v_add_u32_e32 v90, 0x1000, v80
	s_add_i32 s22, s22, -8
	s_mov_b32 s13, s12
	v_lshlrev_b64 v[70:71], 2, v[0:1]
	s_mov_b32 s14, 0
	s_branch .LBB3_26
.LBB3_24:                               ;   in Loop: Header=BB3_26 Depth=1
	flat_load_dword v0, v[64:65] offset:16
	s_waitcnt vmcnt(0) lgkmcnt(0)
	v_mul_f32_e32 v36, s12, v0
.LBB3_25:                               ;   in Loop: Header=BB3_26 Depth=1
	ds_read_b128 v[0:3], v78
	ds_read_b128 v[4:7], v78 offset:512
	ds_read_b128 v[8:11], v78 offset:1024
	;; [unrolled: 1-line block ×7, first 2 shown]
	ds_read_b128 v[122:125], v89
	ds_read_b128 v[126:129], v89 offset:128
	ds_read_b128 v[152:155], v89 offset:256
	;; [unrolled: 1-line block ×7, first 2 shown]
	s_waitcnt lgkmcnt(7)
	v_pk_add_f32 v[130:131], v[0:1], v[122:123]
	s_add_i32 s14, s14, 8
	v_min3_f32 v37, v130, v131, v37
	v_pk_add_f32 v[130:131], v[4:5], v[122:123]
	v_lshl_add_u64 v[64:65], v[64:65], 0, 32
	v_min3_f32 v132, v130, v131, v40
	v_pk_add_f32 v[130:131], v[8:9], v[122:123]
	s_cmp_ge_i32 s14, s22
	v_min3_f32 v130, v130, v131, v41
	v_pk_add_f32 v[40:41], v[12:13], v[122:123]
	v_lshl_add_u64 v[68:69], v[68:69], 0, s[2:3]
	v_min3_f32 v44, v40, v41, v44
	v_pk_add_f32 v[40:41], v[16:17], v[122:123]
	ds_write2st64_b32 v90, v72, v73 offset1:4
	ds_write2st64_b32 v90, v74, v75 offset0:8 offset1:12
	ds_write_b32 v91, v36
	v_min3_f32 v45, v40, v41, v45
	v_pk_add_f32 v[40:41], v[20:21], v[122:123]
	s_waitcnt lgkmcnt(0)
	v_min3_f32 v48, v40, v41, v48
	v_pk_add_f32 v[40:41], v[24:25], v[122:123]
	s_barrier
	v_min3_f32 v49, v40, v41, v49
	v_pk_add_f32 v[40:41], v[28:29], v[122:123]
	s_nop 0
	v_min3_f32 v52, v40, v41, v52
	v_pk_add_f32 v[40:41], v[0:1], v[126:127]
	s_nop 0
	;; [unrolled: 3-line block ×41, first 2 shown]
	v_min3_f32 v42, v40, v41, v42
	v_pk_add_f32 v[40:41], v[0:1], v[168:169]
	v_pk_add_f32 v[0:1], v[0:1], v[32:33]
	v_min3_f32 v43, v40, v41, v43
	v_min3_f32 v39, v0, v1, v39
	v_pk_add_f32 v[0:1], v[4:5], v[32:33]
	v_pk_add_f32 v[40:41], v[4:5], v[168:169]
	v_min3_f32 v4, v0, v1, v115
	v_pk_add_f32 v[0:1], v[8:9], v[32:33]
	v_min3_f32 v152, v40, v41, v109
	v_min3_f32 v5, v0, v1, v116
	v_pk_add_f32 v[0:1], v[12:13], v[32:33]
	v_pk_add_f32 v[40:41], v[8:9], v[168:169]
	v_min3_f32 v8, v0, v1, v117
	;; [unrolled: 6-line block ×7, first 2 shown]
	v_pk_add_f32 v[0:1], v[26:27], v[124:125]
	v_min3_f32 v38, v40, v41, v38
	v_min3_f32 v85, v0, v1, v49
	v_pk_add_f32 v[0:1], v[30:31], v[124:125]
	s_nop 0
	v_min3_f32 v148, v0, v1, v52
	v_pk_add_f32 v[0:1], v[2:3], v[128:129]
	s_nop 0
	;; [unrolled: 3-line block ×57, first 2 shown]
	v_min3_f32 v96, v0, v1, v16
	s_cbranch_scc1 .LBB3_40
.LBB3_26:                               ; =>This Inner Loop Header: Depth=1
	s_and_b64 vcc, exec, s[4:5]
	v_lshl_add_u64 v[0:1], v[68:69], 0, v[70:71]
	s_cbranch_vccnz .LBB3_30
; %bb.27:                               ;   in Loop: Header=BB3_26 Depth=1
	flat_load_dword v2, v[0:1]
	flat_load_dword v3, v[0:1] offset:256
	s_waitcnt vmcnt(0) lgkmcnt(0)
	v_pk_mul_f32 v[72:73], s[12:13], v[2:3]
	s_and_b64 vcc, exec, s[4:5]
	s_cbranch_vccnz .LBB3_31
.LBB3_28:                               ;   in Loop: Header=BB3_26 Depth=1
	flat_load_dword v2, v[0:1] offset:512
	flat_load_dword v3, v[0:1] offset:768
	s_waitcnt vmcnt(0) lgkmcnt(0)
	v_pk_mul_f32 v[74:75], s[12:13], v[2:3]
	s_and_b64 vcc, exec, s[4:5]
	s_cbranch_vccnz .LBB3_32
.LBB3_29:                               ;   in Loop: Header=BB3_26 Depth=1
	flat_load_dword v0, v[64:65]
	s_waitcnt vmcnt(0) lgkmcnt(0)
	v_mul_f32_e32 v151, s12, v0
	s_branch .LBB3_33
.LBB3_30:                               ;   in Loop: Header=BB3_26 Depth=1
	v_mov_b32_e32 v72, 0
	v_mov_b32_e32 v73, 0
	s_and_b64 vcc, exec, s[4:5]
	s_cbranch_vccz .LBB3_28
.LBB3_31:                               ;   in Loop: Header=BB3_26 Depth=1
	v_mov_b32_e32 v74, 0
	v_mov_b32_e32 v75, 0
	s_and_b64 vcc, exec, s[4:5]
	s_cbranch_vccz .LBB3_29
.LBB3_32:                               ;   in Loop: Header=BB3_26 Depth=1
	v_mov_b32_e32 v151, 0
.LBB3_33:                               ;   in Loop: Header=BB3_26 Depth=1
	ds_read_b128 v[28:31], v141
	ds_read_b128 v[24:27], v141 offset:512
	ds_read_b128 v[20:23], v141 offset:1024
	;; [unrolled: 1-line block ×7, first 2 shown]
	ds_read_b128 v[60:63], v150
	ds_read_b128 v[56:59], v150 offset:128
	ds_read_b128 v[52:55], v150 offset:256
	;; [unrolled: 1-line block ×7, first 2 shown]
	ds_write2st64_b32 v80, v72, v73 offset1:4
	ds_write2st64_b32 v80, v74, v75 offset0:8 offset1:12
	ds_write_b32 v88, v151
	s_and_b64 vcc, exec, s[4:5]
	v_lshl_add_u64 v[74:75], v[68:69], 0, v[66:67]
	s_waitcnt lgkmcnt(0)
	s_barrier
	s_cbranch_vccnz .LBB3_36
; %bb.34:                               ;   in Loop: Header=BB3_26 Depth=1
	flat_load_dword v72, v[74:75]
	flat_load_dword v73, v[74:75] offset:256
	s_waitcnt vmcnt(0) lgkmcnt(0)
	v_pk_mul_f32 v[72:73], s[12:13], v[72:73]
	s_and_b64 vcc, exec, s[4:5]
	s_cbranch_vccnz .LBB3_37
.LBB3_35:                               ;   in Loop: Header=BB3_26 Depth=1
	flat_load_dword v152, v[74:75] offset:512
	flat_load_dword v153, v[74:75] offset:768
	s_waitcnt vmcnt(0) lgkmcnt(0)
	v_pk_mul_f32 v[74:75], s[12:13], v[152:153]
	s_branch .LBB3_38
.LBB3_36:                               ;   in Loop: Header=BB3_26 Depth=1
	v_mov_b32_e32 v72, 0
	v_mov_b32_e32 v73, 0
	s_and_b64 vcc, exec, s[4:5]
	s_cbranch_vccz .LBB3_35
.LBB3_37:                               ;   in Loop: Header=BB3_26 Depth=1
	v_mov_b32_e32 v74, 0
	v_mov_b32_e32 v75, 0
.LBB3_38:                               ;   in Loop: Header=BB3_26 Depth=1
	v_pk_add_f32 v[152:153], v[28:29], v[60:61]
	s_and_b64 vcc, exec, s[4:5]
	v_min3_f32 v151, v152, v153, v87
	v_pk_add_f32 v[152:153], v[24:25], v[60:61]
	s_nop 0
	v_min3_f32 v154, v152, v153, v83
	v_pk_add_f32 v[152:153], v[20:21], v[60:61]
	s_nop 0
	v_min3_f32 v152, v152, v153, v86
	v_pk_add_f32 v[86:87], v[16:17], v[60:61]
	s_nop 0
	v_min3_f32 v81, v86, v87, v81
	v_pk_add_f32 v[86:87], v[12:13], v[60:61]
	s_nop 0
	v_min3_f32 v86, v86, v87, v82
	v_pk_add_f32 v[82:83], v[8:9], v[60:61]
	s_nop 0
	v_min3_f32 v84, v82, v83, v84
	v_pk_add_f32 v[82:83], v[4:5], v[60:61]
	v_pk_add_f32 v[60:61], v[0:1], v[60:61]
	v_min3_f32 v82, v82, v83, v85
	v_min3_f32 v83, v60, v61, v148
	v_pk_add_f32 v[60:61], v[28:29], v[56:57]
	s_nop 0
	v_min3_f32 v85, v60, v61, v149
	v_pk_add_f32 v[60:61], v[24:25], v[56:57]
	s_nop 0
	v_min3_f32 v87, v60, v61, v146
	v_pk_add_f32 v[60:61], v[20:21], v[56:57]
	s_nop 0
	v_min3_f32 v146, v60, v61, v147
	v_pk_add_f32 v[60:61], v[16:17], v[56:57]
	s_nop 0
	v_min3_f32 v144, v60, v61, v144
	v_pk_add_f32 v[60:61], v[12:13], v[56:57]
	s_nop 0
	v_min3_f32 v145, v60, v61, v145
	v_pk_add_f32 v[60:61], v[8:9], v[56:57]
	s_nop 0
	v_min3_f32 v142, v60, v61, v142
	v_pk_add_f32 v[60:61], v[4:5], v[56:57]
	v_pk_add_f32 v[56:57], v[0:1], v[56:57]
	v_min3_f32 v143, v60, v61, v143
	v_min3_f32 v139, v56, v57, v139
	v_pk_add_f32 v[56:57], v[28:29], v[52:53]
	s_nop 0
	;; [unrolled: 22-line block ×5, first 2 shown]
	v_min3_f32 v116, v44, v45, v116
	v_pk_add_f32 v[44:45], v[24:25], v[40:41]
	s_nop 0
	v_min3_f32 v113, v44, v45, v113
	v_pk_add_f32 v[44:45], v[20:21], v[40:41]
	s_nop 0
	;; [unrolled: 3-line block ×5, first 2 shown]
	v_min3_f32 v109, v44, v45, v109
	v_pk_add_f32 v[44:45], v[4:5], v[40:41]
	v_pk_add_f32 v[40:41], v[0:1], v[40:41]
	v_min3_f32 v110, v44, v45, v110
	v_min3_f32 v147, v40, v41, v107
	v_pk_add_f32 v[40:41], v[28:29], v[36:37]
	v_pk_add_f32 v[28:29], v[28:29], v[32:33]
	v_min3_f32 v148, v40, v41, v108
	v_pk_add_f32 v[40:41], v[24:25], v[36:37]
	v_pk_add_f32 v[24:25], v[24:25], v[32:33]
	v_min3_f32 v149, v40, v41, v105
	v_pk_add_f32 v[40:41], v[20:21], v[36:37]
	v_min3_f32 v24, v24, v25, v97
	v_min3_f32 v153, v40, v41, v106
	v_pk_add_f32 v[40:41], v[16:17], v[36:37]
	v_pk_add_f32 v[16:17], v[16:17], v[32:33]
	v_min3_f32 v155, v40, v41, v103
	v_pk_add_f32 v[40:41], v[12:13], v[36:37]
	v_min3_f32 v16, v16, v17, v94
	v_min3_f32 v156, v40, v41, v104
	v_pk_add_f32 v[40:41], v[8:9], v[36:37]
	v_pk_add_f32 v[8:9], v[8:9], v[32:33]
	v_min3_f32 v157, v40, v41, v101
	v_pk_add_f32 v[40:41], v[4:5], v[36:37]
	v_pk_add_f32 v[36:37], v[0:1], v[36:37]
	;; [unrolled: 1-line block ×4, first 2 shown]
	v_min3_f32 v4, v4, v5, v93
	v_min3_f32 v5, v0, v1, v96
	v_pk_add_f32 v[0:1], v[30:31], v[62:63]
	v_min3_f32 v36, v36, v37, v99
	v_min3_f32 v37, v0, v1, v151
	v_pk_add_f32 v[0:1], v[26:27], v[62:63]
	;; [unrolled: 3-line block ×4, first 2 shown]
	v_pk_add_f32 v[12:13], v[12:13], v[32:33]
	v_min3_f32 v44, v0, v1, v81
	v_pk_add_f32 v[0:1], v[14:15], v[62:63]
	v_min3_f32 v12, v12, v13, v95
	v_min3_f32 v45, v0, v1, v86
	v_pk_add_f32 v[0:1], v[10:11], v[62:63]
	v_pk_add_f32 v[20:21], v[20:21], v[32:33]
	v_min3_f32 v48, v0, v1, v84
	v_pk_add_f32 v[0:1], v[6:7], v[62:63]
	v_min3_f32 v20, v20, v21, v98
	v_min3_f32 v49, v0, v1, v82
	v_pk_add_f32 v[0:1], v[2:3], v[62:63]
	v_min3_f32 v28, v28, v29, v100
	v_min3_f32 v52, v0, v1, v83
	v_pk_add_f32 v[0:1], v[30:31], v[58:59]
	s_nop 0
	v_min3_f32 v53, v0, v1, v85
	v_pk_add_f32 v[0:1], v[26:27], v[58:59]
	s_nop 0
	;; [unrolled: 3-line block ×56, first 2 shown]
	v_min3_f32 v121, v0, v1, v5
	s_cbranch_vccz .LBB3_24
; %bb.39:                               ;   in Loop: Header=BB3_26 Depth=1
	v_mov_b32_e32 v36, 0
	s_branch .LBB3_25
.LBB3_40:
	s_load_dwordx2 s[2:3], s[0:1], 0x78
	ds_read_b128 v[32:35], v78 offset:4096
	ds_read_b128 v[60:63], v79 offset:9216
	s_load_dword s4, s[0:1], 0x58
	s_load_dword s5, s[0:1], 0x70
	v_add_u32_e32 v68, s20, v76
	v_add_u32_e32 v141, s21, v77
	s_waitcnt lgkmcnt(0)
	s_lshl_b64 s[0:1], s[2:3], 2
	v_pk_add_f32 v[0:1], v[32:33], v[60:61]
	s_add_u32 s0, s10, s0
	v_min3_f32 v2, v0, v1, v87
	v_pk_add_f32 v[0:1], v[34:35], v[62:63]
	s_addc_u32 s1, s11, s1
	v_min3_f32 v2, v0, v1, v2
	v_add_u32_e32 v64, 32, v68
	v_mad_i64_i32 v[0:1], s[2:3], v141, s5, 0
	v_ashrrev_i32_e32 v69, 31, v68
	v_ashrrev_i32_e32 v65, 31, v64
	v_lshl_add_u64 v[88:89], v[0:1], 2, s[0:1]
	v_mad_i64_i32 v[0:1], s[2:3], v141, s4, 0
	v_max_f32_e32 v2, v2, v2
	s_mov_b64 vcc, s[6:7]
	s_cbranch_vccz .LBB3_42
; %bb.41:
	v_min_f32_e32 v3, 0, v2
	v_lshl_add_u64 v[4:5], v[68:69], 2, v[88:89]
	s_mov_b32 s10, 0
	global_store_dword v[4:5], v3, off
	s_mov_b64 s[2:3], 0
	s_branch .LBB3_43
.LBB3_42:
	s_mov_b64 s[2:3], -1
                                        ; implicit-def: $sgpr10
.LBB3_43:
	ds_read_b128 v[28:31], v78 offset:4608
	ds_read_b128 v[24:27], v78 offset:5120
	v_lshl_add_u64 v[90:91], v[0:1], 2, s[8:9]
	s_andn2_b64 vcc, exec, s[2:3]
	v_lshlrev_b64 v[72:73], 2, v[68:69]
	s_cbranch_vccnz .LBB3_45
; %bb.44:
	v_lshl_add_u64 v[0:1], v[90:91], 0, v[72:73]
	flat_load_dword v3, v[0:1]
	v_lshl_add_u64 v[0:1], v[88:89], 0, v[72:73]
	s_waitcnt vmcnt(0) lgkmcnt(0)
	v_mul_f32_e32 v3, s26, v3
	v_min_f32_e32 v2, v3, v2
	global_store_dword v[0:1], v2, off
	v_lshl_add_u64 v[0:1], v[64:65], 2, v[90:91]
	flat_load_dword v0, v[0:1]
	s_waitcnt vmcnt(0) lgkmcnt(0)
	v_mul_f32_e32 v70, s26, v0
	s_branch .LBB3_46
.LBB3_45:
	v_mov_b32_e32 v70, s10
.LBB3_46:
	ds_read_b128 v[20:23], v78 offset:5632
	ds_read_b128 v[16:19], v78 offset:6144
	;; [unrolled: 1-line block ×12, first 2 shown]
	s_waitcnt lgkmcnt(13)
	v_pk_add_f32 v[66:67], v[28:29], v[60:61]
	s_mov_b64 vcc, s[6:7]
	v_min3_f32 v71, v66, v67, v83
	s_waitcnt lgkmcnt(12)
	v_pk_add_f32 v[66:67], v[24:25], v[60:61]
	s_nop 0
	v_min3_f32 v74, v66, v67, v86
	v_pk_add_f32 v[66:67], v[30:31], v[62:63]
	s_nop 0
	v_min_f32_e32 v76, v66, v67
	v_pk_add_f32 v[66:67], v[26:27], v[62:63]
	v_min3_f32 v76, v70, v76, v71
	v_min3_f32 v77, v66, v67, v74
	v_add_u32_e32 v74, 64, v68
	v_add_u32_e32 v66, 0x60, v68
	v_lshl_add_u64 v[70:71], v[64:65], 2, v[88:89]
	v_ashrrev_i32_e32 v75, 31, v74
	v_ashrrev_i32_e32 v67, 31, v66
	global_store_dword v[70:71], v76, off
	v_max_f32_e32 v70, v77, v77
	s_cbranch_vccz .LBB3_49
; %bb.47:
	v_min_f32_e32 v71, 0, v70
	v_lshl_add_u64 v[76:77], v[74:75], 2, v[88:89]
	s_mov_b32 s10, 0
	global_store_dword v[76:77], v71, off
	v_lshlrev_b64 v[78:79], 2, v[74:75]
	s_cbranch_execz .LBB3_50
; %bb.48:
	v_mov_b32_e32 v76, s10
	s_branch .LBB3_51
.LBB3_49:
                                        ; implicit-def: $sgpr10
	v_lshlrev_b64 v[78:79], 2, v[74:75]
.LBB3_50:
	v_lshl_add_u64 v[76:77], v[90:91], 0, v[78:79]
	flat_load_dword v71, v[76:77]
	v_lshl_add_u64 v[76:77], v[88:89], 0, v[78:79]
	s_waitcnt vmcnt(0) lgkmcnt(0)
	v_mul_f32_e32 v71, s26, v71
	v_min_f32_e32 v70, v71, v70
	global_store_dword v[76:77], v70, off
	v_lshl_add_u64 v[70:71], v[66:67], 2, v[90:91]
	flat_load_dword v70, v[70:71]
	s_waitcnt vmcnt(0) lgkmcnt(0)
	v_mul_f32_e32 v76, s26, v70
.LBB3_51:
	s_waitcnt lgkmcnt(11)
	v_pk_add_f32 v[70:71], v[20:21], v[60:61]
	s_mov_b64 vcc, s[6:7]
	v_min3_f32 v77, v70, v71, v81
	s_waitcnt lgkmcnt(10)
	v_pk_add_f32 v[70:71], v[16:17], v[60:61]
	s_nop 0
	v_min3_f32 v80, v70, v71, v82
	v_pk_add_f32 v[70:71], v[22:23], v[62:63]
	s_nop 0
	v_min_f32_e32 v82, v70, v71
	v_pk_add_f32 v[70:71], v[18:19], v[62:63]
	v_min3_f32 v82, v76, v82, v77
	v_min3_f32 v83, v70, v71, v80
	v_add_u32_e32 v80, 0x80, v68
	v_add_u32_e32 v70, 0xa0, v68
	v_lshl_add_u64 v[76:77], v[66:67], 2, v[88:89]
	v_ashrrev_i32_e32 v81, 31, v80
	v_ashrrev_i32_e32 v71, 31, v70
	global_store_dword v[76:77], v82, off
	v_max_f32_e32 v76, v83, v83
	s_cbranch_vccz .LBB3_54
; %bb.52:
	v_min_f32_e32 v77, 0, v76
	v_lshl_add_u64 v[82:83], v[80:81], 2, v[88:89]
	s_mov_b32 s10, 0
	global_store_dword v[82:83], v77, off
	v_lshlrev_b64 v[82:83], 2, v[80:81]
	s_cbranch_execz .LBB3_55
; %bb.53:
	v_mov_b32_e32 v86, s10
	s_branch .LBB3_56
.LBB3_54:
                                        ; implicit-def: $sgpr10
	v_lshlrev_b64 v[82:83], 2, v[80:81]
.LBB3_55:
	v_lshl_add_u64 v[86:87], v[90:91], 0, v[82:83]
	flat_load_dword v77, v[86:87]
	v_lshl_add_u64 v[86:87], v[88:89], 0, v[82:83]
	s_waitcnt vmcnt(0) lgkmcnt(0)
	v_mul_f32_e32 v77, s26, v77
	v_min_f32_e32 v76, v77, v76
	global_store_dword v[86:87], v76, off
	v_lshl_add_u64 v[76:77], v[70:71], 2, v[90:91]
	flat_load_dword v76, v[76:77]
	s_waitcnt vmcnt(0) lgkmcnt(0)
	v_mul_f32_e32 v86, s26, v76
.LBB3_56:
	s_waitcnt lgkmcnt(9)
	v_pk_add_f32 v[76:77], v[12:13], v[60:61]
	s_mov_b64 vcc, s[6:7]
	v_min3_f32 v87, v76, v77, v84
	s_waitcnt lgkmcnt(8)
	v_pk_add_f32 v[76:77], v[8:9], v[60:61]
	s_nop 0
	v_min3_f32 v84, v76, v77, v85
	v_pk_add_f32 v[76:77], v[14:15], v[62:63]
	s_nop 0
	v_min_f32_e32 v150, v76, v77
	v_pk_add_f32 v[76:77], v[10:11], v[62:63]
	v_min3_f32 v150, v86, v150, v87
	v_min3_f32 v151, v76, v77, v84
	v_add_u32_e32 v84, 0xc0, v68
	v_add_u32_e32 v76, 0xe0, v68
	v_lshl_add_u64 v[86:87], v[70:71], 2, v[88:89]
	v_ashrrev_i32_e32 v85, 31, v84
	v_ashrrev_i32_e32 v77, 31, v76
	global_store_dword v[86:87], v150, off
	v_max_f32_e32 v150, v151, v151
	s_cbranch_vccz .LBB3_59
; %bb.57:
	v_min_f32_e32 v151, 0, v150
	v_lshl_add_u64 v[86:87], v[84:85], 2, v[88:89]
	s_mov_b32 s10, 0
	global_store_dword v[86:87], v151, off
	v_lshlrev_b64 v[86:87], 2, v[84:85]
	s_cbranch_execz .LBB3_60
; %bb.58:
	v_mov_b32_e32 v90, s10
	s_branch .LBB3_61
.LBB3_59:
                                        ; implicit-def: $sgpr10
	v_lshlrev_b64 v[86:87], 2, v[84:85]
.LBB3_60:
	v_lshl_add_u64 v[152:153], v[90:91], 0, v[86:87]
	flat_load_dword v151, v[152:153]
	v_lshl_add_u64 v[152:153], v[88:89], 0, v[86:87]
	v_lshl_add_u64 v[90:91], v[76:77], 2, v[90:91]
	s_waitcnt vmcnt(0) lgkmcnt(0)
	v_mul_f32_e32 v151, s26, v151
	v_min_f32_e32 v150, v151, v150
	global_store_dword v[152:153], v150, off
	flat_load_dword v90, v[90:91]
	s_waitcnt vmcnt(0) lgkmcnt(0)
	v_mul_f32_e32 v90, s26, v90
.LBB3_61:
	s_waitcnt lgkmcnt(7)
	v_pk_add_f32 v[60:61], v[0:1], v[60:61]
	s_mov_b64 vcc, s[6:7]
	v_min3_f32 v91, v60, v61, v148
	s_waitcnt lgkmcnt(6)
	v_pk_add_f32 v[60:61], v[32:33], v[56:57]
	s_nop 0
	v_min3_f32 v148, v60, v61, v149
	v_pk_add_f32 v[60:61], v[2:3], v[62:63]
	s_nop 0
	v_min_f32_e32 v62, v60, v61
	v_pk_add_f32 v[60:61], v[34:35], v[58:59]
	v_min3_f32 v62, v90, v62, v91
	v_min3_f32 v148, v60, v61, v148
	v_lshl_add_u64 v[60:61], v[76:77], 2, v[88:89]
	global_store_dword v[60:61], v62, off
	v_add_u32_e32 v62, 8, v141
	v_mad_i64_i32 v[60:61], s[2:3], v62, s5, 0
	v_lshl_add_u64 v[60:61], v[60:61], 2, s[0:1]
	v_mad_i64_i32 v[62:63], s[2:3], v62, s4, 0
	v_max_f32_e32 v88, v148, v148
	s_cbranch_vccz .LBB3_64
; %bb.62:
	v_min_f32_e32 v89, 0, v88
	v_lshl_add_u64 v[90:91], v[68:69], 2, v[60:61]
	s_mov_b32 s10, 0
	global_store_dword v[90:91], v89, off
	v_lshl_add_u64 v[62:63], v[62:63], 2, s[8:9]
	s_cbranch_execz .LBB3_65
; %bb.63:
	v_mov_b32_e32 v88, s10
	s_branch .LBB3_66
.LBB3_64:
                                        ; implicit-def: $sgpr10
	v_lshl_add_u64 v[62:63], v[62:63], 2, s[8:9]
.LBB3_65:
	v_lshl_add_u64 v[90:91], v[62:63], 0, v[72:73]
	flat_load_dword v89, v[90:91]
	v_lshl_add_u64 v[90:91], v[60:61], 0, v[72:73]
	s_waitcnt vmcnt(0) lgkmcnt(0)
	v_mul_f32_e32 v89, s26, v89
	v_min_f32_e32 v88, v89, v88
	global_store_dword v[90:91], v88, off
	v_lshl_add_u64 v[88:89], v[64:65], 2, v[62:63]
	flat_load_dword v88, v[88:89]
	s_waitcnt vmcnt(0) lgkmcnt(0)
	v_mul_f32_e32 v88, s26, v88
.LBB3_66:
	v_pk_add_f32 v[90:91], v[28:29], v[56:57]
	s_mov_b64 vcc, s[6:7]
	v_min3_f32 v89, v90, v91, v146
	v_pk_add_f32 v[90:91], v[24:25], v[56:57]
	s_nop 0
	v_min3_f32 v146, v90, v91, v147
	v_pk_add_f32 v[90:91], v[30:31], v[58:59]
	s_nop 0
	v_min_f32_e32 v147, v90, v91
	v_pk_add_f32 v[90:91], v[26:27], v[58:59]
	s_nop 0
	v_min3_f32 v90, v90, v91, v146
	v_min3_f32 v91, v88, v147, v89
	v_lshl_add_u64 v[88:89], v[64:65], 2, v[60:61]
	global_store_dword v[88:89], v91, off
	v_max_f32_e32 v88, v90, v90
	s_cbranch_vccz .LBB3_69
; %bb.67:
	v_min_f32_e32 v89, 0, v88
	v_lshl_add_u64 v[90:91], v[74:75], 2, v[60:61]
	s_mov_b32 s10, 0
	global_store_dword v[90:91], v89, off
	s_cbranch_execz .LBB3_70
; %bb.68:
	v_mov_b32_e32 v88, s10
	s_branch .LBB3_71
.LBB3_69:
                                        ; implicit-def: $sgpr10
.LBB3_70:
	v_lshl_add_u64 v[90:91], v[62:63], 0, v[78:79]
	flat_load_dword v89, v[90:91]
	v_lshl_add_u64 v[90:91], v[60:61], 0, v[78:79]
	s_waitcnt vmcnt(0) lgkmcnt(0)
	v_mul_f32_e32 v89, s26, v89
	v_min_f32_e32 v88, v89, v88
	global_store_dword v[90:91], v88, off
	v_lshl_add_u64 v[88:89], v[66:67], 2, v[62:63]
	flat_load_dword v88, v[88:89]
	s_waitcnt vmcnt(0) lgkmcnt(0)
	v_mul_f32_e32 v88, s26, v88
.LBB3_71:
	v_pk_add_f32 v[90:91], v[20:21], v[56:57]
	s_mov_b64 vcc, s[6:7]
	v_min3_f32 v89, v90, v91, v144
	v_pk_add_f32 v[90:91], v[16:17], v[56:57]
	s_nop 0
	v_min3_f32 v144, v90, v91, v145
	v_pk_add_f32 v[90:91], v[22:23], v[58:59]
	s_nop 0
	v_min_f32_e32 v145, v90, v91
	v_pk_add_f32 v[90:91], v[18:19], v[58:59]
	s_nop 0
	v_min3_f32 v90, v90, v91, v144
	v_min3_f32 v91, v88, v145, v89
	v_lshl_add_u64 v[88:89], v[66:67], 2, v[60:61]
	global_store_dword v[88:89], v91, off
	v_max_f32_e32 v88, v90, v90
	s_cbranch_vccz .LBB3_74
; %bb.72:
	v_min_f32_e32 v89, 0, v88
	v_lshl_add_u64 v[90:91], v[80:81], 2, v[60:61]
	s_mov_b32 s10, 0
	global_store_dword v[90:91], v89, off
	s_cbranch_execz .LBB3_75
; %bb.73:
	v_mov_b32_e32 v88, s10
	s_branch .LBB3_76
.LBB3_74:
                                        ; implicit-def: $sgpr10
.LBB3_75:
	v_lshl_add_u64 v[90:91], v[62:63], 0, v[82:83]
	flat_load_dword v89, v[90:91]
	v_lshl_add_u64 v[90:91], v[60:61], 0, v[82:83]
	s_waitcnt vmcnt(0) lgkmcnt(0)
	v_mul_f32_e32 v89, s26, v89
	v_min_f32_e32 v88, v89, v88
	global_store_dword v[90:91], v88, off
	v_lshl_add_u64 v[88:89], v[70:71], 2, v[62:63]
	flat_load_dword v88, v[88:89]
	s_waitcnt vmcnt(0) lgkmcnt(0)
	v_mul_f32_e32 v88, s26, v88
.LBB3_76:
	v_pk_add_f32 v[90:91], v[12:13], v[56:57]
	s_mov_b64 vcc, s[6:7]
	v_min3_f32 v89, v90, v91, v142
	v_pk_add_f32 v[90:91], v[8:9], v[56:57]
	s_nop 0
	v_min3_f32 v142, v90, v91, v143
	v_pk_add_f32 v[90:91], v[14:15], v[58:59]
	s_nop 0
	v_min_f32_e32 v143, v90, v91
	v_pk_add_f32 v[90:91], v[10:11], v[58:59]
	s_nop 0
	v_min3_f32 v90, v90, v91, v142
	v_min3_f32 v91, v88, v143, v89
	v_lshl_add_u64 v[88:89], v[70:71], 2, v[60:61]
	global_store_dword v[88:89], v91, off
	v_max_f32_e32 v88, v90, v90
	s_cbranch_vccz .LBB3_79
; %bb.77:
	v_min_f32_e32 v89, 0, v88
	v_lshl_add_u64 v[90:91], v[84:85], 2, v[60:61]
	s_mov_b32 s10, 0
	global_store_dword v[90:91], v89, off
	s_cbranch_execz .LBB3_80
; %bb.78:
	v_mov_b32_e32 v62, s10
	s_branch .LBB3_81
.LBB3_79:
                                        ; implicit-def: $sgpr10
.LBB3_80:
	v_lshl_add_u64 v[90:91], v[62:63], 0, v[86:87]
	flat_load_dword v89, v[90:91]
	v_lshl_add_u64 v[90:91], v[60:61], 0, v[86:87]
	v_lshl_add_u64 v[62:63], v[76:77], 2, v[62:63]
	s_waitcnt vmcnt(0) lgkmcnt(0)
	v_mul_f32_e32 v89, s26, v89
	v_min_f32_e32 v88, v89, v88
	global_store_dword v[90:91], v88, off
	flat_load_dword v62, v[62:63]
	s_waitcnt vmcnt(0) lgkmcnt(0)
	v_mul_f32_e32 v62, s26, v62
.LBB3_81:
	v_pk_add_f32 v[56:57], v[0:1], v[56:57]
	s_mov_b64 vcc, s[6:7]
	v_min3_f32 v63, v56, v57, v139
	s_waitcnt lgkmcnt(5)
	v_pk_add_f32 v[56:57], v[32:33], v[52:53]
	s_nop 0
	v_min3_f32 v88, v56, v57, v140
	v_pk_add_f32 v[56:57], v[2:3], v[58:59]
	s_nop 0
	v_min_f32_e32 v58, v56, v57
	v_pk_add_f32 v[56:57], v[34:35], v[54:55]
	v_min3_f32 v58, v62, v58, v63
	v_min3_f32 v88, v56, v57, v88
	v_lshl_add_u64 v[56:57], v[76:77], 2, v[60:61]
	global_store_dword v[56:57], v58, off
	v_add_u32_e32 v58, 16, v141
	v_mad_i64_i32 v[56:57], s[2:3], v58, s5, 0
	v_lshl_add_u64 v[56:57], v[56:57], 2, s[0:1]
	v_mad_i64_i32 v[58:59], s[2:3], v58, s4, 0
	v_max_f32_e32 v60, v88, v88
	s_cbranch_vccz .LBB3_84
; %bb.82:
	v_min_f32_e32 v61, 0, v60
	v_lshl_add_u64 v[62:63], v[68:69], 2, v[56:57]
	s_mov_b32 s10, 0
	global_store_dword v[62:63], v61, off
	v_lshl_add_u64 v[58:59], v[58:59], 2, s[8:9]
	s_cbranch_execz .LBB3_85
; %bb.83:
	v_mov_b32_e32 v60, s10
	s_branch .LBB3_86
.LBB3_84:
                                        ; implicit-def: $sgpr10
	v_lshl_add_u64 v[58:59], v[58:59], 2, s[8:9]
.LBB3_85:
	v_lshl_add_u64 v[62:63], v[58:59], 0, v[72:73]
	flat_load_dword v61, v[62:63]
	v_lshl_add_u64 v[62:63], v[56:57], 0, v[72:73]
	s_waitcnt vmcnt(0) lgkmcnt(0)
	v_mul_f32_e32 v61, s26, v61
	v_min_f32_e32 v60, v61, v60
	global_store_dword v[62:63], v60, off
	v_lshl_add_u64 v[60:61], v[64:65], 2, v[58:59]
	flat_load_dword v60, v[60:61]
	s_waitcnt vmcnt(0) lgkmcnt(0)
	v_mul_f32_e32 v60, s26, v60
.LBB3_86:
	v_pk_add_f32 v[62:63], v[28:29], v[52:53]
	s_mov_b64 vcc, s[6:7]
	v_min3_f32 v61, v62, v63, v137
	v_pk_add_f32 v[62:63], v[24:25], v[52:53]
	s_nop 0
	v_min3_f32 v88, v62, v63, v138
	v_pk_add_f32 v[62:63], v[30:31], v[54:55]
	s_nop 0
	v_min_f32_e32 v89, v62, v63
	v_pk_add_f32 v[62:63], v[26:27], v[54:55]
	s_nop 0
	v_min3_f32 v62, v62, v63, v88
	v_min3_f32 v63, v60, v89, v61
	v_lshl_add_u64 v[60:61], v[64:65], 2, v[56:57]
	global_store_dword v[60:61], v63, off
	v_max_f32_e32 v60, v62, v62
	s_cbranch_vccz .LBB3_89
; %bb.87:
	v_min_f32_e32 v61, 0, v60
	v_lshl_add_u64 v[62:63], v[74:75], 2, v[56:57]
	s_mov_b32 s10, 0
	global_store_dword v[62:63], v61, off
	s_cbranch_execz .LBB3_90
; %bb.88:
	v_mov_b32_e32 v60, s10
	s_branch .LBB3_91
.LBB3_89:
                                        ; implicit-def: $sgpr10
.LBB3_90:
	v_lshl_add_u64 v[62:63], v[58:59], 0, v[78:79]
	flat_load_dword v61, v[62:63]
	v_lshl_add_u64 v[62:63], v[56:57], 0, v[78:79]
	s_waitcnt vmcnt(0) lgkmcnt(0)
	v_mul_f32_e32 v61, s26, v61
	v_min_f32_e32 v60, v61, v60
	global_store_dword v[62:63], v60, off
	v_lshl_add_u64 v[60:61], v[66:67], 2, v[58:59]
	flat_load_dword v60, v[60:61]
	s_waitcnt vmcnt(0) lgkmcnt(0)
	v_mul_f32_e32 v60, s26, v60
.LBB3_91:
	v_pk_add_f32 v[62:63], v[20:21], v[52:53]
	s_mov_b64 vcc, s[6:7]
	v_min3_f32 v61, v62, v63, v135
	v_pk_add_f32 v[62:63], v[16:17], v[52:53]
	s_nop 0
	v_min3_f32 v88, v62, v63, v136
	v_pk_add_f32 v[62:63], v[22:23], v[54:55]
	s_nop 0
	v_min_f32_e32 v89, v62, v63
	v_pk_add_f32 v[62:63], v[18:19], v[54:55]
	s_nop 0
	v_min3_f32 v62, v62, v63, v88
	v_min3_f32 v63, v60, v89, v61
	v_lshl_add_u64 v[60:61], v[66:67], 2, v[56:57]
	global_store_dword v[60:61], v63, off
	v_max_f32_e32 v60, v62, v62
	s_cbranch_vccz .LBB3_94
; %bb.92:
	v_min_f32_e32 v61, 0, v60
	v_lshl_add_u64 v[62:63], v[80:81], 2, v[56:57]
	s_mov_b32 s10, 0
	global_store_dword v[62:63], v61, off
	s_cbranch_execz .LBB3_95
; %bb.93:
	v_mov_b32_e32 v60, s10
	s_branch .LBB3_96
.LBB3_94:
                                        ; implicit-def: $sgpr10
.LBB3_95:
	v_lshl_add_u64 v[62:63], v[58:59], 0, v[82:83]
	flat_load_dword v61, v[62:63]
	v_lshl_add_u64 v[62:63], v[56:57], 0, v[82:83]
	s_waitcnt vmcnt(0) lgkmcnt(0)
	v_mul_f32_e32 v61, s26, v61
	v_min_f32_e32 v60, v61, v60
	global_store_dword v[62:63], v60, off
	v_lshl_add_u64 v[60:61], v[70:71], 2, v[58:59]
	flat_load_dword v60, v[60:61]
	s_waitcnt vmcnt(0) lgkmcnt(0)
	v_mul_f32_e32 v60, s26, v60
.LBB3_96:
	v_pk_add_f32 v[62:63], v[12:13], v[52:53]
	s_mov_b64 vcc, s[6:7]
	v_min3_f32 v61, v62, v63, v131
	v_pk_add_f32 v[62:63], v[8:9], v[52:53]
	s_nop 0
	v_min3_f32 v88, v62, v63, v132
	v_pk_add_f32 v[62:63], v[14:15], v[54:55]
	s_nop 0
	v_min_f32_e32 v89, v62, v63
	v_pk_add_f32 v[62:63], v[10:11], v[54:55]
	s_nop 0
	v_min3_f32 v62, v62, v63, v88
	v_min3_f32 v63, v60, v89, v61
	v_lshl_add_u64 v[60:61], v[70:71], 2, v[56:57]
	global_store_dword v[60:61], v63, off
	v_max_f32_e32 v60, v62, v62
	s_cbranch_vccz .LBB3_99
; %bb.97:
	v_min_f32_e32 v61, 0, v60
	v_lshl_add_u64 v[62:63], v[84:85], 2, v[56:57]
	s_mov_b32 s10, 0
	global_store_dword v[62:63], v61, off
	s_cbranch_execz .LBB3_100
; %bb.98:
	v_mov_b32_e32 v58, s10
	s_branch .LBB3_101
.LBB3_99:
                                        ; implicit-def: $sgpr10
.LBB3_100:
	v_lshl_add_u64 v[62:63], v[58:59], 0, v[86:87]
	flat_load_dword v61, v[62:63]
	v_lshl_add_u64 v[62:63], v[56:57], 0, v[86:87]
	v_lshl_add_u64 v[58:59], v[76:77], 2, v[58:59]
	s_waitcnt vmcnt(0) lgkmcnt(0)
	v_mul_f32_e32 v61, s26, v61
	v_min_f32_e32 v60, v61, v60
	global_store_dword v[62:63], v60, off
	flat_load_dword v58, v[58:59]
	s_waitcnt vmcnt(0) lgkmcnt(0)
	v_mul_f32_e32 v58, s26, v58
.LBB3_101:
	v_pk_add_f32 v[52:53], v[0:1], v[52:53]
	s_mov_b64 vcc, s[6:7]
	v_min3_f32 v59, v52, v53, v134
	s_waitcnt lgkmcnt(4)
	v_pk_add_f32 v[52:53], v[32:33], v[48:49]
	s_nop 0
	v_min3_f32 v60, v52, v53, v133
	v_pk_add_f32 v[52:53], v[2:3], v[54:55]
	s_nop 0
	v_min_f32_e32 v54, v52, v53
	v_pk_add_f32 v[52:53], v[34:35], v[50:51]
	v_min3_f32 v54, v58, v54, v59
	v_min3_f32 v60, v52, v53, v60
	v_lshl_add_u64 v[52:53], v[76:77], 2, v[56:57]
	global_store_dword v[52:53], v54, off
	v_add_u32_e32 v54, 24, v141
	v_mad_i64_i32 v[52:53], s[2:3], v54, s5, 0
	v_lshl_add_u64 v[52:53], v[52:53], 2, s[0:1]
	v_mad_i64_i32 v[54:55], s[2:3], v54, s4, 0
	v_max_f32_e32 v56, v60, v60
	s_cbranch_vccz .LBB3_104
; %bb.102:
	v_min_f32_e32 v57, 0, v56
	v_lshl_add_u64 v[58:59], v[68:69], 2, v[52:53]
	s_mov_b32 s10, 0
	global_store_dword v[58:59], v57, off
	v_lshl_add_u64 v[54:55], v[54:55], 2, s[8:9]
	s_cbranch_execz .LBB3_105
; %bb.103:
	v_mov_b32_e32 v56, s10
	s_branch .LBB3_106
.LBB3_104:
                                        ; implicit-def: $sgpr10
	v_lshl_add_u64 v[54:55], v[54:55], 2, s[8:9]
.LBB3_105:
	v_lshl_add_u64 v[58:59], v[54:55], 0, v[72:73]
	flat_load_dword v57, v[58:59]
	v_lshl_add_u64 v[58:59], v[52:53], 0, v[72:73]
	s_waitcnt vmcnt(0) lgkmcnt(0)
	v_mul_f32_e32 v57, s26, v57
	v_min_f32_e32 v56, v57, v56
	global_store_dword v[58:59], v56, off
	v_lshl_add_u64 v[56:57], v[64:65], 2, v[54:55]
	flat_load_dword v56, v[56:57]
	s_waitcnt vmcnt(0) lgkmcnt(0)
	v_mul_f32_e32 v56, s26, v56
.LBB3_106:
	v_pk_add_f32 v[58:59], v[28:29], v[48:49]
	s_mov_b64 vcc, s[6:7]
	v_min3_f32 v57, v58, v59, v130
	v_pk_add_f32 v[58:59], v[24:25], v[48:49]
	s_nop 0
	v_min3_f32 v60, v58, v59, v129
	v_pk_add_f32 v[58:59], v[30:31], v[50:51]
	s_nop 0
	v_min_f32_e32 v61, v58, v59
	v_pk_add_f32 v[58:59], v[26:27], v[50:51]
	s_nop 0
	v_min3_f32 v58, v58, v59, v60
	v_min3_f32 v59, v56, v61, v57
	v_lshl_add_u64 v[56:57], v[64:65], 2, v[52:53]
	global_store_dword v[56:57], v59, off
	v_max_f32_e32 v56, v58, v58
	s_cbranch_vccz .LBB3_109
; %bb.107:
	v_min_f32_e32 v57, 0, v56
	v_lshl_add_u64 v[58:59], v[74:75], 2, v[52:53]
	s_mov_b32 s10, 0
	global_store_dword v[58:59], v57, off
	s_cbranch_execz .LBB3_110
; %bb.108:
	v_mov_b32_e32 v56, s10
	s_branch .LBB3_111
.LBB3_109:
                                        ; implicit-def: $sgpr10
.LBB3_110:
	v_lshl_add_u64 v[58:59], v[54:55], 0, v[78:79]
	flat_load_dword v57, v[58:59]
	v_lshl_add_u64 v[58:59], v[52:53], 0, v[78:79]
	s_waitcnt vmcnt(0) lgkmcnt(0)
	v_mul_f32_e32 v57, s26, v57
	v_min_f32_e32 v56, v57, v56
	global_store_dword v[58:59], v56, off
	v_lshl_add_u64 v[56:57], v[66:67], 2, v[54:55]
	flat_load_dword v56, v[56:57]
	s_waitcnt vmcnt(0) lgkmcnt(0)
	v_mul_f32_e32 v56, s26, v56
.LBB3_111:
	v_pk_add_f32 v[58:59], v[20:21], v[48:49]
	s_mov_b64 vcc, s[6:7]
	v_min3_f32 v57, v58, v59, v128
	v_pk_add_f32 v[58:59], v[16:17], v[48:49]
	s_nop 0
	v_min3_f32 v60, v58, v59, v127
	v_pk_add_f32 v[58:59], v[22:23], v[50:51]
	s_nop 0
	v_min_f32_e32 v61, v58, v59
	v_pk_add_f32 v[58:59], v[18:19], v[50:51]
	s_nop 0
	v_min3_f32 v58, v58, v59, v60
	v_min3_f32 v59, v56, v61, v57
	v_lshl_add_u64 v[56:57], v[66:67], 2, v[52:53]
	global_store_dword v[56:57], v59, off
	v_max_f32_e32 v56, v58, v58
	s_cbranch_vccz .LBB3_114
; %bb.112:
	v_min_f32_e32 v57, 0, v56
	v_lshl_add_u64 v[58:59], v[80:81], 2, v[52:53]
	s_mov_b32 s10, 0
	global_store_dword v[58:59], v57, off
	s_cbranch_execz .LBB3_115
; %bb.113:
	v_mov_b32_e32 v56, s10
	s_branch .LBB3_116
.LBB3_114:
                                        ; implicit-def: $sgpr10
.LBB3_115:
	v_lshl_add_u64 v[58:59], v[54:55], 0, v[82:83]
	flat_load_dword v57, v[58:59]
	v_lshl_add_u64 v[58:59], v[52:53], 0, v[82:83]
	s_waitcnt vmcnt(0) lgkmcnt(0)
	v_mul_f32_e32 v57, s26, v57
	v_min_f32_e32 v56, v57, v56
	global_store_dword v[58:59], v56, off
	v_lshl_add_u64 v[56:57], v[70:71], 2, v[54:55]
	flat_load_dword v56, v[56:57]
	s_waitcnt vmcnt(0) lgkmcnt(0)
	v_mul_f32_e32 v56, s26, v56
.LBB3_116:
	v_pk_add_f32 v[58:59], v[12:13], v[48:49]
	s_mov_b64 vcc, s[6:7]
	v_min3_f32 v57, v58, v59, v126
	v_pk_add_f32 v[58:59], v[8:9], v[48:49]
	s_nop 0
	v_min3_f32 v60, v58, v59, v125
	v_pk_add_f32 v[58:59], v[14:15], v[50:51]
	s_nop 0
	v_min_f32_e32 v61, v58, v59
	v_pk_add_f32 v[58:59], v[10:11], v[50:51]
	s_nop 0
	v_min3_f32 v58, v58, v59, v60
	v_min3_f32 v59, v56, v61, v57
	v_lshl_add_u64 v[56:57], v[70:71], 2, v[52:53]
	global_store_dword v[56:57], v59, off
	v_max_f32_e32 v56, v58, v58
	s_cbranch_vccz .LBB3_119
; %bb.117:
	v_min_f32_e32 v57, 0, v56
	v_lshl_add_u64 v[58:59], v[84:85], 2, v[52:53]
	s_mov_b32 s10, 0
	global_store_dword v[58:59], v57, off
	s_cbranch_execz .LBB3_120
; %bb.118:
	v_mov_b32_e32 v54, s10
	s_branch .LBB3_121
.LBB3_119:
                                        ; implicit-def: $sgpr10
.LBB3_120:
	v_lshl_add_u64 v[58:59], v[54:55], 0, v[86:87]
	flat_load_dword v57, v[58:59]
	v_lshl_add_u64 v[58:59], v[52:53], 0, v[86:87]
	v_lshl_add_u64 v[54:55], v[76:77], 2, v[54:55]
	s_waitcnt vmcnt(0) lgkmcnt(0)
	v_mul_f32_e32 v57, s26, v57
	v_min_f32_e32 v56, v57, v56
	global_store_dword v[58:59], v56, off
	flat_load_dword v54, v[54:55]
	s_waitcnt vmcnt(0) lgkmcnt(0)
	v_mul_f32_e32 v54, s26, v54
.LBB3_121:
	v_pk_add_f32 v[48:49], v[0:1], v[48:49]
	s_mov_b64 vcc, s[6:7]
	v_min3_f32 v55, v48, v49, v124
	s_waitcnt lgkmcnt(3)
	v_pk_add_f32 v[48:49], v[32:33], v[44:45]
	s_nop 0
	v_min3_f32 v56, v48, v49, v123
	v_pk_add_f32 v[48:49], v[2:3], v[50:51]
	s_nop 0
	v_min_f32_e32 v50, v48, v49
	v_pk_add_f32 v[48:49], v[34:35], v[46:47]
	v_min3_f32 v50, v54, v50, v55
	v_min3_f32 v56, v48, v49, v56
	v_lshl_add_u64 v[48:49], v[76:77], 2, v[52:53]
	global_store_dword v[48:49], v50, off
	v_add_u32_e32 v50, 32, v141
	v_mad_i64_i32 v[48:49], s[2:3], v50, s5, 0
	v_lshl_add_u64 v[48:49], v[48:49], 2, s[0:1]
	v_mad_i64_i32 v[50:51], s[2:3], v50, s4, 0
	v_max_f32_e32 v52, v56, v56
	s_cbranch_vccz .LBB3_124
; %bb.122:
	v_min_f32_e32 v53, 0, v52
	v_lshl_add_u64 v[54:55], v[68:69], 2, v[48:49]
	s_mov_b32 s10, 0
	global_store_dword v[54:55], v53, off
	v_lshl_add_u64 v[50:51], v[50:51], 2, s[8:9]
	s_cbranch_execz .LBB3_125
; %bb.123:
	v_mov_b32_e32 v52, s10
	s_branch .LBB3_126
.LBB3_124:
                                        ; implicit-def: $sgpr10
	v_lshl_add_u64 v[50:51], v[50:51], 2, s[8:9]
.LBB3_125:
	v_lshl_add_u64 v[54:55], v[50:51], 0, v[72:73]
	flat_load_dword v53, v[54:55]
	v_lshl_add_u64 v[54:55], v[48:49], 0, v[72:73]
	s_waitcnt vmcnt(0) lgkmcnt(0)
	v_mul_f32_e32 v53, s26, v53
	v_min_f32_e32 v52, v53, v52
	global_store_dword v[54:55], v52, off
	v_lshl_add_u64 v[52:53], v[64:65], 2, v[50:51]
	flat_load_dword v52, v[52:53]
	s_waitcnt vmcnt(0) lgkmcnt(0)
	v_mul_f32_e32 v52, s26, v52
.LBB3_126:
	v_pk_add_f32 v[54:55], v[28:29], v[44:45]
	s_mov_b64 vcc, s[6:7]
	v_min3_f32 v53, v54, v55, v122
	v_pk_add_f32 v[54:55], v[24:25], v[44:45]
	s_nop 0
	v_min3_f32 v56, v54, v55, v121
	v_pk_add_f32 v[54:55], v[30:31], v[46:47]
	s_nop 0
	v_min_f32_e32 v57, v54, v55
	v_pk_add_f32 v[54:55], v[26:27], v[46:47]
	s_nop 0
	v_min3_f32 v54, v54, v55, v56
	v_min3_f32 v55, v52, v57, v53
	v_lshl_add_u64 v[52:53], v[64:65], 2, v[48:49]
	global_store_dword v[52:53], v55, off
	v_max_f32_e32 v52, v54, v54
	s_cbranch_vccz .LBB3_129
; %bb.127:
	v_min_f32_e32 v53, 0, v52
	v_lshl_add_u64 v[54:55], v[74:75], 2, v[48:49]
	s_mov_b32 s10, 0
	global_store_dword v[54:55], v53, off
	s_cbranch_execz .LBB3_130
; %bb.128:
	v_mov_b32_e32 v52, s10
	s_branch .LBB3_131
.LBB3_129:
                                        ; implicit-def: $sgpr10
.LBB3_130:
	v_lshl_add_u64 v[54:55], v[50:51], 0, v[78:79]
	flat_load_dword v53, v[54:55]
	v_lshl_add_u64 v[54:55], v[48:49], 0, v[78:79]
	s_waitcnt vmcnt(0) lgkmcnt(0)
	v_mul_f32_e32 v53, s26, v53
	v_min_f32_e32 v52, v53, v52
	global_store_dword v[54:55], v52, off
	v_lshl_add_u64 v[52:53], v[66:67], 2, v[50:51]
	flat_load_dword v52, v[52:53]
	s_waitcnt vmcnt(0) lgkmcnt(0)
	v_mul_f32_e32 v52, s26, v52
.LBB3_131:
	v_pk_add_f32 v[54:55], v[20:21], v[44:45]
	s_mov_b64 vcc, s[6:7]
	v_min3_f32 v53, v54, v55, v120
	v_pk_add_f32 v[54:55], v[16:17], v[44:45]
	s_nop 0
	v_min3_f32 v56, v54, v55, v119
	v_pk_add_f32 v[54:55], v[22:23], v[46:47]
	s_nop 0
	v_min_f32_e32 v57, v54, v55
	v_pk_add_f32 v[54:55], v[18:19], v[46:47]
	s_nop 0
	v_min3_f32 v54, v54, v55, v56
	v_min3_f32 v55, v52, v57, v53
	v_lshl_add_u64 v[52:53], v[66:67], 2, v[48:49]
	global_store_dword v[52:53], v55, off
	v_max_f32_e32 v52, v54, v54
	s_cbranch_vccz .LBB3_134
; %bb.132:
	v_min_f32_e32 v53, 0, v52
	v_lshl_add_u64 v[54:55], v[80:81], 2, v[48:49]
	s_mov_b32 s10, 0
	global_store_dword v[54:55], v53, off
	s_cbranch_execz .LBB3_135
; %bb.133:
	v_mov_b32_e32 v52, s10
	s_branch .LBB3_136
.LBB3_134:
                                        ; implicit-def: $sgpr10
.LBB3_135:
	v_lshl_add_u64 v[54:55], v[50:51], 0, v[82:83]
	flat_load_dword v53, v[54:55]
	v_lshl_add_u64 v[54:55], v[48:49], 0, v[82:83]
	s_waitcnt vmcnt(0) lgkmcnt(0)
	v_mul_f32_e32 v53, s26, v53
	v_min_f32_e32 v52, v53, v52
	global_store_dword v[54:55], v52, off
	v_lshl_add_u64 v[52:53], v[70:71], 2, v[50:51]
	flat_load_dword v52, v[52:53]
	s_waitcnt vmcnt(0) lgkmcnt(0)
	v_mul_f32_e32 v52, s26, v52
.LBB3_136:
	v_pk_add_f32 v[54:55], v[12:13], v[44:45]
	s_mov_b64 vcc, s[6:7]
	v_min3_f32 v53, v54, v55, v118
	v_pk_add_f32 v[54:55], v[8:9], v[44:45]
	s_nop 0
	v_min3_f32 v56, v54, v55, v117
	v_pk_add_f32 v[54:55], v[14:15], v[46:47]
	s_nop 0
	v_min_f32_e32 v57, v54, v55
	v_pk_add_f32 v[54:55], v[10:11], v[46:47]
	s_nop 0
	v_min3_f32 v54, v54, v55, v56
	v_min3_f32 v55, v52, v57, v53
	v_lshl_add_u64 v[52:53], v[70:71], 2, v[48:49]
	global_store_dword v[52:53], v55, off
	v_max_f32_e32 v52, v54, v54
	s_cbranch_vccz .LBB3_139
; %bb.137:
	v_min_f32_e32 v53, 0, v52
	v_lshl_add_u64 v[54:55], v[84:85], 2, v[48:49]
	s_mov_b32 s10, 0
	global_store_dword v[54:55], v53, off
	s_cbranch_execz .LBB3_140
; %bb.138:
	v_mov_b32_e32 v50, s10
	s_branch .LBB3_141
.LBB3_139:
                                        ; implicit-def: $sgpr10
.LBB3_140:
	v_lshl_add_u64 v[54:55], v[50:51], 0, v[86:87]
	flat_load_dword v53, v[54:55]
	v_lshl_add_u64 v[54:55], v[48:49], 0, v[86:87]
	v_lshl_add_u64 v[50:51], v[76:77], 2, v[50:51]
	s_waitcnt vmcnt(0) lgkmcnt(0)
	v_mul_f32_e32 v53, s26, v53
	v_min_f32_e32 v52, v53, v52
	global_store_dword v[54:55], v52, off
	flat_load_dword v50, v[50:51]
	s_waitcnt vmcnt(0) lgkmcnt(0)
	v_mul_f32_e32 v50, s26, v50
.LBB3_141:
	v_pk_add_f32 v[44:45], v[0:1], v[44:45]
	s_mov_b64 vcc, s[6:7]
	v_min3_f32 v51, v44, v45, v115
	s_waitcnt lgkmcnt(2)
	v_pk_add_f32 v[44:45], v[32:33], v[40:41]
	s_nop 0
	v_min3_f32 v52, v44, v45, v116
	v_pk_add_f32 v[44:45], v[2:3], v[46:47]
	s_nop 0
	v_min_f32_e32 v46, v44, v45
	v_pk_add_f32 v[44:45], v[34:35], v[42:43]
	v_min3_f32 v46, v50, v46, v51
	v_min3_f32 v52, v44, v45, v52
	v_lshl_add_u64 v[44:45], v[76:77], 2, v[48:49]
	global_store_dword v[44:45], v46, off
	v_add_u32_e32 v46, 40, v141
	v_mad_i64_i32 v[44:45], s[2:3], v46, s5, 0
	v_lshl_add_u64 v[44:45], v[44:45], 2, s[0:1]
	v_mad_i64_i32 v[46:47], s[2:3], v46, s4, 0
	v_max_f32_e32 v48, v52, v52
	s_cbranch_vccz .LBB3_144
; %bb.142:
	v_min_f32_e32 v49, 0, v48
	v_lshl_add_u64 v[50:51], v[68:69], 2, v[44:45]
	s_mov_b32 s10, 0
	global_store_dword v[50:51], v49, off
	v_lshl_add_u64 v[46:47], v[46:47], 2, s[8:9]
	s_cbranch_execz .LBB3_145
; %bb.143:
	v_mov_b32_e32 v48, s10
	s_branch .LBB3_146
.LBB3_144:
                                        ; implicit-def: $sgpr10
	v_lshl_add_u64 v[46:47], v[46:47], 2, s[8:9]
.LBB3_145:
	v_lshl_add_u64 v[50:51], v[46:47], 0, v[72:73]
	flat_load_dword v49, v[50:51]
	v_lshl_add_u64 v[50:51], v[44:45], 0, v[72:73]
	s_waitcnt vmcnt(0) lgkmcnt(0)
	v_mul_f32_e32 v49, s26, v49
	v_min_f32_e32 v48, v49, v48
	global_store_dword v[50:51], v48, off
	v_lshl_add_u64 v[48:49], v[64:65], 2, v[46:47]
	flat_load_dword v48, v[48:49]
	s_waitcnt vmcnt(0) lgkmcnt(0)
	v_mul_f32_e32 v48, s26, v48
.LBB3_146:
	v_pk_add_f32 v[50:51], v[28:29], v[40:41]
	s_mov_b64 vcc, s[6:7]
	v_min3_f32 v49, v50, v51, v113
	v_pk_add_f32 v[50:51], v[24:25], v[40:41]
	s_nop 0
	v_min3_f32 v52, v50, v51, v114
	v_pk_add_f32 v[50:51], v[30:31], v[42:43]
	s_nop 0
	v_min_f32_e32 v53, v50, v51
	v_pk_add_f32 v[50:51], v[26:27], v[42:43]
	s_nop 0
	v_min3_f32 v50, v50, v51, v52
	v_min3_f32 v51, v48, v53, v49
	v_lshl_add_u64 v[48:49], v[64:65], 2, v[44:45]
	global_store_dword v[48:49], v51, off
	v_max_f32_e32 v48, v50, v50
	s_cbranch_vccz .LBB3_149
; %bb.147:
	v_min_f32_e32 v49, 0, v48
	v_lshl_add_u64 v[50:51], v[74:75], 2, v[44:45]
	s_mov_b32 s10, 0
	global_store_dword v[50:51], v49, off
	s_cbranch_execz .LBB3_150
; %bb.148:
	v_mov_b32_e32 v48, s10
	s_branch .LBB3_151
.LBB3_149:
                                        ; implicit-def: $sgpr10
.LBB3_150:
	v_lshl_add_u64 v[50:51], v[46:47], 0, v[78:79]
	flat_load_dword v49, v[50:51]
	v_lshl_add_u64 v[50:51], v[44:45], 0, v[78:79]
	s_waitcnt vmcnt(0) lgkmcnt(0)
	v_mul_f32_e32 v49, s26, v49
	v_min_f32_e32 v48, v49, v48
	global_store_dword v[50:51], v48, off
	v_lshl_add_u64 v[48:49], v[66:67], 2, v[46:47]
	flat_load_dword v48, v[48:49]
	s_waitcnt vmcnt(0) lgkmcnt(0)
	v_mul_f32_e32 v48, s26, v48
.LBB3_151:
	v_pk_add_f32 v[50:51], v[20:21], v[40:41]
	s_mov_b64 vcc, s[6:7]
	v_min3_f32 v49, v50, v51, v111
	v_pk_add_f32 v[50:51], v[16:17], v[40:41]
	s_nop 0
	v_min3_f32 v52, v50, v51, v112
	v_pk_add_f32 v[50:51], v[22:23], v[42:43]
	s_nop 0
	v_min_f32_e32 v53, v50, v51
	v_pk_add_f32 v[50:51], v[18:19], v[42:43]
	s_nop 0
	v_min3_f32 v50, v50, v51, v52
	v_min3_f32 v51, v48, v53, v49
	v_lshl_add_u64 v[48:49], v[66:67], 2, v[44:45]
	global_store_dword v[48:49], v51, off
	v_max_f32_e32 v48, v50, v50
	s_cbranch_vccz .LBB3_154
; %bb.152:
	v_min_f32_e32 v49, 0, v48
	v_lshl_add_u64 v[50:51], v[80:81], 2, v[44:45]
	s_mov_b32 s10, 0
	global_store_dword v[50:51], v49, off
	s_cbranch_execz .LBB3_155
; %bb.153:
	v_mov_b32_e32 v48, s10
	s_branch .LBB3_156
.LBB3_154:
                                        ; implicit-def: $sgpr10
.LBB3_155:
	v_lshl_add_u64 v[50:51], v[46:47], 0, v[82:83]
	flat_load_dword v49, v[50:51]
	v_lshl_add_u64 v[50:51], v[44:45], 0, v[82:83]
	s_waitcnt vmcnt(0) lgkmcnt(0)
	v_mul_f32_e32 v49, s26, v49
	v_min_f32_e32 v48, v49, v48
	global_store_dword v[50:51], v48, off
	v_lshl_add_u64 v[48:49], v[70:71], 2, v[46:47]
	flat_load_dword v48, v[48:49]
	s_waitcnt vmcnt(0) lgkmcnt(0)
	v_mul_f32_e32 v48, s26, v48
.LBB3_156:
	v_pk_add_f32 v[50:51], v[12:13], v[40:41]
	s_mov_b64 vcc, s[6:7]
	v_min3_f32 v49, v50, v51, v109
	v_pk_add_f32 v[50:51], v[8:9], v[40:41]
	s_nop 0
	v_min3_f32 v52, v50, v51, v110
	v_pk_add_f32 v[50:51], v[14:15], v[42:43]
	s_nop 0
	v_min_f32_e32 v53, v50, v51
	v_pk_add_f32 v[50:51], v[10:11], v[42:43]
	s_nop 0
	v_min3_f32 v50, v50, v51, v52
	v_min3_f32 v51, v48, v53, v49
	v_lshl_add_u64 v[48:49], v[70:71], 2, v[44:45]
	global_store_dword v[48:49], v51, off
	v_max_f32_e32 v48, v50, v50
	s_cbranch_vccz .LBB3_159
; %bb.157:
	v_min_f32_e32 v49, 0, v48
	v_lshl_add_u64 v[50:51], v[84:85], 2, v[44:45]
	s_mov_b32 s10, 0
	global_store_dword v[50:51], v49, off
	s_cbranch_execz .LBB3_160
; %bb.158:
	v_mov_b32_e32 v46, s10
	s_branch .LBB3_161
.LBB3_159:
                                        ; implicit-def: $sgpr10
.LBB3_160:
	v_lshl_add_u64 v[50:51], v[46:47], 0, v[86:87]
	flat_load_dword v49, v[50:51]
	v_lshl_add_u64 v[50:51], v[44:45], 0, v[86:87]
	v_lshl_add_u64 v[46:47], v[76:77], 2, v[46:47]
	s_waitcnt vmcnt(0) lgkmcnt(0)
	v_mul_f32_e32 v49, s26, v49
	v_min_f32_e32 v48, v49, v48
	global_store_dword v[50:51], v48, off
	flat_load_dword v46, v[46:47]
	s_waitcnt vmcnt(0) lgkmcnt(0)
	v_mul_f32_e32 v46, s26, v46
.LBB3_161:
	v_pk_add_f32 v[40:41], v[0:1], v[40:41]
	s_mov_b64 vcc, s[6:7]
	v_min3_f32 v47, v40, v41, v107
	s_waitcnt lgkmcnt(1)
	v_pk_add_f32 v[40:41], v[32:33], v[36:37]
	s_nop 0
	v_min3_f32 v48, v40, v41, v108
	v_pk_add_f32 v[40:41], v[2:3], v[42:43]
	s_nop 0
	v_min_f32_e32 v42, v40, v41
	v_pk_add_f32 v[40:41], v[34:35], v[38:39]
	v_min3_f32 v42, v46, v42, v47
	v_min3_f32 v48, v40, v41, v48
	v_lshl_add_u64 v[40:41], v[76:77], 2, v[44:45]
	global_store_dword v[40:41], v42, off
	v_add_u32_e32 v42, 48, v141
	v_mad_i64_i32 v[40:41], s[2:3], v42, s5, 0
	v_lshl_add_u64 v[40:41], v[40:41], 2, s[0:1]
	v_mad_i64_i32 v[42:43], s[2:3], v42, s4, 0
	v_max_f32_e32 v44, v48, v48
	s_cbranch_vccz .LBB3_164
; %bb.162:
	v_min_f32_e32 v45, 0, v44
	v_lshl_add_u64 v[46:47], v[68:69], 2, v[40:41]
	s_mov_b32 s10, 0
	global_store_dword v[46:47], v45, off
	v_lshl_add_u64 v[42:43], v[42:43], 2, s[8:9]
	s_cbranch_execz .LBB3_165
; %bb.163:
	v_mov_b32_e32 v44, s10
	s_branch .LBB3_166
.LBB3_164:
                                        ; implicit-def: $sgpr10
	v_lshl_add_u64 v[42:43], v[42:43], 2, s[8:9]
.LBB3_165:
	v_lshl_add_u64 v[46:47], v[42:43], 0, v[72:73]
	flat_load_dword v45, v[46:47]
	v_lshl_add_u64 v[46:47], v[40:41], 0, v[72:73]
	s_waitcnt vmcnt(0) lgkmcnt(0)
	v_mul_f32_e32 v45, s26, v45
	v_min_f32_e32 v44, v45, v44
	global_store_dword v[46:47], v44, off
	v_lshl_add_u64 v[44:45], v[64:65], 2, v[42:43]
	flat_load_dword v44, v[44:45]
	s_waitcnt vmcnt(0) lgkmcnt(0)
	v_mul_f32_e32 v44, s26, v44
.LBB3_166:
	v_pk_add_f32 v[46:47], v[28:29], v[36:37]
	s_mov_b64 vcc, s[6:7]
	v_min3_f32 v45, v46, v47, v105
	v_pk_add_f32 v[46:47], v[24:25], v[36:37]
	s_nop 0
	v_min3_f32 v48, v46, v47, v106
	v_pk_add_f32 v[46:47], v[30:31], v[38:39]
	s_nop 0
	v_min_f32_e32 v49, v46, v47
	v_pk_add_f32 v[46:47], v[26:27], v[38:39]
	s_nop 0
	v_min3_f32 v46, v46, v47, v48
	v_min3_f32 v47, v44, v49, v45
	v_lshl_add_u64 v[44:45], v[64:65], 2, v[40:41]
	global_store_dword v[44:45], v47, off
	v_max_f32_e32 v44, v46, v46
	s_cbranch_vccz .LBB3_169
; %bb.167:
	v_min_f32_e32 v45, 0, v44
	v_lshl_add_u64 v[46:47], v[74:75], 2, v[40:41]
	s_mov_b32 s10, 0
	global_store_dword v[46:47], v45, off
	s_cbranch_execz .LBB3_170
; %bb.168:
	v_mov_b32_e32 v44, s10
	s_branch .LBB3_171
.LBB3_169:
                                        ; implicit-def: $sgpr10
.LBB3_170:
	v_lshl_add_u64 v[46:47], v[42:43], 0, v[78:79]
	flat_load_dword v45, v[46:47]
	v_lshl_add_u64 v[46:47], v[40:41], 0, v[78:79]
	s_waitcnt vmcnt(0) lgkmcnt(0)
	v_mul_f32_e32 v45, s26, v45
	v_min_f32_e32 v44, v45, v44
	global_store_dword v[46:47], v44, off
	v_lshl_add_u64 v[44:45], v[66:67], 2, v[42:43]
	flat_load_dword v44, v[44:45]
	s_waitcnt vmcnt(0) lgkmcnt(0)
	v_mul_f32_e32 v44, s26, v44
.LBB3_171:
	v_pk_add_f32 v[46:47], v[20:21], v[36:37]
	s_mov_b64 vcc, s[6:7]
	v_min3_f32 v45, v46, v47, v103
	v_pk_add_f32 v[46:47], v[16:17], v[36:37]
	s_nop 0
	v_min3_f32 v48, v46, v47, v104
	v_pk_add_f32 v[46:47], v[22:23], v[38:39]
	s_nop 0
	v_min_f32_e32 v49, v46, v47
	v_pk_add_f32 v[46:47], v[18:19], v[38:39]
	s_nop 0
	v_min3_f32 v46, v46, v47, v48
	v_min3_f32 v47, v44, v49, v45
	v_lshl_add_u64 v[44:45], v[66:67], 2, v[40:41]
	global_store_dword v[44:45], v47, off
	v_max_f32_e32 v44, v46, v46
	s_cbranch_vccz .LBB3_174
; %bb.172:
	v_min_f32_e32 v45, 0, v44
	v_lshl_add_u64 v[46:47], v[80:81], 2, v[40:41]
	s_mov_b32 s10, 0
	global_store_dword v[46:47], v45, off
	s_cbranch_execz .LBB3_175
; %bb.173:
	v_mov_b32_e32 v44, s10
	s_branch .LBB3_176
.LBB3_174:
                                        ; implicit-def: $sgpr10
.LBB3_175:
	v_lshl_add_u64 v[46:47], v[42:43], 0, v[82:83]
	flat_load_dword v45, v[46:47]
	v_lshl_add_u64 v[46:47], v[40:41], 0, v[82:83]
	s_waitcnt vmcnt(0) lgkmcnt(0)
	v_mul_f32_e32 v45, s26, v45
	v_min_f32_e32 v44, v45, v44
	global_store_dword v[46:47], v44, off
	v_lshl_add_u64 v[44:45], v[70:71], 2, v[42:43]
	flat_load_dword v44, v[44:45]
	s_waitcnt vmcnt(0) lgkmcnt(0)
	v_mul_f32_e32 v44, s26, v44
.LBB3_176:
	v_pk_add_f32 v[46:47], v[12:13], v[36:37]
	s_mov_b64 vcc, s[6:7]
	v_min3_f32 v45, v46, v47, v101
	v_pk_add_f32 v[46:47], v[8:9], v[36:37]
	s_nop 0
	v_min3_f32 v48, v46, v47, v102
	v_pk_add_f32 v[46:47], v[14:15], v[38:39]
	s_nop 0
	v_min_f32_e32 v49, v46, v47
	v_pk_add_f32 v[46:47], v[10:11], v[38:39]
	s_nop 0
	v_min3_f32 v46, v46, v47, v48
	v_min3_f32 v47, v44, v49, v45
	v_lshl_add_u64 v[44:45], v[70:71], 2, v[40:41]
	global_store_dword v[44:45], v47, off
	v_max_f32_e32 v44, v46, v46
	s_cbranch_vccz .LBB3_179
; %bb.177:
	v_min_f32_e32 v45, 0, v44
	v_lshl_add_u64 v[46:47], v[84:85], 2, v[40:41]
	s_mov_b32 s10, 0
	global_store_dword v[46:47], v45, off
	s_cbranch_execz .LBB3_180
; %bb.178:
	v_mov_b32_e32 v42, s10
	s_branch .LBB3_181
.LBB3_179:
                                        ; implicit-def: $sgpr10
.LBB3_180:
	v_lshl_add_u64 v[46:47], v[42:43], 0, v[86:87]
	flat_load_dword v45, v[46:47]
	v_lshl_add_u64 v[46:47], v[40:41], 0, v[86:87]
	v_lshl_add_u64 v[42:43], v[76:77], 2, v[42:43]
	s_waitcnt vmcnt(0) lgkmcnt(0)
	v_mul_f32_e32 v45, s26, v45
	v_min_f32_e32 v44, v45, v44
	global_store_dword v[46:47], v44, off
	flat_load_dword v42, v[42:43]
	s_waitcnt vmcnt(0) lgkmcnt(0)
	v_mul_f32_e32 v42, s26, v42
.LBB3_181:
	v_pk_add_f32 v[36:37], v[0:1], v[36:37]
	s_waitcnt lgkmcnt(0)
	v_pk_add_f32 v[32:33], v[32:33], v[4:5]
	v_min3_f32 v36, v36, v37, v99
	v_min3_f32 v37, v32, v33, v100
	v_pk_add_f32 v[32:33], v[2:3], v[38:39]
	s_mov_b64 vcc, s[6:7]
	v_min_f32_e32 v38, v32, v33
	v_pk_add_f32 v[32:33], v[34:35], v[6:7]
	v_min3_f32 v34, v42, v38, v36
	v_min3_f32 v37, v32, v33, v37
	v_lshl_add_u64 v[32:33], v[76:77], 2, v[40:41]
	global_store_dword v[32:33], v34, off
	v_add_u32_e32 v34, 56, v141
	v_mad_i64_i32 v[32:33], s[2:3], v34, s5, 0
	v_lshl_add_u64 v[32:33], v[32:33], 2, s[0:1]
	v_mad_i64_i32 v[34:35], s[0:1], v34, s4, 0
	v_max_f32_e32 v36, v37, v37
	s_cbranch_vccz .LBB3_184
; %bb.182:
	v_min_f32_e32 v37, 0, v36
	v_lshl_add_u64 v[38:39], v[68:69], 2, v[32:33]
	s_mov_b32 s2, 0
	global_store_dword v[38:39], v37, off
	v_lshl_add_u64 v[34:35], v[34:35], 2, s[8:9]
	s_cbranch_execz .LBB3_185
; %bb.183:
	v_mov_b32_e32 v36, s2
	s_branch .LBB3_186
.LBB3_184:
                                        ; implicit-def: $sgpr2
	v_lshl_add_u64 v[34:35], v[34:35], 2, s[8:9]
.LBB3_185:
	v_lshl_add_u64 v[38:39], v[34:35], 0, v[72:73]
	flat_load_dword v37, v[38:39]
	v_lshl_add_u64 v[38:39], v[32:33], 0, v[72:73]
	s_waitcnt vmcnt(0) lgkmcnt(0)
	v_mul_f32_e32 v37, s26, v37
	v_min_f32_e32 v36, v37, v36
	global_store_dword v[38:39], v36, off
	v_lshl_add_u64 v[36:37], v[64:65], 2, v[34:35]
	flat_load_dword v36, v[36:37]
	s_waitcnt vmcnt(0) lgkmcnt(0)
	v_mul_f32_e32 v36, s26, v36
.LBB3_186:
	v_pk_add_f32 v[28:29], v[28:29], v[4:5]
	v_pk_add_f32 v[24:25], v[24:25], v[4:5]
	v_min3_f32 v28, v28, v29, v97
	v_min3_f32 v29, v24, v25, v98
	v_pk_add_f32 v[24:25], v[30:31], v[6:7]
	s_mov_b64 vcc, s[6:7]
	v_min_f32_e32 v30, v24, v25
	v_pk_add_f32 v[24:25], v[26:27], v[6:7]
	v_min3_f32 v27, v36, v30, v28
	v_min3_f32 v26, v24, v25, v29
	v_lshl_add_u64 v[24:25], v[64:65], 2, v[32:33]
	global_store_dword v[24:25], v27, off
	v_max_f32_e32 v24, v26, v26
	s_cbranch_vccz .LBB3_189
; %bb.187:
	v_min_f32_e32 v25, 0, v24
	v_lshl_add_u64 v[26:27], v[74:75], 2, v[32:33]
	s_mov_b32 s2, 0
	global_store_dword v[26:27], v25, off
	s_cbranch_execz .LBB3_190
; %bb.188:
	v_mov_b32_e32 v24, s2
	s_branch .LBB3_191
.LBB3_189:
                                        ; implicit-def: $sgpr2
.LBB3_190:
	v_lshl_add_u64 v[26:27], v[34:35], 0, v[78:79]
	flat_load_dword v25, v[26:27]
	v_lshl_add_u64 v[26:27], v[32:33], 0, v[78:79]
	s_waitcnt vmcnt(0) lgkmcnt(0)
	v_mul_f32_e32 v25, s26, v25
	v_min_f32_e32 v24, v25, v24
	global_store_dword v[26:27], v24, off
	v_lshl_add_u64 v[24:25], v[66:67], 2, v[34:35]
	flat_load_dword v24, v[24:25]
	s_waitcnt vmcnt(0) lgkmcnt(0)
	v_mul_f32_e32 v24, s26, v24
.LBB3_191:
	v_pk_add_f32 v[20:21], v[20:21], v[4:5]
	v_pk_add_f32 v[16:17], v[16:17], v[4:5]
	v_min3_f32 v20, v20, v21, v94
	v_min3_f32 v21, v16, v17, v95
	v_pk_add_f32 v[16:17], v[22:23], v[6:7]
	s_mov_b64 vcc, s[6:7]
	v_min_f32_e32 v22, v16, v17
	v_pk_add_f32 v[16:17], v[18:19], v[6:7]
	v_min3_f32 v19, v24, v22, v20
	v_min3_f32 v18, v16, v17, v21
	v_lshl_add_u64 v[16:17], v[66:67], 2, v[32:33]
	global_store_dword v[16:17], v19, off
	v_max_f32_e32 v16, v18, v18
	s_cbranch_vccz .LBB3_194
; %bb.192:
	v_min_f32_e32 v17, 0, v16
	v_lshl_add_u64 v[18:19], v[80:81], 2, v[32:33]
	s_mov_b32 s2, 0
	global_store_dword v[18:19], v17, off
	s_cbranch_execz .LBB3_195
; %bb.193:
	v_mov_b32_e32 v16, s2
	s_branch .LBB3_196
.LBB3_194:
                                        ; implicit-def: $sgpr2
.LBB3_195:
	v_lshl_add_u64 v[18:19], v[34:35], 0, v[82:83]
	flat_load_dword v17, v[18:19]
	v_lshl_add_u64 v[18:19], v[32:33], 0, v[82:83]
	s_waitcnt vmcnt(0) lgkmcnt(0)
	v_mul_f32_e32 v17, s26, v17
	v_min_f32_e32 v16, v17, v16
	global_store_dword v[18:19], v16, off
	v_lshl_add_u64 v[16:17], v[70:71], 2, v[34:35]
	flat_load_dword v16, v[16:17]
	s_waitcnt vmcnt(0) lgkmcnt(0)
	v_mul_f32_e32 v16, s26, v16
.LBB3_196:
	;; [unrolled: 38-line block ×3, first 2 shown]
	v_pk_add_f32 v[2:3], v[2:3], v[6:7]
	v_pk_add_f32 v[0:1], v[0:1], v[4:5]
	v_min_f32_e32 v2, v2, v3
	v_min3_f32 v0, v0, v1, v96
	v_min3_f32 v2, v8, v2, v0
	v_lshl_add_u64 v[0:1], v[76:77], 2, v[32:33]
	global_store_dword v[0:1], v2, off
	s_endpgm
	.section	.rodata,"a",@progbits
	.p2align	6, 0x0
	.amdhsa_kernel _ZN12_GLOBAL__N_120geam_min_plus_kernelIf15HIP_vector_typeIfLj2EEfLi32ELi8ELi256ELi64ELi4ELi64ELi4ELi4ELi64ELc78ELc78ELb0ELb0ELb1EPKfKS4_KPfEEviiiT16_PT17_ilSA_ilS8_SA_ilPT18_ili26rocblas_geam_ex_operation_
		.amdhsa_group_segment_fixed_size 10240
		.amdhsa_private_segment_fixed_size 0
		.amdhsa_kernarg_size 136
		.amdhsa_user_sgpr_count 2
		.amdhsa_user_sgpr_dispatch_ptr 0
		.amdhsa_user_sgpr_queue_ptr 0
		.amdhsa_user_sgpr_kernarg_segment_ptr 1
		.amdhsa_user_sgpr_dispatch_id 0
		.amdhsa_user_sgpr_kernarg_preload_length 0
		.amdhsa_user_sgpr_kernarg_preload_offset 0
		.amdhsa_user_sgpr_private_segment_size 0
		.amdhsa_uses_dynamic_stack 0
		.amdhsa_enable_private_segment 0
		.amdhsa_system_sgpr_workgroup_id_x 1
		.amdhsa_system_sgpr_workgroup_id_y 0
		.amdhsa_system_sgpr_workgroup_id_z 1
		.amdhsa_system_sgpr_workgroup_info 0
		.amdhsa_system_vgpr_workitem_id 1
		.amdhsa_next_free_vgpr 172
		.amdhsa_next_free_sgpr 27
		.amdhsa_accum_offset 172
		.amdhsa_reserve_vcc 1
		.amdhsa_float_round_mode_32 0
		.amdhsa_float_round_mode_16_64 0
		.amdhsa_float_denorm_mode_32 3
		.amdhsa_float_denorm_mode_16_64 3
		.amdhsa_dx10_clamp 1
		.amdhsa_ieee_mode 1
		.amdhsa_fp16_overflow 0
		.amdhsa_tg_split 0
		.amdhsa_exception_fp_ieee_invalid_op 0
		.amdhsa_exception_fp_denorm_src 0
		.amdhsa_exception_fp_ieee_div_zero 0
		.amdhsa_exception_fp_ieee_overflow 0
		.amdhsa_exception_fp_ieee_underflow 0
		.amdhsa_exception_fp_ieee_inexact 0
		.amdhsa_exception_int_div_zero 0
	.end_amdhsa_kernel
	.section	.text._ZN12_GLOBAL__N_120geam_min_plus_kernelIf15HIP_vector_typeIfLj2EEfLi32ELi8ELi256ELi64ELi4ELi64ELi4ELi4ELi64ELc78ELc78ELb0ELb0ELb1EPKfKS4_KPfEEviiiT16_PT17_ilSA_ilS8_SA_ilPT18_ili26rocblas_geam_ex_operation_,"axG",@progbits,_ZN12_GLOBAL__N_120geam_min_plus_kernelIf15HIP_vector_typeIfLj2EEfLi32ELi8ELi256ELi64ELi4ELi64ELi4ELi4ELi64ELc78ELc78ELb0ELb0ELb1EPKfKS4_KPfEEviiiT16_PT17_ilSA_ilS8_SA_ilPT18_ili26rocblas_geam_ex_operation_,comdat
.Lfunc_end3:
	.size	_ZN12_GLOBAL__N_120geam_min_plus_kernelIf15HIP_vector_typeIfLj2EEfLi32ELi8ELi256ELi64ELi4ELi64ELi4ELi4ELi64ELc78ELc78ELb0ELb0ELb1EPKfKS4_KPfEEviiiT16_PT17_ilSA_ilS8_SA_ilPT18_ili26rocblas_geam_ex_operation_, .Lfunc_end3-_ZN12_GLOBAL__N_120geam_min_plus_kernelIf15HIP_vector_typeIfLj2EEfLi32ELi8ELi256ELi64ELi4ELi64ELi4ELi4ELi64ELc78ELc78ELb0ELb0ELb1EPKfKS4_KPfEEviiiT16_PT17_ilSA_ilS8_SA_ilPT18_ili26rocblas_geam_ex_operation_
                                        ; -- End function
	.section	.AMDGPU.csdata,"",@progbits
; Kernel info:
; codeLenInByte = 16560
; NumSgprs: 33
; NumVgprs: 172
; NumAgprs: 0
; TotalNumVgprs: 172
; ScratchSize: 0
; MemoryBound: 0
; FloatMode: 240
; IeeeMode: 1
; LDSByteSize: 10240 bytes/workgroup (compile time only)
; SGPRBlocks: 4
; VGPRBlocks: 21
; NumSGPRsForWavesPerEU: 33
; NumVGPRsForWavesPerEU: 172
; AccumOffset: 172
; Occupancy: 2
; WaveLimiterHint : 1
; COMPUTE_PGM_RSRC2:SCRATCH_EN: 0
; COMPUTE_PGM_RSRC2:USER_SGPR: 2
; COMPUTE_PGM_RSRC2:TRAP_HANDLER: 0
; COMPUTE_PGM_RSRC2:TGID_X_EN: 1
; COMPUTE_PGM_RSRC2:TGID_Y_EN: 0
; COMPUTE_PGM_RSRC2:TGID_Z_EN: 1
; COMPUTE_PGM_RSRC2:TIDIG_COMP_CNT: 1
; COMPUTE_PGM_RSRC3_GFX90A:ACCUM_OFFSET: 42
; COMPUTE_PGM_RSRC3_GFX90A:TG_SPLIT: 0
	.section	.text._ZN12_GLOBAL__N_120geam_min_plus_kernelIf15HIP_vector_typeIfLj2EEfLi32ELi8ELi256ELi64ELi4ELi64ELi4ELi4ELi64ELc78ELc78ELb1ELb0ELb1EfKPKfKPfEEviiiT16_PT17_ilSA_ilS8_SA_ilPT18_ili26rocblas_geam_ex_operation_,"axG",@progbits,_ZN12_GLOBAL__N_120geam_min_plus_kernelIf15HIP_vector_typeIfLj2EEfLi32ELi8ELi256ELi64ELi4ELi64ELi4ELi4ELi64ELc78ELc78ELb1ELb0ELb1EfKPKfKPfEEviiiT16_PT17_ilSA_ilS8_SA_ilPT18_ili26rocblas_geam_ex_operation_,comdat
	.globl	_ZN12_GLOBAL__N_120geam_min_plus_kernelIf15HIP_vector_typeIfLj2EEfLi32ELi8ELi256ELi64ELi4ELi64ELi4ELi4ELi64ELc78ELc78ELb1ELb0ELb1EfKPKfKPfEEviiiT16_PT17_ilSA_ilS8_SA_ilPT18_ili26rocblas_geam_ex_operation_ ; -- Begin function _ZN12_GLOBAL__N_120geam_min_plus_kernelIf15HIP_vector_typeIfLj2EEfLi32ELi8ELi256ELi64ELi4ELi64ELi4ELi4ELi64ELc78ELc78ELb1ELb0ELb1EfKPKfKPfEEviiiT16_PT17_ilSA_ilS8_SA_ilPT18_ili26rocblas_geam_ex_operation_
	.p2align	8
	.type	_ZN12_GLOBAL__N_120geam_min_plus_kernelIf15HIP_vector_typeIfLj2EEfLi32ELi8ELi256ELi64ELi4ELi64ELi4ELi4ELi64ELc78ELc78ELb1ELb0ELb1EfKPKfKPfEEviiiT16_PT17_ilSA_ilS8_SA_ilPT18_ili26rocblas_geam_ex_operation_,@function
_ZN12_GLOBAL__N_120geam_min_plus_kernelIf15HIP_vector_typeIfLj2EEfLi32ELi8ELi256ELi64ELi4ELi64ELi4ELi4ELi64ELc78ELc78ELb1ELb0ELb1EfKPKfKPfEEviiiT16_PT17_ilSA_ilS8_SA_ilPT18_ili26rocblas_geam_ex_operation_: ; @_ZN12_GLOBAL__N_120geam_min_plus_kernelIf15HIP_vector_typeIfLj2EEfLi32ELi8ELi256ELi64ELi4ELi64ELi4ELi4ELi64ELc78ELc78ELb1ELb0ELb1EfKPKfKPfEEviiiT16_PT17_ilSA_ilS8_SA_ilPT18_ili26rocblas_geam_ex_operation_
; %bb.0:
	s_load_dwordx2 s[12:13], s[0:1], 0x8
	s_load_dwordx4 s[4:7], s[0:1], 0x20
	s_mov_b32 s18, s3
	s_mov_b32 s19, 0
	s_waitcnt lgkmcnt(0)
	v_cmp_eq_f32_e64 s[8:9], s13, 0
	s_and_b64 vcc, exec, s[8:9]
	s_cbranch_vccnz .LBB4_3
; %bb.1:
	s_load_dwordx2 s[10:11], s[0:1], 0x10
	s_lshl_b64 s[14:15], s[18:19], 3
	s_waitcnt lgkmcnt(0)
	s_add_u32 s10, s10, s14
	s_addc_u32 s11, s11, s15
	s_load_dwordx2 s[10:11], s[10:11], 0x0
	s_lshl_b64 s[4:5], s[4:5], 2
	s_waitcnt lgkmcnt(0)
	s_add_u32 s14, s10, s4
	s_addc_u32 s15, s11, s5
	s_andn2_b64 vcc, exec, s[8:9]
	s_cbranch_vccnz .LBB4_4
.LBB4_2:
	s_mov_b64 s[16:17], 0
	s_cbranch_execz .LBB4_5
	s_branch .LBB4_6
.LBB4_3:
	s_mov_b64 s[14:15], 0
	s_andn2_b64 vcc, exec, s[8:9]
	s_cbranch_vccz .LBB4_2
.LBB4_4:
                                        ; implicit-def: $sgpr16_sgpr17
.LBB4_5:
	s_lshl_b64 s[8:9], s[18:19], 3
	s_add_u32 s6, s6, s8
	s_load_dwordx2 s[4:5], s[0:1], 0x38
	s_addc_u32 s7, s7, s9
	s_load_dwordx2 s[6:7], s[6:7], 0x0
	s_waitcnt lgkmcnt(0)
	s_lshl_b64 s[4:5], s[4:5], 2
	s_add_u32 s16, s6, s4
	s_addc_u32 s17, s7, s5
.LBB4_6:
	s_load_dword s13, s[0:1], 0x40
	s_load_dwordx4 s[8:11], s[0:1], 0x58
	s_waitcnt lgkmcnt(0)
	v_cmp_eq_f32_e64 s[4:5], s13, 0
	s_and_b64 s[4:5], exec, s[4:5]
	s_mov_b64 vcc, s[4:5]
	s_cbranch_vccnz .LBB4_8
; %bb.7:
	s_load_dwordx2 s[6:7], s[0:1], 0x48
	s_lshl_b64 s[20:21], s[18:19], 3
	s_waitcnt lgkmcnt(0)
	s_add_u32 s6, s6, s20
	s_addc_u32 s7, s7, s21
	s_load_dwordx2 s[6:7], s[6:7], 0x0
	s_lshl_b64 s[8:9], s[8:9], 2
	s_waitcnt lgkmcnt(0)
	s_add_u32 s6, s6, s8
	s_addc_u32 s7, s7, s9
	s_branch .LBB4_9
.LBB4_8:
	s_mov_b64 s[6:7], 0
.LBB4_9:
	s_load_dword s3, s[0:1], 0x0
	s_lshl_b64 s[8:9], s[18:19], 3
	s_add_u32 s8, s10, s8
	s_addc_u32 s9, s11, s9
	s_load_dword s10, s[0:1], 0x18
	s_load_dword s11, s[0:1], 0x30
	s_waitcnt lgkmcnt(0)
	s_add_i32 s3, s3, -1
	s_ashr_i32 s18, s3, 31
	s_lshr_b32 s18, s18, 24
	s_add_i32 s3, s3, s18
	s_ashr_i32 s3, s3, 8
	s_add_i32 s18, s3, 1
	v_cvt_f32_u32_e32 v1, s18
	s_not_b32 s3, s3
	v_and_b32_e32 v72, 0x3ff, v0
	v_bfe_u32 v73, v0, 10, 10
	v_rcp_iflag_f32_e32 v1, v1
	v_lshl_add_u32 v0, v73, 5, v72
	v_lshrrev_b32_e32 v8, 2, v0
	v_and_b32_e32 v6, 63, v0
	v_mul_f32_e32 v1, 0x4f7ffffe, v1
	v_cvt_u32_f32_e32 v1, v1
	v_lshrrev_b32_e32 v62, 6, v0
	v_and_b32_e32 v7, 3, v72
	v_lshlrev_b32_e32 v60, 2, v7
	v_readfirstlane_b32 s19, v1
	s_mul_i32 s3, s3, s19
	s_mul_hi_u32 s3, s19, s3
	s_add_i32 s19, s19, s3
	s_mul_hi_u32 s3, s2, s19
	s_mul_i32 s19, s3, s18
	s_sub_i32 s19, s2, s19
	s_add_i32 s20, s3, 1
	s_sub_i32 s21, s19, s18
	s_cmp_ge_u32 s19, s18
	s_cselect_b32 s3, s20, s3
	s_cselect_b32 s19, s21, s19
	s_add_i32 s20, s3, 1
	s_cmp_ge_u32 s19, s18
	s_cselect_b32 s3, s20, s3
	s_mul_i32 s18, s3, s18
	s_sub_i32 s2, s2, s18
	s_lshl_b32 s19, s3, 6
	s_lshl_b32 s18, s2, 8
	v_add_u32_e32 v4, s19, v8
	v_or_b32_e32 v56, s18, v6
	v_mad_i64_i32 v[58:59], s[2:3], v4, s11, 0
	v_mad_i64_i32 v[0:1], s[2:3], s10, v62, 0
	v_ashrrev_i32_e32 v57, 31, v56
	v_lshl_add_u64 v[4:5], v[58:59], 2, s[16:17]
	v_mov_b32_e32 v61, 0
	v_lshl_add_u64 v[0:1], v[0:1], 2, s[14:15]
	v_lshlrev_b64 v[2:3], 2, v[56:57]
	v_lshl_add_u64 v[4:5], v[4:5], 0, v[60:61]
	v_lshl_add_u64 v[0:1], v[0:1], 0, v[2:3]
	flat_load_dword v7, v[4:5]
	flat_load_dword v9, v[0:1]
	flat_load_dword v10, v[0:1] offset:256
	flat_load_dword v11, v[0:1] offset:512
	;; [unrolled: 1-line block ×3, first 2 shown]
	v_add_u32_e32 v0, 4, v62
	v_lshlrev_b32_e32 v1, 2, v62
	s_load_dwordx2 s[2:3], s[8:9], 0x0
	v_lshl_add_u32 v76, v6, 4, v1
	v_mad_i64_i32 v[0:1], s[8:9], s10, v0, 0
	v_lshl_add_u64 v[0:1], v[0:1], 2, s[14:15]
	v_lshlrev_b32_e32 v75, 4, v72
	v_lshl_or_b32 v63, v8, 4, v60
	v_lshl_add_u64 v[0:1], v[0:1], 0, v[2:3]
	v_lshlrev_b32_e32 v74, 4, v73
	flat_load_dword v64, v[4:5] offset:16
	flat_load_dword v65, v[0:1]
	flat_load_dword v66, v[0:1] offset:256
	flat_load_dword v67, v[0:1] offset:512
	;; [unrolled: 1-line block ×3, first 2 shown]
	s_mov_b32 s11, 0x7f7fffff
	s_cmp_lt_i32 s12, 9
	s_waitcnt vmcnt(0) lgkmcnt(0)
	ds_write_b32 v63, v7 offset:8192
	ds_write2st64_b32 v76, v9, v10 offset1:4
	ds_write2st64_b32 v76, v11, v12 offset0:8 offset1:12
	s_waitcnt lgkmcnt(0)
	s_barrier
	ds_read_b128 v[28:31], v75
	ds_read_b128 v[24:27], v75 offset:512
	ds_read_b128 v[20:23], v75 offset:1024
	;; [unrolled: 1-line block ×13, first 2 shown]
	s_waitcnt lgkmcnt(5)
	v_pk_add_f32 v[70:71], v[28:29], v[52:53]
	v_pk_add_f32 v[80:81], v[20:21], v[52:53]
	s_waitcnt lgkmcnt(4)
	v_pk_add_f32 v[90:91], v[28:29], v[48:49]
	v_pk_add_f32 v[92:93], v[24:25], v[48:49]
	;; [unrolled: 1-line block ×9, first 2 shown]
	v_min3_f32 v69, v70, v71, s11
	v_min3_f32 v71, v80, v81, s11
	v_min3_f32 v81, v92, v93, s11
	v_min3_f32 v93, v48, v49, s11
	s_waitcnt lgkmcnt(3)
	v_pk_add_f32 v[48:49], v[28:29], v[44:45]
	v_min3_f32 v77, v82, v83, s11
	v_min3_f32 v82, v94, v95, s11
	;; [unrolled: 1-line block ×3, first 2 shown]
	v_pk_add_f32 v[48:49], v[24:25], v[44:45]
	v_pk_add_f32 v[88:89], v[4:5], v[52:53]
	v_min3_f32 v95, v48, v49, s11
	v_pk_add_f32 v[48:49], v[20:21], v[44:45]
	v_min3_f32 v80, v88, v89, s11
	v_min3_f32 v89, v96, v97, s11
	;; [unrolled: 1-line block ×3, first 2 shown]
	v_pk_add_f32 v[48:49], v[16:17], v[44:45]
	v_pk_add_f32 v[78:79], v[24:25], v[52:53]
	;; [unrolled: 1-line block ×5, first 2 shown]
	v_min3_f32 v97, v48, v49, s11
	v_pk_add_f32 v[48:49], v[12:13], v[44:45]
	v_min3_f32 v52, v52, v53, s11
	v_min3_f32 v53, v90, v91, s11
	;; [unrolled: 1-line block ×4, first 2 shown]
	v_pk_add_f32 v[48:49], v[8:9], v[44:45]
	v_min3_f32 v91, v100, v101, s11
	v_min3_f32 v99, v48, v49, s11
	v_pk_add_f32 v[48:49], v[4:5], v[44:45]
	v_pk_add_f32 v[44:45], v[0:1], v[44:45]
	v_min3_f32 v92, v102, v103, s11
	v_min3_f32 v100, v44, v45, s11
	s_waitcnt lgkmcnt(2)
	v_pk_add_f32 v[44:45], v[28:29], v[40:41]
	v_min3_f32 v70, v78, v79, s11
	v_min3_f32 v101, v44, v45, s11
	v_pk_add_f32 v[44:45], v[24:25], v[40:41]
	v_min3_f32 v79, v86, v87, s11
	v_min3_f32 v102, v44, v45, s11
	;; [unrolled: 3-line block ×4, first 2 shown]
	v_pk_add_f32 v[44:45], v[12:13], v[40:41]
	s_nop 0
	v_min3_f32 v105, v44, v45, s11
	v_pk_add_f32 v[44:45], v[8:9], v[40:41]
	s_nop 0
	v_min3_f32 v106, v44, v45, s11
	v_pk_add_f32 v[44:45], v[4:5], v[40:41]
	v_pk_add_f32 v[40:41], v[0:1], v[40:41]
	v_min3_f32 v107, v44, v45, s11
	v_min3_f32 v108, v40, v41, s11
	s_waitcnt lgkmcnt(1)
	v_pk_add_f32 v[40:41], v[28:29], v[36:37]
	s_nop 0
	v_min3_f32 v109, v40, v41, s11
	v_pk_add_f32 v[40:41], v[24:25], v[36:37]
	s_nop 0
	v_min3_f32 v110, v40, v41, s11
	;; [unrolled: 3-line block ×6, first 2 shown]
	v_pk_add_f32 v[40:41], v[4:5], v[36:37]
	v_pk_add_f32 v[36:37], v[0:1], v[36:37]
	v_min3_f32 v115, v40, v41, s11
	v_min3_f32 v116, v36, v37, s11
	s_waitcnt lgkmcnt(0)
	v_pk_add_f32 v[36:37], v[28:29], v[32:33]
	v_pk_add_f32 v[40:41], v[16:17], v[32:33]
	v_min3_f32 v150, v36, v37, s11
	v_pk_add_f32 v[36:37], v[30:31], v[54:55]
	s_nop 0
	v_min3_f32 v88, v36, v37, v69
	v_pk_add_f32 v[36:37], v[26:27], v[54:55]
	s_nop 0
	;; [unrolled: 3-line block ×9, first 2 shown]
	v_min3_f32 v70, v36, v37, s11
	v_pk_add_f32 v[36:37], v[2:3], v[54:55]
	v_min3_f32 v54, v40, v41, s11
	v_min3_f32 v147, v36, v37, v52
	v_pk_add_f32 v[36:37], v[30:31], v[50:51]
	v_pk_add_f32 v[40:41], v[12:13], v[32:33]
	v_min3_f32 v148, v36, v37, v53
	v_pk_add_f32 v[36:37], v[26:27], v[50:51]
	v_min3_f32 v40, v40, v41, s11
	v_min3_f32 v145, v36, v37, v81
	v_pk_add_f32 v[36:37], v[22:23], v[50:51]
	s_nop 0
	v_min3_f32 v146, v36, v37, v82
	v_pk_add_f32 v[36:37], v[18:19], v[50:51]
	s_nop 0
	;; [unrolled: 3-line block ×6, first 2 shown]
	v_min3_f32 v41, v36, v37, s11
	v_pk_add_f32 v[36:37], v[4:5], v[32:33]
	v_pk_add_f32 v[32:33], v[0:1], v[32:33]
	v_min3_f32 v52, v36, v37, s11
	v_pk_add_f32 v[36:37], v[2:3], v[50:51]
	v_min3_f32 v53, v32, v33, s11
	v_min3_f32 v139, v36, v37, v93
	v_pk_add_f32 v[36:37], v[30:31], v[46:47]
	s_nop 0
	v_min3_f32 v140, v36, v37, v94
	v_pk_add_f32 v[36:37], v[26:27], v[46:47]
	s_nop 0
	;; [unrolled: 3-line block ×7, first 2 shown]
	v_min3_f32 v130, v36, v37, v48
	ds_read_b128 v[48:51], v74 offset:8960
	v_pk_add_f32 v[36:37], v[2:3], v[46:47]
	ds_read_b128 v[44:47], v74 offset:9088
	v_min3_f32 v135, v36, v37, v100
	ds_write2st64_b32 v76, v65, v66 offset0:16 offset1:20
	ds_write2st64_b32 v76, v67, v68 offset0:24 offset1:28
	ds_write_b32 v63, v64 offset:9216
	s_waitcnt lgkmcnt(4)
	v_pk_add_f32 v[32:33], v[28:29], v[48:49]
	v_pk_add_f32 v[36:37], v[16:17], v[48:49]
	v_min3_f32 v55, v32, v33, s11
	v_pk_add_f32 v[32:33], v[30:31], v[42:43]
	s_waitcnt lgkmcnt(3)
	v_pk_add_f32 v[28:29], v[28:29], v[44:45]
	v_min3_f32 v138, v32, v33, v101
	v_pk_add_f32 v[32:33], v[26:27], v[42:43]
	v_pk_add_f32 v[16:17], v[16:17], v[44:45]
	v_min3_f32 v131, v32, v33, v102
	v_pk_add_f32 v[32:33], v[22:23], v[42:43]
	v_min3_f32 v16, v16, v17, s11
	v_min3_f32 v132, v32, v33, v103
	v_pk_add_f32 v[32:33], v[18:19], v[42:43]
	s_waitcnt lgkmcnt(0)
	v_min3_f32 v127, v32, v33, v104
	v_pk_add_f32 v[32:33], v[14:15], v[42:43]
	s_barrier
	v_min3_f32 v128, v32, v33, v105
	v_pk_add_f32 v[32:33], v[10:11], v[42:43]
	s_nop 0
	v_min3_f32 v125, v32, v33, v106
	v_pk_add_f32 v[32:33], v[6:7], v[42:43]
	s_nop 0
	v_min3_f32 v126, v32, v33, v107
	v_pk_add_f32 v[32:33], v[24:25], v[48:49]
	v_pk_add_f32 v[24:25], v[24:25], v[44:45]
	v_min3_f32 v71, v32, v33, s11
	v_pk_add_f32 v[32:33], v[20:21], v[48:49]
	v_min3_f32 v24, v24, v25, s11
	v_min3_f32 v77, v32, v33, s11
	v_pk_add_f32 v[32:33], v[2:3], v[42:43]
	v_min3_f32 v42, v36, v37, s11
	v_min3_f32 v123, v32, v33, v108
	v_pk_add_f32 v[32:33], v[30:31], v[38:39]
	v_pk_add_f32 v[36:37], v[12:13], v[48:49]
	v_min3_f32 v124, v32, v33, v109
	v_pk_add_f32 v[32:33], v[26:27], v[38:39]
	v_min3_f32 v36, v36, v37, s11
	v_min3_f32 v121, v32, v33, v110
	v_pk_add_f32 v[32:33], v[22:23], v[38:39]
	v_pk_add_f32 v[12:13], v[12:13], v[44:45]
	v_min3_f32 v122, v32, v33, v111
	v_pk_add_f32 v[32:33], v[18:19], v[38:39]
	v_pk_add_f32 v[20:21], v[20:21], v[44:45]
	v_min3_f32 v119, v32, v33, v112
	v_pk_add_f32 v[32:33], v[14:15], v[38:39]
	v_min3_f32 v12, v12, v13, s11
	v_min3_f32 v120, v32, v33, v113
	v_pk_add_f32 v[32:33], v[10:11], v[38:39]
	v_min3_f32 v25, v20, v21, s11
	v_min3_f32 v117, v32, v33, v114
	v_pk_add_f32 v[32:33], v[6:7], v[38:39]
	v_pk_add_f32 v[20:21], v[2:3], v[50:51]
	v_min3_f32 v118, v32, v33, v115
	v_pk_add_f32 v[32:33], v[8:9], v[48:49]
	v_pk_add_f32 v[8:9], v[8:9], v[44:45]
	v_min3_f32 v37, v32, v33, s11
	v_pk_add_f32 v[32:33], v[4:5], v[48:49]
	v_min3_f32 v8, v8, v9, s11
	v_min3_f32 v43, v32, v33, s11
	v_pk_add_f32 v[32:33], v[2:3], v[38:39]
	v_pk_add_f32 v[4:5], v[4:5], v[44:45]
	v_min3_f32 v115, v32, v33, v116
	v_pk_add_f32 v[32:33], v[30:31], v[34:35]
	v_min3_f32 v9, v4, v5, s11
	v_min3_f32 v116, v32, v33, v150
	v_pk_add_f32 v[32:33], v[26:27], v[34:35]
	v_pk_add_f32 v[4:5], v[30:31], v[46:47]
	v_min3_f32 v113, v32, v33, v69
	v_pk_add_f32 v[32:33], v[22:23], v[34:35]
	s_nop 0
	v_min3_f32 v114, v32, v33, v70
	v_pk_add_f32 v[32:33], v[18:19], v[34:35]
	s_nop 0
	;; [unrolled: 3-line block ×5, first 2 shown]
	v_min3_f32 v110, v32, v33, v52
	v_pk_add_f32 v[32:33], v[2:3], v[34:35]
	v_pk_add_f32 v[34:35], v[0:1], v[48:49]
	;; [unrolled: 1-line block ×3, first 2 shown]
	v_min3_f32 v34, v34, v35, s11
	v_min3_f32 v35, v28, v29, s11
	v_pk_add_f32 v[28:29], v[30:31], v[50:51]
	v_min3_f32 v13, v0, v1, s11
	v_pk_add_f32 v[0:1], v[26:27], v[46:47]
	;; [unrolled: 2-line block ×14, first 2 shown]
	v_min3_f32 v107, v32, v33, v53
	v_min3_f32 v102, v28, v29, v43
	;; [unrolled: 1-line block ×5, first 2 shown]
	s_cbranch_scc1 .LBB4_12
; %bb.10:
	v_mov_b32_e32 v0, 0x1000
	v_lshl_add_u32 v81, v72, 4, v0
	v_mov_b32_e32 v0, 0x2400
	v_lshl_add_u32 v82, v73, 4, v0
	v_lshl_add_u64 v[0:1], v[58:59], 2, v[60:61]
	v_lshl_add_u64 v[0:1], v[0:1], 0, s[16:17]
	;; [unrolled: 1-line block ×3, first 2 shown]
	v_add_u32_e32 v0, 8, v62
	v_mad_i64_i32 v[0:1], s[8:9], v0, s10, 0
	s_ashr_i32 s11, s10, 31
	v_lshlrev_b64 v[68:69], 2, v[0:1]
	v_add_u32_e32 v0, 12, v62
	s_lshl_b64 s[8:9], s[10:11], 5
	v_mad_i64_i32 v[0:1], s[10:11], v0, s10, 0
	v_add_u32_e32 v77, 0x2000, v63
	v_add_u32_e32 v78, 0x2000, v74
	;; [unrolled: 1-line block ×4, first 2 shown]
	s_add_i32 s12, s12, -8
	v_lshl_add_u64 v[64:65], v[56:57], 2, s[14:15]
	v_lshlrev_b64 v[70:71], 2, v[0:1]
	s_mov_b32 s10, 0
.LBB4_11:                               ; =>This Inner Loop Header: Depth=1
	v_lshl_add_u64 v[0:1], v[64:65], 0, v[68:69]
	flat_load_dword v89, v[0:1]
	flat_load_dword v90, v[0:1] offset:256
	flat_load_dword v91, v[0:1] offset:512
	;; [unrolled: 1-line block ×3, first 2 shown]
	v_add_co_u32_e32 v0, vcc, -16, v66
	s_add_i32 s10, s10, 8
	s_nop 0
	v_addc_co_u32_e32 v1, vcc, -1, v67, vcc
	flat_load_dword v151, v[0:1]
	ds_read_b128 v[28:31], v81
	ds_read_b128 v[24:27], v81 offset:512
	ds_read_b128 v[20:23], v81 offset:1024
	;; [unrolled: 1-line block ×7, first 2 shown]
	ds_read_b128 v[60:63], v82
	ds_read_b128 v[56:59], v82 offset:128
	ds_read_b128 v[52:55], v82 offset:256
	;; [unrolled: 1-line block ×7, first 2 shown]
	s_waitcnt lgkmcnt(0)
	v_pk_add_f32 v[152:153], v[28:29], v[60:61]
	s_cmp_ge_i32 s10, s12
	v_min3_f32 v88, v152, v153, v88
	v_pk_add_f32 v[152:153], v[24:25], v[60:61]
	s_waitcnt vmcnt(0)
	ds_write2st64_b32 v76, v89, v90 offset1:4
	ds_write2st64_b32 v76, v91, v150 offset0:8 offset1:12
	ds_write_b32 v77, v151
	v_min3_f32 v154, v152, v153, v87
	v_pk_add_f32 v[152:153], v[20:21], v[60:61]
	s_waitcnt lgkmcnt(0)
	v_min3_f32 v149, v152, v153, v149
	v_pk_add_f32 v[152:153], v[16:17], v[60:61]
	s_barrier
	v_min3_f32 v155, v152, v153, v83
	v_pk_add_f32 v[152:153], v[12:13], v[60:61]
	s_nop 0
	v_min3_f32 v152, v152, v153, v86
	v_pk_add_f32 v[86:87], v[8:9], v[60:61]
	s_nop 0
	v_min3_f32 v85, v86, v87, v85
	v_pk_add_f32 v[86:87], v[4:5], v[60:61]
	v_pk_add_f32 v[60:61], v[0:1], v[60:61]
	v_min3_f32 v87, v86, v87, v84
	v_min3_f32 v147, v60, v61, v147
	v_pk_add_f32 v[60:61], v[28:29], v[56:57]
	s_nop 0
	v_min3_f32 v148, v60, v61, v148
	v_pk_add_f32 v[60:61], v[24:25], v[56:57]
	s_nop 0
	v_min3_f32 v153, v60, v61, v145
	v_pk_add_f32 v[60:61], v[20:21], v[56:57]
	s_nop 0
	v_min3_f32 v146, v60, v61, v146
	v_pk_add_f32 v[60:61], v[16:17], v[56:57]
	s_nop 0
	v_min3_f32 v156, v60, v61, v143
	v_pk_add_f32 v[60:61], v[12:13], v[56:57]
	s_nop 0
	v_min3_f32 v157, v60, v61, v144
	v_pk_add_f32 v[60:61], v[8:9], v[56:57]
	s_nop 0
	v_min3_f32 v158, v60, v61, v141
	v_pk_add_f32 v[60:61], v[4:5], v[56:57]
	v_pk_add_f32 v[56:57], v[0:1], v[56:57]
	v_min3_f32 v145, v60, v61, v142
	v_min3_f32 v144, v56, v57, v139
	v_pk_add_f32 v[56:57], v[28:29], v[52:53]
	s_nop 0
	v_min3_f32 v143, v56, v57, v140
	v_pk_add_f32 v[56:57], v[24:25], v[52:53]
	s_nop 0
	v_min3_f32 v142, v56, v57, v136
	v_pk_add_f32 v[56:57], v[20:21], v[52:53]
	s_nop 0
	v_min3_f32 v141, v56, v57, v137
	v_pk_add_f32 v[56:57], v[16:17], v[52:53]
	s_nop 0
	;; [unrolled: 22-line block ×5, first 2 shown]
	v_min3_f32 v61, v44, v45, v111
	v_pk_add_f32 v[44:45], v[12:13], v[40:41]
	s_nop 0
	v_min3_f32 v60, v44, v45, v112
	v_pk_add_f32 v[44:45], v[8:9], v[40:41]
	s_nop 0
	v_min3_f32 v57, v44, v45, v109
	v_pk_add_f32 v[44:45], v[4:5], v[40:41]
	v_pk_add_f32 v[40:41], v[0:1], v[40:41]
	v_min3_f32 v56, v44, v45, v110
	v_min3_f32 v53, v40, v41, v107
	v_pk_add_f32 v[40:41], v[28:29], v[36:37]
	v_pk_add_f32 v[28:29], v[28:29], v[32:33]
	v_min3_f32 v52, v40, v41, v108
	v_pk_add_f32 v[40:41], v[24:25], v[36:37]
	v_pk_add_f32 v[24:25], v[24:25], v[32:33]
	;; [unrolled: 3-line block ×6, first 2 shown]
	v_pk_add_f32 v[36:37], v[0:1], v[36:37]
	v_pk_add_f32 v[8:9], v[8:9], v[32:33]
	;; [unrolled: 1-line block ×5, first 2 shown]
	v_min3_f32 v24, v24, v25, v96
	v_min3_f32 v96, v32, v33, v88
	v_pk_add_f32 v[32:33], v[26:27], v[62:63]
	v_min3_f32 v12, v12, v13, v95
	v_min3_f32 v95, v32, v33, v154
	v_pk_add_f32 v[32:33], v[22:23], v[62:63]
	v_min3_f32 v16, v16, v17, v94
	v_min3_f32 v94, v32, v33, v149
	v_pk_add_f32 v[32:33], v[18:19], v[62:63]
	v_min3_f32 v4, v4, v5, v93
	v_min3_f32 v93, v32, v33, v155
	v_pk_add_f32 v[32:33], v[14:15], v[62:63]
	v_min3_f32 v8, v8, v9, v92
	v_min3_f32 v92, v32, v33, v152
	v_pk_add_f32 v[32:33], v[10:11], v[62:63]
	v_min3_f32 v20, v20, v21, v97
	v_min3_f32 v88, v32, v33, v85
	v_pk_add_f32 v[32:33], v[6:7], v[62:63]
	v_min3_f32 v0, v0, v1, v98
	v_min3_f32 v87, v32, v33, v87
	v_pk_add_f32 v[32:33], v[2:3], v[62:63]
	v_min3_f32 v36, v36, v37, v99
	v_min3_f32 v85, v32, v33, v147
	v_pk_add_f32 v[32:33], v[30:31], v[58:59]
	v_min3_f32 v28, v28, v29, v100
	v_min3_f32 v97, v32, v33, v148
	v_pk_add_f32 v[32:33], v[26:27], v[58:59]
	v_min3_f32 v41, v40, v41, v101
	v_min3_f32 v98, v32, v33, v153
	v_pk_add_f32 v[32:33], v[22:23], v[58:59]
	v_min3_f32 v40, v104, v105, v102
	v_min3_f32 v99, v32, v33, v146
	v_pk_add_f32 v[32:33], v[18:19], v[58:59]
	s_nop 0
	v_min3_f32 v100, v32, v33, v156
	v_pk_add_f32 v[32:33], v[14:15], v[58:59]
	s_nop 0
	v_min3_f32 v101, v32, v33, v157
	v_pk_add_f32 v[32:33], v[10:11], v[58:59]
	;; [unrolled: 3-line block ×37, first 2 shown]
	v_pk_add_f32 v[30:31], v[30:31], v[34:35]
	v_min3_f32 v149, v32, v33, v52
	v_pk_add_f32 v[32:33], v[26:27], v[38:39]
	v_pk_add_f32 v[26:27], v[26:27], v[34:35]
	v_min3_f32 v152, v32, v33, v49
	v_pk_add_f32 v[32:33], v[22:23], v[38:39]
	;; [unrolled: 3-line block ×7, first 2 shown]
	v_pk_add_f32 v[2:3], v[2:3], v[34:35]
	v_min3_f32 v158, v32, v33, v36
	v_min3_f32 v166, v2, v3, v0
	v_lshl_add_u64 v[0:1], v[64:65], 0, v[70:71]
	v_min3_f32 v159, v30, v31, v28
	v_min3_f32 v160, v26, v27, v24
	;; [unrolled: 1-line block ×7, first 2 shown]
	flat_load_dword v89, v[0:1]
	flat_load_dword v90, v[0:1] offset:256
	flat_load_dword v91, v[0:1] offset:512
	;; [unrolled: 1-line block ×3, first 2 shown]
	flat_load_dword v151, v[66:67]
	ds_read_b128 v[28:31], v75
	ds_read_b128 v[24:27], v75 offset:512
	ds_read_b128 v[20:23], v75 offset:1024
	;; [unrolled: 1-line block ×7, first 2 shown]
	ds_read_b128 v[60:63], v78
	ds_read_b128 v[56:59], v78 offset:128
	ds_read_b128 v[52:55], v78 offset:256
	;; [unrolled: 1-line block ×7, first 2 shown]
	s_waitcnt lgkmcnt(0)
	v_pk_add_f32 v[114:115], v[28:29], v[60:61]
	v_lshl_add_u64 v[66:67], v[66:67], 0, 32
	v_min3_f32 v167, v114, v115, v96
	v_pk_add_f32 v[114:115], v[24:25], v[60:61]
	v_lshl_add_u64 v[64:65], v[64:65], 0, s[8:9]
	v_min3_f32 v168, v114, v115, v95
	v_pk_add_f32 v[114:115], v[20:21], v[60:61]
	s_waitcnt vmcnt(0)
	ds_write2st64_b32 v79, v89, v90 offset1:4
	ds_write2st64_b32 v79, v91, v150 offset0:8 offset1:12
	ds_write_b32 v80, v151
	v_min3_f32 v169, v114, v115, v94
	v_pk_add_f32 v[94:95], v[16:17], v[60:61]
	s_waitcnt lgkmcnt(0)
	v_min3_f32 v170, v94, v95, v93
	v_pk_add_f32 v[94:95], v[12:13], v[60:61]
	s_barrier
	v_min3_f32 v171, v94, v95, v92
	v_pk_add_f32 v[92:93], v[8:9], v[60:61]
	s_nop 0
	v_min3_f32 v172, v92, v93, v88
	v_pk_add_f32 v[92:93], v[4:5], v[60:61]
	v_pk_add_f32 v[60:61], v[0:1], v[60:61]
	v_min3_f32 v173, v92, v93, v87
	v_min3_f32 v174, v60, v61, v85
	v_pk_add_f32 v[60:61], v[28:29], v[56:57]
	s_nop 0
	v_min3_f32 v138, v60, v61, v97
	v_pk_add_f32 v[60:61], v[24:25], v[56:57]
	s_nop 0
	v_min3_f32 v136, v60, v61, v98
	v_pk_add_f32 v[60:61], v[20:21], v[56:57]
	s_nop 0
	v_min3_f32 v134, v60, v61, v99
	v_pk_add_f32 v[60:61], v[16:17], v[56:57]
	s_nop 0
	v_min3_f32 v132, v60, v61, v100
	v_pk_add_f32 v[60:61], v[12:13], v[56:57]
	s_nop 0
	v_min3_f32 v124, v60, v61, v101
	v_pk_add_f32 v[60:61], v[8:9], v[56:57]
	s_nop 0
	v_min3_f32 v123, v60, v61, v102
	v_pk_add_f32 v[60:61], v[4:5], v[56:57]
	v_pk_add_f32 v[56:57], v[0:1], v[56:57]
	v_min3_f32 v122, v60, v61, v103
	v_min3_f32 v121, v56, v57, v104
	v_pk_add_f32 v[56:57], v[28:29], v[52:53]
	s_nop 0
	v_min3_f32 v120, v56, v57, v105
	v_pk_add_f32 v[56:57], v[24:25], v[52:53]
	s_nop 0
	v_min3_f32 v119, v56, v57, v106
	v_pk_add_f32 v[56:57], v[20:21], v[52:53]
	s_nop 0
	v_min3_f32 v117, v56, v57, v107
	v_pk_add_f32 v[56:57], v[16:17], v[52:53]
	s_nop 0
	v_min3_f32 v116, v56, v57, v108
	v_pk_add_f32 v[56:57], v[12:13], v[52:53]
	s_nop 0
	;; [unrolled: 22-line block ×4, first 2 shown]
	v_min3_f32 v98, v48, v49, v140
	v_pk_add_f32 v[48:49], v[8:9], v[44:45]
	s_nop 0
	v_min3_f32 v97, v48, v49, v141
	v_pk_add_f32 v[48:49], v[4:5], v[44:45]
	v_pk_add_f32 v[44:45], v[0:1], v[44:45]
	v_min3_f32 v96, v48, v49, v142
	v_min3_f32 v95, v44, v45, v143
	v_pk_add_f32 v[44:45], v[28:29], v[40:41]
	s_nop 0
	v_min3_f32 v94, v44, v45, v86
	v_pk_add_f32 v[44:45], v[24:25], v[40:41]
	s_nop 0
	v_min3_f32 v93, v44, v45, v84
	v_pk_add_f32 v[44:45], v[20:21], v[40:41]
	v_pk_add_f32 v[84:85], v[4:5], v[36:37]
	v_min3_f32 v92, v44, v45, v83
	v_pk_add_f32 v[44:45], v[16:17], v[40:41]
	s_nop 0
	v_min3_f32 v61, v44, v45, v144
	v_pk_add_f32 v[44:45], v[12:13], v[40:41]
	s_nop 0
	;; [unrolled: 3-line block ×3, first 2 shown]
	v_min3_f32 v57, v44, v45, v146
	v_pk_add_f32 v[44:45], v[4:5], v[40:41]
	v_pk_add_f32 v[40:41], v[0:1], v[40:41]
	v_min3_f32 v56, v44, v45, v147
	v_min3_f32 v53, v40, v41, v148
	v_pk_add_f32 v[40:41], v[28:29], v[36:37]
	v_pk_add_f32 v[28:29], v[28:29], v[32:33]
	v_min3_f32 v52, v40, v41, v149
	v_pk_add_f32 v[40:41], v[24:25], v[36:37]
	v_pk_add_f32 v[24:25], v[24:25], v[32:33]
	v_min3_f32 v49, v40, v41, v152
	v_pk_add_f32 v[40:41], v[20:21], v[36:37]
	v_pk_add_f32 v[20:21], v[20:21], v[32:33]
	v_min3_f32 v48, v40, v41, v153
	v_pk_add_f32 v[40:41], v[16:17], v[36:37]
	v_pk_add_f32 v[16:17], v[16:17], v[32:33]
	v_min3_f32 v45, v40, v41, v154
	v_pk_add_f32 v[40:41], v[12:13], v[36:37]
	v_pk_add_f32 v[12:13], v[12:13], v[32:33]
	v_min3_f32 v44, v40, v41, v155
	v_pk_add_f32 v[40:41], v[8:9], v[36:37]
	v_pk_add_f32 v[36:37], v[0:1], v[36:37]
	v_pk_add_f32 v[8:9], v[8:9], v[32:33]
	v_pk_add_f32 v[4:5], v[4:5], v[32:33]
	;; [unrolled: 1-line block ×4, first 2 shown]
	v_min3_f32 v41, v40, v41, v156
	v_min3_f32 v88, v32, v33, v167
	v_pk_add_f32 v[32:33], v[26:27], v[62:63]
	v_min3_f32 v40, v84, v85, v157
	v_min3_f32 v87, v32, v33, v168
	v_pk_add_f32 v[32:33], v[22:23], v[62:63]
	;; [unrolled: 3-line block ×11, first 2 shown]
	s_nop 0
	v_min3_f32 v143, v32, v33, v132
	v_pk_add_f32 v[32:33], v[14:15], v[58:59]
	s_nop 0
	v_min3_f32 v144, v32, v33, v124
	v_pk_add_f32 v[32:33], v[10:11], v[58:59]
	;; [unrolled: 3-line block ×37, first 2 shown]
	v_pk_add_f32 v[30:31], v[30:31], v[34:35]
	v_min3_f32 v108, v32, v33, v52
	v_pk_add_f32 v[32:33], v[26:27], v[38:39]
	v_pk_add_f32 v[26:27], v[26:27], v[34:35]
	v_min3_f32 v105, v32, v33, v49
	v_pk_add_f32 v[32:33], v[22:23], v[38:39]
	;; [unrolled: 3-line block ×7, first 2 shown]
	v_pk_add_f32 v[2:3], v[2:3], v[34:35]
	v_min3_f32 v99, v32, v33, v36
	v_min3_f32 v100, v30, v31, v28
	v_min3_f32 v96, v26, v27, v24
	v_min3_f32 v97, v22, v23, v20
	v_min3_f32 v94, v18, v19, v16
	v_min3_f32 v95, v14, v15, v12
	v_min3_f32 v92, v10, v11, v8
	v_min3_f32 v93, v6, v7, v4
	v_min3_f32 v98, v2, v3, v0
	s_cbranch_scc0 .LBB4_11
.LBB4_12:
	s_load_dwordx2 s[10:11], s[0:1], 0x70
	ds_read_b128 v[32:35], v75 offset:4096
	ds_read_b128 v[60:63], v74 offset:9216
	s_load_dword s8, s[0:1], 0x50
	s_load_dword s9, s[0:1], 0x68
	v_add_u32_e32 v68, s18, v72
	v_add_u32_e32 v150, s19, v73
	s_waitcnt lgkmcnt(0)
	s_lshl_b64 s[0:1], s[10:11], 2
	v_pk_add_f32 v[0:1], v[32:33], v[60:61]
	s_add_u32 s0, s2, s0
	v_min3_f32 v2, v0, v1, v88
	v_pk_add_f32 v[0:1], v[34:35], v[62:63]
	s_addc_u32 s1, s3, s1
	v_min3_f32 v2, v0, v1, v2
	v_add_u32_e32 v64, 32, v68
	v_mad_i64_i32 v[0:1], s[2:3], v150, s9, 0
	v_ashrrev_i32_e32 v69, 31, v68
	v_ashrrev_i32_e32 v65, 31, v64
	v_lshl_add_u64 v[88:89], v[0:1], 2, s[0:1]
	v_mad_i64_i32 v[0:1], s[2:3], v150, s8, 0
	v_max_f32_e32 v2, v2, v2
	s_mov_b64 vcc, s[4:5]
	s_cbranch_vccz .LBB4_14
; %bb.13:
	v_min_f32_e32 v3, 0, v2
	v_lshl_add_u64 v[4:5], v[68:69], 2, v[88:89]
	s_mov_b32 s10, 0
	global_store_dword v[4:5], v3, off
	s_mov_b64 s[2:3], 0
	s_branch .LBB4_15
.LBB4_14:
	s_mov_b64 s[2:3], -1
                                        ; implicit-def: $sgpr10
.LBB4_15:
	ds_read_b128 v[28:31], v75 offset:4608
	ds_read_b128 v[24:27], v75 offset:5120
	v_lshl_add_u64 v[90:91], v[0:1], 2, s[6:7]
	s_andn2_b64 vcc, exec, s[2:3]
	v_lshlrev_b64 v[72:73], 2, v[68:69]
	s_cbranch_vccnz .LBB4_17
; %bb.16:
	v_lshl_add_u64 v[0:1], v[90:91], 0, v[72:73]
	flat_load_dword v3, v[0:1]
	v_lshl_add_u64 v[0:1], v[88:89], 0, v[72:73]
	s_waitcnt vmcnt(0) lgkmcnt(0)
	v_mul_f32_e32 v3, s13, v3
	v_min_f32_e32 v2, v3, v2
	global_store_dword v[0:1], v2, off
	v_lshl_add_u64 v[0:1], v[64:65], 2, v[90:91]
	flat_load_dword v0, v[0:1]
	s_waitcnt vmcnt(0) lgkmcnt(0)
	v_mul_f32_e32 v70, s13, v0
	s_branch .LBB4_18
.LBB4_17:
	v_mov_b32_e32 v70, s10
.LBB4_18:
	ds_read_b128 v[20:23], v75 offset:5632
	ds_read_b128 v[16:19], v75 offset:6144
	;; [unrolled: 1-line block ×12, first 2 shown]
	s_waitcnt lgkmcnt(13)
	v_pk_add_f32 v[66:67], v[28:29], v[60:61]
	s_mov_b64 vcc, s[4:5]
	v_min3_f32 v71, v66, v67, v87
	s_waitcnt lgkmcnt(12)
	v_pk_add_f32 v[66:67], v[24:25], v[60:61]
	s_nop 0
	v_min3_f32 v74, v66, v67, v149
	v_pk_add_f32 v[66:67], v[30:31], v[62:63]
	s_nop 0
	v_min_f32_e32 v76, v66, v67
	v_pk_add_f32 v[66:67], v[26:27], v[62:63]
	v_min3_f32 v76, v70, v76, v71
	v_min3_f32 v77, v66, v67, v74
	v_add_u32_e32 v74, 64, v68
	v_add_u32_e32 v66, 0x60, v68
	v_lshl_add_u64 v[70:71], v[64:65], 2, v[88:89]
	v_ashrrev_i32_e32 v75, 31, v74
	v_ashrrev_i32_e32 v67, 31, v66
	global_store_dword v[70:71], v76, off
	v_max_f32_e32 v70, v77, v77
	s_cbranch_vccz .LBB4_21
; %bb.19:
	v_min_f32_e32 v71, 0, v70
	v_lshl_add_u64 v[76:77], v[74:75], 2, v[88:89]
	s_mov_b32 s10, 0
	global_store_dword v[76:77], v71, off
	v_lshlrev_b64 v[78:79], 2, v[74:75]
	s_cbranch_execz .LBB4_22
; %bb.20:
	v_mov_b32_e32 v76, s10
	s_branch .LBB4_23
.LBB4_21:
                                        ; implicit-def: $sgpr10
	v_lshlrev_b64 v[78:79], 2, v[74:75]
.LBB4_22:
	v_lshl_add_u64 v[76:77], v[90:91], 0, v[78:79]
	flat_load_dword v71, v[76:77]
	v_lshl_add_u64 v[76:77], v[88:89], 0, v[78:79]
	s_waitcnt vmcnt(0) lgkmcnt(0)
	v_mul_f32_e32 v71, s13, v71
	v_min_f32_e32 v70, v71, v70
	global_store_dword v[76:77], v70, off
	v_lshl_add_u64 v[70:71], v[66:67], 2, v[90:91]
	flat_load_dword v70, v[70:71]
	s_waitcnt vmcnt(0) lgkmcnt(0)
	v_mul_f32_e32 v76, s13, v70
.LBB4_23:
	s_waitcnt lgkmcnt(11)
	v_pk_add_f32 v[70:71], v[20:21], v[60:61]
	s_mov_b64 vcc, s[4:5]
	v_min3_f32 v77, v70, v71, v83
	s_waitcnt lgkmcnt(10)
	v_pk_add_f32 v[70:71], v[16:17], v[60:61]
	s_nop 0
	v_min3_f32 v80, v70, v71, v86
	v_pk_add_f32 v[70:71], v[22:23], v[62:63]
	s_nop 0
	v_min_f32_e32 v82, v70, v71
	v_pk_add_f32 v[70:71], v[18:19], v[62:63]
	v_min3_f32 v82, v76, v82, v77
	v_min3_f32 v83, v70, v71, v80
	v_add_u32_e32 v80, 0x80, v68
	v_add_u32_e32 v70, 0xa0, v68
	v_lshl_add_u64 v[76:77], v[66:67], 2, v[88:89]
	v_ashrrev_i32_e32 v81, 31, v80
	v_ashrrev_i32_e32 v71, 31, v70
	global_store_dword v[76:77], v82, off
	v_max_f32_e32 v76, v83, v83
	s_cbranch_vccz .LBB4_26
; %bb.24:
	v_min_f32_e32 v77, 0, v76
	v_lshl_add_u64 v[82:83], v[80:81], 2, v[88:89]
	s_mov_b32 s10, 0
	global_store_dword v[82:83], v77, off
	v_lshlrev_b64 v[82:83], 2, v[80:81]
	s_cbranch_execz .LBB4_27
; %bb.25:
	v_mov_b32_e32 v86, s10
	s_branch .LBB4_28
.LBB4_26:
                                        ; implicit-def: $sgpr10
	v_lshlrev_b64 v[82:83], 2, v[80:81]
.LBB4_27:
	v_lshl_add_u64 v[86:87], v[90:91], 0, v[82:83]
	flat_load_dword v77, v[86:87]
	v_lshl_add_u64 v[86:87], v[88:89], 0, v[82:83]
	s_waitcnt vmcnt(0) lgkmcnt(0)
	v_mul_f32_e32 v77, s13, v77
	v_min_f32_e32 v76, v77, v76
	global_store_dword v[86:87], v76, off
	v_lshl_add_u64 v[76:77], v[70:71], 2, v[90:91]
	flat_load_dword v76, v[76:77]
	s_waitcnt vmcnt(0) lgkmcnt(0)
	v_mul_f32_e32 v86, s13, v76
.LBB4_28:
	s_waitcnt lgkmcnt(9)
	v_pk_add_f32 v[76:77], v[12:13], v[60:61]
	s_mov_b64 vcc, s[4:5]
	v_min3_f32 v87, v76, v77, v85
	s_waitcnt lgkmcnt(8)
	v_pk_add_f32 v[76:77], v[8:9], v[60:61]
	s_nop 0
	v_min3_f32 v84, v76, v77, v84
	v_pk_add_f32 v[76:77], v[14:15], v[62:63]
	s_nop 0
	v_min_f32_e32 v149, v76, v77
	v_pk_add_f32 v[76:77], v[10:11], v[62:63]
	v_min3_f32 v149, v86, v149, v87
	v_min3_f32 v151, v76, v77, v84
	v_add_u32_e32 v84, 0xc0, v68
	v_add_u32_e32 v76, 0xe0, v68
	v_lshl_add_u64 v[86:87], v[70:71], 2, v[88:89]
	v_ashrrev_i32_e32 v85, 31, v84
	v_ashrrev_i32_e32 v77, 31, v76
	global_store_dword v[86:87], v149, off
	v_max_f32_e32 v149, v151, v151
	s_cbranch_vccz .LBB4_31
; %bb.29:
	v_min_f32_e32 v151, 0, v149
	v_lshl_add_u64 v[86:87], v[84:85], 2, v[88:89]
	s_mov_b32 s10, 0
	global_store_dword v[86:87], v151, off
	v_lshlrev_b64 v[86:87], 2, v[84:85]
	s_cbranch_execz .LBB4_32
; %bb.30:
	v_mov_b32_e32 v90, s10
	s_branch .LBB4_33
.LBB4_31:
                                        ; implicit-def: $sgpr10
	v_lshlrev_b64 v[86:87], 2, v[84:85]
.LBB4_32:
	v_lshl_add_u64 v[152:153], v[90:91], 0, v[86:87]
	flat_load_dword v151, v[152:153]
	v_lshl_add_u64 v[152:153], v[88:89], 0, v[86:87]
	v_lshl_add_u64 v[90:91], v[76:77], 2, v[90:91]
	s_waitcnt vmcnt(0) lgkmcnt(0)
	v_mul_f32_e32 v151, s13, v151
	v_min_f32_e32 v149, v151, v149
	global_store_dword v[152:153], v149, off
	flat_load_dword v90, v[90:91]
	s_waitcnt vmcnt(0) lgkmcnt(0)
	v_mul_f32_e32 v90, s13, v90
.LBB4_33:
	s_waitcnt lgkmcnt(7)
	v_pk_add_f32 v[60:61], v[0:1], v[60:61]
	s_mov_b64 vcc, s[4:5]
	v_min3_f32 v91, v60, v61, v147
	s_waitcnt lgkmcnt(6)
	v_pk_add_f32 v[60:61], v[32:33], v[56:57]
	s_nop 0
	v_min3_f32 v147, v60, v61, v148
	v_pk_add_f32 v[60:61], v[2:3], v[62:63]
	s_nop 0
	v_min_f32_e32 v62, v60, v61
	v_pk_add_f32 v[60:61], v[34:35], v[58:59]
	v_min3_f32 v62, v90, v62, v91
	v_min3_f32 v147, v60, v61, v147
	v_lshl_add_u64 v[60:61], v[76:77], 2, v[88:89]
	global_store_dword v[60:61], v62, off
	v_add_u32_e32 v62, 8, v150
	v_mad_i64_i32 v[60:61], s[2:3], v62, s9, 0
	v_lshl_add_u64 v[60:61], v[60:61], 2, s[0:1]
	v_mad_i64_i32 v[62:63], s[2:3], v62, s8, 0
	v_max_f32_e32 v88, v147, v147
	s_cbranch_vccz .LBB4_36
; %bb.34:
	v_min_f32_e32 v89, 0, v88
	v_lshl_add_u64 v[90:91], v[68:69], 2, v[60:61]
	s_mov_b32 s10, 0
	global_store_dword v[90:91], v89, off
	v_lshl_add_u64 v[62:63], v[62:63], 2, s[6:7]
	s_cbranch_execz .LBB4_37
; %bb.35:
	v_mov_b32_e32 v88, s10
	s_branch .LBB4_38
.LBB4_36:
                                        ; implicit-def: $sgpr10
	v_lshl_add_u64 v[62:63], v[62:63], 2, s[6:7]
.LBB4_37:
	v_lshl_add_u64 v[90:91], v[62:63], 0, v[72:73]
	flat_load_dword v89, v[90:91]
	v_lshl_add_u64 v[90:91], v[60:61], 0, v[72:73]
	s_waitcnt vmcnt(0) lgkmcnt(0)
	v_mul_f32_e32 v89, s13, v89
	v_min_f32_e32 v88, v89, v88
	global_store_dword v[90:91], v88, off
	v_lshl_add_u64 v[88:89], v[64:65], 2, v[62:63]
	flat_load_dword v88, v[88:89]
	s_waitcnt vmcnt(0) lgkmcnt(0)
	v_mul_f32_e32 v88, s13, v88
.LBB4_38:
	v_pk_add_f32 v[90:91], v[28:29], v[56:57]
	s_mov_b64 vcc, s[4:5]
	v_min3_f32 v89, v90, v91, v145
	v_pk_add_f32 v[90:91], v[24:25], v[56:57]
	s_nop 0
	v_min3_f32 v145, v90, v91, v146
	v_pk_add_f32 v[90:91], v[30:31], v[58:59]
	s_nop 0
	v_min_f32_e32 v146, v90, v91
	v_pk_add_f32 v[90:91], v[26:27], v[58:59]
	s_nop 0
	v_min3_f32 v90, v90, v91, v145
	v_min3_f32 v91, v88, v146, v89
	v_lshl_add_u64 v[88:89], v[64:65], 2, v[60:61]
	global_store_dword v[88:89], v91, off
	v_max_f32_e32 v88, v90, v90
	s_cbranch_vccz .LBB4_41
; %bb.39:
	v_min_f32_e32 v89, 0, v88
	v_lshl_add_u64 v[90:91], v[74:75], 2, v[60:61]
	s_mov_b32 s10, 0
	global_store_dword v[90:91], v89, off
	s_cbranch_execz .LBB4_42
; %bb.40:
	v_mov_b32_e32 v88, s10
	s_branch .LBB4_43
.LBB4_41:
                                        ; implicit-def: $sgpr10
.LBB4_42:
	v_lshl_add_u64 v[90:91], v[62:63], 0, v[78:79]
	flat_load_dword v89, v[90:91]
	v_lshl_add_u64 v[90:91], v[60:61], 0, v[78:79]
	s_waitcnt vmcnt(0) lgkmcnt(0)
	v_mul_f32_e32 v89, s13, v89
	v_min_f32_e32 v88, v89, v88
	global_store_dword v[90:91], v88, off
	v_lshl_add_u64 v[88:89], v[66:67], 2, v[62:63]
	flat_load_dword v88, v[88:89]
	s_waitcnt vmcnt(0) lgkmcnt(0)
	v_mul_f32_e32 v88, s13, v88
.LBB4_43:
	v_pk_add_f32 v[90:91], v[20:21], v[56:57]
	s_mov_b64 vcc, s[4:5]
	v_min3_f32 v89, v90, v91, v143
	v_pk_add_f32 v[90:91], v[16:17], v[56:57]
	s_nop 0
	v_min3_f32 v143, v90, v91, v144
	v_pk_add_f32 v[90:91], v[22:23], v[58:59]
	s_nop 0
	v_min_f32_e32 v144, v90, v91
	v_pk_add_f32 v[90:91], v[18:19], v[58:59]
	s_nop 0
	v_min3_f32 v90, v90, v91, v143
	v_min3_f32 v91, v88, v144, v89
	v_lshl_add_u64 v[88:89], v[66:67], 2, v[60:61]
	global_store_dword v[88:89], v91, off
	v_max_f32_e32 v88, v90, v90
	s_cbranch_vccz .LBB4_46
; %bb.44:
	v_min_f32_e32 v89, 0, v88
	v_lshl_add_u64 v[90:91], v[80:81], 2, v[60:61]
	s_mov_b32 s10, 0
	global_store_dword v[90:91], v89, off
	s_cbranch_execz .LBB4_47
; %bb.45:
	v_mov_b32_e32 v88, s10
	s_branch .LBB4_48
.LBB4_46:
                                        ; implicit-def: $sgpr10
.LBB4_47:
	v_lshl_add_u64 v[90:91], v[62:63], 0, v[82:83]
	flat_load_dword v89, v[90:91]
	v_lshl_add_u64 v[90:91], v[60:61], 0, v[82:83]
	s_waitcnt vmcnt(0) lgkmcnt(0)
	v_mul_f32_e32 v89, s13, v89
	v_min_f32_e32 v88, v89, v88
	global_store_dword v[90:91], v88, off
	v_lshl_add_u64 v[88:89], v[70:71], 2, v[62:63]
	flat_load_dword v88, v[88:89]
	s_waitcnt vmcnt(0) lgkmcnt(0)
	v_mul_f32_e32 v88, s13, v88
.LBB4_48:
	v_pk_add_f32 v[90:91], v[12:13], v[56:57]
	s_mov_b64 vcc, s[4:5]
	v_min3_f32 v89, v90, v91, v141
	v_pk_add_f32 v[90:91], v[8:9], v[56:57]
	s_nop 0
	v_min3_f32 v141, v90, v91, v142
	v_pk_add_f32 v[90:91], v[14:15], v[58:59]
	s_nop 0
	v_min_f32_e32 v142, v90, v91
	v_pk_add_f32 v[90:91], v[10:11], v[58:59]
	s_nop 0
	v_min3_f32 v90, v90, v91, v141
	v_min3_f32 v91, v88, v142, v89
	v_lshl_add_u64 v[88:89], v[70:71], 2, v[60:61]
	global_store_dword v[88:89], v91, off
	v_max_f32_e32 v88, v90, v90
	s_cbranch_vccz .LBB4_51
; %bb.49:
	v_min_f32_e32 v89, 0, v88
	v_lshl_add_u64 v[90:91], v[84:85], 2, v[60:61]
	s_mov_b32 s10, 0
	global_store_dword v[90:91], v89, off
	s_cbranch_execz .LBB4_52
; %bb.50:
	v_mov_b32_e32 v62, s10
	s_branch .LBB4_53
.LBB4_51:
                                        ; implicit-def: $sgpr10
.LBB4_52:
	v_lshl_add_u64 v[90:91], v[62:63], 0, v[86:87]
	flat_load_dword v89, v[90:91]
	v_lshl_add_u64 v[90:91], v[60:61], 0, v[86:87]
	v_lshl_add_u64 v[62:63], v[76:77], 2, v[62:63]
	s_waitcnt vmcnt(0) lgkmcnt(0)
	v_mul_f32_e32 v89, s13, v89
	v_min_f32_e32 v88, v89, v88
	global_store_dword v[90:91], v88, off
	flat_load_dword v62, v[62:63]
	s_waitcnt vmcnt(0) lgkmcnt(0)
	v_mul_f32_e32 v62, s13, v62
.LBB4_53:
	v_pk_add_f32 v[56:57], v[0:1], v[56:57]
	s_mov_b64 vcc, s[4:5]
	v_min3_f32 v63, v56, v57, v139
	s_waitcnt lgkmcnt(5)
	v_pk_add_f32 v[56:57], v[32:33], v[52:53]
	s_nop 0
	v_min3_f32 v88, v56, v57, v140
	v_pk_add_f32 v[56:57], v[2:3], v[58:59]
	s_nop 0
	v_min_f32_e32 v58, v56, v57
	v_pk_add_f32 v[56:57], v[34:35], v[54:55]
	v_min3_f32 v58, v62, v58, v63
	v_min3_f32 v88, v56, v57, v88
	v_lshl_add_u64 v[56:57], v[76:77], 2, v[60:61]
	global_store_dword v[56:57], v58, off
	v_add_u32_e32 v58, 16, v150
	v_mad_i64_i32 v[56:57], s[2:3], v58, s9, 0
	v_lshl_add_u64 v[56:57], v[56:57], 2, s[0:1]
	v_mad_i64_i32 v[58:59], s[2:3], v58, s8, 0
	v_max_f32_e32 v60, v88, v88
	s_cbranch_vccz .LBB4_56
; %bb.54:
	v_min_f32_e32 v61, 0, v60
	v_lshl_add_u64 v[62:63], v[68:69], 2, v[56:57]
	s_mov_b32 s10, 0
	global_store_dword v[62:63], v61, off
	v_lshl_add_u64 v[58:59], v[58:59], 2, s[6:7]
	s_cbranch_execz .LBB4_57
; %bb.55:
	v_mov_b32_e32 v60, s10
	s_branch .LBB4_58
.LBB4_56:
                                        ; implicit-def: $sgpr10
	v_lshl_add_u64 v[58:59], v[58:59], 2, s[6:7]
.LBB4_57:
	v_lshl_add_u64 v[62:63], v[58:59], 0, v[72:73]
	flat_load_dword v61, v[62:63]
	v_lshl_add_u64 v[62:63], v[56:57], 0, v[72:73]
	s_waitcnt vmcnt(0) lgkmcnt(0)
	v_mul_f32_e32 v61, s13, v61
	v_min_f32_e32 v60, v61, v60
	global_store_dword v[62:63], v60, off
	v_lshl_add_u64 v[60:61], v[64:65], 2, v[58:59]
	flat_load_dword v60, v[60:61]
	s_waitcnt vmcnt(0) lgkmcnt(0)
	v_mul_f32_e32 v60, s13, v60
.LBB4_58:
	v_pk_add_f32 v[62:63], v[28:29], v[52:53]
	s_mov_b64 vcc, s[4:5]
	v_min3_f32 v61, v62, v63, v136
	v_pk_add_f32 v[62:63], v[24:25], v[52:53]
	s_nop 0
	v_min3_f32 v88, v62, v63, v137
	v_pk_add_f32 v[62:63], v[30:31], v[54:55]
	s_nop 0
	v_min_f32_e32 v89, v62, v63
	v_pk_add_f32 v[62:63], v[26:27], v[54:55]
	s_nop 0
	v_min3_f32 v62, v62, v63, v88
	v_min3_f32 v63, v60, v89, v61
	v_lshl_add_u64 v[60:61], v[64:65], 2, v[56:57]
	global_store_dword v[60:61], v63, off
	v_max_f32_e32 v60, v62, v62
	s_cbranch_vccz .LBB4_61
; %bb.59:
	v_min_f32_e32 v61, 0, v60
	v_lshl_add_u64 v[62:63], v[74:75], 2, v[56:57]
	s_mov_b32 s10, 0
	global_store_dword v[62:63], v61, off
	s_cbranch_execz .LBB4_62
; %bb.60:
	v_mov_b32_e32 v60, s10
	s_branch .LBB4_63
.LBB4_61:
                                        ; implicit-def: $sgpr10
.LBB4_62:
	v_lshl_add_u64 v[62:63], v[58:59], 0, v[78:79]
	flat_load_dword v61, v[62:63]
	v_lshl_add_u64 v[62:63], v[56:57], 0, v[78:79]
	s_waitcnt vmcnt(0) lgkmcnt(0)
	v_mul_f32_e32 v61, s13, v61
	v_min_f32_e32 v60, v61, v60
	global_store_dword v[62:63], v60, off
	v_lshl_add_u64 v[60:61], v[66:67], 2, v[58:59]
	flat_load_dword v60, v[60:61]
	s_waitcnt vmcnt(0) lgkmcnt(0)
	v_mul_f32_e32 v60, s13, v60
.LBB4_63:
	v_pk_add_f32 v[62:63], v[20:21], v[52:53]
	s_mov_b64 vcc, s[4:5]
	v_min3_f32 v61, v62, v63, v133
	v_pk_add_f32 v[62:63], v[16:17], v[52:53]
	s_nop 0
	v_min3_f32 v88, v62, v63, v134
	v_pk_add_f32 v[62:63], v[22:23], v[54:55]
	s_nop 0
	v_min_f32_e32 v89, v62, v63
	v_pk_add_f32 v[62:63], v[18:19], v[54:55]
	s_nop 0
	v_min3_f32 v62, v62, v63, v88
	v_min3_f32 v63, v60, v89, v61
	v_lshl_add_u64 v[60:61], v[66:67], 2, v[56:57]
	global_store_dword v[60:61], v63, off
	v_max_f32_e32 v60, v62, v62
	s_cbranch_vccz .LBB4_66
; %bb.64:
	v_min_f32_e32 v61, 0, v60
	v_lshl_add_u64 v[62:63], v[80:81], 2, v[56:57]
	s_mov_b32 s10, 0
	global_store_dword v[62:63], v61, off
	s_cbranch_execz .LBB4_67
; %bb.65:
	v_mov_b32_e32 v60, s10
	s_branch .LBB4_68
.LBB4_66:
                                        ; implicit-def: $sgpr10
.LBB4_67:
	v_lshl_add_u64 v[62:63], v[58:59], 0, v[82:83]
	flat_load_dword v61, v[62:63]
	v_lshl_add_u64 v[62:63], v[56:57], 0, v[82:83]
	s_waitcnt vmcnt(0) lgkmcnt(0)
	v_mul_f32_e32 v61, s13, v61
	v_min_f32_e32 v60, v61, v60
	global_store_dword v[62:63], v60, off
	v_lshl_add_u64 v[60:61], v[70:71], 2, v[58:59]
	flat_load_dword v60, v[60:61]
	s_waitcnt vmcnt(0) lgkmcnt(0)
	v_mul_f32_e32 v60, s13, v60
.LBB4_68:
	v_pk_add_f32 v[62:63], v[12:13], v[52:53]
	s_mov_b64 vcc, s[4:5]
	v_min3_f32 v61, v62, v63, v129
	v_pk_add_f32 v[62:63], v[8:9], v[52:53]
	s_nop 0
	v_min3_f32 v88, v62, v63, v130
	v_pk_add_f32 v[62:63], v[14:15], v[54:55]
	s_nop 0
	v_min_f32_e32 v89, v62, v63
	v_pk_add_f32 v[62:63], v[10:11], v[54:55]
	s_nop 0
	v_min3_f32 v62, v62, v63, v88
	v_min3_f32 v63, v60, v89, v61
	v_lshl_add_u64 v[60:61], v[70:71], 2, v[56:57]
	global_store_dword v[60:61], v63, off
	v_max_f32_e32 v60, v62, v62
	s_cbranch_vccz .LBB4_71
; %bb.69:
	v_min_f32_e32 v61, 0, v60
	v_lshl_add_u64 v[62:63], v[84:85], 2, v[56:57]
	s_mov_b32 s10, 0
	global_store_dword v[62:63], v61, off
	s_cbranch_execz .LBB4_72
; %bb.70:
	v_mov_b32_e32 v58, s10
	s_branch .LBB4_73
.LBB4_71:
                                        ; implicit-def: $sgpr10
.LBB4_72:
	v_lshl_add_u64 v[62:63], v[58:59], 0, v[86:87]
	flat_load_dword v61, v[62:63]
	v_lshl_add_u64 v[62:63], v[56:57], 0, v[86:87]
	v_lshl_add_u64 v[58:59], v[76:77], 2, v[58:59]
	s_waitcnt vmcnt(0) lgkmcnt(0)
	v_mul_f32_e32 v61, s13, v61
	v_min_f32_e32 v60, v61, v60
	global_store_dword v[62:63], v60, off
	flat_load_dword v58, v[58:59]
	s_waitcnt vmcnt(0) lgkmcnt(0)
	v_mul_f32_e32 v58, s13, v58
.LBB4_73:
	v_pk_add_f32 v[52:53], v[0:1], v[52:53]
	s_mov_b64 vcc, s[4:5]
	v_min3_f32 v59, v52, v53, v135
	s_waitcnt lgkmcnt(4)
	v_pk_add_f32 v[52:53], v[32:33], v[48:49]
	s_nop 0
	v_min3_f32 v60, v52, v53, v138
	v_pk_add_f32 v[52:53], v[2:3], v[54:55]
	s_nop 0
	v_min_f32_e32 v54, v52, v53
	v_pk_add_f32 v[52:53], v[34:35], v[50:51]
	v_min3_f32 v54, v58, v54, v59
	v_min3_f32 v60, v52, v53, v60
	v_lshl_add_u64 v[52:53], v[76:77], 2, v[56:57]
	global_store_dword v[52:53], v54, off
	v_add_u32_e32 v54, 24, v150
	v_mad_i64_i32 v[52:53], s[2:3], v54, s9, 0
	v_lshl_add_u64 v[52:53], v[52:53], 2, s[0:1]
	v_mad_i64_i32 v[54:55], s[2:3], v54, s8, 0
	v_max_f32_e32 v56, v60, v60
	s_cbranch_vccz .LBB4_76
; %bb.74:
	v_min_f32_e32 v57, 0, v56
	v_lshl_add_u64 v[58:59], v[68:69], 2, v[52:53]
	s_mov_b32 s10, 0
	global_store_dword v[58:59], v57, off
	v_lshl_add_u64 v[54:55], v[54:55], 2, s[6:7]
	s_cbranch_execz .LBB4_77
; %bb.75:
	v_mov_b32_e32 v56, s10
	s_branch .LBB4_78
.LBB4_76:
                                        ; implicit-def: $sgpr10
	v_lshl_add_u64 v[54:55], v[54:55], 2, s[6:7]
.LBB4_77:
	v_lshl_add_u64 v[58:59], v[54:55], 0, v[72:73]
	flat_load_dword v57, v[58:59]
	v_lshl_add_u64 v[58:59], v[52:53], 0, v[72:73]
	s_waitcnt vmcnt(0) lgkmcnt(0)
	v_mul_f32_e32 v57, s13, v57
	v_min_f32_e32 v56, v57, v56
	global_store_dword v[58:59], v56, off
	v_lshl_add_u64 v[56:57], v[64:65], 2, v[54:55]
	flat_load_dword v56, v[56:57]
	s_waitcnt vmcnt(0) lgkmcnt(0)
	v_mul_f32_e32 v56, s13, v56
.LBB4_78:
	v_pk_add_f32 v[58:59], v[28:29], v[48:49]
	s_mov_b64 vcc, s[4:5]
	v_min3_f32 v57, v58, v59, v131
	v_pk_add_f32 v[58:59], v[24:25], v[48:49]
	s_nop 0
	v_min3_f32 v60, v58, v59, v132
	v_pk_add_f32 v[58:59], v[30:31], v[50:51]
	s_nop 0
	v_min_f32_e32 v61, v58, v59
	v_pk_add_f32 v[58:59], v[26:27], v[50:51]
	s_nop 0
	v_min3_f32 v58, v58, v59, v60
	v_min3_f32 v59, v56, v61, v57
	v_lshl_add_u64 v[56:57], v[64:65], 2, v[52:53]
	global_store_dword v[56:57], v59, off
	v_max_f32_e32 v56, v58, v58
	s_cbranch_vccz .LBB4_81
; %bb.79:
	v_min_f32_e32 v57, 0, v56
	v_lshl_add_u64 v[58:59], v[74:75], 2, v[52:53]
	s_mov_b32 s10, 0
	global_store_dword v[58:59], v57, off
	s_cbranch_execz .LBB4_82
; %bb.80:
	v_mov_b32_e32 v56, s10
	s_branch .LBB4_83
.LBB4_81:
                                        ; implicit-def: $sgpr10
.LBB4_82:
	v_lshl_add_u64 v[58:59], v[54:55], 0, v[78:79]
	flat_load_dword v57, v[58:59]
	v_lshl_add_u64 v[58:59], v[52:53], 0, v[78:79]
	s_waitcnt vmcnt(0) lgkmcnt(0)
	v_mul_f32_e32 v57, s13, v57
	v_min_f32_e32 v56, v57, v56
	global_store_dword v[58:59], v56, off
	v_lshl_add_u64 v[56:57], v[66:67], 2, v[54:55]
	flat_load_dword v56, v[56:57]
	s_waitcnt vmcnt(0) lgkmcnt(0)
	v_mul_f32_e32 v56, s13, v56
.LBB4_83:
	v_pk_add_f32 v[58:59], v[20:21], v[48:49]
	s_mov_b64 vcc, s[4:5]
	v_min3_f32 v57, v58, v59, v127
	v_pk_add_f32 v[58:59], v[16:17], v[48:49]
	s_nop 0
	v_min3_f32 v60, v58, v59, v128
	v_pk_add_f32 v[58:59], v[22:23], v[50:51]
	s_nop 0
	v_min_f32_e32 v61, v58, v59
	v_pk_add_f32 v[58:59], v[18:19], v[50:51]
	s_nop 0
	v_min3_f32 v58, v58, v59, v60
	v_min3_f32 v59, v56, v61, v57
	v_lshl_add_u64 v[56:57], v[66:67], 2, v[52:53]
	global_store_dword v[56:57], v59, off
	v_max_f32_e32 v56, v58, v58
	s_cbranch_vccz .LBB4_86
; %bb.84:
	v_min_f32_e32 v57, 0, v56
	v_lshl_add_u64 v[58:59], v[80:81], 2, v[52:53]
	s_mov_b32 s10, 0
	global_store_dword v[58:59], v57, off
	s_cbranch_execz .LBB4_87
; %bb.85:
	v_mov_b32_e32 v56, s10
	s_branch .LBB4_88
.LBB4_86:
                                        ; implicit-def: $sgpr10
.LBB4_87:
	v_lshl_add_u64 v[58:59], v[54:55], 0, v[82:83]
	flat_load_dword v57, v[58:59]
	v_lshl_add_u64 v[58:59], v[52:53], 0, v[82:83]
	s_waitcnt vmcnt(0) lgkmcnt(0)
	v_mul_f32_e32 v57, s13, v57
	v_min_f32_e32 v56, v57, v56
	global_store_dword v[58:59], v56, off
	v_lshl_add_u64 v[56:57], v[70:71], 2, v[54:55]
	flat_load_dword v56, v[56:57]
	s_waitcnt vmcnt(0) lgkmcnt(0)
	v_mul_f32_e32 v56, s13, v56
.LBB4_88:
	v_pk_add_f32 v[58:59], v[12:13], v[48:49]
	s_mov_b64 vcc, s[4:5]
	v_min3_f32 v57, v58, v59, v125
	v_pk_add_f32 v[58:59], v[8:9], v[48:49]
	s_nop 0
	v_min3_f32 v60, v58, v59, v126
	v_pk_add_f32 v[58:59], v[14:15], v[50:51]
	s_nop 0
	v_min_f32_e32 v61, v58, v59
	v_pk_add_f32 v[58:59], v[10:11], v[50:51]
	s_nop 0
	v_min3_f32 v58, v58, v59, v60
	v_min3_f32 v59, v56, v61, v57
	v_lshl_add_u64 v[56:57], v[70:71], 2, v[52:53]
	global_store_dword v[56:57], v59, off
	v_max_f32_e32 v56, v58, v58
	s_cbranch_vccz .LBB4_91
; %bb.89:
	v_min_f32_e32 v57, 0, v56
	v_lshl_add_u64 v[58:59], v[84:85], 2, v[52:53]
	s_mov_b32 s10, 0
	global_store_dword v[58:59], v57, off
	s_cbranch_execz .LBB4_92
; %bb.90:
	v_mov_b32_e32 v54, s10
	s_branch .LBB4_93
.LBB4_91:
                                        ; implicit-def: $sgpr10
.LBB4_92:
	v_lshl_add_u64 v[58:59], v[54:55], 0, v[86:87]
	flat_load_dword v57, v[58:59]
	v_lshl_add_u64 v[58:59], v[52:53], 0, v[86:87]
	v_lshl_add_u64 v[54:55], v[76:77], 2, v[54:55]
	s_waitcnt vmcnt(0) lgkmcnt(0)
	v_mul_f32_e32 v57, s13, v57
	v_min_f32_e32 v56, v57, v56
	global_store_dword v[58:59], v56, off
	flat_load_dword v54, v[54:55]
	s_waitcnt vmcnt(0) lgkmcnt(0)
	v_mul_f32_e32 v54, s13, v54
.LBB4_93:
	v_pk_add_f32 v[48:49], v[0:1], v[48:49]
	s_mov_b64 vcc, s[4:5]
	v_min3_f32 v55, v48, v49, v123
	s_waitcnt lgkmcnt(3)
	v_pk_add_f32 v[48:49], v[32:33], v[44:45]
	s_nop 0
	v_min3_f32 v56, v48, v49, v124
	v_pk_add_f32 v[48:49], v[2:3], v[50:51]
	s_nop 0
	v_min_f32_e32 v50, v48, v49
	v_pk_add_f32 v[48:49], v[34:35], v[46:47]
	v_min3_f32 v50, v54, v50, v55
	v_min3_f32 v56, v48, v49, v56
	v_lshl_add_u64 v[48:49], v[76:77], 2, v[52:53]
	global_store_dword v[48:49], v50, off
	v_add_u32_e32 v50, 32, v150
	v_mad_i64_i32 v[48:49], s[2:3], v50, s9, 0
	v_lshl_add_u64 v[48:49], v[48:49], 2, s[0:1]
	v_mad_i64_i32 v[50:51], s[2:3], v50, s8, 0
	v_max_f32_e32 v52, v56, v56
	s_cbranch_vccz .LBB4_96
; %bb.94:
	v_min_f32_e32 v53, 0, v52
	v_lshl_add_u64 v[54:55], v[68:69], 2, v[48:49]
	s_mov_b32 s10, 0
	global_store_dword v[54:55], v53, off
	v_lshl_add_u64 v[50:51], v[50:51], 2, s[6:7]
	s_cbranch_execz .LBB4_97
; %bb.95:
	v_mov_b32_e32 v52, s10
	s_branch .LBB4_98
.LBB4_96:
                                        ; implicit-def: $sgpr10
	v_lshl_add_u64 v[50:51], v[50:51], 2, s[6:7]
.LBB4_97:
	v_lshl_add_u64 v[54:55], v[50:51], 0, v[72:73]
	flat_load_dword v53, v[54:55]
	v_lshl_add_u64 v[54:55], v[48:49], 0, v[72:73]
	s_waitcnt vmcnt(0) lgkmcnt(0)
	v_mul_f32_e32 v53, s13, v53
	v_min_f32_e32 v52, v53, v52
	global_store_dword v[54:55], v52, off
	v_lshl_add_u64 v[52:53], v[64:65], 2, v[50:51]
	flat_load_dword v52, v[52:53]
	s_waitcnt vmcnt(0) lgkmcnt(0)
	v_mul_f32_e32 v52, s13, v52
.LBB4_98:
	v_pk_add_f32 v[54:55], v[28:29], v[44:45]
	s_mov_b64 vcc, s[4:5]
	v_min3_f32 v53, v54, v55, v121
	v_pk_add_f32 v[54:55], v[24:25], v[44:45]
	s_nop 0
	v_min3_f32 v56, v54, v55, v122
	v_pk_add_f32 v[54:55], v[30:31], v[46:47]
	s_nop 0
	v_min_f32_e32 v57, v54, v55
	v_pk_add_f32 v[54:55], v[26:27], v[46:47]
	s_nop 0
	v_min3_f32 v54, v54, v55, v56
	v_min3_f32 v55, v52, v57, v53
	v_lshl_add_u64 v[52:53], v[64:65], 2, v[48:49]
	global_store_dword v[52:53], v55, off
	v_max_f32_e32 v52, v54, v54
	s_cbranch_vccz .LBB4_101
; %bb.99:
	v_min_f32_e32 v53, 0, v52
	v_lshl_add_u64 v[54:55], v[74:75], 2, v[48:49]
	s_mov_b32 s10, 0
	global_store_dword v[54:55], v53, off
	s_cbranch_execz .LBB4_102
; %bb.100:
	v_mov_b32_e32 v52, s10
	s_branch .LBB4_103
.LBB4_101:
                                        ; implicit-def: $sgpr10
.LBB4_102:
	v_lshl_add_u64 v[54:55], v[50:51], 0, v[78:79]
	flat_load_dword v53, v[54:55]
	v_lshl_add_u64 v[54:55], v[48:49], 0, v[78:79]
	s_waitcnt vmcnt(0) lgkmcnt(0)
	v_mul_f32_e32 v53, s13, v53
	v_min_f32_e32 v52, v53, v52
	global_store_dword v[54:55], v52, off
	v_lshl_add_u64 v[52:53], v[66:67], 2, v[50:51]
	flat_load_dword v52, v[52:53]
	s_waitcnt vmcnt(0) lgkmcnt(0)
	v_mul_f32_e32 v52, s13, v52
.LBB4_103:
	v_pk_add_f32 v[54:55], v[20:21], v[44:45]
	s_mov_b64 vcc, s[4:5]
	v_min3_f32 v53, v54, v55, v119
	v_pk_add_f32 v[54:55], v[16:17], v[44:45]
	s_nop 0
	v_min3_f32 v56, v54, v55, v120
	v_pk_add_f32 v[54:55], v[22:23], v[46:47]
	s_nop 0
	v_min_f32_e32 v57, v54, v55
	v_pk_add_f32 v[54:55], v[18:19], v[46:47]
	s_nop 0
	v_min3_f32 v54, v54, v55, v56
	v_min3_f32 v55, v52, v57, v53
	v_lshl_add_u64 v[52:53], v[66:67], 2, v[48:49]
	global_store_dword v[52:53], v55, off
	v_max_f32_e32 v52, v54, v54
	s_cbranch_vccz .LBB4_106
; %bb.104:
	v_min_f32_e32 v53, 0, v52
	v_lshl_add_u64 v[54:55], v[80:81], 2, v[48:49]
	s_mov_b32 s10, 0
	global_store_dword v[54:55], v53, off
	s_cbranch_execz .LBB4_107
; %bb.105:
	v_mov_b32_e32 v52, s10
	s_branch .LBB4_108
.LBB4_106:
                                        ; implicit-def: $sgpr10
.LBB4_107:
	v_lshl_add_u64 v[54:55], v[50:51], 0, v[82:83]
	flat_load_dword v53, v[54:55]
	v_lshl_add_u64 v[54:55], v[48:49], 0, v[82:83]
	s_waitcnt vmcnt(0) lgkmcnt(0)
	v_mul_f32_e32 v53, s13, v53
	v_min_f32_e32 v52, v53, v52
	global_store_dword v[54:55], v52, off
	v_lshl_add_u64 v[52:53], v[70:71], 2, v[50:51]
	flat_load_dword v52, v[52:53]
	s_waitcnt vmcnt(0) lgkmcnt(0)
	v_mul_f32_e32 v52, s13, v52
.LBB4_108:
	v_pk_add_f32 v[54:55], v[12:13], v[44:45]
	s_mov_b64 vcc, s[4:5]
	v_min3_f32 v53, v54, v55, v117
	v_pk_add_f32 v[54:55], v[8:9], v[44:45]
	s_nop 0
	v_min3_f32 v56, v54, v55, v118
	v_pk_add_f32 v[54:55], v[14:15], v[46:47]
	s_nop 0
	v_min_f32_e32 v57, v54, v55
	v_pk_add_f32 v[54:55], v[10:11], v[46:47]
	s_nop 0
	v_min3_f32 v54, v54, v55, v56
	v_min3_f32 v55, v52, v57, v53
	v_lshl_add_u64 v[52:53], v[70:71], 2, v[48:49]
	global_store_dword v[52:53], v55, off
	v_max_f32_e32 v52, v54, v54
	s_cbranch_vccz .LBB4_111
; %bb.109:
	v_min_f32_e32 v53, 0, v52
	v_lshl_add_u64 v[54:55], v[84:85], 2, v[48:49]
	s_mov_b32 s10, 0
	global_store_dword v[54:55], v53, off
	s_cbranch_execz .LBB4_112
; %bb.110:
	v_mov_b32_e32 v50, s10
	s_branch .LBB4_113
.LBB4_111:
                                        ; implicit-def: $sgpr10
.LBB4_112:
	v_lshl_add_u64 v[54:55], v[50:51], 0, v[86:87]
	flat_load_dword v53, v[54:55]
	v_lshl_add_u64 v[54:55], v[48:49], 0, v[86:87]
	v_lshl_add_u64 v[50:51], v[76:77], 2, v[50:51]
	s_waitcnt vmcnt(0) lgkmcnt(0)
	v_mul_f32_e32 v53, s13, v53
	v_min_f32_e32 v52, v53, v52
	global_store_dword v[54:55], v52, off
	flat_load_dword v50, v[50:51]
	s_waitcnt vmcnt(0) lgkmcnt(0)
	v_mul_f32_e32 v50, s13, v50
.LBB4_113:
	v_pk_add_f32 v[44:45], v[0:1], v[44:45]
	s_mov_b64 vcc, s[4:5]
	v_min3_f32 v51, v44, v45, v115
	s_waitcnt lgkmcnt(2)
	v_pk_add_f32 v[44:45], v[32:33], v[40:41]
	s_nop 0
	v_min3_f32 v52, v44, v45, v116
	v_pk_add_f32 v[44:45], v[2:3], v[46:47]
	s_nop 0
	v_min_f32_e32 v46, v44, v45
	v_pk_add_f32 v[44:45], v[34:35], v[42:43]
	v_min3_f32 v46, v50, v46, v51
	v_min3_f32 v52, v44, v45, v52
	v_lshl_add_u64 v[44:45], v[76:77], 2, v[48:49]
	global_store_dword v[44:45], v46, off
	v_add_u32_e32 v46, 40, v150
	v_mad_i64_i32 v[44:45], s[2:3], v46, s9, 0
	v_lshl_add_u64 v[44:45], v[44:45], 2, s[0:1]
	v_mad_i64_i32 v[46:47], s[2:3], v46, s8, 0
	v_max_f32_e32 v48, v52, v52
	s_cbranch_vccz .LBB4_116
; %bb.114:
	v_min_f32_e32 v49, 0, v48
	v_lshl_add_u64 v[50:51], v[68:69], 2, v[44:45]
	s_mov_b32 s10, 0
	global_store_dword v[50:51], v49, off
	v_lshl_add_u64 v[46:47], v[46:47], 2, s[6:7]
	s_cbranch_execz .LBB4_117
; %bb.115:
	v_mov_b32_e32 v48, s10
	s_branch .LBB4_118
.LBB4_116:
                                        ; implicit-def: $sgpr10
	v_lshl_add_u64 v[46:47], v[46:47], 2, s[6:7]
.LBB4_117:
	v_lshl_add_u64 v[50:51], v[46:47], 0, v[72:73]
	flat_load_dword v49, v[50:51]
	v_lshl_add_u64 v[50:51], v[44:45], 0, v[72:73]
	s_waitcnt vmcnt(0) lgkmcnt(0)
	v_mul_f32_e32 v49, s13, v49
	v_min_f32_e32 v48, v49, v48
	global_store_dword v[50:51], v48, off
	v_lshl_add_u64 v[48:49], v[64:65], 2, v[46:47]
	flat_load_dword v48, v[48:49]
	s_waitcnt vmcnt(0) lgkmcnt(0)
	v_mul_f32_e32 v48, s13, v48
.LBB4_118:
	v_pk_add_f32 v[50:51], v[28:29], v[40:41]
	s_mov_b64 vcc, s[4:5]
	v_min3_f32 v49, v50, v51, v113
	v_pk_add_f32 v[50:51], v[24:25], v[40:41]
	s_nop 0
	v_min3_f32 v52, v50, v51, v114
	v_pk_add_f32 v[50:51], v[30:31], v[42:43]
	s_nop 0
	v_min_f32_e32 v53, v50, v51
	v_pk_add_f32 v[50:51], v[26:27], v[42:43]
	s_nop 0
	v_min3_f32 v50, v50, v51, v52
	v_min3_f32 v51, v48, v53, v49
	v_lshl_add_u64 v[48:49], v[64:65], 2, v[44:45]
	global_store_dword v[48:49], v51, off
	v_max_f32_e32 v48, v50, v50
	s_cbranch_vccz .LBB4_121
; %bb.119:
	v_min_f32_e32 v49, 0, v48
	v_lshl_add_u64 v[50:51], v[74:75], 2, v[44:45]
	s_mov_b32 s10, 0
	global_store_dword v[50:51], v49, off
	s_cbranch_execz .LBB4_122
; %bb.120:
	v_mov_b32_e32 v48, s10
	s_branch .LBB4_123
.LBB4_121:
                                        ; implicit-def: $sgpr10
.LBB4_122:
	v_lshl_add_u64 v[50:51], v[46:47], 0, v[78:79]
	flat_load_dword v49, v[50:51]
	v_lshl_add_u64 v[50:51], v[44:45], 0, v[78:79]
	s_waitcnt vmcnt(0) lgkmcnt(0)
	v_mul_f32_e32 v49, s13, v49
	v_min_f32_e32 v48, v49, v48
	global_store_dword v[50:51], v48, off
	v_lshl_add_u64 v[48:49], v[66:67], 2, v[46:47]
	flat_load_dword v48, v[48:49]
	s_waitcnt vmcnt(0) lgkmcnt(0)
	v_mul_f32_e32 v48, s13, v48
.LBB4_123:
	v_pk_add_f32 v[50:51], v[20:21], v[40:41]
	s_mov_b64 vcc, s[4:5]
	v_min3_f32 v49, v50, v51, v111
	v_pk_add_f32 v[50:51], v[16:17], v[40:41]
	s_nop 0
	v_min3_f32 v52, v50, v51, v112
	v_pk_add_f32 v[50:51], v[22:23], v[42:43]
	s_nop 0
	v_min_f32_e32 v53, v50, v51
	v_pk_add_f32 v[50:51], v[18:19], v[42:43]
	s_nop 0
	v_min3_f32 v50, v50, v51, v52
	v_min3_f32 v51, v48, v53, v49
	v_lshl_add_u64 v[48:49], v[66:67], 2, v[44:45]
	global_store_dword v[48:49], v51, off
	v_max_f32_e32 v48, v50, v50
	s_cbranch_vccz .LBB4_126
; %bb.124:
	v_min_f32_e32 v49, 0, v48
	v_lshl_add_u64 v[50:51], v[80:81], 2, v[44:45]
	s_mov_b32 s10, 0
	global_store_dword v[50:51], v49, off
	s_cbranch_execz .LBB4_127
; %bb.125:
	v_mov_b32_e32 v48, s10
	s_branch .LBB4_128
.LBB4_126:
                                        ; implicit-def: $sgpr10
.LBB4_127:
	v_lshl_add_u64 v[50:51], v[46:47], 0, v[82:83]
	flat_load_dword v49, v[50:51]
	v_lshl_add_u64 v[50:51], v[44:45], 0, v[82:83]
	s_waitcnt vmcnt(0) lgkmcnt(0)
	v_mul_f32_e32 v49, s13, v49
	v_min_f32_e32 v48, v49, v48
	global_store_dword v[50:51], v48, off
	v_lshl_add_u64 v[48:49], v[70:71], 2, v[46:47]
	flat_load_dword v48, v[48:49]
	s_waitcnt vmcnt(0) lgkmcnt(0)
	v_mul_f32_e32 v48, s13, v48
.LBB4_128:
	v_pk_add_f32 v[50:51], v[12:13], v[40:41]
	s_mov_b64 vcc, s[4:5]
	v_min3_f32 v49, v50, v51, v109
	v_pk_add_f32 v[50:51], v[8:9], v[40:41]
	s_nop 0
	v_min3_f32 v52, v50, v51, v110
	v_pk_add_f32 v[50:51], v[14:15], v[42:43]
	s_nop 0
	v_min_f32_e32 v53, v50, v51
	v_pk_add_f32 v[50:51], v[10:11], v[42:43]
	s_nop 0
	v_min3_f32 v50, v50, v51, v52
	v_min3_f32 v51, v48, v53, v49
	v_lshl_add_u64 v[48:49], v[70:71], 2, v[44:45]
	global_store_dword v[48:49], v51, off
	v_max_f32_e32 v48, v50, v50
	s_cbranch_vccz .LBB4_131
; %bb.129:
	v_min_f32_e32 v49, 0, v48
	v_lshl_add_u64 v[50:51], v[84:85], 2, v[44:45]
	s_mov_b32 s10, 0
	global_store_dword v[50:51], v49, off
	s_cbranch_execz .LBB4_132
; %bb.130:
	v_mov_b32_e32 v46, s10
	s_branch .LBB4_133
.LBB4_131:
                                        ; implicit-def: $sgpr10
.LBB4_132:
	v_lshl_add_u64 v[50:51], v[46:47], 0, v[86:87]
	flat_load_dword v49, v[50:51]
	v_lshl_add_u64 v[50:51], v[44:45], 0, v[86:87]
	v_lshl_add_u64 v[46:47], v[76:77], 2, v[46:47]
	s_waitcnt vmcnt(0) lgkmcnt(0)
	v_mul_f32_e32 v49, s13, v49
	v_min_f32_e32 v48, v49, v48
	global_store_dword v[50:51], v48, off
	flat_load_dword v46, v[46:47]
	s_waitcnt vmcnt(0) lgkmcnt(0)
	v_mul_f32_e32 v46, s13, v46
.LBB4_133:
	v_pk_add_f32 v[40:41], v[0:1], v[40:41]
	s_mov_b64 vcc, s[4:5]
	v_min3_f32 v47, v40, v41, v107
	s_waitcnt lgkmcnt(1)
	v_pk_add_f32 v[40:41], v[32:33], v[36:37]
	s_nop 0
	v_min3_f32 v48, v40, v41, v108
	v_pk_add_f32 v[40:41], v[2:3], v[42:43]
	s_nop 0
	v_min_f32_e32 v42, v40, v41
	v_pk_add_f32 v[40:41], v[34:35], v[38:39]
	v_min3_f32 v42, v46, v42, v47
	v_min3_f32 v48, v40, v41, v48
	v_lshl_add_u64 v[40:41], v[76:77], 2, v[44:45]
	global_store_dword v[40:41], v42, off
	v_add_u32_e32 v42, 48, v150
	v_mad_i64_i32 v[40:41], s[2:3], v42, s9, 0
	v_lshl_add_u64 v[40:41], v[40:41], 2, s[0:1]
	v_mad_i64_i32 v[42:43], s[2:3], v42, s8, 0
	v_max_f32_e32 v44, v48, v48
	s_cbranch_vccz .LBB4_136
; %bb.134:
	v_min_f32_e32 v45, 0, v44
	v_lshl_add_u64 v[46:47], v[68:69], 2, v[40:41]
	s_mov_b32 s10, 0
	global_store_dword v[46:47], v45, off
	v_lshl_add_u64 v[42:43], v[42:43], 2, s[6:7]
	s_cbranch_execz .LBB4_137
; %bb.135:
	v_mov_b32_e32 v44, s10
	s_branch .LBB4_138
.LBB4_136:
                                        ; implicit-def: $sgpr10
	v_lshl_add_u64 v[42:43], v[42:43], 2, s[6:7]
.LBB4_137:
	v_lshl_add_u64 v[46:47], v[42:43], 0, v[72:73]
	flat_load_dword v45, v[46:47]
	v_lshl_add_u64 v[46:47], v[40:41], 0, v[72:73]
	s_waitcnt vmcnt(0) lgkmcnt(0)
	v_mul_f32_e32 v45, s13, v45
	v_min_f32_e32 v44, v45, v44
	global_store_dword v[46:47], v44, off
	v_lshl_add_u64 v[44:45], v[64:65], 2, v[42:43]
	flat_load_dword v44, v[44:45]
	s_waitcnt vmcnt(0) lgkmcnt(0)
	v_mul_f32_e32 v44, s13, v44
.LBB4_138:
	v_pk_add_f32 v[46:47], v[28:29], v[36:37]
	s_mov_b64 vcc, s[4:5]
	v_min3_f32 v45, v46, v47, v105
	v_pk_add_f32 v[46:47], v[24:25], v[36:37]
	s_nop 0
	v_min3_f32 v48, v46, v47, v106
	v_pk_add_f32 v[46:47], v[30:31], v[38:39]
	s_nop 0
	v_min_f32_e32 v49, v46, v47
	v_pk_add_f32 v[46:47], v[26:27], v[38:39]
	s_nop 0
	v_min3_f32 v46, v46, v47, v48
	v_min3_f32 v47, v44, v49, v45
	v_lshl_add_u64 v[44:45], v[64:65], 2, v[40:41]
	global_store_dword v[44:45], v47, off
	v_max_f32_e32 v44, v46, v46
	s_cbranch_vccz .LBB4_141
; %bb.139:
	v_min_f32_e32 v45, 0, v44
	v_lshl_add_u64 v[46:47], v[74:75], 2, v[40:41]
	s_mov_b32 s10, 0
	global_store_dword v[46:47], v45, off
	s_cbranch_execz .LBB4_142
; %bb.140:
	v_mov_b32_e32 v44, s10
	s_branch .LBB4_143
.LBB4_141:
                                        ; implicit-def: $sgpr10
.LBB4_142:
	v_lshl_add_u64 v[46:47], v[42:43], 0, v[78:79]
	flat_load_dword v45, v[46:47]
	v_lshl_add_u64 v[46:47], v[40:41], 0, v[78:79]
	s_waitcnt vmcnt(0) lgkmcnt(0)
	v_mul_f32_e32 v45, s13, v45
	v_min_f32_e32 v44, v45, v44
	global_store_dword v[46:47], v44, off
	v_lshl_add_u64 v[44:45], v[66:67], 2, v[42:43]
	flat_load_dword v44, v[44:45]
	s_waitcnt vmcnt(0) lgkmcnt(0)
	v_mul_f32_e32 v44, s13, v44
.LBB4_143:
	v_pk_add_f32 v[46:47], v[20:21], v[36:37]
	s_mov_b64 vcc, s[4:5]
	v_min3_f32 v45, v46, v47, v103
	v_pk_add_f32 v[46:47], v[16:17], v[36:37]
	s_nop 0
	v_min3_f32 v48, v46, v47, v104
	v_pk_add_f32 v[46:47], v[22:23], v[38:39]
	s_nop 0
	v_min_f32_e32 v49, v46, v47
	v_pk_add_f32 v[46:47], v[18:19], v[38:39]
	s_nop 0
	v_min3_f32 v46, v46, v47, v48
	v_min3_f32 v47, v44, v49, v45
	v_lshl_add_u64 v[44:45], v[66:67], 2, v[40:41]
	global_store_dword v[44:45], v47, off
	v_max_f32_e32 v44, v46, v46
	s_cbranch_vccz .LBB4_146
; %bb.144:
	v_min_f32_e32 v45, 0, v44
	v_lshl_add_u64 v[46:47], v[80:81], 2, v[40:41]
	s_mov_b32 s10, 0
	global_store_dword v[46:47], v45, off
	s_cbranch_execz .LBB4_147
; %bb.145:
	v_mov_b32_e32 v44, s10
	s_branch .LBB4_148
.LBB4_146:
                                        ; implicit-def: $sgpr10
.LBB4_147:
	v_lshl_add_u64 v[46:47], v[42:43], 0, v[82:83]
	flat_load_dword v45, v[46:47]
	v_lshl_add_u64 v[46:47], v[40:41], 0, v[82:83]
	s_waitcnt vmcnt(0) lgkmcnt(0)
	v_mul_f32_e32 v45, s13, v45
	v_min_f32_e32 v44, v45, v44
	global_store_dword v[46:47], v44, off
	v_lshl_add_u64 v[44:45], v[70:71], 2, v[42:43]
	flat_load_dword v44, v[44:45]
	s_waitcnt vmcnt(0) lgkmcnt(0)
	v_mul_f32_e32 v44, s13, v44
.LBB4_148:
	v_pk_add_f32 v[46:47], v[12:13], v[36:37]
	s_mov_b64 vcc, s[4:5]
	v_min3_f32 v45, v46, v47, v101
	v_pk_add_f32 v[46:47], v[8:9], v[36:37]
	s_nop 0
	v_min3_f32 v48, v46, v47, v102
	v_pk_add_f32 v[46:47], v[14:15], v[38:39]
	s_nop 0
	v_min_f32_e32 v49, v46, v47
	v_pk_add_f32 v[46:47], v[10:11], v[38:39]
	s_nop 0
	v_min3_f32 v46, v46, v47, v48
	v_min3_f32 v47, v44, v49, v45
	v_lshl_add_u64 v[44:45], v[70:71], 2, v[40:41]
	global_store_dword v[44:45], v47, off
	v_max_f32_e32 v44, v46, v46
	s_cbranch_vccz .LBB4_151
; %bb.149:
	v_min_f32_e32 v45, 0, v44
	v_lshl_add_u64 v[46:47], v[84:85], 2, v[40:41]
	s_mov_b32 s10, 0
	global_store_dword v[46:47], v45, off
	s_cbranch_execz .LBB4_152
; %bb.150:
	v_mov_b32_e32 v42, s10
	s_branch .LBB4_153
.LBB4_151:
                                        ; implicit-def: $sgpr10
.LBB4_152:
	v_lshl_add_u64 v[46:47], v[42:43], 0, v[86:87]
	flat_load_dword v45, v[46:47]
	v_lshl_add_u64 v[46:47], v[40:41], 0, v[86:87]
	v_lshl_add_u64 v[42:43], v[76:77], 2, v[42:43]
	s_waitcnt vmcnt(0) lgkmcnt(0)
	v_mul_f32_e32 v45, s13, v45
	v_min_f32_e32 v44, v45, v44
	global_store_dword v[46:47], v44, off
	flat_load_dword v42, v[42:43]
	s_waitcnt vmcnt(0) lgkmcnt(0)
	v_mul_f32_e32 v42, s13, v42
.LBB4_153:
	v_pk_add_f32 v[36:37], v[0:1], v[36:37]
	s_waitcnt lgkmcnt(0)
	v_pk_add_f32 v[32:33], v[32:33], v[4:5]
	v_min3_f32 v36, v36, v37, v99
	v_min3_f32 v37, v32, v33, v100
	v_pk_add_f32 v[32:33], v[2:3], v[38:39]
	s_mov_b64 vcc, s[4:5]
	v_min_f32_e32 v38, v32, v33
	v_pk_add_f32 v[32:33], v[34:35], v[6:7]
	v_min3_f32 v34, v42, v38, v36
	v_min3_f32 v37, v32, v33, v37
	v_lshl_add_u64 v[32:33], v[76:77], 2, v[40:41]
	global_store_dword v[32:33], v34, off
	v_add_u32_e32 v34, 56, v150
	v_mad_i64_i32 v[32:33], s[2:3], v34, s9, 0
	v_lshl_add_u64 v[32:33], v[32:33], 2, s[0:1]
	v_mad_i64_i32 v[34:35], s[0:1], v34, s8, 0
	v_max_f32_e32 v36, v37, v37
	s_cbranch_vccz .LBB4_156
; %bb.154:
	v_min_f32_e32 v37, 0, v36
	v_lshl_add_u64 v[38:39], v[68:69], 2, v[32:33]
	s_mov_b32 s2, 0
	global_store_dword v[38:39], v37, off
	v_lshl_add_u64 v[34:35], v[34:35], 2, s[6:7]
	s_cbranch_execz .LBB4_157
; %bb.155:
	v_mov_b32_e32 v36, s2
	s_branch .LBB4_158
.LBB4_156:
                                        ; implicit-def: $sgpr2
	v_lshl_add_u64 v[34:35], v[34:35], 2, s[6:7]
.LBB4_157:
	v_lshl_add_u64 v[38:39], v[34:35], 0, v[72:73]
	flat_load_dword v37, v[38:39]
	v_lshl_add_u64 v[38:39], v[32:33], 0, v[72:73]
	s_waitcnt vmcnt(0) lgkmcnt(0)
	v_mul_f32_e32 v37, s13, v37
	v_min_f32_e32 v36, v37, v36
	global_store_dword v[38:39], v36, off
	v_lshl_add_u64 v[36:37], v[64:65], 2, v[34:35]
	flat_load_dword v36, v[36:37]
	s_waitcnt vmcnt(0) lgkmcnt(0)
	v_mul_f32_e32 v36, s13, v36
.LBB4_158:
	v_pk_add_f32 v[28:29], v[28:29], v[4:5]
	v_pk_add_f32 v[24:25], v[24:25], v[4:5]
	v_min3_f32 v28, v28, v29, v96
	v_min3_f32 v29, v24, v25, v97
	v_pk_add_f32 v[24:25], v[30:31], v[6:7]
	s_mov_b64 vcc, s[4:5]
	v_min_f32_e32 v30, v24, v25
	v_pk_add_f32 v[24:25], v[26:27], v[6:7]
	v_min3_f32 v27, v36, v30, v28
	v_min3_f32 v26, v24, v25, v29
	v_lshl_add_u64 v[24:25], v[64:65], 2, v[32:33]
	global_store_dword v[24:25], v27, off
	v_max_f32_e32 v24, v26, v26
	s_cbranch_vccz .LBB4_161
; %bb.159:
	v_min_f32_e32 v25, 0, v24
	v_lshl_add_u64 v[26:27], v[74:75], 2, v[32:33]
	s_mov_b32 s2, 0
	global_store_dword v[26:27], v25, off
	s_cbranch_execz .LBB4_162
; %bb.160:
	v_mov_b32_e32 v24, s2
	s_branch .LBB4_163
.LBB4_161:
                                        ; implicit-def: $sgpr2
.LBB4_162:
	v_lshl_add_u64 v[26:27], v[34:35], 0, v[78:79]
	flat_load_dword v25, v[26:27]
	v_lshl_add_u64 v[26:27], v[32:33], 0, v[78:79]
	s_waitcnt vmcnt(0) lgkmcnt(0)
	v_mul_f32_e32 v25, s13, v25
	v_min_f32_e32 v24, v25, v24
	global_store_dword v[26:27], v24, off
	v_lshl_add_u64 v[24:25], v[66:67], 2, v[34:35]
	flat_load_dword v24, v[24:25]
	s_waitcnt vmcnt(0) lgkmcnt(0)
	v_mul_f32_e32 v24, s13, v24
.LBB4_163:
	v_pk_add_f32 v[20:21], v[20:21], v[4:5]
	v_pk_add_f32 v[16:17], v[16:17], v[4:5]
	v_min3_f32 v20, v20, v21, v94
	v_min3_f32 v21, v16, v17, v95
	v_pk_add_f32 v[16:17], v[22:23], v[6:7]
	s_mov_b64 vcc, s[4:5]
	v_min_f32_e32 v22, v16, v17
	v_pk_add_f32 v[16:17], v[18:19], v[6:7]
	v_min3_f32 v19, v24, v22, v20
	v_min3_f32 v18, v16, v17, v21
	v_lshl_add_u64 v[16:17], v[66:67], 2, v[32:33]
	global_store_dword v[16:17], v19, off
	v_max_f32_e32 v16, v18, v18
	s_cbranch_vccz .LBB4_166
; %bb.164:
	v_min_f32_e32 v17, 0, v16
	v_lshl_add_u64 v[18:19], v[80:81], 2, v[32:33]
	s_mov_b32 s2, 0
	global_store_dword v[18:19], v17, off
	s_cbranch_execz .LBB4_167
; %bb.165:
	v_mov_b32_e32 v16, s2
	s_branch .LBB4_168
.LBB4_166:
                                        ; implicit-def: $sgpr2
.LBB4_167:
	v_lshl_add_u64 v[18:19], v[34:35], 0, v[82:83]
	flat_load_dword v17, v[18:19]
	v_lshl_add_u64 v[18:19], v[32:33], 0, v[82:83]
	s_waitcnt vmcnt(0) lgkmcnt(0)
	v_mul_f32_e32 v17, s13, v17
	v_min_f32_e32 v16, v17, v16
	global_store_dword v[18:19], v16, off
	v_lshl_add_u64 v[16:17], v[70:71], 2, v[34:35]
	flat_load_dword v16, v[16:17]
	s_waitcnt vmcnt(0) lgkmcnt(0)
	v_mul_f32_e32 v16, s13, v16
.LBB4_168:
	;; [unrolled: 38-line block ×3, first 2 shown]
	v_pk_add_f32 v[2:3], v[2:3], v[6:7]
	v_pk_add_f32 v[0:1], v[0:1], v[4:5]
	v_min_f32_e32 v2, v2, v3
	v_min3_f32 v0, v0, v1, v98
	v_min3_f32 v2, v8, v2, v0
	v_lshl_add_u64 v[0:1], v[76:77], 2, v[32:33]
	global_store_dword v[0:1], v2, off
	s_endpgm
	.section	.rodata,"a",@progbits
	.p2align	6, 0x0
	.amdhsa_kernel _ZN12_GLOBAL__N_120geam_min_plus_kernelIf15HIP_vector_typeIfLj2EEfLi32ELi8ELi256ELi64ELi4ELi64ELi4ELi4ELi64ELc78ELc78ELb1ELb0ELb1EfKPKfKPfEEviiiT16_PT17_ilSA_ilS8_SA_ilPT18_ili26rocblas_geam_ex_operation_
		.amdhsa_group_segment_fixed_size 10240
		.amdhsa_private_segment_fixed_size 0
		.amdhsa_kernarg_size 128
		.amdhsa_user_sgpr_count 2
		.amdhsa_user_sgpr_dispatch_ptr 0
		.amdhsa_user_sgpr_queue_ptr 0
		.amdhsa_user_sgpr_kernarg_segment_ptr 1
		.amdhsa_user_sgpr_dispatch_id 0
		.amdhsa_user_sgpr_kernarg_preload_length 0
		.amdhsa_user_sgpr_kernarg_preload_offset 0
		.amdhsa_user_sgpr_private_segment_size 0
		.amdhsa_uses_dynamic_stack 0
		.amdhsa_enable_private_segment 0
		.amdhsa_system_sgpr_workgroup_id_x 1
		.amdhsa_system_sgpr_workgroup_id_y 0
		.amdhsa_system_sgpr_workgroup_id_z 1
		.amdhsa_system_sgpr_workgroup_info 0
		.amdhsa_system_vgpr_workitem_id 1
		.amdhsa_next_free_vgpr 175
		.amdhsa_next_free_sgpr 22
		.amdhsa_accum_offset 176
		.amdhsa_reserve_vcc 1
		.amdhsa_float_round_mode_32 0
		.amdhsa_float_round_mode_16_64 0
		.amdhsa_float_denorm_mode_32 3
		.amdhsa_float_denorm_mode_16_64 3
		.amdhsa_dx10_clamp 1
		.amdhsa_ieee_mode 1
		.amdhsa_fp16_overflow 0
		.amdhsa_tg_split 0
		.amdhsa_exception_fp_ieee_invalid_op 0
		.amdhsa_exception_fp_denorm_src 0
		.amdhsa_exception_fp_ieee_div_zero 0
		.amdhsa_exception_fp_ieee_overflow 0
		.amdhsa_exception_fp_ieee_underflow 0
		.amdhsa_exception_fp_ieee_inexact 0
		.amdhsa_exception_int_div_zero 0
	.end_amdhsa_kernel
	.section	.text._ZN12_GLOBAL__N_120geam_min_plus_kernelIf15HIP_vector_typeIfLj2EEfLi32ELi8ELi256ELi64ELi4ELi64ELi4ELi4ELi64ELc78ELc78ELb1ELb0ELb1EfKPKfKPfEEviiiT16_PT17_ilSA_ilS8_SA_ilPT18_ili26rocblas_geam_ex_operation_,"axG",@progbits,_ZN12_GLOBAL__N_120geam_min_plus_kernelIf15HIP_vector_typeIfLj2EEfLi32ELi8ELi256ELi64ELi4ELi64ELi4ELi4ELi64ELc78ELc78ELb1ELb0ELb1EfKPKfKPfEEviiiT16_PT17_ilSA_ilS8_SA_ilPT18_ili26rocblas_geam_ex_operation_,comdat
.Lfunc_end4:
	.size	_ZN12_GLOBAL__N_120geam_min_plus_kernelIf15HIP_vector_typeIfLj2EEfLi32ELi8ELi256ELi64ELi4ELi64ELi4ELi4ELi64ELc78ELc78ELb1ELb0ELb1EfKPKfKPfEEviiiT16_PT17_ilSA_ilS8_SA_ilPT18_ili26rocblas_geam_ex_operation_, .Lfunc_end4-_ZN12_GLOBAL__N_120geam_min_plus_kernelIf15HIP_vector_typeIfLj2EEfLi32ELi8ELi256ELi64ELi4ELi64ELi4ELi4ELi64ELc78ELc78ELb1ELb0ELb1EfKPKfKPfEEviiiT16_PT17_ilSA_ilS8_SA_ilPT18_ili26rocblas_geam_ex_operation_
                                        ; -- End function
	.section	.AMDGPU.csdata,"",@progbits
; Kernel info:
; codeLenInByte = 15808
; NumSgprs: 28
; NumVgprs: 175
; NumAgprs: 0
; TotalNumVgprs: 175
; ScratchSize: 0
; MemoryBound: 0
; FloatMode: 240
; IeeeMode: 1
; LDSByteSize: 10240 bytes/workgroup (compile time only)
; SGPRBlocks: 3
; VGPRBlocks: 21
; NumSGPRsForWavesPerEU: 28
; NumVGPRsForWavesPerEU: 175
; AccumOffset: 176
; Occupancy: 2
; WaveLimiterHint : 1
; COMPUTE_PGM_RSRC2:SCRATCH_EN: 0
; COMPUTE_PGM_RSRC2:USER_SGPR: 2
; COMPUTE_PGM_RSRC2:TRAP_HANDLER: 0
; COMPUTE_PGM_RSRC2:TGID_X_EN: 1
; COMPUTE_PGM_RSRC2:TGID_Y_EN: 0
; COMPUTE_PGM_RSRC2:TGID_Z_EN: 1
; COMPUTE_PGM_RSRC2:TIDIG_COMP_CNT: 1
; COMPUTE_PGM_RSRC3_GFX90A:ACCUM_OFFSET: 43
; COMPUTE_PGM_RSRC3_GFX90A:TG_SPLIT: 0
	.section	.text._ZN12_GLOBAL__N_120geam_min_plus_kernelIf15HIP_vector_typeIfLj2EEfLi32ELi8ELi256ELi64ELi4ELi64ELi4ELi4ELi64ELc78ELc78ELb0ELb0ELb1EfKPKfKPfEEviiiT16_PT17_ilSA_ilS8_SA_ilPT18_ili26rocblas_geam_ex_operation_,"axG",@progbits,_ZN12_GLOBAL__N_120geam_min_plus_kernelIf15HIP_vector_typeIfLj2EEfLi32ELi8ELi256ELi64ELi4ELi64ELi4ELi4ELi64ELc78ELc78ELb0ELb0ELb1EfKPKfKPfEEviiiT16_PT17_ilSA_ilS8_SA_ilPT18_ili26rocblas_geam_ex_operation_,comdat
	.globl	_ZN12_GLOBAL__N_120geam_min_plus_kernelIf15HIP_vector_typeIfLj2EEfLi32ELi8ELi256ELi64ELi4ELi64ELi4ELi4ELi64ELc78ELc78ELb0ELb0ELb1EfKPKfKPfEEviiiT16_PT17_ilSA_ilS8_SA_ilPT18_ili26rocblas_geam_ex_operation_ ; -- Begin function _ZN12_GLOBAL__N_120geam_min_plus_kernelIf15HIP_vector_typeIfLj2EEfLi32ELi8ELi256ELi64ELi4ELi64ELi4ELi4ELi64ELc78ELc78ELb0ELb0ELb1EfKPKfKPfEEviiiT16_PT17_ilSA_ilS8_SA_ilPT18_ili26rocblas_geam_ex_operation_
	.p2align	8
	.type	_ZN12_GLOBAL__N_120geam_min_plus_kernelIf15HIP_vector_typeIfLj2EEfLi32ELi8ELi256ELi64ELi4ELi64ELi4ELi4ELi64ELc78ELc78ELb0ELb0ELb1EfKPKfKPfEEviiiT16_PT17_ilSA_ilS8_SA_ilPT18_ili26rocblas_geam_ex_operation_,@function
_ZN12_GLOBAL__N_120geam_min_plus_kernelIf15HIP_vector_typeIfLj2EEfLi32ELi8ELi256ELi64ELi4ELi64ELi4ELi4ELi64ELc78ELc78ELb0ELb0ELb1EfKPKfKPfEEviiiT16_PT17_ilSA_ilS8_SA_ilPT18_ili26rocblas_geam_ex_operation_: ; @_ZN12_GLOBAL__N_120geam_min_plus_kernelIf15HIP_vector_typeIfLj2EEfLi32ELi8ELi256ELi64ELi4ELi64ELi4ELi4ELi64ELc78ELc78ELb0ELb0ELb1EfKPKfKPfEEviiiT16_PT17_ilSA_ilS8_SA_ilPT18_ili26rocblas_geam_ex_operation_
; %bb.0:
	s_load_dwordx2 s[12:13], s[0:1], 0x8
	s_load_dwordx4 s[4:7], s[0:1], 0x20
	s_mov_b32 s20, s3
	s_mov_b32 s21, 0
	s_waitcnt lgkmcnt(0)
	v_cmp_eq_f32_e64 s[8:9], s13, 0
	s_and_b64 vcc, exec, s[8:9]
	s_cbranch_vccnz .LBB5_3
; %bb.1:
	s_load_dwordx2 s[10:11], s[0:1], 0x10
	s_lshl_b64 s[14:15], s[20:21], 3
	s_waitcnt lgkmcnt(0)
	s_add_u32 s10, s10, s14
	s_addc_u32 s11, s11, s15
	s_load_dwordx2 s[10:11], s[10:11], 0x0
	s_lshl_b64 s[4:5], s[4:5], 2
	s_waitcnt lgkmcnt(0)
	s_add_u32 s14, s10, s4
	s_addc_u32 s15, s11, s5
	s_andn2_b64 vcc, exec, s[8:9]
	s_cbranch_vccnz .LBB5_4
.LBB5_2:
	s_mov_b64 s[16:17], 0
	s_cbranch_execz .LBB5_5
	s_branch .LBB5_6
.LBB5_3:
	s_mov_b64 s[14:15], 0
	s_andn2_b64 vcc, exec, s[8:9]
	s_cbranch_vccz .LBB5_2
.LBB5_4:
                                        ; implicit-def: $sgpr16_sgpr17
.LBB5_5:
	s_lshl_b64 s[8:9], s[20:21], 3
	s_add_u32 s6, s6, s8
	s_load_dwordx2 s[4:5], s[0:1], 0x38
	s_addc_u32 s7, s7, s9
	s_load_dwordx2 s[6:7], s[6:7], 0x0
	s_waitcnt lgkmcnt(0)
	s_lshl_b64 s[4:5], s[4:5], 2
	s_add_u32 s16, s6, s4
	s_addc_u32 s17, s7, s5
.LBB5_6:
	s_load_dword s24, s[0:1], 0x40
	s_load_dwordx4 s[8:11], s[0:1], 0x58
	v_cmp_neq_f32_e64 s[22:23], s13, 0
	s_waitcnt lgkmcnt(0)
	v_cmp_eq_f32_e64 s[4:5], s24, 0
	s_and_b64 s[6:7], exec, s[4:5]
	s_mov_b64 vcc, s[6:7]
	s_cbranch_vccnz .LBB5_8
; %bb.7:
	s_load_dwordx2 s[4:5], s[0:1], 0x48
	s_lshl_b64 s[18:19], s[20:21], 3
	s_waitcnt lgkmcnt(0)
	s_add_u32 s4, s4, s18
	s_addc_u32 s5, s5, s19
	s_load_dwordx2 s[4:5], s[4:5], 0x0
	s_lshl_b64 s[8:9], s[8:9], 2
	s_waitcnt lgkmcnt(0)
	s_add_u32 s8, s4, s8
	s_addc_u32 s9, s5, s9
	s_branch .LBB5_9
.LBB5_8:
	s_mov_b64 s[8:9], 0
.LBB5_9:
	s_load_dword s18, s[0:1], 0x18
	s_load_dword s3, s[0:1], 0x0
	s_lshl_b64 s[4:5], s[20:21], 3
	v_and_b32_e32 v76, 0x3ff, v0
	v_bfe_u32 v77, v0, 10, 10
	s_waitcnt lgkmcnt(0)
	s_ashr_i32 s19, s18, 31
	s_add_u32 s4, s10, s4
	s_addc_u32 s5, s11, s5
	s_add_i32 s3, s3, -1
	s_ashr_i32 s10, s3, 31
	s_lshr_b32 s10, s10, 24
	s_add_i32 s3, s3, s10
	s_ashr_i32 s3, s3, 8
	s_add_i32 s20, s3, 1
	v_cvt_f32_u32_e32 v1, s20
	s_load_dwordx2 s[10:11], s[4:5], 0x0
	s_not_b32 s3, s3
	v_lshl_add_u32 v6, v77, 5, v76
	v_rcp_iflag_f32_e32 v1, v1
	v_lshrrev_b32_e32 v62, 6, v6
	v_and_b32_e32 v63, 63, v6
	v_mul_f32_e32 v0, 0x4f7ffffe, v1
	v_cvt_u32_f32_e32 v0, v0
	s_nop 0
	v_readfirstlane_b32 s4, v0
	s_mul_i32 s3, s3, s4
	s_mul_hi_u32 s3, s4, s3
	s_add_i32 s4, s4, s3
	s_mul_hi_u32 s3, s2, s4
	s_mul_i32 s4, s3, s20
	s_sub_i32 s4, s2, s4
	s_add_i32 s5, s3, 1
	s_sub_i32 s21, s4, s20
	s_cmp_ge_u32 s4, s20
	s_cselect_b32 s3, s5, s3
	s_cselect_b32 s4, s21, s4
	s_add_i32 s5, s3, 1
	s_cmp_ge_u32 s4, s20
	s_cselect_b32 s21, s5, s3
	s_mul_i32 s3, s21, s20
	s_sub_i32 s4, s2, s3
	s_lshl_b32 s20, s4, 8
	v_mad_i64_i32 v[0:1], s[4:5], s18, v62, 0
	v_or_b32_e32 v2, s20, v63
	v_lshl_add_u64 v[4:5], v[0:1], 2, s[14:15]
	v_cndmask_b32_e64 v0, 0, 1, s[22:23]
	v_cmp_ne_u32_e64 s[4:5], 1, v0
	s_andn2_b64 vcc, exec, s[22:23]
	v_ashrrev_i32_e32 v3, 31, v2
	s_cbranch_vccnz .LBB5_12
; %bb.10:
	v_lshl_add_u64 v[0:1], v[2:3], 2, v[4:5]
	flat_load_dword v8, v[0:1]
	flat_load_dword v9, v[0:1] offset:256
	s_mov_b32 s22, s13
	s_waitcnt vmcnt(0) lgkmcnt(0)
	v_pk_mul_f32 v[0:1], v[8:9], s[22:23] op_sel_hi:[1,0]
	s_and_b64 vcc, exec, s[4:5]
	s_cbranch_vccnz .LBB5_13
.LBB5_11:
	v_lshl_add_u64 v[4:5], v[2:3], 2, v[4:5]
	flat_load_dword v8, v[4:5] offset:512
	flat_load_dword v9, v[4:5] offset:768
	s_mov_b32 s22, s13
	s_waitcnt vmcnt(0) lgkmcnt(0)
	v_pk_mul_f32 v[4:5], v[8:9], s[22:23] op_sel_hi:[1,0]
	s_branch .LBB5_14
.LBB5_12:
	v_mov_b32_e32 v0, 0
	v_mov_b32_e32 v1, 0
	s_and_b64 vcc, exec, s[4:5]
	s_cbranch_vccz .LBB5_11
.LBB5_13:
	v_mov_b32_e32 v4, 0
	v_mov_b32_e32 v5, 0
.LBB5_14:
	s_load_dword s23, s[0:1], 0x30
	v_and_b32_e32 v7, 3, v76
	v_lshrrev_b32_e32 v8, 2, v6
	s_lshl_b32 s21, s21, 6
	s_and_b64 vcc, exec, s[4:5]
	v_add_u32_e32 v64, s21, v8
	v_lshlrev_b32_e32 v56, 2, v7
	s_cbranch_vccnz .LBB5_16
; %bb.15:
	s_waitcnt lgkmcnt(0)
	v_mad_i64_i32 v[6:7], s[26:27], v64, s23, 0
	v_lshl_add_u64 v[6:7], v[6:7], 2, s[16:17]
	v_mov_b32_e32 v57, 0
	v_lshl_add_u64 v[6:7], v[6:7], 0, v[56:57]
	flat_load_dword v6, v[6:7]
	s_waitcnt vmcnt(0) lgkmcnt(0)
	v_mul_f32_e32 v9, s13, v6
	s_branch .LBB5_17
.LBB5_16:
	v_mov_b32_e32 v9, 0
.LBB5_17:
	v_add_u32_e32 v6, 4, v62
	v_mad_i64_i32 v[6:7], s[26:27], s18, v6, 0
	s_and_b64 vcc, exec, s[4:5]
	v_lshl_add_u64 v[6:7], v[6:7], 2, s[14:15]
	s_cbranch_vccnz .LBB5_21
; %bb.18:
	v_lshl_add_u64 v[10:11], v[2:3], 2, v[6:7]
	flat_load_dword v12, v[10:11]
	flat_load_dword v13, v[10:11] offset:256
	s_mov_b32 s22, s13
	s_waitcnt vmcnt(0) lgkmcnt(0)
	v_pk_mul_f32 v[58:59], v[12:13], s[22:23] op_sel_hi:[1,0]
	s_and_b64 vcc, exec, s[4:5]
	s_cbranch_vccnz .LBB5_22
.LBB5_19:
	v_lshl_add_u64 v[2:3], v[2:3], 2, v[6:7]
	flat_load_dword v6, v[2:3] offset:512
	flat_load_dword v7, v[2:3] offset:768
	s_mov_b32 s22, s13
	s_waitcnt vmcnt(0) lgkmcnt(0)
	v_pk_mul_f32 v[60:61], v[6:7], s[22:23] op_sel_hi:[1,0]
	s_and_b64 vcc, exec, s[4:5]
	s_cbranch_vccnz .LBB5_23
.LBB5_20:
	s_waitcnt lgkmcnt(0)
	v_mad_i64_i32 v[2:3], s[26:27], v64, s23, 0
	v_lshl_add_u64 v[2:3], v[2:3], 2, s[16:17]
	v_mov_b32_e32 v57, 0
	v_lshl_add_u64 v[2:3], v[2:3], 0, v[56:57]
	flat_load_dword v2, v[2:3] offset:16
	s_waitcnt vmcnt(0) lgkmcnt(0)
	v_mul_f32_e32 v65, s13, v2
	s_branch .LBB5_24
.LBB5_21:
	v_mov_b32_e32 v58, 0
	v_mov_b32_e32 v59, 0
	s_and_b64 vcc, exec, s[4:5]
	s_cbranch_vccz .LBB5_19
.LBB5_22:
	v_mov_b32_e32 v60, 0
	v_mov_b32_e32 v61, 0
	s_and_b64 vcc, exec, s[4:5]
	s_cbranch_vccz .LBB5_20
.LBB5_23:
	v_mov_b32_e32 v65, 0
.LBB5_24:
	v_lshlrev_b32_e32 v2, 2, v62
	v_lshl_add_u32 v80, v63, 4, v2
	v_lshl_or_b32 v57, v8, 4, v56
	v_lshlrev_b32_e32 v78, 4, v76
	v_lshlrev_b32_e32 v79, 4, v77
	ds_write2st64_b32 v80, v0, v1 offset1:4
	ds_write2st64_b32 v80, v4, v5 offset0:8 offset1:12
	ds_write_b32 v57, v9 offset:8192
	s_waitcnt lgkmcnt(0)
	s_barrier
	ds_read_b128 v[12:15], v78
	ds_read_b128 v[20:23], v78 offset:512
	ds_read_b128 v[24:27], v78 offset:1024
	;; [unrolled: 1-line block ×13, first 2 shown]
	s_waitcnt lgkmcnt(5)
	v_pk_add_f32 v[66:67], v[12:13], v[52:53]
	s_mov_b32 s22, 0x7f7fffff
	v_min3_f32 v68, v66, v67, s22
	v_pk_add_f32 v[66:67], v[20:21], v[52:53]
	s_cmp_lt_i32 s12, 9
	v_min3_f32 v69, v66, v67, s22
	v_pk_add_f32 v[66:67], v[24:25], v[52:53]
	s_nop 0
	v_min3_f32 v70, v66, v67, s22
	v_pk_add_f32 v[66:67], v[28:29], v[52:53]
	s_nop 0
	v_min3_f32 v71, v66, v67, s22
	v_pk_add_f32 v[66:67], v[16:17], v[52:53]
	s_nop 0
	v_min3_f32 v72, v66, v67, s22
	v_pk_add_f32 v[66:67], v[8:9], v[52:53]
	s_nop 0
	v_min3_f32 v73, v66, v67, s22
	v_pk_add_f32 v[66:67], v[4:5], v[52:53]
	v_pk_add_f32 v[52:53], v[0:1], v[52:53]
	v_min3_f32 v66, v66, v67, s22
	v_min3_f32 v67, v52, v53, s22
	s_waitcnt lgkmcnt(4)
	v_pk_add_f32 v[52:53], v[12:13], v[48:49]
	s_nop 0
	v_min3_f32 v74, v52, v53, s22
	v_pk_add_f32 v[52:53], v[20:21], v[48:49]
	s_nop 0
	v_min3_f32 v75, v52, v53, s22
	v_pk_add_f32 v[52:53], v[24:25], v[48:49]
	s_nop 0
	v_min3_f32 v88, v52, v53, s22
	v_pk_add_f32 v[52:53], v[28:29], v[48:49]
	s_nop 0
	v_min3_f32 v89, v52, v53, s22
	v_pk_add_f32 v[52:53], v[16:17], v[48:49]
	s_nop 0
	v_min3_f32 v90, v52, v53, s22
	v_pk_add_f32 v[52:53], v[8:9], v[48:49]
	s_nop 0
	v_min3_f32 v91, v52, v53, s22
	v_pk_add_f32 v[52:53], v[4:5], v[48:49]
	v_pk_add_f32 v[48:49], v[0:1], v[48:49]
	v_min3_f32 v52, v52, v53, s22
	v_min3_f32 v53, v48, v49, s22
	s_waitcnt lgkmcnt(3)
	v_pk_add_f32 v[48:49], v[12:13], v[44:45]
	s_nop 0
	v_min3_f32 v92, v48, v49, s22
	v_pk_add_f32 v[48:49], v[20:21], v[44:45]
	s_nop 0
	;; [unrolled: 23-line block ×4, first 2 shown]
	v_min3_f32 v107, v40, v41, s22
	v_pk_add_f32 v[40:41], v[24:25], v[36:37]
	s_nop 0
	v_min3_f32 v108, v40, v41, s22
	v_pk_add_f32 v[40:41], v[28:29], v[36:37]
	s_nop 0
	;; [unrolled: 3-line block ×4, first 2 shown]
	v_min3_f32 v111, v40, v41, s22
	v_pk_add_f32 v[40:41], v[4:5], v[36:37]
	v_pk_add_f32 v[36:37], v[0:1], v[36:37]
	v_min3_f32 v112, v40, v41, s22
	v_min3_f32 v113, v36, v37, s22
	s_waitcnt lgkmcnt(0)
	v_pk_add_f32 v[36:37], v[12:13], v[32:33]
	v_pk_add_f32 v[40:41], v[4:5], v[32:33]
	v_min3_f32 v114, v36, v37, s22
	v_pk_add_f32 v[36:37], v[20:21], v[32:33]
	v_min3_f32 v40, v40, v41, s22
	v_min3_f32 v141, v36, v37, s22
	v_pk_add_f32 v[36:37], v[24:25], v[32:33]
	s_nop 0
	v_min3_f32 v150, v36, v37, s22
	v_pk_add_f32 v[36:37], v[28:29], v[32:33]
	s_nop 0
	;; [unrolled: 3-line block ×10, first 2 shown]
	v_min3_f32 v66, v36, v37, s22
	v_pk_add_f32 v[36:37], v[8:9], v[32:33]
	v_pk_add_f32 v[32:33], v[0:1], v[32:33]
	v_min3_f32 v68, v36, v37, s22
	v_min3_f32 v41, v32, v33, s22
	v_pk_add_f32 v[32:33], v[14:15], v[50:51]
	v_pk_add_f32 v[36:37], v[2:3], v[54:55]
	v_min3_f32 v149, v32, v33, v74
	v_pk_add_f32 v[32:33], v[22:23], v[50:51]
	v_min3_f32 v148, v36, v37, v67
	v_min3_f32 v146, v32, v33, v75
	v_pk_add_f32 v[32:33], v[26:27], v[50:51]
	s_nop 0
	v_min3_f32 v147, v32, v33, v88
	v_pk_add_f32 v[32:33], v[30:31], v[50:51]
	s_nop 0
	;; [unrolled: 3-line block ×5, first 2 shown]
	v_min3_f32 v143, v32, v33, v52
	v_pk_add_f32 v[32:33], v[2:3], v[50:51]
	ds_read_b128 v[48:51], v79 offset:8960
	v_min3_f32 v139, v32, v33, v53
	ds_read_b128 v[52:55], v79 offset:9088
	v_pk_add_f32 v[32:33], v[14:15], v[46:47]
	ds_write2st64_b32 v80, v58, v59 offset0:16 offset1:20
	ds_write2st64_b32 v80, v60, v61 offset0:24 offset1:28
	ds_write_b32 v57, v65 offset:9216
	v_min3_f32 v140, v32, v33, v92
	v_pk_add_f32 v[32:33], v[22:23], v[46:47]
	s_waitcnt lgkmcnt(4)
	v_pk_add_f32 v[36:37], v[24:25], v[48:49]
	v_min3_f32 v137, v32, v33, v93
	v_pk_add_f32 v[32:33], v[26:27], v[46:47]
	s_waitcnt lgkmcnt(0)
	v_min3_f32 v138, v32, v33, v94
	v_pk_add_f32 v[32:33], v[30:31], v[46:47]
	s_barrier
	v_min3_f32 v135, v32, v33, v95
	v_pk_add_f32 v[32:33], v[18:19], v[46:47]
	s_nop 0
	v_min3_f32 v136, v32, v33, v96
	v_pk_add_f32 v[32:33], v[10:11], v[46:47]
	s_nop 0
	;; [unrolled: 3-line block ×3, first 2 shown]
	v_min3_f32 v132, v32, v33, v98
	v_pk_add_f32 v[32:33], v[12:13], v[48:49]
	v_pk_add_f32 v[12:13], v[12:13], v[52:53]
	v_min3_f32 v67, v32, v33, s22
	v_pk_add_f32 v[32:33], v[20:21], v[48:49]
	s_nop 0
	v_min3_f32 v69, v32, v33, s22
	v_pk_add_f32 v[32:33], v[2:3], v[46:47]
	v_min3_f32 v46, v36, v37, s22
	v_min3_f32 v134, v32, v33, v99
	v_pk_add_f32 v[32:33], v[14:15], v[42:43]
	v_pk_add_f32 v[36:37], v[28:29], v[48:49]
	v_min3_f32 v133, v32, v33, v100
	v_pk_add_f32 v[32:33], v[22:23], v[42:43]
	v_min3_f32 v47, v36, v37, s22
	v_min3_f32 v130, v32, v33, v101
	v_pk_add_f32 v[32:33], v[26:27], v[42:43]
	v_pk_add_f32 v[36:37], v[4:5], v[48:49]
	v_min3_f32 v129, v32, v33, v102
	v_pk_add_f32 v[32:33], v[30:31], v[42:43]
	v_pk_add_f32 v[4:5], v[4:5], v[52:53]
	v_min3_f32 v128, v32, v33, v103
	v_pk_add_f32 v[32:33], v[18:19], v[42:43]
	v_min3_f32 v4, v4, v5, s22
	v_min3_f32 v127, v32, v33, v104
	v_pk_add_f32 v[32:33], v[10:11], v[42:43]
	s_nop 0
	v_min3_f32 v126, v32, v33, v105
	v_pk_add_f32 v[32:33], v[6:7], v[42:43]
	s_nop 0
	;; [unrolled: 3-line block ×3, first 2 shown]
	v_min3_f32 v44, v32, v33, s22
	v_pk_add_f32 v[32:33], v[8:9], v[48:49]
	v_pk_add_f32 v[8:9], v[8:9], v[52:53]
	v_min3_f32 v70, v32, v33, s22
	v_pk_add_f32 v[32:33], v[2:3], v[42:43]
	v_min3_f32 v42, v36, v37, s22
	v_min3_f32 v124, v32, v33, v45
	v_pk_add_f32 v[32:33], v[14:15], v[38:39]
	v_pk_add_f32 v[36:37], v[0:1], v[48:49]
	v_min3_f32 v123, v32, v33, v106
	v_pk_add_f32 v[32:33], v[22:23], v[38:39]
	v_pk_add_f32 v[0:1], v[0:1], v[52:53]
	v_min3_f32 v122, v32, v33, v107
	v_pk_add_f32 v[32:33], v[26:27], v[38:39]
	v_min3_f32 v5, v0, v1, s22
	v_min3_f32 v121, v32, v33, v108
	v_pk_add_f32 v[32:33], v[30:31], v[38:39]
	v_pk_add_f32 v[0:1], v[14:15], v[54:55]
	v_min3_f32 v120, v32, v33, v109
	v_pk_add_f32 v[32:33], v[18:19], v[38:39]
	v_min3_f32 v36, v36, v37, s22
	v_min3_f32 v119, v32, v33, v110
	v_pk_add_f32 v[32:33], v[10:11], v[38:39]
	s_nop 0
	v_min3_f32 v118, v32, v33, v111
	v_pk_add_f32 v[32:33], v[6:7], v[38:39]
	s_nop 0
	;; [unrolled: 3-line block ×10, first 2 shown]
	v_min3_f32 v110, v32, v33, v40
	v_min3_f32 v32, v12, v13, s22
	v_pk_add_f32 v[12:13], v[20:21], v[52:53]
	v_pk_add_f32 v[20:21], v[24:25], v[52:53]
	v_min3_f32 v33, v12, v13, s22
	v_pk_add_f32 v[12:13], v[2:3], v[34:35]
	v_min3_f32 v100, v0, v1, v32
	v_min3_f32 v107, v12, v13, v41
	v_pk_add_f32 v[12:13], v[14:15], v[50:51]
	v_pk_add_f32 v[0:1], v[22:23], v[54:55]
	v_min3_f32 v108, v12, v13, v67
	v_pk_add_f32 v[12:13], v[22:23], v[50:51]
	;; [unrolled: 6-line block ×4, first 2 shown]
	v_min3_f32 v20, v20, v21, s22
	v_min3_f32 v101, v12, v13, v70
	v_pk_add_f32 v[12:13], v[6:7], v[50:51]
	v_min3_f32 v98, v0, v1, v24
	v_min3_f32 v102, v12, v13, v42
	v_pk_add_f32 v[12:13], v[16:17], v[52:53]
	v_pk_add_f32 v[0:1], v[30:31], v[54:55]
	v_min3_f32 v12, v12, v13, s22
	v_min3_f32 v94, v0, v1, v20
	v_pk_add_f32 v[0:1], v[18:19], v[54:55]
	v_min3_f32 v13, v8, v9, s22
	v_min3_f32 v95, v0, v1, v12
	v_pk_add_f32 v[0:1], v[10:11], v[54:55]
	v_pk_add_f32 v[8:9], v[2:3], v[50:51]
	v_min3_f32 v92, v0, v1, v13
	v_pk_add_f32 v[0:1], v[6:7], v[54:55]
	v_min3_f32 v99, v8, v9, v36
	v_min3_f32 v93, v0, v1, v4
	v_pk_add_f32 v[0:1], v[2:3], v[54:55]
	s_nop 0
	v_min3_f32 v96, v0, v1, v5
	s_cbranch_scc1 .LBB5_42
; %bb.25:
	v_mov_b32_e32 v0, 0x1000
	v_lshl_add_u32 v141, v76, 4, v0
	v_mov_b32_e32 v0, 0x2400
	v_add_u32_e32 v88, 0x2000, v57
	v_add_u32_e32 v91, 0x2400, v57
	v_lshl_add_u32 v150, v77, 4, v0
	v_mad_i64_i32 v[0:1], s[26:27], s23, v64, 0
	v_mov_b32_e32 v57, 0
	v_lshl_add_u64 v[0:1], v[0:1], 2, v[56:57]
	v_lshl_add_u64 v[0:1], v[0:1], 0, s[16:17]
	;; [unrolled: 1-line block ×3, first 2 shown]
	v_add_u32_e32 v0, 12, v62
	v_mad_i64_i32 v[0:1], s[16:17], v0, s18, 0
	v_lshlrev_b64 v[66:67], 2, v[0:1]
	v_lshl_or_b32 v0, s2, 8, v63
	s_lshl_b32 s2, s3, 8
	v_subrev_u32_e32 v0, s2, v0
	v_ashrrev_i32_e32 v1, 31, v0
	v_lshl_add_u64 v[68:69], v[0:1], 2, s[14:15]
	v_add_u32_e32 v0, 8, v62
	v_mad_i64_i32 v[0:1], s[14:15], v0, s18, 0
	v_add_u32_e32 v89, 0x2000, v79
	v_add_u32_e32 v90, 0x1000, v80
	s_add_i32 s22, s12, -8
	s_mov_b32 s12, s13
	s_lshl_b64 s[2:3], s[18:19], 5
	v_lshlrev_b64 v[70:71], 2, v[0:1]
	s_mov_b32 s14, 0
	s_branch .LBB5_28
.LBB5_26:                               ;   in Loop: Header=BB5_28 Depth=1
	flat_load_dword v0, v[64:65] offset:16
	s_waitcnt vmcnt(0) lgkmcnt(0)
	v_mul_f32_e32 v36, s13, v0
.LBB5_27:                               ;   in Loop: Header=BB5_28 Depth=1
	ds_read_b128 v[0:3], v78
	ds_read_b128 v[4:7], v78 offset:512
	ds_read_b128 v[8:11], v78 offset:1024
	;; [unrolled: 1-line block ×7, first 2 shown]
	ds_read_b128 v[122:125], v89
	ds_read_b128 v[126:129], v89 offset:128
	ds_read_b128 v[152:155], v89 offset:256
	;; [unrolled: 1-line block ×7, first 2 shown]
	s_waitcnt lgkmcnt(7)
	v_pk_add_f32 v[130:131], v[0:1], v[122:123]
	s_add_i32 s14, s14, 8
	v_min3_f32 v37, v130, v131, v37
	v_pk_add_f32 v[130:131], v[4:5], v[122:123]
	v_lshl_add_u64 v[64:65], v[64:65], 0, 32
	v_min3_f32 v132, v130, v131, v40
	v_pk_add_f32 v[130:131], v[8:9], v[122:123]
	s_cmp_ge_i32 s14, s22
	v_min3_f32 v130, v130, v131, v41
	v_pk_add_f32 v[40:41], v[12:13], v[122:123]
	v_lshl_add_u64 v[68:69], v[68:69], 0, s[2:3]
	v_min3_f32 v44, v40, v41, v44
	v_pk_add_f32 v[40:41], v[16:17], v[122:123]
	ds_write2st64_b32 v90, v72, v73 offset1:4
	ds_write2st64_b32 v90, v74, v75 offset0:8 offset1:12
	ds_write_b32 v91, v36
	v_min3_f32 v45, v40, v41, v45
	v_pk_add_f32 v[40:41], v[20:21], v[122:123]
	s_waitcnt lgkmcnt(0)
	v_min3_f32 v48, v40, v41, v48
	v_pk_add_f32 v[40:41], v[24:25], v[122:123]
	s_barrier
	v_min3_f32 v49, v40, v41, v49
	v_pk_add_f32 v[40:41], v[28:29], v[122:123]
	s_nop 0
	v_min3_f32 v52, v40, v41, v52
	v_pk_add_f32 v[40:41], v[0:1], v[126:127]
	s_nop 0
	;; [unrolled: 3-line block ×41, first 2 shown]
	v_min3_f32 v42, v40, v41, v42
	v_pk_add_f32 v[40:41], v[0:1], v[168:169]
	v_pk_add_f32 v[0:1], v[0:1], v[32:33]
	v_min3_f32 v43, v40, v41, v43
	v_min3_f32 v39, v0, v1, v39
	v_pk_add_f32 v[0:1], v[4:5], v[32:33]
	v_pk_add_f32 v[40:41], v[4:5], v[168:169]
	v_min3_f32 v4, v0, v1, v115
	v_pk_add_f32 v[0:1], v[8:9], v[32:33]
	v_min3_f32 v152, v40, v41, v109
	v_min3_f32 v5, v0, v1, v116
	v_pk_add_f32 v[0:1], v[12:13], v[32:33]
	v_pk_add_f32 v[40:41], v[8:9], v[168:169]
	v_min3_f32 v8, v0, v1, v117
	;; [unrolled: 6-line block ×7, first 2 shown]
	v_pk_add_f32 v[0:1], v[26:27], v[124:125]
	v_min3_f32 v38, v40, v41, v38
	v_min3_f32 v85, v0, v1, v49
	v_pk_add_f32 v[0:1], v[30:31], v[124:125]
	s_nop 0
	v_min3_f32 v148, v0, v1, v52
	v_pk_add_f32 v[0:1], v[2:3], v[128:129]
	s_nop 0
	;; [unrolled: 3-line block ×57, first 2 shown]
	v_min3_f32 v96, v0, v1, v16
	s_cbranch_scc1 .LBB5_42
.LBB5_28:                               ; =>This Inner Loop Header: Depth=1
	s_and_b64 vcc, exec, s[4:5]
	v_lshl_add_u64 v[0:1], v[68:69], 0, v[70:71]
	s_cbranch_vccnz .LBB5_32
; %bb.29:                               ;   in Loop: Header=BB5_28 Depth=1
	flat_load_dword v2, v[0:1]
	flat_load_dword v3, v[0:1] offset:256
	s_waitcnt vmcnt(0) lgkmcnt(0)
	v_pk_mul_f32 v[72:73], v[2:3], s[12:13]
	s_and_b64 vcc, exec, s[4:5]
	s_cbranch_vccnz .LBB5_33
.LBB5_30:                               ;   in Loop: Header=BB5_28 Depth=1
	flat_load_dword v2, v[0:1] offset:512
	flat_load_dword v3, v[0:1] offset:768
	s_waitcnt vmcnt(0) lgkmcnt(0)
	v_pk_mul_f32 v[74:75], v[2:3], s[12:13]
	s_and_b64 vcc, exec, s[4:5]
	s_cbranch_vccnz .LBB5_34
.LBB5_31:                               ;   in Loop: Header=BB5_28 Depth=1
	flat_load_dword v0, v[64:65]
	s_waitcnt vmcnt(0) lgkmcnt(0)
	v_mul_f32_e32 v151, s13, v0
	s_branch .LBB5_35
.LBB5_32:                               ;   in Loop: Header=BB5_28 Depth=1
	v_mov_b32_e32 v72, 0
	v_mov_b32_e32 v73, 0
	s_and_b64 vcc, exec, s[4:5]
	s_cbranch_vccz .LBB5_30
.LBB5_33:                               ;   in Loop: Header=BB5_28 Depth=1
	v_mov_b32_e32 v74, 0
	v_mov_b32_e32 v75, 0
	s_and_b64 vcc, exec, s[4:5]
	s_cbranch_vccz .LBB5_31
.LBB5_34:                               ;   in Loop: Header=BB5_28 Depth=1
	v_mov_b32_e32 v151, 0
.LBB5_35:                               ;   in Loop: Header=BB5_28 Depth=1
	ds_read_b128 v[28:31], v141
	ds_read_b128 v[24:27], v141 offset:512
	ds_read_b128 v[20:23], v141 offset:1024
	;; [unrolled: 1-line block ×7, first 2 shown]
	ds_read_b128 v[60:63], v150
	ds_read_b128 v[56:59], v150 offset:128
	ds_read_b128 v[52:55], v150 offset:256
	;; [unrolled: 1-line block ×7, first 2 shown]
	ds_write2st64_b32 v80, v72, v73 offset1:4
	ds_write2st64_b32 v80, v74, v75 offset0:8 offset1:12
	ds_write_b32 v88, v151
	s_and_b64 vcc, exec, s[4:5]
	v_lshl_add_u64 v[74:75], v[68:69], 0, v[66:67]
	s_waitcnt lgkmcnt(0)
	s_barrier
	s_cbranch_vccnz .LBB5_38
; %bb.36:                               ;   in Loop: Header=BB5_28 Depth=1
	flat_load_dword v72, v[74:75]
	flat_load_dword v73, v[74:75] offset:256
	s_waitcnt vmcnt(0) lgkmcnt(0)
	v_pk_mul_f32 v[72:73], v[72:73], s[12:13]
	s_and_b64 vcc, exec, s[4:5]
	s_cbranch_vccnz .LBB5_39
.LBB5_37:                               ;   in Loop: Header=BB5_28 Depth=1
	flat_load_dword v152, v[74:75] offset:512
	flat_load_dword v153, v[74:75] offset:768
	s_waitcnt vmcnt(0) lgkmcnt(0)
	v_pk_mul_f32 v[74:75], v[152:153], s[12:13]
	s_branch .LBB5_40
.LBB5_38:                               ;   in Loop: Header=BB5_28 Depth=1
	v_mov_b32_e32 v72, 0
	v_mov_b32_e32 v73, 0
	s_and_b64 vcc, exec, s[4:5]
	s_cbranch_vccz .LBB5_37
.LBB5_39:                               ;   in Loop: Header=BB5_28 Depth=1
	v_mov_b32_e32 v74, 0
	v_mov_b32_e32 v75, 0
.LBB5_40:                               ;   in Loop: Header=BB5_28 Depth=1
	v_pk_add_f32 v[152:153], v[28:29], v[60:61]
	s_and_b64 vcc, exec, s[4:5]
	v_min3_f32 v151, v152, v153, v87
	v_pk_add_f32 v[152:153], v[24:25], v[60:61]
	s_nop 0
	v_min3_f32 v154, v152, v153, v83
	v_pk_add_f32 v[152:153], v[20:21], v[60:61]
	s_nop 0
	v_min3_f32 v152, v152, v153, v86
	v_pk_add_f32 v[86:87], v[16:17], v[60:61]
	s_nop 0
	v_min3_f32 v81, v86, v87, v81
	v_pk_add_f32 v[86:87], v[12:13], v[60:61]
	s_nop 0
	v_min3_f32 v86, v86, v87, v82
	v_pk_add_f32 v[82:83], v[8:9], v[60:61]
	s_nop 0
	v_min3_f32 v84, v82, v83, v84
	v_pk_add_f32 v[82:83], v[4:5], v[60:61]
	v_pk_add_f32 v[60:61], v[0:1], v[60:61]
	v_min3_f32 v82, v82, v83, v85
	v_min3_f32 v83, v60, v61, v148
	v_pk_add_f32 v[60:61], v[28:29], v[56:57]
	s_nop 0
	v_min3_f32 v85, v60, v61, v149
	v_pk_add_f32 v[60:61], v[24:25], v[56:57]
	s_nop 0
	v_min3_f32 v87, v60, v61, v146
	v_pk_add_f32 v[60:61], v[20:21], v[56:57]
	s_nop 0
	v_min3_f32 v146, v60, v61, v147
	v_pk_add_f32 v[60:61], v[16:17], v[56:57]
	s_nop 0
	v_min3_f32 v144, v60, v61, v144
	v_pk_add_f32 v[60:61], v[12:13], v[56:57]
	s_nop 0
	v_min3_f32 v145, v60, v61, v145
	v_pk_add_f32 v[60:61], v[8:9], v[56:57]
	s_nop 0
	v_min3_f32 v142, v60, v61, v142
	v_pk_add_f32 v[60:61], v[4:5], v[56:57]
	v_pk_add_f32 v[56:57], v[0:1], v[56:57]
	v_min3_f32 v143, v60, v61, v143
	v_min3_f32 v139, v56, v57, v139
	v_pk_add_f32 v[56:57], v[28:29], v[52:53]
	s_nop 0
	;; [unrolled: 22-line block ×5, first 2 shown]
	v_min3_f32 v116, v44, v45, v116
	v_pk_add_f32 v[44:45], v[24:25], v[40:41]
	s_nop 0
	v_min3_f32 v113, v44, v45, v113
	v_pk_add_f32 v[44:45], v[20:21], v[40:41]
	s_nop 0
	;; [unrolled: 3-line block ×5, first 2 shown]
	v_min3_f32 v109, v44, v45, v109
	v_pk_add_f32 v[44:45], v[4:5], v[40:41]
	v_pk_add_f32 v[40:41], v[0:1], v[40:41]
	v_min3_f32 v110, v44, v45, v110
	v_min3_f32 v147, v40, v41, v107
	v_pk_add_f32 v[40:41], v[28:29], v[36:37]
	v_pk_add_f32 v[28:29], v[28:29], v[32:33]
	v_min3_f32 v148, v40, v41, v108
	v_pk_add_f32 v[40:41], v[24:25], v[36:37]
	v_pk_add_f32 v[24:25], v[24:25], v[32:33]
	v_min3_f32 v149, v40, v41, v105
	v_pk_add_f32 v[40:41], v[20:21], v[36:37]
	v_min3_f32 v24, v24, v25, v97
	v_min3_f32 v153, v40, v41, v106
	v_pk_add_f32 v[40:41], v[16:17], v[36:37]
	v_pk_add_f32 v[16:17], v[16:17], v[32:33]
	v_min3_f32 v155, v40, v41, v103
	v_pk_add_f32 v[40:41], v[12:13], v[36:37]
	v_min3_f32 v16, v16, v17, v94
	v_min3_f32 v156, v40, v41, v104
	v_pk_add_f32 v[40:41], v[8:9], v[36:37]
	v_pk_add_f32 v[8:9], v[8:9], v[32:33]
	v_min3_f32 v157, v40, v41, v101
	v_pk_add_f32 v[40:41], v[4:5], v[36:37]
	v_pk_add_f32 v[36:37], v[0:1], v[36:37]
	;; [unrolled: 1-line block ×4, first 2 shown]
	v_min3_f32 v4, v4, v5, v93
	v_min3_f32 v5, v0, v1, v96
	v_pk_add_f32 v[0:1], v[30:31], v[62:63]
	v_min3_f32 v36, v36, v37, v99
	v_min3_f32 v37, v0, v1, v151
	v_pk_add_f32 v[0:1], v[26:27], v[62:63]
	;; [unrolled: 3-line block ×4, first 2 shown]
	v_pk_add_f32 v[12:13], v[12:13], v[32:33]
	v_min3_f32 v44, v0, v1, v81
	v_pk_add_f32 v[0:1], v[14:15], v[62:63]
	v_min3_f32 v12, v12, v13, v95
	v_min3_f32 v45, v0, v1, v86
	v_pk_add_f32 v[0:1], v[10:11], v[62:63]
	v_pk_add_f32 v[20:21], v[20:21], v[32:33]
	v_min3_f32 v48, v0, v1, v84
	v_pk_add_f32 v[0:1], v[6:7], v[62:63]
	v_min3_f32 v20, v20, v21, v98
	v_min3_f32 v49, v0, v1, v82
	v_pk_add_f32 v[0:1], v[2:3], v[62:63]
	v_min3_f32 v28, v28, v29, v100
	v_min3_f32 v52, v0, v1, v83
	v_pk_add_f32 v[0:1], v[30:31], v[58:59]
	s_nop 0
	v_min3_f32 v53, v0, v1, v85
	v_pk_add_f32 v[0:1], v[26:27], v[58:59]
	s_nop 0
	;; [unrolled: 3-line block ×56, first 2 shown]
	v_min3_f32 v121, v0, v1, v5
	s_cbranch_vccz .LBB5_26
; %bb.41:                               ;   in Loop: Header=BB5_28 Depth=1
	v_mov_b32_e32 v36, 0
	s_branch .LBB5_27
.LBB5_42:
	s_load_dwordx2 s[2:3], s[0:1], 0x70
	ds_read_b128 v[32:35], v78 offset:4096
	ds_read_b128 v[60:63], v79 offset:9216
	s_load_dword s4, s[0:1], 0x50
	s_load_dword s5, s[0:1], 0x68
	v_add_u32_e32 v68, s20, v76
	v_add_u32_e32 v141, s21, v77
	s_waitcnt lgkmcnt(0)
	s_lshl_b64 s[0:1], s[2:3], 2
	v_pk_add_f32 v[0:1], v[32:33], v[60:61]
	s_add_u32 s0, s10, s0
	v_min3_f32 v2, v0, v1, v87
	v_pk_add_f32 v[0:1], v[34:35], v[62:63]
	s_addc_u32 s1, s11, s1
	v_min3_f32 v2, v0, v1, v2
	v_add_u32_e32 v64, 32, v68
	v_mad_i64_i32 v[0:1], s[2:3], v141, s5, 0
	v_ashrrev_i32_e32 v69, 31, v68
	v_ashrrev_i32_e32 v65, 31, v64
	v_lshl_add_u64 v[88:89], v[0:1], 2, s[0:1]
	v_mad_i64_i32 v[0:1], s[2:3], v141, s4, 0
	v_max_f32_e32 v2, v2, v2
	s_mov_b64 vcc, s[6:7]
	s_cbranch_vccz .LBB5_44
; %bb.43:
	v_min_f32_e32 v3, 0, v2
	v_lshl_add_u64 v[4:5], v[68:69], 2, v[88:89]
	s_mov_b32 s10, 0
	global_store_dword v[4:5], v3, off
	s_mov_b64 s[2:3], 0
	s_branch .LBB5_45
.LBB5_44:
	s_mov_b64 s[2:3], -1
                                        ; implicit-def: $sgpr10
.LBB5_45:
	ds_read_b128 v[28:31], v78 offset:4608
	ds_read_b128 v[24:27], v78 offset:5120
	v_lshl_add_u64 v[90:91], v[0:1], 2, s[8:9]
	s_andn2_b64 vcc, exec, s[2:3]
	v_lshlrev_b64 v[72:73], 2, v[68:69]
	s_cbranch_vccnz .LBB5_47
; %bb.46:
	v_lshl_add_u64 v[0:1], v[90:91], 0, v[72:73]
	flat_load_dword v3, v[0:1]
	v_lshl_add_u64 v[0:1], v[88:89], 0, v[72:73]
	s_waitcnt vmcnt(0) lgkmcnt(0)
	v_mul_f32_e32 v3, s24, v3
	v_min_f32_e32 v2, v3, v2
	global_store_dword v[0:1], v2, off
	v_lshl_add_u64 v[0:1], v[64:65], 2, v[90:91]
	flat_load_dword v0, v[0:1]
	s_waitcnt vmcnt(0) lgkmcnt(0)
	v_mul_f32_e32 v70, s24, v0
	s_branch .LBB5_48
.LBB5_47:
	v_mov_b32_e32 v70, s10
.LBB5_48:
	ds_read_b128 v[20:23], v78 offset:5632
	ds_read_b128 v[16:19], v78 offset:6144
	ds_read_b128 v[12:15], v78 offset:6656
	ds_read_b128 v[8:11], v78 offset:7168
	ds_read_b128 v[0:3], v78 offset:7680
	ds_read_b128 v[56:59], v79 offset:9344
	ds_read_b128 v[52:55], v79 offset:9472
	ds_read_b128 v[48:51], v79 offset:9600
	ds_read_b128 v[44:47], v79 offset:9728
	ds_read_b128 v[40:43], v79 offset:9856
	ds_read_b128 v[36:39], v79 offset:9984
	ds_read_b128 v[4:7], v79 offset:10112
	s_waitcnt lgkmcnt(13)
	v_pk_add_f32 v[66:67], v[28:29], v[60:61]
	s_mov_b64 vcc, s[6:7]
	v_min3_f32 v71, v66, v67, v83
	s_waitcnt lgkmcnt(12)
	v_pk_add_f32 v[66:67], v[24:25], v[60:61]
	s_nop 0
	v_min3_f32 v74, v66, v67, v86
	v_pk_add_f32 v[66:67], v[30:31], v[62:63]
	s_nop 0
	v_min_f32_e32 v76, v66, v67
	v_pk_add_f32 v[66:67], v[26:27], v[62:63]
	v_min3_f32 v76, v70, v76, v71
	v_min3_f32 v77, v66, v67, v74
	v_add_u32_e32 v74, 64, v68
	v_add_u32_e32 v66, 0x60, v68
	v_lshl_add_u64 v[70:71], v[64:65], 2, v[88:89]
	v_ashrrev_i32_e32 v75, 31, v74
	v_ashrrev_i32_e32 v67, 31, v66
	global_store_dword v[70:71], v76, off
	v_max_f32_e32 v70, v77, v77
	s_cbranch_vccz .LBB5_51
; %bb.49:
	v_min_f32_e32 v71, 0, v70
	v_lshl_add_u64 v[76:77], v[74:75], 2, v[88:89]
	s_mov_b32 s10, 0
	global_store_dword v[76:77], v71, off
	v_lshlrev_b64 v[78:79], 2, v[74:75]
	s_cbranch_execz .LBB5_52
; %bb.50:
	v_mov_b32_e32 v76, s10
	s_branch .LBB5_53
.LBB5_51:
                                        ; implicit-def: $sgpr10
	v_lshlrev_b64 v[78:79], 2, v[74:75]
.LBB5_52:
	v_lshl_add_u64 v[76:77], v[90:91], 0, v[78:79]
	flat_load_dword v71, v[76:77]
	v_lshl_add_u64 v[76:77], v[88:89], 0, v[78:79]
	s_waitcnt vmcnt(0) lgkmcnt(0)
	v_mul_f32_e32 v71, s24, v71
	v_min_f32_e32 v70, v71, v70
	global_store_dword v[76:77], v70, off
	v_lshl_add_u64 v[70:71], v[66:67], 2, v[90:91]
	flat_load_dword v70, v[70:71]
	s_waitcnt vmcnt(0) lgkmcnt(0)
	v_mul_f32_e32 v76, s24, v70
.LBB5_53:
	s_waitcnt lgkmcnt(11)
	v_pk_add_f32 v[70:71], v[20:21], v[60:61]
	s_mov_b64 vcc, s[6:7]
	v_min3_f32 v77, v70, v71, v81
	s_waitcnt lgkmcnt(10)
	v_pk_add_f32 v[70:71], v[16:17], v[60:61]
	s_nop 0
	v_min3_f32 v80, v70, v71, v82
	v_pk_add_f32 v[70:71], v[22:23], v[62:63]
	s_nop 0
	v_min_f32_e32 v82, v70, v71
	v_pk_add_f32 v[70:71], v[18:19], v[62:63]
	v_min3_f32 v82, v76, v82, v77
	v_min3_f32 v83, v70, v71, v80
	v_add_u32_e32 v80, 0x80, v68
	v_add_u32_e32 v70, 0xa0, v68
	v_lshl_add_u64 v[76:77], v[66:67], 2, v[88:89]
	v_ashrrev_i32_e32 v81, 31, v80
	v_ashrrev_i32_e32 v71, 31, v70
	global_store_dword v[76:77], v82, off
	v_max_f32_e32 v76, v83, v83
	s_cbranch_vccz .LBB5_56
; %bb.54:
	v_min_f32_e32 v77, 0, v76
	v_lshl_add_u64 v[82:83], v[80:81], 2, v[88:89]
	s_mov_b32 s10, 0
	global_store_dword v[82:83], v77, off
	v_lshlrev_b64 v[82:83], 2, v[80:81]
	s_cbranch_execz .LBB5_57
; %bb.55:
	v_mov_b32_e32 v86, s10
	s_branch .LBB5_58
.LBB5_56:
                                        ; implicit-def: $sgpr10
	v_lshlrev_b64 v[82:83], 2, v[80:81]
.LBB5_57:
	v_lshl_add_u64 v[86:87], v[90:91], 0, v[82:83]
	flat_load_dword v77, v[86:87]
	v_lshl_add_u64 v[86:87], v[88:89], 0, v[82:83]
	s_waitcnt vmcnt(0) lgkmcnt(0)
	v_mul_f32_e32 v77, s24, v77
	v_min_f32_e32 v76, v77, v76
	global_store_dword v[86:87], v76, off
	v_lshl_add_u64 v[76:77], v[70:71], 2, v[90:91]
	flat_load_dword v76, v[76:77]
	s_waitcnt vmcnt(0) lgkmcnt(0)
	v_mul_f32_e32 v86, s24, v76
.LBB5_58:
	s_waitcnt lgkmcnt(9)
	v_pk_add_f32 v[76:77], v[12:13], v[60:61]
	s_mov_b64 vcc, s[6:7]
	v_min3_f32 v87, v76, v77, v84
	s_waitcnt lgkmcnt(8)
	v_pk_add_f32 v[76:77], v[8:9], v[60:61]
	s_nop 0
	v_min3_f32 v84, v76, v77, v85
	v_pk_add_f32 v[76:77], v[14:15], v[62:63]
	s_nop 0
	v_min_f32_e32 v150, v76, v77
	v_pk_add_f32 v[76:77], v[10:11], v[62:63]
	v_min3_f32 v150, v86, v150, v87
	v_min3_f32 v151, v76, v77, v84
	v_add_u32_e32 v84, 0xc0, v68
	v_add_u32_e32 v76, 0xe0, v68
	v_lshl_add_u64 v[86:87], v[70:71], 2, v[88:89]
	v_ashrrev_i32_e32 v85, 31, v84
	v_ashrrev_i32_e32 v77, 31, v76
	global_store_dword v[86:87], v150, off
	v_max_f32_e32 v150, v151, v151
	s_cbranch_vccz .LBB5_61
; %bb.59:
	v_min_f32_e32 v151, 0, v150
	v_lshl_add_u64 v[86:87], v[84:85], 2, v[88:89]
	s_mov_b32 s10, 0
	global_store_dword v[86:87], v151, off
	v_lshlrev_b64 v[86:87], 2, v[84:85]
	s_cbranch_execz .LBB5_62
; %bb.60:
	v_mov_b32_e32 v90, s10
	s_branch .LBB5_63
.LBB5_61:
                                        ; implicit-def: $sgpr10
	v_lshlrev_b64 v[86:87], 2, v[84:85]
.LBB5_62:
	v_lshl_add_u64 v[152:153], v[90:91], 0, v[86:87]
	flat_load_dword v151, v[152:153]
	v_lshl_add_u64 v[152:153], v[88:89], 0, v[86:87]
	v_lshl_add_u64 v[90:91], v[76:77], 2, v[90:91]
	s_waitcnt vmcnt(0) lgkmcnt(0)
	v_mul_f32_e32 v151, s24, v151
	v_min_f32_e32 v150, v151, v150
	global_store_dword v[152:153], v150, off
	flat_load_dword v90, v[90:91]
	s_waitcnt vmcnt(0) lgkmcnt(0)
	v_mul_f32_e32 v90, s24, v90
.LBB5_63:
	s_waitcnt lgkmcnt(7)
	v_pk_add_f32 v[60:61], v[0:1], v[60:61]
	s_mov_b64 vcc, s[6:7]
	v_min3_f32 v91, v60, v61, v148
	s_waitcnt lgkmcnt(6)
	v_pk_add_f32 v[60:61], v[32:33], v[56:57]
	s_nop 0
	v_min3_f32 v148, v60, v61, v149
	v_pk_add_f32 v[60:61], v[2:3], v[62:63]
	s_nop 0
	v_min_f32_e32 v62, v60, v61
	v_pk_add_f32 v[60:61], v[34:35], v[58:59]
	v_min3_f32 v62, v90, v62, v91
	v_min3_f32 v148, v60, v61, v148
	v_lshl_add_u64 v[60:61], v[76:77], 2, v[88:89]
	global_store_dword v[60:61], v62, off
	v_add_u32_e32 v62, 8, v141
	v_mad_i64_i32 v[60:61], s[2:3], v62, s5, 0
	v_lshl_add_u64 v[60:61], v[60:61], 2, s[0:1]
	v_mad_i64_i32 v[62:63], s[2:3], v62, s4, 0
	v_max_f32_e32 v88, v148, v148
	s_cbranch_vccz .LBB5_66
; %bb.64:
	v_min_f32_e32 v89, 0, v88
	v_lshl_add_u64 v[90:91], v[68:69], 2, v[60:61]
	s_mov_b32 s10, 0
	global_store_dword v[90:91], v89, off
	v_lshl_add_u64 v[62:63], v[62:63], 2, s[8:9]
	s_cbranch_execz .LBB5_67
; %bb.65:
	v_mov_b32_e32 v88, s10
	s_branch .LBB5_68
.LBB5_66:
                                        ; implicit-def: $sgpr10
	v_lshl_add_u64 v[62:63], v[62:63], 2, s[8:9]
.LBB5_67:
	v_lshl_add_u64 v[90:91], v[62:63], 0, v[72:73]
	flat_load_dword v89, v[90:91]
	v_lshl_add_u64 v[90:91], v[60:61], 0, v[72:73]
	s_waitcnt vmcnt(0) lgkmcnt(0)
	v_mul_f32_e32 v89, s24, v89
	v_min_f32_e32 v88, v89, v88
	global_store_dword v[90:91], v88, off
	v_lshl_add_u64 v[88:89], v[64:65], 2, v[62:63]
	flat_load_dword v88, v[88:89]
	s_waitcnt vmcnt(0) lgkmcnt(0)
	v_mul_f32_e32 v88, s24, v88
.LBB5_68:
	v_pk_add_f32 v[90:91], v[28:29], v[56:57]
	s_mov_b64 vcc, s[6:7]
	v_min3_f32 v89, v90, v91, v146
	v_pk_add_f32 v[90:91], v[24:25], v[56:57]
	s_nop 0
	v_min3_f32 v146, v90, v91, v147
	v_pk_add_f32 v[90:91], v[30:31], v[58:59]
	s_nop 0
	v_min_f32_e32 v147, v90, v91
	v_pk_add_f32 v[90:91], v[26:27], v[58:59]
	s_nop 0
	v_min3_f32 v90, v90, v91, v146
	v_min3_f32 v91, v88, v147, v89
	v_lshl_add_u64 v[88:89], v[64:65], 2, v[60:61]
	global_store_dword v[88:89], v91, off
	v_max_f32_e32 v88, v90, v90
	s_cbranch_vccz .LBB5_71
; %bb.69:
	v_min_f32_e32 v89, 0, v88
	v_lshl_add_u64 v[90:91], v[74:75], 2, v[60:61]
	s_mov_b32 s10, 0
	global_store_dword v[90:91], v89, off
	s_cbranch_execz .LBB5_72
; %bb.70:
	v_mov_b32_e32 v88, s10
	s_branch .LBB5_73
.LBB5_71:
                                        ; implicit-def: $sgpr10
.LBB5_72:
	v_lshl_add_u64 v[90:91], v[62:63], 0, v[78:79]
	flat_load_dword v89, v[90:91]
	v_lshl_add_u64 v[90:91], v[60:61], 0, v[78:79]
	s_waitcnt vmcnt(0) lgkmcnt(0)
	v_mul_f32_e32 v89, s24, v89
	v_min_f32_e32 v88, v89, v88
	global_store_dword v[90:91], v88, off
	v_lshl_add_u64 v[88:89], v[66:67], 2, v[62:63]
	flat_load_dword v88, v[88:89]
	s_waitcnt vmcnt(0) lgkmcnt(0)
	v_mul_f32_e32 v88, s24, v88
.LBB5_73:
	v_pk_add_f32 v[90:91], v[20:21], v[56:57]
	s_mov_b64 vcc, s[6:7]
	v_min3_f32 v89, v90, v91, v144
	v_pk_add_f32 v[90:91], v[16:17], v[56:57]
	s_nop 0
	v_min3_f32 v144, v90, v91, v145
	v_pk_add_f32 v[90:91], v[22:23], v[58:59]
	s_nop 0
	v_min_f32_e32 v145, v90, v91
	v_pk_add_f32 v[90:91], v[18:19], v[58:59]
	s_nop 0
	v_min3_f32 v90, v90, v91, v144
	v_min3_f32 v91, v88, v145, v89
	v_lshl_add_u64 v[88:89], v[66:67], 2, v[60:61]
	global_store_dword v[88:89], v91, off
	v_max_f32_e32 v88, v90, v90
	s_cbranch_vccz .LBB5_76
; %bb.74:
	v_min_f32_e32 v89, 0, v88
	v_lshl_add_u64 v[90:91], v[80:81], 2, v[60:61]
	s_mov_b32 s10, 0
	global_store_dword v[90:91], v89, off
	s_cbranch_execz .LBB5_77
; %bb.75:
	v_mov_b32_e32 v88, s10
	s_branch .LBB5_78
.LBB5_76:
                                        ; implicit-def: $sgpr10
.LBB5_77:
	v_lshl_add_u64 v[90:91], v[62:63], 0, v[82:83]
	flat_load_dword v89, v[90:91]
	v_lshl_add_u64 v[90:91], v[60:61], 0, v[82:83]
	s_waitcnt vmcnt(0) lgkmcnt(0)
	v_mul_f32_e32 v89, s24, v89
	v_min_f32_e32 v88, v89, v88
	global_store_dword v[90:91], v88, off
	v_lshl_add_u64 v[88:89], v[70:71], 2, v[62:63]
	flat_load_dword v88, v[88:89]
	s_waitcnt vmcnt(0) lgkmcnt(0)
	v_mul_f32_e32 v88, s24, v88
.LBB5_78:
	v_pk_add_f32 v[90:91], v[12:13], v[56:57]
	s_mov_b64 vcc, s[6:7]
	v_min3_f32 v89, v90, v91, v142
	v_pk_add_f32 v[90:91], v[8:9], v[56:57]
	s_nop 0
	v_min3_f32 v142, v90, v91, v143
	v_pk_add_f32 v[90:91], v[14:15], v[58:59]
	s_nop 0
	v_min_f32_e32 v143, v90, v91
	v_pk_add_f32 v[90:91], v[10:11], v[58:59]
	s_nop 0
	v_min3_f32 v90, v90, v91, v142
	v_min3_f32 v91, v88, v143, v89
	v_lshl_add_u64 v[88:89], v[70:71], 2, v[60:61]
	global_store_dword v[88:89], v91, off
	v_max_f32_e32 v88, v90, v90
	s_cbranch_vccz .LBB5_81
; %bb.79:
	v_min_f32_e32 v89, 0, v88
	v_lshl_add_u64 v[90:91], v[84:85], 2, v[60:61]
	s_mov_b32 s10, 0
	global_store_dword v[90:91], v89, off
	s_cbranch_execz .LBB5_82
; %bb.80:
	v_mov_b32_e32 v62, s10
	s_branch .LBB5_83
.LBB5_81:
                                        ; implicit-def: $sgpr10
.LBB5_82:
	v_lshl_add_u64 v[90:91], v[62:63], 0, v[86:87]
	flat_load_dword v89, v[90:91]
	v_lshl_add_u64 v[90:91], v[60:61], 0, v[86:87]
	v_lshl_add_u64 v[62:63], v[76:77], 2, v[62:63]
	s_waitcnt vmcnt(0) lgkmcnt(0)
	v_mul_f32_e32 v89, s24, v89
	v_min_f32_e32 v88, v89, v88
	global_store_dword v[90:91], v88, off
	flat_load_dword v62, v[62:63]
	s_waitcnt vmcnt(0) lgkmcnt(0)
	v_mul_f32_e32 v62, s24, v62
.LBB5_83:
	v_pk_add_f32 v[56:57], v[0:1], v[56:57]
	s_mov_b64 vcc, s[6:7]
	v_min3_f32 v63, v56, v57, v139
	s_waitcnt lgkmcnt(5)
	v_pk_add_f32 v[56:57], v[32:33], v[52:53]
	s_nop 0
	v_min3_f32 v88, v56, v57, v140
	v_pk_add_f32 v[56:57], v[2:3], v[58:59]
	s_nop 0
	v_min_f32_e32 v58, v56, v57
	v_pk_add_f32 v[56:57], v[34:35], v[54:55]
	v_min3_f32 v58, v62, v58, v63
	v_min3_f32 v88, v56, v57, v88
	v_lshl_add_u64 v[56:57], v[76:77], 2, v[60:61]
	global_store_dword v[56:57], v58, off
	v_add_u32_e32 v58, 16, v141
	v_mad_i64_i32 v[56:57], s[2:3], v58, s5, 0
	v_lshl_add_u64 v[56:57], v[56:57], 2, s[0:1]
	v_mad_i64_i32 v[58:59], s[2:3], v58, s4, 0
	v_max_f32_e32 v60, v88, v88
	s_cbranch_vccz .LBB5_86
; %bb.84:
	v_min_f32_e32 v61, 0, v60
	v_lshl_add_u64 v[62:63], v[68:69], 2, v[56:57]
	s_mov_b32 s10, 0
	global_store_dword v[62:63], v61, off
	v_lshl_add_u64 v[58:59], v[58:59], 2, s[8:9]
	s_cbranch_execz .LBB5_87
; %bb.85:
	v_mov_b32_e32 v60, s10
	s_branch .LBB5_88
.LBB5_86:
                                        ; implicit-def: $sgpr10
	v_lshl_add_u64 v[58:59], v[58:59], 2, s[8:9]
.LBB5_87:
	v_lshl_add_u64 v[62:63], v[58:59], 0, v[72:73]
	flat_load_dword v61, v[62:63]
	v_lshl_add_u64 v[62:63], v[56:57], 0, v[72:73]
	s_waitcnt vmcnt(0) lgkmcnt(0)
	v_mul_f32_e32 v61, s24, v61
	v_min_f32_e32 v60, v61, v60
	global_store_dword v[62:63], v60, off
	v_lshl_add_u64 v[60:61], v[64:65], 2, v[58:59]
	flat_load_dword v60, v[60:61]
	s_waitcnt vmcnt(0) lgkmcnt(0)
	v_mul_f32_e32 v60, s24, v60
.LBB5_88:
	v_pk_add_f32 v[62:63], v[28:29], v[52:53]
	s_mov_b64 vcc, s[6:7]
	v_min3_f32 v61, v62, v63, v137
	v_pk_add_f32 v[62:63], v[24:25], v[52:53]
	s_nop 0
	v_min3_f32 v88, v62, v63, v138
	v_pk_add_f32 v[62:63], v[30:31], v[54:55]
	s_nop 0
	v_min_f32_e32 v89, v62, v63
	v_pk_add_f32 v[62:63], v[26:27], v[54:55]
	s_nop 0
	v_min3_f32 v62, v62, v63, v88
	v_min3_f32 v63, v60, v89, v61
	v_lshl_add_u64 v[60:61], v[64:65], 2, v[56:57]
	global_store_dword v[60:61], v63, off
	v_max_f32_e32 v60, v62, v62
	s_cbranch_vccz .LBB5_91
; %bb.89:
	v_min_f32_e32 v61, 0, v60
	v_lshl_add_u64 v[62:63], v[74:75], 2, v[56:57]
	s_mov_b32 s10, 0
	global_store_dword v[62:63], v61, off
	s_cbranch_execz .LBB5_92
; %bb.90:
	v_mov_b32_e32 v60, s10
	s_branch .LBB5_93
.LBB5_91:
                                        ; implicit-def: $sgpr10
.LBB5_92:
	v_lshl_add_u64 v[62:63], v[58:59], 0, v[78:79]
	flat_load_dword v61, v[62:63]
	v_lshl_add_u64 v[62:63], v[56:57], 0, v[78:79]
	s_waitcnt vmcnt(0) lgkmcnt(0)
	v_mul_f32_e32 v61, s24, v61
	v_min_f32_e32 v60, v61, v60
	global_store_dword v[62:63], v60, off
	v_lshl_add_u64 v[60:61], v[66:67], 2, v[58:59]
	flat_load_dword v60, v[60:61]
	s_waitcnt vmcnt(0) lgkmcnt(0)
	v_mul_f32_e32 v60, s24, v60
.LBB5_93:
	v_pk_add_f32 v[62:63], v[20:21], v[52:53]
	s_mov_b64 vcc, s[6:7]
	v_min3_f32 v61, v62, v63, v135
	v_pk_add_f32 v[62:63], v[16:17], v[52:53]
	s_nop 0
	v_min3_f32 v88, v62, v63, v136
	v_pk_add_f32 v[62:63], v[22:23], v[54:55]
	s_nop 0
	v_min_f32_e32 v89, v62, v63
	v_pk_add_f32 v[62:63], v[18:19], v[54:55]
	s_nop 0
	v_min3_f32 v62, v62, v63, v88
	v_min3_f32 v63, v60, v89, v61
	v_lshl_add_u64 v[60:61], v[66:67], 2, v[56:57]
	global_store_dword v[60:61], v63, off
	v_max_f32_e32 v60, v62, v62
	s_cbranch_vccz .LBB5_96
; %bb.94:
	v_min_f32_e32 v61, 0, v60
	v_lshl_add_u64 v[62:63], v[80:81], 2, v[56:57]
	s_mov_b32 s10, 0
	global_store_dword v[62:63], v61, off
	s_cbranch_execz .LBB5_97
; %bb.95:
	v_mov_b32_e32 v60, s10
	s_branch .LBB5_98
.LBB5_96:
                                        ; implicit-def: $sgpr10
.LBB5_97:
	v_lshl_add_u64 v[62:63], v[58:59], 0, v[82:83]
	flat_load_dword v61, v[62:63]
	v_lshl_add_u64 v[62:63], v[56:57], 0, v[82:83]
	s_waitcnt vmcnt(0) lgkmcnt(0)
	v_mul_f32_e32 v61, s24, v61
	v_min_f32_e32 v60, v61, v60
	global_store_dword v[62:63], v60, off
	v_lshl_add_u64 v[60:61], v[70:71], 2, v[58:59]
	flat_load_dword v60, v[60:61]
	s_waitcnt vmcnt(0) lgkmcnt(0)
	v_mul_f32_e32 v60, s24, v60
.LBB5_98:
	v_pk_add_f32 v[62:63], v[12:13], v[52:53]
	s_mov_b64 vcc, s[6:7]
	v_min3_f32 v61, v62, v63, v131
	v_pk_add_f32 v[62:63], v[8:9], v[52:53]
	s_nop 0
	v_min3_f32 v88, v62, v63, v132
	v_pk_add_f32 v[62:63], v[14:15], v[54:55]
	s_nop 0
	v_min_f32_e32 v89, v62, v63
	v_pk_add_f32 v[62:63], v[10:11], v[54:55]
	s_nop 0
	v_min3_f32 v62, v62, v63, v88
	v_min3_f32 v63, v60, v89, v61
	v_lshl_add_u64 v[60:61], v[70:71], 2, v[56:57]
	global_store_dword v[60:61], v63, off
	v_max_f32_e32 v60, v62, v62
	s_cbranch_vccz .LBB5_101
; %bb.99:
	v_min_f32_e32 v61, 0, v60
	v_lshl_add_u64 v[62:63], v[84:85], 2, v[56:57]
	s_mov_b32 s10, 0
	global_store_dword v[62:63], v61, off
	s_cbranch_execz .LBB5_102
; %bb.100:
	v_mov_b32_e32 v58, s10
	s_branch .LBB5_103
.LBB5_101:
                                        ; implicit-def: $sgpr10
.LBB5_102:
	v_lshl_add_u64 v[62:63], v[58:59], 0, v[86:87]
	flat_load_dword v61, v[62:63]
	v_lshl_add_u64 v[62:63], v[56:57], 0, v[86:87]
	v_lshl_add_u64 v[58:59], v[76:77], 2, v[58:59]
	s_waitcnt vmcnt(0) lgkmcnt(0)
	v_mul_f32_e32 v61, s24, v61
	v_min_f32_e32 v60, v61, v60
	global_store_dword v[62:63], v60, off
	flat_load_dword v58, v[58:59]
	s_waitcnt vmcnt(0) lgkmcnt(0)
	v_mul_f32_e32 v58, s24, v58
.LBB5_103:
	v_pk_add_f32 v[52:53], v[0:1], v[52:53]
	s_mov_b64 vcc, s[6:7]
	v_min3_f32 v59, v52, v53, v134
	s_waitcnt lgkmcnt(4)
	v_pk_add_f32 v[52:53], v[32:33], v[48:49]
	s_nop 0
	v_min3_f32 v60, v52, v53, v133
	v_pk_add_f32 v[52:53], v[2:3], v[54:55]
	s_nop 0
	v_min_f32_e32 v54, v52, v53
	v_pk_add_f32 v[52:53], v[34:35], v[50:51]
	v_min3_f32 v54, v58, v54, v59
	v_min3_f32 v60, v52, v53, v60
	v_lshl_add_u64 v[52:53], v[76:77], 2, v[56:57]
	global_store_dword v[52:53], v54, off
	v_add_u32_e32 v54, 24, v141
	v_mad_i64_i32 v[52:53], s[2:3], v54, s5, 0
	v_lshl_add_u64 v[52:53], v[52:53], 2, s[0:1]
	v_mad_i64_i32 v[54:55], s[2:3], v54, s4, 0
	v_max_f32_e32 v56, v60, v60
	s_cbranch_vccz .LBB5_106
; %bb.104:
	v_min_f32_e32 v57, 0, v56
	v_lshl_add_u64 v[58:59], v[68:69], 2, v[52:53]
	s_mov_b32 s10, 0
	global_store_dword v[58:59], v57, off
	v_lshl_add_u64 v[54:55], v[54:55], 2, s[8:9]
	s_cbranch_execz .LBB5_107
; %bb.105:
	v_mov_b32_e32 v56, s10
	s_branch .LBB5_108
.LBB5_106:
                                        ; implicit-def: $sgpr10
	v_lshl_add_u64 v[54:55], v[54:55], 2, s[8:9]
.LBB5_107:
	v_lshl_add_u64 v[58:59], v[54:55], 0, v[72:73]
	flat_load_dword v57, v[58:59]
	v_lshl_add_u64 v[58:59], v[52:53], 0, v[72:73]
	s_waitcnt vmcnt(0) lgkmcnt(0)
	v_mul_f32_e32 v57, s24, v57
	v_min_f32_e32 v56, v57, v56
	global_store_dword v[58:59], v56, off
	v_lshl_add_u64 v[56:57], v[64:65], 2, v[54:55]
	flat_load_dword v56, v[56:57]
	s_waitcnt vmcnt(0) lgkmcnt(0)
	v_mul_f32_e32 v56, s24, v56
.LBB5_108:
	v_pk_add_f32 v[58:59], v[28:29], v[48:49]
	s_mov_b64 vcc, s[6:7]
	v_min3_f32 v57, v58, v59, v130
	v_pk_add_f32 v[58:59], v[24:25], v[48:49]
	s_nop 0
	v_min3_f32 v60, v58, v59, v129
	v_pk_add_f32 v[58:59], v[30:31], v[50:51]
	s_nop 0
	v_min_f32_e32 v61, v58, v59
	v_pk_add_f32 v[58:59], v[26:27], v[50:51]
	s_nop 0
	v_min3_f32 v58, v58, v59, v60
	v_min3_f32 v59, v56, v61, v57
	v_lshl_add_u64 v[56:57], v[64:65], 2, v[52:53]
	global_store_dword v[56:57], v59, off
	v_max_f32_e32 v56, v58, v58
	s_cbranch_vccz .LBB5_111
; %bb.109:
	v_min_f32_e32 v57, 0, v56
	v_lshl_add_u64 v[58:59], v[74:75], 2, v[52:53]
	s_mov_b32 s10, 0
	global_store_dword v[58:59], v57, off
	s_cbranch_execz .LBB5_112
; %bb.110:
	v_mov_b32_e32 v56, s10
	s_branch .LBB5_113
.LBB5_111:
                                        ; implicit-def: $sgpr10
.LBB5_112:
	v_lshl_add_u64 v[58:59], v[54:55], 0, v[78:79]
	flat_load_dword v57, v[58:59]
	v_lshl_add_u64 v[58:59], v[52:53], 0, v[78:79]
	s_waitcnt vmcnt(0) lgkmcnt(0)
	v_mul_f32_e32 v57, s24, v57
	v_min_f32_e32 v56, v57, v56
	global_store_dword v[58:59], v56, off
	v_lshl_add_u64 v[56:57], v[66:67], 2, v[54:55]
	flat_load_dword v56, v[56:57]
	s_waitcnt vmcnt(0) lgkmcnt(0)
	v_mul_f32_e32 v56, s24, v56
.LBB5_113:
	v_pk_add_f32 v[58:59], v[20:21], v[48:49]
	s_mov_b64 vcc, s[6:7]
	v_min3_f32 v57, v58, v59, v128
	v_pk_add_f32 v[58:59], v[16:17], v[48:49]
	s_nop 0
	v_min3_f32 v60, v58, v59, v127
	v_pk_add_f32 v[58:59], v[22:23], v[50:51]
	s_nop 0
	v_min_f32_e32 v61, v58, v59
	v_pk_add_f32 v[58:59], v[18:19], v[50:51]
	s_nop 0
	v_min3_f32 v58, v58, v59, v60
	v_min3_f32 v59, v56, v61, v57
	v_lshl_add_u64 v[56:57], v[66:67], 2, v[52:53]
	global_store_dword v[56:57], v59, off
	v_max_f32_e32 v56, v58, v58
	s_cbranch_vccz .LBB5_116
; %bb.114:
	v_min_f32_e32 v57, 0, v56
	v_lshl_add_u64 v[58:59], v[80:81], 2, v[52:53]
	s_mov_b32 s10, 0
	global_store_dword v[58:59], v57, off
	s_cbranch_execz .LBB5_117
; %bb.115:
	v_mov_b32_e32 v56, s10
	s_branch .LBB5_118
.LBB5_116:
                                        ; implicit-def: $sgpr10
.LBB5_117:
	v_lshl_add_u64 v[58:59], v[54:55], 0, v[82:83]
	flat_load_dword v57, v[58:59]
	v_lshl_add_u64 v[58:59], v[52:53], 0, v[82:83]
	s_waitcnt vmcnt(0) lgkmcnt(0)
	v_mul_f32_e32 v57, s24, v57
	v_min_f32_e32 v56, v57, v56
	global_store_dword v[58:59], v56, off
	v_lshl_add_u64 v[56:57], v[70:71], 2, v[54:55]
	flat_load_dword v56, v[56:57]
	s_waitcnt vmcnt(0) lgkmcnt(0)
	v_mul_f32_e32 v56, s24, v56
.LBB5_118:
	v_pk_add_f32 v[58:59], v[12:13], v[48:49]
	s_mov_b64 vcc, s[6:7]
	v_min3_f32 v57, v58, v59, v126
	v_pk_add_f32 v[58:59], v[8:9], v[48:49]
	s_nop 0
	v_min3_f32 v60, v58, v59, v125
	v_pk_add_f32 v[58:59], v[14:15], v[50:51]
	s_nop 0
	v_min_f32_e32 v61, v58, v59
	v_pk_add_f32 v[58:59], v[10:11], v[50:51]
	s_nop 0
	v_min3_f32 v58, v58, v59, v60
	v_min3_f32 v59, v56, v61, v57
	v_lshl_add_u64 v[56:57], v[70:71], 2, v[52:53]
	global_store_dword v[56:57], v59, off
	v_max_f32_e32 v56, v58, v58
	s_cbranch_vccz .LBB5_121
; %bb.119:
	v_min_f32_e32 v57, 0, v56
	v_lshl_add_u64 v[58:59], v[84:85], 2, v[52:53]
	s_mov_b32 s10, 0
	global_store_dword v[58:59], v57, off
	s_cbranch_execz .LBB5_122
; %bb.120:
	v_mov_b32_e32 v54, s10
	s_branch .LBB5_123
.LBB5_121:
                                        ; implicit-def: $sgpr10
.LBB5_122:
	v_lshl_add_u64 v[58:59], v[54:55], 0, v[86:87]
	flat_load_dword v57, v[58:59]
	v_lshl_add_u64 v[58:59], v[52:53], 0, v[86:87]
	v_lshl_add_u64 v[54:55], v[76:77], 2, v[54:55]
	s_waitcnt vmcnt(0) lgkmcnt(0)
	v_mul_f32_e32 v57, s24, v57
	v_min_f32_e32 v56, v57, v56
	global_store_dword v[58:59], v56, off
	flat_load_dword v54, v[54:55]
	s_waitcnt vmcnt(0) lgkmcnt(0)
	v_mul_f32_e32 v54, s24, v54
.LBB5_123:
	v_pk_add_f32 v[48:49], v[0:1], v[48:49]
	s_mov_b64 vcc, s[6:7]
	v_min3_f32 v55, v48, v49, v124
	s_waitcnt lgkmcnt(3)
	v_pk_add_f32 v[48:49], v[32:33], v[44:45]
	s_nop 0
	v_min3_f32 v56, v48, v49, v123
	v_pk_add_f32 v[48:49], v[2:3], v[50:51]
	s_nop 0
	v_min_f32_e32 v50, v48, v49
	v_pk_add_f32 v[48:49], v[34:35], v[46:47]
	v_min3_f32 v50, v54, v50, v55
	v_min3_f32 v56, v48, v49, v56
	v_lshl_add_u64 v[48:49], v[76:77], 2, v[52:53]
	global_store_dword v[48:49], v50, off
	v_add_u32_e32 v50, 32, v141
	v_mad_i64_i32 v[48:49], s[2:3], v50, s5, 0
	v_lshl_add_u64 v[48:49], v[48:49], 2, s[0:1]
	v_mad_i64_i32 v[50:51], s[2:3], v50, s4, 0
	v_max_f32_e32 v52, v56, v56
	s_cbranch_vccz .LBB5_126
; %bb.124:
	v_min_f32_e32 v53, 0, v52
	v_lshl_add_u64 v[54:55], v[68:69], 2, v[48:49]
	s_mov_b32 s10, 0
	global_store_dword v[54:55], v53, off
	v_lshl_add_u64 v[50:51], v[50:51], 2, s[8:9]
	s_cbranch_execz .LBB5_127
; %bb.125:
	v_mov_b32_e32 v52, s10
	s_branch .LBB5_128
.LBB5_126:
                                        ; implicit-def: $sgpr10
	v_lshl_add_u64 v[50:51], v[50:51], 2, s[8:9]
.LBB5_127:
	v_lshl_add_u64 v[54:55], v[50:51], 0, v[72:73]
	flat_load_dword v53, v[54:55]
	v_lshl_add_u64 v[54:55], v[48:49], 0, v[72:73]
	s_waitcnt vmcnt(0) lgkmcnt(0)
	v_mul_f32_e32 v53, s24, v53
	v_min_f32_e32 v52, v53, v52
	global_store_dword v[54:55], v52, off
	v_lshl_add_u64 v[52:53], v[64:65], 2, v[50:51]
	flat_load_dword v52, v[52:53]
	s_waitcnt vmcnt(0) lgkmcnt(0)
	v_mul_f32_e32 v52, s24, v52
.LBB5_128:
	v_pk_add_f32 v[54:55], v[28:29], v[44:45]
	s_mov_b64 vcc, s[6:7]
	v_min3_f32 v53, v54, v55, v122
	v_pk_add_f32 v[54:55], v[24:25], v[44:45]
	s_nop 0
	v_min3_f32 v56, v54, v55, v121
	v_pk_add_f32 v[54:55], v[30:31], v[46:47]
	s_nop 0
	v_min_f32_e32 v57, v54, v55
	v_pk_add_f32 v[54:55], v[26:27], v[46:47]
	s_nop 0
	v_min3_f32 v54, v54, v55, v56
	v_min3_f32 v55, v52, v57, v53
	v_lshl_add_u64 v[52:53], v[64:65], 2, v[48:49]
	global_store_dword v[52:53], v55, off
	v_max_f32_e32 v52, v54, v54
	s_cbranch_vccz .LBB5_131
; %bb.129:
	v_min_f32_e32 v53, 0, v52
	v_lshl_add_u64 v[54:55], v[74:75], 2, v[48:49]
	s_mov_b32 s10, 0
	global_store_dword v[54:55], v53, off
	s_cbranch_execz .LBB5_132
; %bb.130:
	v_mov_b32_e32 v52, s10
	s_branch .LBB5_133
.LBB5_131:
                                        ; implicit-def: $sgpr10
.LBB5_132:
	v_lshl_add_u64 v[54:55], v[50:51], 0, v[78:79]
	flat_load_dword v53, v[54:55]
	v_lshl_add_u64 v[54:55], v[48:49], 0, v[78:79]
	s_waitcnt vmcnt(0) lgkmcnt(0)
	v_mul_f32_e32 v53, s24, v53
	v_min_f32_e32 v52, v53, v52
	global_store_dword v[54:55], v52, off
	v_lshl_add_u64 v[52:53], v[66:67], 2, v[50:51]
	flat_load_dword v52, v[52:53]
	s_waitcnt vmcnt(0) lgkmcnt(0)
	v_mul_f32_e32 v52, s24, v52
.LBB5_133:
	v_pk_add_f32 v[54:55], v[20:21], v[44:45]
	s_mov_b64 vcc, s[6:7]
	v_min3_f32 v53, v54, v55, v120
	v_pk_add_f32 v[54:55], v[16:17], v[44:45]
	s_nop 0
	v_min3_f32 v56, v54, v55, v119
	v_pk_add_f32 v[54:55], v[22:23], v[46:47]
	s_nop 0
	v_min_f32_e32 v57, v54, v55
	v_pk_add_f32 v[54:55], v[18:19], v[46:47]
	s_nop 0
	v_min3_f32 v54, v54, v55, v56
	v_min3_f32 v55, v52, v57, v53
	v_lshl_add_u64 v[52:53], v[66:67], 2, v[48:49]
	global_store_dword v[52:53], v55, off
	v_max_f32_e32 v52, v54, v54
	s_cbranch_vccz .LBB5_136
; %bb.134:
	v_min_f32_e32 v53, 0, v52
	v_lshl_add_u64 v[54:55], v[80:81], 2, v[48:49]
	s_mov_b32 s10, 0
	global_store_dword v[54:55], v53, off
	s_cbranch_execz .LBB5_137
; %bb.135:
	v_mov_b32_e32 v52, s10
	s_branch .LBB5_138
.LBB5_136:
                                        ; implicit-def: $sgpr10
.LBB5_137:
	v_lshl_add_u64 v[54:55], v[50:51], 0, v[82:83]
	flat_load_dword v53, v[54:55]
	v_lshl_add_u64 v[54:55], v[48:49], 0, v[82:83]
	s_waitcnt vmcnt(0) lgkmcnt(0)
	v_mul_f32_e32 v53, s24, v53
	v_min_f32_e32 v52, v53, v52
	global_store_dword v[54:55], v52, off
	v_lshl_add_u64 v[52:53], v[70:71], 2, v[50:51]
	flat_load_dword v52, v[52:53]
	s_waitcnt vmcnt(0) lgkmcnt(0)
	v_mul_f32_e32 v52, s24, v52
.LBB5_138:
	v_pk_add_f32 v[54:55], v[12:13], v[44:45]
	s_mov_b64 vcc, s[6:7]
	v_min3_f32 v53, v54, v55, v118
	v_pk_add_f32 v[54:55], v[8:9], v[44:45]
	s_nop 0
	v_min3_f32 v56, v54, v55, v117
	v_pk_add_f32 v[54:55], v[14:15], v[46:47]
	s_nop 0
	v_min_f32_e32 v57, v54, v55
	v_pk_add_f32 v[54:55], v[10:11], v[46:47]
	s_nop 0
	v_min3_f32 v54, v54, v55, v56
	v_min3_f32 v55, v52, v57, v53
	v_lshl_add_u64 v[52:53], v[70:71], 2, v[48:49]
	global_store_dword v[52:53], v55, off
	v_max_f32_e32 v52, v54, v54
	s_cbranch_vccz .LBB5_141
; %bb.139:
	v_min_f32_e32 v53, 0, v52
	v_lshl_add_u64 v[54:55], v[84:85], 2, v[48:49]
	s_mov_b32 s10, 0
	global_store_dword v[54:55], v53, off
	s_cbranch_execz .LBB5_142
; %bb.140:
	v_mov_b32_e32 v50, s10
	s_branch .LBB5_143
.LBB5_141:
                                        ; implicit-def: $sgpr10
.LBB5_142:
	v_lshl_add_u64 v[54:55], v[50:51], 0, v[86:87]
	flat_load_dword v53, v[54:55]
	v_lshl_add_u64 v[54:55], v[48:49], 0, v[86:87]
	v_lshl_add_u64 v[50:51], v[76:77], 2, v[50:51]
	s_waitcnt vmcnt(0) lgkmcnt(0)
	v_mul_f32_e32 v53, s24, v53
	v_min_f32_e32 v52, v53, v52
	global_store_dword v[54:55], v52, off
	flat_load_dword v50, v[50:51]
	s_waitcnt vmcnt(0) lgkmcnt(0)
	v_mul_f32_e32 v50, s24, v50
.LBB5_143:
	v_pk_add_f32 v[44:45], v[0:1], v[44:45]
	s_mov_b64 vcc, s[6:7]
	v_min3_f32 v51, v44, v45, v115
	s_waitcnt lgkmcnt(2)
	v_pk_add_f32 v[44:45], v[32:33], v[40:41]
	s_nop 0
	v_min3_f32 v52, v44, v45, v116
	v_pk_add_f32 v[44:45], v[2:3], v[46:47]
	s_nop 0
	v_min_f32_e32 v46, v44, v45
	v_pk_add_f32 v[44:45], v[34:35], v[42:43]
	v_min3_f32 v46, v50, v46, v51
	v_min3_f32 v52, v44, v45, v52
	v_lshl_add_u64 v[44:45], v[76:77], 2, v[48:49]
	global_store_dword v[44:45], v46, off
	v_add_u32_e32 v46, 40, v141
	v_mad_i64_i32 v[44:45], s[2:3], v46, s5, 0
	v_lshl_add_u64 v[44:45], v[44:45], 2, s[0:1]
	v_mad_i64_i32 v[46:47], s[2:3], v46, s4, 0
	v_max_f32_e32 v48, v52, v52
	s_cbranch_vccz .LBB5_146
; %bb.144:
	v_min_f32_e32 v49, 0, v48
	v_lshl_add_u64 v[50:51], v[68:69], 2, v[44:45]
	s_mov_b32 s10, 0
	global_store_dword v[50:51], v49, off
	v_lshl_add_u64 v[46:47], v[46:47], 2, s[8:9]
	s_cbranch_execz .LBB5_147
; %bb.145:
	v_mov_b32_e32 v48, s10
	s_branch .LBB5_148
.LBB5_146:
                                        ; implicit-def: $sgpr10
	v_lshl_add_u64 v[46:47], v[46:47], 2, s[8:9]
.LBB5_147:
	v_lshl_add_u64 v[50:51], v[46:47], 0, v[72:73]
	flat_load_dword v49, v[50:51]
	v_lshl_add_u64 v[50:51], v[44:45], 0, v[72:73]
	s_waitcnt vmcnt(0) lgkmcnt(0)
	v_mul_f32_e32 v49, s24, v49
	v_min_f32_e32 v48, v49, v48
	global_store_dword v[50:51], v48, off
	v_lshl_add_u64 v[48:49], v[64:65], 2, v[46:47]
	flat_load_dword v48, v[48:49]
	s_waitcnt vmcnt(0) lgkmcnt(0)
	v_mul_f32_e32 v48, s24, v48
.LBB5_148:
	v_pk_add_f32 v[50:51], v[28:29], v[40:41]
	s_mov_b64 vcc, s[6:7]
	v_min3_f32 v49, v50, v51, v113
	v_pk_add_f32 v[50:51], v[24:25], v[40:41]
	s_nop 0
	v_min3_f32 v52, v50, v51, v114
	v_pk_add_f32 v[50:51], v[30:31], v[42:43]
	s_nop 0
	v_min_f32_e32 v53, v50, v51
	v_pk_add_f32 v[50:51], v[26:27], v[42:43]
	s_nop 0
	v_min3_f32 v50, v50, v51, v52
	v_min3_f32 v51, v48, v53, v49
	v_lshl_add_u64 v[48:49], v[64:65], 2, v[44:45]
	global_store_dword v[48:49], v51, off
	v_max_f32_e32 v48, v50, v50
	s_cbranch_vccz .LBB5_151
; %bb.149:
	v_min_f32_e32 v49, 0, v48
	v_lshl_add_u64 v[50:51], v[74:75], 2, v[44:45]
	s_mov_b32 s10, 0
	global_store_dword v[50:51], v49, off
	s_cbranch_execz .LBB5_152
; %bb.150:
	v_mov_b32_e32 v48, s10
	s_branch .LBB5_153
.LBB5_151:
                                        ; implicit-def: $sgpr10
.LBB5_152:
	v_lshl_add_u64 v[50:51], v[46:47], 0, v[78:79]
	flat_load_dword v49, v[50:51]
	v_lshl_add_u64 v[50:51], v[44:45], 0, v[78:79]
	s_waitcnt vmcnt(0) lgkmcnt(0)
	v_mul_f32_e32 v49, s24, v49
	v_min_f32_e32 v48, v49, v48
	global_store_dword v[50:51], v48, off
	v_lshl_add_u64 v[48:49], v[66:67], 2, v[46:47]
	flat_load_dword v48, v[48:49]
	s_waitcnt vmcnt(0) lgkmcnt(0)
	v_mul_f32_e32 v48, s24, v48
.LBB5_153:
	v_pk_add_f32 v[50:51], v[20:21], v[40:41]
	s_mov_b64 vcc, s[6:7]
	v_min3_f32 v49, v50, v51, v111
	v_pk_add_f32 v[50:51], v[16:17], v[40:41]
	s_nop 0
	v_min3_f32 v52, v50, v51, v112
	v_pk_add_f32 v[50:51], v[22:23], v[42:43]
	s_nop 0
	v_min_f32_e32 v53, v50, v51
	v_pk_add_f32 v[50:51], v[18:19], v[42:43]
	s_nop 0
	v_min3_f32 v50, v50, v51, v52
	v_min3_f32 v51, v48, v53, v49
	v_lshl_add_u64 v[48:49], v[66:67], 2, v[44:45]
	global_store_dword v[48:49], v51, off
	v_max_f32_e32 v48, v50, v50
	s_cbranch_vccz .LBB5_156
; %bb.154:
	v_min_f32_e32 v49, 0, v48
	v_lshl_add_u64 v[50:51], v[80:81], 2, v[44:45]
	s_mov_b32 s10, 0
	global_store_dword v[50:51], v49, off
	s_cbranch_execz .LBB5_157
; %bb.155:
	v_mov_b32_e32 v48, s10
	s_branch .LBB5_158
.LBB5_156:
                                        ; implicit-def: $sgpr10
.LBB5_157:
	v_lshl_add_u64 v[50:51], v[46:47], 0, v[82:83]
	flat_load_dword v49, v[50:51]
	v_lshl_add_u64 v[50:51], v[44:45], 0, v[82:83]
	s_waitcnt vmcnt(0) lgkmcnt(0)
	v_mul_f32_e32 v49, s24, v49
	v_min_f32_e32 v48, v49, v48
	global_store_dword v[50:51], v48, off
	v_lshl_add_u64 v[48:49], v[70:71], 2, v[46:47]
	flat_load_dword v48, v[48:49]
	s_waitcnt vmcnt(0) lgkmcnt(0)
	v_mul_f32_e32 v48, s24, v48
.LBB5_158:
	v_pk_add_f32 v[50:51], v[12:13], v[40:41]
	s_mov_b64 vcc, s[6:7]
	v_min3_f32 v49, v50, v51, v109
	v_pk_add_f32 v[50:51], v[8:9], v[40:41]
	s_nop 0
	v_min3_f32 v52, v50, v51, v110
	v_pk_add_f32 v[50:51], v[14:15], v[42:43]
	s_nop 0
	v_min_f32_e32 v53, v50, v51
	v_pk_add_f32 v[50:51], v[10:11], v[42:43]
	s_nop 0
	v_min3_f32 v50, v50, v51, v52
	v_min3_f32 v51, v48, v53, v49
	v_lshl_add_u64 v[48:49], v[70:71], 2, v[44:45]
	global_store_dword v[48:49], v51, off
	v_max_f32_e32 v48, v50, v50
	s_cbranch_vccz .LBB5_161
; %bb.159:
	v_min_f32_e32 v49, 0, v48
	v_lshl_add_u64 v[50:51], v[84:85], 2, v[44:45]
	s_mov_b32 s10, 0
	global_store_dword v[50:51], v49, off
	s_cbranch_execz .LBB5_162
; %bb.160:
	v_mov_b32_e32 v46, s10
	s_branch .LBB5_163
.LBB5_161:
                                        ; implicit-def: $sgpr10
.LBB5_162:
	v_lshl_add_u64 v[50:51], v[46:47], 0, v[86:87]
	flat_load_dword v49, v[50:51]
	v_lshl_add_u64 v[50:51], v[44:45], 0, v[86:87]
	v_lshl_add_u64 v[46:47], v[76:77], 2, v[46:47]
	s_waitcnt vmcnt(0) lgkmcnt(0)
	v_mul_f32_e32 v49, s24, v49
	v_min_f32_e32 v48, v49, v48
	global_store_dword v[50:51], v48, off
	flat_load_dword v46, v[46:47]
	s_waitcnt vmcnt(0) lgkmcnt(0)
	v_mul_f32_e32 v46, s24, v46
.LBB5_163:
	v_pk_add_f32 v[40:41], v[0:1], v[40:41]
	s_mov_b64 vcc, s[6:7]
	v_min3_f32 v47, v40, v41, v107
	s_waitcnt lgkmcnt(1)
	v_pk_add_f32 v[40:41], v[32:33], v[36:37]
	s_nop 0
	v_min3_f32 v48, v40, v41, v108
	v_pk_add_f32 v[40:41], v[2:3], v[42:43]
	s_nop 0
	v_min_f32_e32 v42, v40, v41
	v_pk_add_f32 v[40:41], v[34:35], v[38:39]
	v_min3_f32 v42, v46, v42, v47
	v_min3_f32 v48, v40, v41, v48
	v_lshl_add_u64 v[40:41], v[76:77], 2, v[44:45]
	global_store_dword v[40:41], v42, off
	v_add_u32_e32 v42, 48, v141
	v_mad_i64_i32 v[40:41], s[2:3], v42, s5, 0
	v_lshl_add_u64 v[40:41], v[40:41], 2, s[0:1]
	v_mad_i64_i32 v[42:43], s[2:3], v42, s4, 0
	v_max_f32_e32 v44, v48, v48
	s_cbranch_vccz .LBB5_166
; %bb.164:
	v_min_f32_e32 v45, 0, v44
	v_lshl_add_u64 v[46:47], v[68:69], 2, v[40:41]
	s_mov_b32 s10, 0
	global_store_dword v[46:47], v45, off
	v_lshl_add_u64 v[42:43], v[42:43], 2, s[8:9]
	s_cbranch_execz .LBB5_167
; %bb.165:
	v_mov_b32_e32 v44, s10
	s_branch .LBB5_168
.LBB5_166:
                                        ; implicit-def: $sgpr10
	v_lshl_add_u64 v[42:43], v[42:43], 2, s[8:9]
.LBB5_167:
	v_lshl_add_u64 v[46:47], v[42:43], 0, v[72:73]
	flat_load_dword v45, v[46:47]
	v_lshl_add_u64 v[46:47], v[40:41], 0, v[72:73]
	s_waitcnt vmcnt(0) lgkmcnt(0)
	v_mul_f32_e32 v45, s24, v45
	v_min_f32_e32 v44, v45, v44
	global_store_dword v[46:47], v44, off
	v_lshl_add_u64 v[44:45], v[64:65], 2, v[42:43]
	flat_load_dword v44, v[44:45]
	s_waitcnt vmcnt(0) lgkmcnt(0)
	v_mul_f32_e32 v44, s24, v44
.LBB5_168:
	v_pk_add_f32 v[46:47], v[28:29], v[36:37]
	s_mov_b64 vcc, s[6:7]
	v_min3_f32 v45, v46, v47, v105
	v_pk_add_f32 v[46:47], v[24:25], v[36:37]
	s_nop 0
	v_min3_f32 v48, v46, v47, v106
	v_pk_add_f32 v[46:47], v[30:31], v[38:39]
	s_nop 0
	v_min_f32_e32 v49, v46, v47
	v_pk_add_f32 v[46:47], v[26:27], v[38:39]
	s_nop 0
	v_min3_f32 v46, v46, v47, v48
	v_min3_f32 v47, v44, v49, v45
	v_lshl_add_u64 v[44:45], v[64:65], 2, v[40:41]
	global_store_dword v[44:45], v47, off
	v_max_f32_e32 v44, v46, v46
	s_cbranch_vccz .LBB5_171
; %bb.169:
	v_min_f32_e32 v45, 0, v44
	v_lshl_add_u64 v[46:47], v[74:75], 2, v[40:41]
	s_mov_b32 s10, 0
	global_store_dword v[46:47], v45, off
	s_cbranch_execz .LBB5_172
; %bb.170:
	v_mov_b32_e32 v44, s10
	s_branch .LBB5_173
.LBB5_171:
                                        ; implicit-def: $sgpr10
.LBB5_172:
	v_lshl_add_u64 v[46:47], v[42:43], 0, v[78:79]
	flat_load_dword v45, v[46:47]
	v_lshl_add_u64 v[46:47], v[40:41], 0, v[78:79]
	s_waitcnt vmcnt(0) lgkmcnt(0)
	v_mul_f32_e32 v45, s24, v45
	v_min_f32_e32 v44, v45, v44
	global_store_dword v[46:47], v44, off
	v_lshl_add_u64 v[44:45], v[66:67], 2, v[42:43]
	flat_load_dword v44, v[44:45]
	s_waitcnt vmcnt(0) lgkmcnt(0)
	v_mul_f32_e32 v44, s24, v44
.LBB5_173:
	v_pk_add_f32 v[46:47], v[20:21], v[36:37]
	s_mov_b64 vcc, s[6:7]
	v_min3_f32 v45, v46, v47, v103
	v_pk_add_f32 v[46:47], v[16:17], v[36:37]
	s_nop 0
	v_min3_f32 v48, v46, v47, v104
	v_pk_add_f32 v[46:47], v[22:23], v[38:39]
	s_nop 0
	v_min_f32_e32 v49, v46, v47
	v_pk_add_f32 v[46:47], v[18:19], v[38:39]
	s_nop 0
	v_min3_f32 v46, v46, v47, v48
	v_min3_f32 v47, v44, v49, v45
	v_lshl_add_u64 v[44:45], v[66:67], 2, v[40:41]
	global_store_dword v[44:45], v47, off
	v_max_f32_e32 v44, v46, v46
	s_cbranch_vccz .LBB5_176
; %bb.174:
	v_min_f32_e32 v45, 0, v44
	v_lshl_add_u64 v[46:47], v[80:81], 2, v[40:41]
	s_mov_b32 s10, 0
	global_store_dword v[46:47], v45, off
	s_cbranch_execz .LBB5_177
; %bb.175:
	v_mov_b32_e32 v44, s10
	s_branch .LBB5_178
.LBB5_176:
                                        ; implicit-def: $sgpr10
.LBB5_177:
	v_lshl_add_u64 v[46:47], v[42:43], 0, v[82:83]
	flat_load_dword v45, v[46:47]
	v_lshl_add_u64 v[46:47], v[40:41], 0, v[82:83]
	s_waitcnt vmcnt(0) lgkmcnt(0)
	v_mul_f32_e32 v45, s24, v45
	v_min_f32_e32 v44, v45, v44
	global_store_dword v[46:47], v44, off
	v_lshl_add_u64 v[44:45], v[70:71], 2, v[42:43]
	flat_load_dword v44, v[44:45]
	s_waitcnt vmcnt(0) lgkmcnt(0)
	v_mul_f32_e32 v44, s24, v44
.LBB5_178:
	v_pk_add_f32 v[46:47], v[12:13], v[36:37]
	s_mov_b64 vcc, s[6:7]
	v_min3_f32 v45, v46, v47, v101
	v_pk_add_f32 v[46:47], v[8:9], v[36:37]
	s_nop 0
	v_min3_f32 v48, v46, v47, v102
	v_pk_add_f32 v[46:47], v[14:15], v[38:39]
	s_nop 0
	v_min_f32_e32 v49, v46, v47
	v_pk_add_f32 v[46:47], v[10:11], v[38:39]
	s_nop 0
	v_min3_f32 v46, v46, v47, v48
	v_min3_f32 v47, v44, v49, v45
	v_lshl_add_u64 v[44:45], v[70:71], 2, v[40:41]
	global_store_dword v[44:45], v47, off
	v_max_f32_e32 v44, v46, v46
	s_cbranch_vccz .LBB5_181
; %bb.179:
	v_min_f32_e32 v45, 0, v44
	v_lshl_add_u64 v[46:47], v[84:85], 2, v[40:41]
	s_mov_b32 s10, 0
	global_store_dword v[46:47], v45, off
	s_cbranch_execz .LBB5_182
; %bb.180:
	v_mov_b32_e32 v42, s10
	s_branch .LBB5_183
.LBB5_181:
                                        ; implicit-def: $sgpr10
.LBB5_182:
	v_lshl_add_u64 v[46:47], v[42:43], 0, v[86:87]
	flat_load_dword v45, v[46:47]
	v_lshl_add_u64 v[46:47], v[40:41], 0, v[86:87]
	v_lshl_add_u64 v[42:43], v[76:77], 2, v[42:43]
	s_waitcnt vmcnt(0) lgkmcnt(0)
	v_mul_f32_e32 v45, s24, v45
	v_min_f32_e32 v44, v45, v44
	global_store_dword v[46:47], v44, off
	flat_load_dword v42, v[42:43]
	s_waitcnt vmcnt(0) lgkmcnt(0)
	v_mul_f32_e32 v42, s24, v42
.LBB5_183:
	v_pk_add_f32 v[36:37], v[0:1], v[36:37]
	s_waitcnt lgkmcnt(0)
	v_pk_add_f32 v[32:33], v[32:33], v[4:5]
	v_min3_f32 v36, v36, v37, v99
	v_min3_f32 v37, v32, v33, v100
	v_pk_add_f32 v[32:33], v[2:3], v[38:39]
	s_mov_b64 vcc, s[6:7]
	v_min_f32_e32 v38, v32, v33
	v_pk_add_f32 v[32:33], v[34:35], v[6:7]
	v_min3_f32 v34, v42, v38, v36
	v_min3_f32 v37, v32, v33, v37
	v_lshl_add_u64 v[32:33], v[76:77], 2, v[40:41]
	global_store_dword v[32:33], v34, off
	v_add_u32_e32 v34, 56, v141
	v_mad_i64_i32 v[32:33], s[2:3], v34, s5, 0
	v_lshl_add_u64 v[32:33], v[32:33], 2, s[0:1]
	v_mad_i64_i32 v[34:35], s[0:1], v34, s4, 0
	v_max_f32_e32 v36, v37, v37
	s_cbranch_vccz .LBB5_186
; %bb.184:
	v_min_f32_e32 v37, 0, v36
	v_lshl_add_u64 v[38:39], v[68:69], 2, v[32:33]
	s_mov_b32 s2, 0
	global_store_dword v[38:39], v37, off
	v_lshl_add_u64 v[34:35], v[34:35], 2, s[8:9]
	s_cbranch_execz .LBB5_187
; %bb.185:
	v_mov_b32_e32 v36, s2
	s_branch .LBB5_188
.LBB5_186:
                                        ; implicit-def: $sgpr2
	v_lshl_add_u64 v[34:35], v[34:35], 2, s[8:9]
.LBB5_187:
	v_lshl_add_u64 v[38:39], v[34:35], 0, v[72:73]
	flat_load_dword v37, v[38:39]
	v_lshl_add_u64 v[38:39], v[32:33], 0, v[72:73]
	s_waitcnt vmcnt(0) lgkmcnt(0)
	v_mul_f32_e32 v37, s24, v37
	v_min_f32_e32 v36, v37, v36
	global_store_dword v[38:39], v36, off
	v_lshl_add_u64 v[36:37], v[64:65], 2, v[34:35]
	flat_load_dword v36, v[36:37]
	s_waitcnt vmcnt(0) lgkmcnt(0)
	v_mul_f32_e32 v36, s24, v36
.LBB5_188:
	v_pk_add_f32 v[28:29], v[28:29], v[4:5]
	v_pk_add_f32 v[24:25], v[24:25], v[4:5]
	v_min3_f32 v28, v28, v29, v97
	v_min3_f32 v29, v24, v25, v98
	v_pk_add_f32 v[24:25], v[30:31], v[6:7]
	s_mov_b64 vcc, s[6:7]
	v_min_f32_e32 v30, v24, v25
	v_pk_add_f32 v[24:25], v[26:27], v[6:7]
	v_min3_f32 v27, v36, v30, v28
	v_min3_f32 v26, v24, v25, v29
	v_lshl_add_u64 v[24:25], v[64:65], 2, v[32:33]
	global_store_dword v[24:25], v27, off
	v_max_f32_e32 v24, v26, v26
	s_cbranch_vccz .LBB5_191
; %bb.189:
	v_min_f32_e32 v25, 0, v24
	v_lshl_add_u64 v[26:27], v[74:75], 2, v[32:33]
	s_mov_b32 s2, 0
	global_store_dword v[26:27], v25, off
	s_cbranch_execz .LBB5_192
; %bb.190:
	v_mov_b32_e32 v24, s2
	s_branch .LBB5_193
.LBB5_191:
                                        ; implicit-def: $sgpr2
.LBB5_192:
	v_lshl_add_u64 v[26:27], v[34:35], 0, v[78:79]
	flat_load_dword v25, v[26:27]
	v_lshl_add_u64 v[26:27], v[32:33], 0, v[78:79]
	s_waitcnt vmcnt(0) lgkmcnt(0)
	v_mul_f32_e32 v25, s24, v25
	v_min_f32_e32 v24, v25, v24
	global_store_dword v[26:27], v24, off
	v_lshl_add_u64 v[24:25], v[66:67], 2, v[34:35]
	flat_load_dword v24, v[24:25]
	s_waitcnt vmcnt(0) lgkmcnt(0)
	v_mul_f32_e32 v24, s24, v24
.LBB5_193:
	v_pk_add_f32 v[20:21], v[20:21], v[4:5]
	v_pk_add_f32 v[16:17], v[16:17], v[4:5]
	v_min3_f32 v20, v20, v21, v94
	v_min3_f32 v21, v16, v17, v95
	v_pk_add_f32 v[16:17], v[22:23], v[6:7]
	s_mov_b64 vcc, s[6:7]
	v_min_f32_e32 v22, v16, v17
	v_pk_add_f32 v[16:17], v[18:19], v[6:7]
	v_min3_f32 v19, v24, v22, v20
	v_min3_f32 v18, v16, v17, v21
	v_lshl_add_u64 v[16:17], v[66:67], 2, v[32:33]
	global_store_dword v[16:17], v19, off
	v_max_f32_e32 v16, v18, v18
	s_cbranch_vccz .LBB5_196
; %bb.194:
	v_min_f32_e32 v17, 0, v16
	v_lshl_add_u64 v[18:19], v[80:81], 2, v[32:33]
	s_mov_b32 s2, 0
	global_store_dword v[18:19], v17, off
	s_cbranch_execz .LBB5_197
; %bb.195:
	v_mov_b32_e32 v16, s2
	s_branch .LBB5_198
.LBB5_196:
                                        ; implicit-def: $sgpr2
.LBB5_197:
	v_lshl_add_u64 v[18:19], v[34:35], 0, v[82:83]
	flat_load_dword v17, v[18:19]
	v_lshl_add_u64 v[18:19], v[32:33], 0, v[82:83]
	s_waitcnt vmcnt(0) lgkmcnt(0)
	v_mul_f32_e32 v17, s24, v17
	v_min_f32_e32 v16, v17, v16
	global_store_dword v[18:19], v16, off
	v_lshl_add_u64 v[16:17], v[70:71], 2, v[34:35]
	flat_load_dword v16, v[16:17]
	s_waitcnt vmcnt(0) lgkmcnt(0)
	v_mul_f32_e32 v16, s24, v16
.LBB5_198:
	;; [unrolled: 38-line block ×3, first 2 shown]
	v_pk_add_f32 v[2:3], v[2:3], v[6:7]
	v_pk_add_f32 v[0:1], v[0:1], v[4:5]
	v_min_f32_e32 v2, v2, v3
	v_min3_f32 v0, v0, v1, v96
	v_min3_f32 v2, v8, v2, v0
	v_lshl_add_u64 v[0:1], v[76:77], 2, v[32:33]
	global_store_dword v[0:1], v2, off
	s_endpgm
	.section	.rodata,"a",@progbits
	.p2align	6, 0x0
	.amdhsa_kernel _ZN12_GLOBAL__N_120geam_min_plus_kernelIf15HIP_vector_typeIfLj2EEfLi32ELi8ELi256ELi64ELi4ELi64ELi4ELi4ELi64ELc78ELc78ELb0ELb0ELb1EfKPKfKPfEEviiiT16_PT17_ilSA_ilS8_SA_ilPT18_ili26rocblas_geam_ex_operation_
		.amdhsa_group_segment_fixed_size 10240
		.amdhsa_private_segment_fixed_size 0
		.amdhsa_kernarg_size 128
		.amdhsa_user_sgpr_count 2
		.amdhsa_user_sgpr_dispatch_ptr 0
		.amdhsa_user_sgpr_queue_ptr 0
		.amdhsa_user_sgpr_kernarg_segment_ptr 1
		.amdhsa_user_sgpr_dispatch_id 0
		.amdhsa_user_sgpr_kernarg_preload_length 0
		.amdhsa_user_sgpr_kernarg_preload_offset 0
		.amdhsa_user_sgpr_private_segment_size 0
		.amdhsa_uses_dynamic_stack 0
		.amdhsa_enable_private_segment 0
		.amdhsa_system_sgpr_workgroup_id_x 1
		.amdhsa_system_sgpr_workgroup_id_y 0
		.amdhsa_system_sgpr_workgroup_id_z 1
		.amdhsa_system_sgpr_workgroup_info 0
		.amdhsa_system_vgpr_workitem_id 1
		.amdhsa_next_free_vgpr 172
		.amdhsa_next_free_sgpr 28
		.amdhsa_accum_offset 172
		.amdhsa_reserve_vcc 1
		.amdhsa_float_round_mode_32 0
		.amdhsa_float_round_mode_16_64 0
		.amdhsa_float_denorm_mode_32 3
		.amdhsa_float_denorm_mode_16_64 3
		.amdhsa_dx10_clamp 1
		.amdhsa_ieee_mode 1
		.amdhsa_fp16_overflow 0
		.amdhsa_tg_split 0
		.amdhsa_exception_fp_ieee_invalid_op 0
		.amdhsa_exception_fp_denorm_src 0
		.amdhsa_exception_fp_ieee_div_zero 0
		.amdhsa_exception_fp_ieee_overflow 0
		.amdhsa_exception_fp_ieee_underflow 0
		.amdhsa_exception_fp_ieee_inexact 0
		.amdhsa_exception_int_div_zero 0
	.end_amdhsa_kernel
	.section	.text._ZN12_GLOBAL__N_120geam_min_plus_kernelIf15HIP_vector_typeIfLj2EEfLi32ELi8ELi256ELi64ELi4ELi64ELi4ELi4ELi64ELc78ELc78ELb0ELb0ELb1EfKPKfKPfEEviiiT16_PT17_ilSA_ilS8_SA_ilPT18_ili26rocblas_geam_ex_operation_,"axG",@progbits,_ZN12_GLOBAL__N_120geam_min_plus_kernelIf15HIP_vector_typeIfLj2EEfLi32ELi8ELi256ELi64ELi4ELi64ELi4ELi4ELi64ELc78ELc78ELb0ELb0ELb1EfKPKfKPfEEviiiT16_PT17_ilSA_ilS8_SA_ilPT18_ili26rocblas_geam_ex_operation_,comdat
.Lfunc_end5:
	.size	_ZN12_GLOBAL__N_120geam_min_plus_kernelIf15HIP_vector_typeIfLj2EEfLi32ELi8ELi256ELi64ELi4ELi64ELi4ELi4ELi64ELc78ELc78ELb0ELb0ELb1EfKPKfKPfEEviiiT16_PT17_ilSA_ilS8_SA_ilPT18_ili26rocblas_geam_ex_operation_, .Lfunc_end5-_ZN12_GLOBAL__N_120geam_min_plus_kernelIf15HIP_vector_typeIfLj2EEfLi32ELi8ELi256ELi64ELi4ELi64ELi4ELi4ELi64ELc78ELc78ELb0ELb0ELb1EfKPKfKPfEEviiiT16_PT17_ilSA_ilS8_SA_ilPT18_ili26rocblas_geam_ex_operation_
                                        ; -- End function
	.section	.AMDGPU.csdata,"",@progbits
; Kernel info:
; codeLenInByte = 16588
; NumSgprs: 34
; NumVgprs: 172
; NumAgprs: 0
; TotalNumVgprs: 172
; ScratchSize: 0
; MemoryBound: 0
; FloatMode: 240
; IeeeMode: 1
; LDSByteSize: 10240 bytes/workgroup (compile time only)
; SGPRBlocks: 4
; VGPRBlocks: 21
; NumSGPRsForWavesPerEU: 34
; NumVGPRsForWavesPerEU: 172
; AccumOffset: 172
; Occupancy: 2
; WaveLimiterHint : 1
; COMPUTE_PGM_RSRC2:SCRATCH_EN: 0
; COMPUTE_PGM_RSRC2:USER_SGPR: 2
; COMPUTE_PGM_RSRC2:TRAP_HANDLER: 0
; COMPUTE_PGM_RSRC2:TGID_X_EN: 1
; COMPUTE_PGM_RSRC2:TGID_Y_EN: 0
; COMPUTE_PGM_RSRC2:TGID_Z_EN: 1
; COMPUTE_PGM_RSRC2:TIDIG_COMP_CNT: 1
; COMPUTE_PGM_RSRC3_GFX90A:ACCUM_OFFSET: 42
; COMPUTE_PGM_RSRC3_GFX90A:TG_SPLIT: 0
	.section	.text._ZN12_GLOBAL__N_120geam_min_plus_kernelIf15HIP_vector_typeIfLj2EEfLi32ELi8ELi256ELi64ELi4ELi64ELi4ELi4ELi64ELc78ELc78ELb0ELb1ELb1EPKfKS4_KPfEEviiiT16_PT17_ilSA_ilS8_SA_ilPT18_ili26rocblas_geam_ex_operation_,"axG",@progbits,_ZN12_GLOBAL__N_120geam_min_plus_kernelIf15HIP_vector_typeIfLj2EEfLi32ELi8ELi256ELi64ELi4ELi64ELi4ELi4ELi64ELc78ELc78ELb0ELb1ELb1EPKfKS4_KPfEEviiiT16_PT17_ilSA_ilS8_SA_ilPT18_ili26rocblas_geam_ex_operation_,comdat
	.globl	_ZN12_GLOBAL__N_120geam_min_plus_kernelIf15HIP_vector_typeIfLj2EEfLi32ELi8ELi256ELi64ELi4ELi64ELi4ELi4ELi64ELc78ELc78ELb0ELb1ELb1EPKfKS4_KPfEEviiiT16_PT17_ilSA_ilS8_SA_ilPT18_ili26rocblas_geam_ex_operation_ ; -- Begin function _ZN12_GLOBAL__N_120geam_min_plus_kernelIf15HIP_vector_typeIfLj2EEfLi32ELi8ELi256ELi64ELi4ELi64ELi4ELi4ELi64ELc78ELc78ELb0ELb1ELb1EPKfKS4_KPfEEviiiT16_PT17_ilSA_ilS8_SA_ilPT18_ili26rocblas_geam_ex_operation_
	.p2align	8
	.type	_ZN12_GLOBAL__N_120geam_min_plus_kernelIf15HIP_vector_typeIfLj2EEfLi32ELi8ELi256ELi64ELi4ELi64ELi4ELi4ELi64ELc78ELc78ELb0ELb1ELb1EPKfKS4_KPfEEviiiT16_PT17_ilSA_ilS8_SA_ilPT18_ili26rocblas_geam_ex_operation_,@function
_ZN12_GLOBAL__N_120geam_min_plus_kernelIf15HIP_vector_typeIfLj2EEfLi32ELi8ELi256ELi64ELi4ELi64ELi4ELi4ELi64ELc78ELc78ELb0ELb1ELb1EPKfKS4_KPfEEviiiT16_PT17_ilSA_ilS8_SA_ilPT18_ili26rocblas_geam_ex_operation_: ; @_ZN12_GLOBAL__N_120geam_min_plus_kernelIf15HIP_vector_typeIfLj2EEfLi32ELi8ELi256ELi64ELi4ELi64ELi4ELi4ELi64ELc78ELc78ELb0ELb1ELb1EPKfKS4_KPfEEviiiT16_PT17_ilSA_ilS8_SA_ilPT18_ili26rocblas_geam_ex_operation_
; %bb.0:
	s_load_dwordx4 s[12:15], s[0:1], 0x10
	s_load_dwordx4 s[4:7], s[0:1], 0x28
	s_mov_b32 s16, s3
	s_mov_b32 s17, 0
	s_lshl_b64 s[18:19], s[16:17], 2
	s_waitcnt lgkmcnt(0)
	s_add_u32 s20, s12, s18
	s_load_dwordx4 s[8:11], s[0:1], 0x40
	s_addc_u32 s21, s13, s19
	s_load_dword s33, s[20:21], 0x0
	s_load_dwordx2 s[12:13], s[0:1], 0x50
	s_mov_b64 s[28:29], 0
	s_waitcnt lgkmcnt(0)
	s_add_u32 s10, s10, s18
	s_addc_u32 s11, s11, s19
	v_cmp_eq_f32_e64 s[18:19], s33, 0
	v_cmp_neq_f32_e64 s[20:21], s33, 0
	s_and_b64 vcc, exec, s[18:19]
	s_mov_b64 s[18:19], 0
	s_cbranch_vccnz .LBB6_2
; %bb.1:
	s_lshl_b64 s[18:19], s[16:17], 3
	s_add_u32 s14, s14, s18
	s_addc_u32 s15, s15, s19
	s_load_dwordx2 s[14:15], s[14:15], 0x0
	s_lshl_b64 s[4:5], s[4:5], 2
	s_waitcnt lgkmcnt(0)
	s_add_u32 s18, s14, s4
	s_addc_u32 s19, s15, s5
.LBB6_2:
	s_load_dword s30, s[10:11], 0x0
	s_andn2_b64 vcc, exec, s[20:21]
	s_cbranch_vccnz .LBB6_4
; %bb.3:
	s_lshl_b64 s[4:5], s[16:17], 3
	s_add_u32 s4, s6, s4
	s_addc_u32 s5, s7, s5
	s_load_dwordx2 s[4:5], s[4:5], 0x0
	s_lshl_b64 s[6:7], s[8:9], 2
	s_waitcnt lgkmcnt(0)
	s_add_u32 s28, s4, s6
	s_addc_u32 s29, s5, s7
.LBB6_4:
	s_load_dwordx4 s[4:7], s[0:1], 0x60
	s_waitcnt lgkmcnt(0)
	v_cmp_eq_f32_e64 s[8:9], s30, 0
	v_cmp_neq_f32_e64 s[14:15], s30, 0
	s_and_b64 vcc, exec, s[8:9]
	s_cbranch_vccnz .LBB6_6
; %bb.5:
	s_lshl_b64 s[8:9], s[16:17], 3
	s_add_u32 s8, s12, s8
	s_addc_u32 s9, s13, s9
	s_load_dwordx2 s[8:9], s[8:9], 0x0
	s_lshl_b64 s[4:5], s[4:5], 2
	s_waitcnt lgkmcnt(0)
	s_add_u32 s24, s8, s4
	s_addc_u32 s25, s9, s5
	s_branch .LBB6_7
.LBB6_6:
	s_mov_b64 s[24:25], 0
.LBB6_7:
	s_load_dwordx4 s[20:23], s[0:1], 0x0
	s_lshl_b64 s[4:5], s[16:17], 3
	s_add_u32 s4, s6, s4
	s_addc_u32 s5, s7, s5
	v_and_b32_e32 v70, 0x3ff, v0
	s_waitcnt lgkmcnt(0)
	s_add_i32 s3, s20, -1
	s_ashr_i32 s6, s3, 31
	s_lshr_b32 s6, s6, 24
	s_add_i32 s3, s3, s6
	s_ashr_i32 s3, s3, 8
	s_add_i32 s6, s3, 1
	v_cvt_f32_u32_e32 v1, s6
	v_bfe_u32 v71, v0, 10, 10
	s_load_dwordx2 s[16:17], s[4:5], 0x0
	s_not_b32 s3, s3
	v_rcp_iflag_f32_e32 v1, v1
	s_load_dword s23, s[0:1], 0x20
	v_lshl_add_u32 v7, v71, 5, v70
	v_and_b32_e32 v2, 63, v7
	v_mul_f32_e32 v0, 0x4f7ffffe, v1
	v_cvt_u32_f32_e32 v0, v0
	v_lshrrev_b32_e32 v72, 6, v7
	v_cmp_le_i32_e64 s[8:9], s22, v72
	v_cmp_eq_f32_e64 s[26:27], s33, 0
	v_readfirstlane_b32 s4, v0
	s_mul_i32 s3, s3, s4
	s_mul_hi_u32 s3, s4, s3
	s_add_i32 s4, s4, s3
	s_mul_hi_u32 s3, s2, s4
	s_mul_i32 s4, s3, s6
	s_sub_i32 s4, s2, s4
	s_add_i32 s5, s3, 1
	s_sub_i32 s7, s4, s6
	s_cmp_ge_u32 s4, s6
	s_cselect_b32 s3, s5, s3
	s_cselect_b32 s4, s7, s4
	s_add_i32 s5, s3, 1
	s_cmp_ge_u32 s4, s6
	s_cselect_b32 s10, s5, s3
	s_mul_i32 s3, s10, s6
	s_sub_i32 s2, s2, s3
	s_lshl_b32 s31, s2, 8
	s_add_i32 s35, s22, -1
	v_or_b32_e32 v64, s31, v2
	v_min_i32_e32 v0, s35, v72
	s_waitcnt lgkmcnt(0)
	v_mad_i64_i32 v[0:1], s[2:3], s23, v0, 0
	v_cmp_le_i32_e32 vcc, s20, v64
	v_mov_b32_e32 v4, 0x7f7fffff
	s_or_b64 s[2:3], s[8:9], vcc
	v_cndmask_b32_e64 v3, 0, v4, s[2:3]
	s_or_b64 s[2:3], s[26:27], s[2:3]
	v_lshl_add_u64 v[0:1], v[0:1], 2, s[18:19]
	s_xor_b64 s[4:5], s[2:3], -1
	v_ashrrev_i32_e32 v65, 31, v64
	s_and_saveexec_b64 s[2:3], s[4:5]
	s_cbranch_execz .LBB6_9
; %bb.8:
	v_lshl_add_u64 v[8:9], v[64:65], 2, v[0:1]
	flat_load_dword v3, v[8:9]
	s_waitcnt vmcnt(0) lgkmcnt(0)
	v_mul_f32_e32 v3, s33, v3
.LBB6_9:
	s_or_b64 exec, exec, s[2:3]
	v_or_b32_e32 v5, 64, v64
	v_cmp_le_i32_e64 s[2:3], s20, v5
	s_or_b64 s[4:5], s[8:9], s[2:3]
	v_cndmask_b32_e64 v4, 0, v4, s[4:5]
	s_or_b64 s[4:5], s[26:27], s[4:5]
	s_xor_b64 s[6:7], s[4:5], -1
	s_and_saveexec_b64 s[4:5], s[6:7]
	s_cbranch_execz .LBB6_11
; %bb.10:
	v_lshl_add_u64 v[4:5], v[64:65], 2, v[0:1]
	flat_load_dword v4, v[4:5] offset:256
	s_waitcnt vmcnt(0) lgkmcnt(0)
	v_mul_f32_e32 v4, s33, v4
.LBB6_11:
	s_or_b64 exec, exec, s[4:5]
	v_or_b32_e32 v5, 0x80, v64
	v_cmp_le_i32_e64 s[4:5], s20, v5
	v_mov_b32_e32 v6, 0x7f7fffff
	s_or_b64 s[6:7], s[8:9], s[4:5]
	v_cndmask_b32_e64 v5, 0, v6, s[6:7]
	s_or_b64 s[6:7], s[26:27], s[6:7]
	s_xor_b64 s[12:13], s[6:7], -1
	s_and_saveexec_b64 s[6:7], s[12:13]
	s_cbranch_execz .LBB6_13
; %bb.12:
	v_lshl_add_u64 v[8:9], v[64:65], 2, v[0:1]
	flat_load_dword v5, v[8:9] offset:512
	s_waitcnt vmcnt(0) lgkmcnt(0)
	v_mul_f32_e32 v5, s33, v5
.LBB6_13:
	s_or_b64 exec, exec, s[6:7]
	v_or_b32_e32 v8, 0xc0, v64
	v_cmp_le_i32_e64 s[6:7], s20, v8
	s_or_b64 s[8:9], s[8:9], s[6:7]
	v_cndmask_b32_e64 v6, 0, v6, s[8:9]
	s_or_b64 s[8:9], s[26:27], s[8:9]
	s_xor_b64 s[12:13], s[8:9], -1
	s_and_saveexec_b64 s[8:9], s[12:13]
	s_cbranch_execz .LBB6_15
; %bb.14:
	v_lshl_add_u64 v[0:1], v[64:65], 2, v[0:1]
	flat_load_dword v0, v[0:1] offset:768
	s_waitcnt vmcnt(0) lgkmcnt(0)
	v_mul_f32_e32 v6, s33, v0
.LBB6_15:
	s_or_b64 exec, exec, s[8:9]
	v_lshrrev_b32_e32 v7, 2, v7
	s_lshl_b32 s34, s10, 6
	s_load_dword s37, s[0:1], 0x38
	v_and_b32_e32 v75, 3, v70
	v_add_u32_e32 v57, s34, v7
	v_cmp_le_i32_e64 s[10:11], s22, v75
	v_cmp_le_i32_e64 s[8:9], s21, v57
	v_mov_b32_e32 v9, 0x7f7fffff
	s_or_b64 s[10:11], s[10:11], s[8:9]
	v_cndmask_b32_e64 v8, 0, v9, s[10:11]
	s_or_b64 s[10:11], s[26:27], s[10:11]
	s_xor_b64 s[12:13], s[10:11], -1
	s_and_saveexec_b64 s[10:11], s[12:13]
	s_cbranch_execz .LBB6_17
; %bb.16:
	v_min_u32_e32 v8, s35, v75
	s_waitcnt lgkmcnt(0)
	v_mad_i64_i32 v[0:1], s[12:13], v57, s37, 0
	v_lshl_add_u64 v[0:1], v[0:1], 2, s[28:29]
	v_lshlrev_b32_e32 v10, 2, v8
	v_mov_b32_e32 v11, 0
	v_lshl_add_u64 v[0:1], v[0:1], 0, v[10:11]
	flat_load_dword v0, v[0:1]
	s_waitcnt vmcnt(0) lgkmcnt(0)
	v_mul_f32_e32 v8, s33, v0
.LBB6_17:
	s_or_b64 exec, exec, s[10:11]
	v_add_u32_e32 v0, 4, v72
	v_cmp_le_i32_e64 s[10:11], s22, v0
	v_min_i32_e32 v0, s35, v0
	v_mad_i64_i32 v[0:1], s[12:13], s23, v0, 0
	s_or_b64 s[12:13], vcc, s[10:11]
	s_nop 0
	v_cndmask_b32_e64 v58, 0, v9, s[12:13]
	s_or_b64 s[12:13], s[26:27], s[12:13]
	v_lshl_add_u64 v[0:1], v[0:1], 2, s[18:19]
	s_xor_b64 s[38:39], s[12:13], -1
	s_and_saveexec_b64 s[12:13], s[38:39]
	s_cbranch_execz .LBB6_19
; %bb.18:
	v_lshl_add_u64 v[10:11], v[64:65], 2, v[0:1]
	flat_load_dword v9, v[10:11]
	s_waitcnt vmcnt(0) lgkmcnt(0)
	v_mul_f32_e32 v58, s33, v9
.LBB6_19:
	s_or_b64 exec, exec, s[12:13]
	v_mov_b32_e32 v9, 0x7f7fffff
	s_or_b64 s[12:13], s[2:3], s[10:11]
	v_cndmask_b32_e64 v59, 0, v9, s[12:13]
	s_or_b64 s[12:13], s[26:27], s[12:13]
	s_xor_b64 s[38:39], s[12:13], -1
	s_and_saveexec_b64 s[12:13], s[38:39]
	s_cbranch_execz .LBB6_21
; %bb.20:
	v_lshl_add_u64 v[10:11], v[64:65], 2, v[0:1]
	flat_load_dword v10, v[10:11] offset:256
	s_waitcnt vmcnt(0) lgkmcnt(0)
	v_mul_f32_e32 v59, s33, v10
.LBB6_21:
	s_or_b64 exec, exec, s[12:13]
	s_or_b64 s[12:13], s[4:5], s[10:11]
	v_cndmask_b32_e64 v60, 0, v9, s[12:13]
	s_or_b64 s[12:13], s[26:27], s[12:13]
	s_xor_b64 s[38:39], s[12:13], -1
	s_and_saveexec_b64 s[12:13], s[38:39]
	s_cbranch_execz .LBB6_23
; %bb.22:
	v_lshl_add_u64 v[10:11], v[64:65], 2, v[0:1]
	flat_load_dword v9, v[10:11] offset:512
	s_waitcnt vmcnt(0) lgkmcnt(0)
	v_mul_f32_e32 v60, s33, v9
.LBB6_23:
	s_or_b64 exec, exec, s[12:13]
	v_mov_b32_e32 v9, 0x7f7fffff
	s_or_b64 s[10:11], s[6:7], s[10:11]
	v_cndmask_b32_e64 v61, 0, v9, s[10:11]
	s_or_b64 s[10:11], s[26:27], s[10:11]
	s_xor_b64 s[12:13], s[10:11], -1
	s_and_saveexec_b64 s[10:11], s[12:13]
	s_cbranch_execz .LBB6_25
; %bb.24:
	v_lshl_add_u64 v[0:1], v[64:65], 2, v[0:1]
	flat_load_dword v0, v[0:1] offset:768
	s_waitcnt vmcnt(0) lgkmcnt(0)
	v_mul_f32_e32 v61, s33, v0
.LBB6_25:
	s_or_b64 exec, exec, s[10:11]
	v_or_b32_e32 v0, 4, v75
	v_cmp_le_i32_e64 s[10:11], s22, v0
	s_or_b64 s[10:11], s[10:11], s[8:9]
	s_mov_b32 s12, 0x7f7fffff
	v_cndmask_b32_e64 v62, 0, v9, s[10:11]
	s_or_b64 s[10:11], s[26:27], s[10:11]
	s_xor_b64 s[38:39], s[10:11], -1
	s_and_saveexec_b64 s[10:11], s[38:39]
	s_cbranch_execz .LBB6_27
; %bb.26:
	v_min_u32_e32 v9, s35, v0
	s_waitcnt lgkmcnt(0)
	v_mad_i64_i32 v[0:1], s[38:39], v57, s37, 0
	v_lshl_add_u64 v[0:1], v[0:1], 2, s[28:29]
	v_lshlrev_b32_e32 v10, 2, v9
	v_mov_b32_e32 v11, 0
	v_lshl_add_u64 v[0:1], v[0:1], 0, v[10:11]
	flat_load_dword v0, v[0:1]
	s_waitcnt vmcnt(0) lgkmcnt(0)
	v_mul_f32_e32 v62, s33, v0
.LBB6_27:
	s_or_b64 exec, exec, s[10:11]
	v_lshlrev_b32_e32 v0, 2, v72
	v_lshlrev_b32_e32 v56, 2, v75
	v_lshl_add_u32 v76, v2, 4, v0
	v_lshl_or_b32 v63, v7, 4, v56
	v_lshlrev_b32_e32 v73, 4, v70
	v_lshlrev_b32_e32 v74, 4, v71
	ds_write2st64_b32 v76, v3, v4 offset1:4
	ds_write2st64_b32 v76, v5, v6 offset0:8 offset1:12
	ds_write_b32 v63, v8 offset:8192
	s_waitcnt lgkmcnt(0)
	s_barrier
	ds_read_b128 v[12:15], v73
	ds_read_b128 v[20:23], v73 offset:512
	ds_read_b128 v[24:27], v73 offset:1024
	;; [unrolled: 1-line block ×13, first 2 shown]
	s_waitcnt lgkmcnt(5)
	v_pk_add_f32 v[66:67], v[12:13], v[52:53]
	s_cmp_lt_i32 s22, 9
	v_min3_f32 v68, v66, v67, s12
	v_pk_add_f32 v[66:67], v[20:21], v[52:53]
	s_nop 0
	v_min3_f32 v69, v66, v67, s12
	v_pk_add_f32 v[66:67], v[24:25], v[52:53]
	s_nop 0
	v_min3_f32 v77, v66, v67, s12
	v_pk_add_f32 v[66:67], v[28:29], v[52:53]
	s_nop 0
	v_min3_f32 v78, v66, v67, s12
	v_pk_add_f32 v[66:67], v[16:17], v[52:53]
	s_nop 0
	v_min3_f32 v79, v66, v67, s12
	v_pk_add_f32 v[66:67], v[8:9], v[52:53]
	s_nop 0
	v_min3_f32 v80, v66, v67, s12
	v_pk_add_f32 v[66:67], v[4:5], v[52:53]
	v_pk_add_f32 v[52:53], v[0:1], v[52:53]
	v_min3_f32 v66, v66, v67, s12
	v_min3_f32 v67, v52, v53, s12
	s_waitcnt lgkmcnt(4)
	v_pk_add_f32 v[52:53], v[12:13], v[48:49]
	s_nop 0
	v_min3_f32 v81, v52, v53, s12
	v_pk_add_f32 v[52:53], v[20:21], v[48:49]
	s_nop 0
	v_min3_f32 v82, v52, v53, s12
	v_pk_add_f32 v[52:53], v[24:25], v[48:49]
	s_nop 0
	v_min3_f32 v83, v52, v53, s12
	v_pk_add_f32 v[52:53], v[28:29], v[48:49]
	s_nop 0
	v_min3_f32 v84, v52, v53, s12
	v_pk_add_f32 v[52:53], v[16:17], v[48:49]
	s_nop 0
	v_min3_f32 v85, v52, v53, s12
	v_pk_add_f32 v[52:53], v[8:9], v[48:49]
	s_nop 0
	v_min3_f32 v86, v52, v53, s12
	v_pk_add_f32 v[52:53], v[4:5], v[48:49]
	v_pk_add_f32 v[48:49], v[0:1], v[48:49]
	v_min3_f32 v52, v52, v53, s12
	v_min3_f32 v53, v48, v49, s12
	s_waitcnt lgkmcnt(3)
	v_pk_add_f32 v[48:49], v[12:13], v[44:45]
	s_nop 0
	;; [unrolled: 23-line block ×4, first 2 shown]
	v_min3_f32 v101, v40, v41, s12
	v_pk_add_f32 v[40:41], v[20:21], v[36:37]
	s_nop 0
	v_min3_f32 v102, v40, v41, s12
	v_pk_add_f32 v[40:41], v[24:25], v[36:37]
	s_nop 0
	;; [unrolled: 3-line block ×5, first 2 shown]
	v_min3_f32 v106, v40, v41, s12
	v_pk_add_f32 v[40:41], v[4:5], v[36:37]
	v_pk_add_f32 v[36:37], v[0:1], v[36:37]
	v_min3_f32 v107, v40, v41, s12
	v_min3_f32 v108, v36, v37, s12
	s_waitcnt lgkmcnt(0)
	v_pk_add_f32 v[36:37], v[12:13], v[32:33]
	v_pk_add_f32 v[40:41], v[4:5], v[32:33]
	v_min3_f32 v126, v36, v37, s12
	v_pk_add_f32 v[36:37], v[20:21], v[32:33]
	v_min3_f32 v40, v40, v41, s12
	v_min3_f32 v146, v36, v37, s12
	v_pk_add_f32 v[36:37], v[24:25], v[32:33]
	s_nop 0
	v_min3_f32 v147, v36, v37, s12
	v_pk_add_f32 v[36:37], v[28:29], v[32:33]
	s_nop 0
	;; [unrolled: 3-line block ×10, first 2 shown]
	v_min3_f32 v66, v36, v37, s12
	v_pk_add_f32 v[36:37], v[8:9], v[32:33]
	v_pk_add_f32 v[32:33], v[0:1], v[32:33]
	v_min3_f32 v68, v36, v37, s12
	v_min3_f32 v41, v32, v33, s12
	v_pk_add_f32 v[32:33], v[14:15], v[50:51]
	v_pk_add_f32 v[36:37], v[2:3], v[54:55]
	v_min3_f32 v140, v32, v33, v81
	v_pk_add_f32 v[32:33], v[22:23], v[50:51]
	v_min3_f32 v141, v36, v37, v67
	v_min3_f32 v139, v32, v33, v82
	v_pk_add_f32 v[32:33], v[26:27], v[50:51]
	s_nop 0
	v_min3_f32 v138, v32, v33, v83
	v_pk_add_f32 v[32:33], v[30:31], v[50:51]
	s_nop 0
	;; [unrolled: 3-line block ×5, first 2 shown]
	v_min3_f32 v134, v32, v33, v52
	v_pk_add_f32 v[32:33], v[2:3], v[50:51]
	ds_read_b128 v[48:51], v74 offset:8960
	v_min3_f32 v133, v32, v33, v53
	ds_read_b128 v[52:55], v74 offset:9088
	v_pk_add_f32 v[32:33], v[14:15], v[46:47]
	ds_write2st64_b32 v76, v58, v59 offset0:16 offset1:20
	ds_write2st64_b32 v76, v60, v61 offset0:24 offset1:28
	ds_write_b32 v63, v62 offset:9216
	v_min3_f32 v132, v32, v33, v87
	v_pk_add_f32 v[32:33], v[22:23], v[46:47]
	s_waitcnt lgkmcnt(4)
	v_pk_add_f32 v[36:37], v[24:25], v[48:49]
	v_min3_f32 v131, v32, v33, v88
	v_pk_add_f32 v[32:33], v[26:27], v[46:47]
	s_waitcnt lgkmcnt(0)
	v_min3_f32 v130, v32, v33, v89
	v_pk_add_f32 v[32:33], v[30:31], v[46:47]
	s_barrier
	v_min3_f32 v129, v32, v33, v90
	v_pk_add_f32 v[32:33], v[18:19], v[46:47]
	s_nop 0
	v_min3_f32 v128, v32, v33, v91
	v_pk_add_f32 v[32:33], v[10:11], v[46:47]
	s_nop 0
	;; [unrolled: 3-line block ×3, first 2 shown]
	v_min3_f32 v123, v32, v33, v93
	v_pk_add_f32 v[32:33], v[12:13], v[48:49]
	v_pk_add_f32 v[12:13], v[12:13], v[52:53]
	v_min3_f32 v67, v32, v33, s12
	v_pk_add_f32 v[32:33], v[20:21], v[48:49]
	s_nop 0
	v_min3_f32 v69, v32, v33, s12
	v_pk_add_f32 v[32:33], v[2:3], v[46:47]
	v_min3_f32 v46, v36, v37, s12
	v_min3_f32 v127, v32, v33, v94
	v_pk_add_f32 v[32:33], v[14:15], v[42:43]
	v_pk_add_f32 v[36:37], v[28:29], v[48:49]
	v_min3_f32 v124, v32, v33, v95
	v_pk_add_f32 v[32:33], v[22:23], v[42:43]
	v_min3_f32 v47, v36, v37, s12
	v_min3_f32 v122, v32, v33, v96
	v_pk_add_f32 v[32:33], v[26:27], v[42:43]
	v_pk_add_f32 v[36:37], v[4:5], v[48:49]
	v_min3_f32 v121, v32, v33, v97
	v_pk_add_f32 v[32:33], v[30:31], v[42:43]
	v_pk_add_f32 v[4:5], v[4:5], v[52:53]
	v_min3_f32 v120, v32, v33, v98
	v_pk_add_f32 v[32:33], v[18:19], v[42:43]
	v_min3_f32 v4, v4, v5, s12
	v_min3_f32 v119, v32, v33, v99
	v_pk_add_f32 v[32:33], v[10:11], v[42:43]
	s_nop 0
	v_min3_f32 v118, v32, v33, v100
	v_pk_add_f32 v[32:33], v[6:7], v[42:43]
	s_nop 0
	;; [unrolled: 3-line block ×3, first 2 shown]
	v_min3_f32 v44, v32, v33, s12
	v_pk_add_f32 v[32:33], v[8:9], v[48:49]
	v_pk_add_f32 v[8:9], v[8:9], v[52:53]
	v_min3_f32 v80, v32, v33, s12
	v_pk_add_f32 v[32:33], v[2:3], v[42:43]
	v_min3_f32 v42, v36, v37, s12
	v_min3_f32 v116, v32, v33, v45
	v_pk_add_f32 v[32:33], v[14:15], v[38:39]
	v_pk_add_f32 v[36:37], v[0:1], v[48:49]
	v_min3_f32 v115, v32, v33, v101
	v_pk_add_f32 v[32:33], v[22:23], v[38:39]
	v_pk_add_f32 v[0:1], v[0:1], v[52:53]
	v_min3_f32 v114, v32, v33, v102
	v_pk_add_f32 v[32:33], v[26:27], v[38:39]
	v_min3_f32 v5, v0, v1, s12
	v_min3_f32 v113, v32, v33, v103
	v_pk_add_f32 v[32:33], v[30:31], v[38:39]
	v_pk_add_f32 v[0:1], v[14:15], v[54:55]
	v_min3_f32 v112, v32, v33, v104
	v_pk_add_f32 v[32:33], v[18:19], v[38:39]
	v_min3_f32 v36, v36, v37, s12
	v_min3_f32 v111, v32, v33, v105
	v_pk_add_f32 v[32:33], v[10:11], v[38:39]
	s_nop 0
	v_min3_f32 v110, v32, v33, v106
	v_pk_add_f32 v[32:33], v[6:7], v[38:39]
	s_nop 0
	;; [unrolled: 3-line block ×10, first 2 shown]
	v_min3_f32 v101, v32, v33, v40
	v_min3_f32 v32, v12, v13, s12
	v_pk_add_f32 v[12:13], v[20:21], v[52:53]
	v_pk_add_f32 v[20:21], v[24:25], v[52:53]
	v_min3_f32 v33, v12, v13, s12
	v_pk_add_f32 v[12:13], v[2:3], v[34:35]
	v_min3_f32 v91, v0, v1, v32
	v_min3_f32 v100, v12, v13, v41
	v_pk_add_f32 v[12:13], v[14:15], v[50:51]
	v_pk_add_f32 v[0:1], v[22:23], v[54:55]
	v_min3_f32 v99, v12, v13, v67
	v_pk_add_f32 v[12:13], v[22:23], v[50:51]
	;; [unrolled: 6-line block ×4, first 2 shown]
	v_min3_f32 v20, v20, v21, s12
	v_min3_f32 v94, v12, v13, v80
	v_pk_add_f32 v[12:13], v[6:7], v[50:51]
	v_min3_f32 v89, v0, v1, v24
	v_min3_f32 v93, v12, v13, v42
	v_pk_add_f32 v[12:13], v[16:17], v[52:53]
	v_pk_add_f32 v[0:1], v[30:31], v[54:55]
	v_min3_f32 v12, v12, v13, s12
	v_min3_f32 v87, v0, v1, v20
	v_pk_add_f32 v[0:1], v[18:19], v[54:55]
	v_min3_f32 v13, v8, v9, s12
	v_min3_f32 v86, v0, v1, v12
	v_pk_add_f32 v[0:1], v[10:11], v[54:55]
	v_pk_add_f32 v[8:9], v[2:3], v[50:51]
	v_min3_f32 v85, v0, v1, v13
	v_pk_add_f32 v[0:1], v[6:7], v[54:55]
	v_min3_f32 v92, v8, v9, v36
	v_min3_f32 v84, v0, v1, v4
	v_pk_add_f32 v[0:1], v[2:3], v[54:55]
	s_nop 0
	v_min3_f32 v88, v0, v1, v5
	s_cbranch_scc1 .LBB6_50
; %bb.28:
	v_mov_b32_e32 v0, 0x1000
	v_lshl_add_u32 v126, v70, 4, v0
	v_mov_b32_e32 v0, 0x2400
	v_lshl_add_u32 v146, v71, 4, v0
	v_mad_i64_i32 v[0:1], s[10:11], s37, v57, 0
	v_mov_b32_e32 v57, 0
	v_lshl_add_u64 v[0:1], v[0:1], 2, v[56:57]
	v_lshl_add_u64 v[0:1], v[0:1], 0, s[28:29]
	v_add_u32_e32 v80, 0x2000, v63
	v_add_u32_e32 v81, 0x2000, v74
	v_add_u32_e32 v82, 0x1000, v76
	v_add_u32_e32 v83, 0x2400, v63
	s_add_i32 s36, s22, -8
	v_lshl_add_u64 v[66:67], v[0:1], 0, 48
	s_mov_b32 s28, 0
	v_mov_b32_e32 v147, 0x7f7fffff
	s_branch .LBB6_30
.LBB6_29:                               ;   in Loop: Header=BB6_30 Depth=1
	s_or_b64 exec, exec, s[10:11]
	ds_read_b128 v[0:3], v73
	ds_read_b128 v[4:7], v73 offset:512
	ds_read_b128 v[8:11], v73 offset:1024
	;; [unrolled: 1-line block ×7, first 2 shown]
	ds_read_b128 v[116:119], v81
	ds_read_b128 v[120:123], v81 offset:128
	ds_read_b128 v[152:155], v81 offset:256
	;; [unrolled: 1-line block ×7, first 2 shown]
	s_waitcnt lgkmcnt(7)
	v_pk_add_f32 v[124:125], v[0:1], v[116:117]
	s_add_i32 s28, s28, 8
	v_min3_f32 v37, v124, v125, v37
	v_pk_add_f32 v[124:125], v[4:5], v[116:117]
	s_cmp_ge_i32 s28, s36
	v_min3_f32 v127, v124, v125, v40
	v_pk_add_f32 v[124:125], v[8:9], v[116:117]
	v_lshl_add_u64 v[66:67], v[66:67], 0, 32
	v_min3_f32 v124, v124, v125, v41
	v_pk_add_f32 v[40:41], v[12:13], v[116:117]
	ds_write2st64_b32 v82, v148, v149 offset1:4
	ds_write2st64_b32 v82, v150, v151 offset0:8 offset1:12
	ds_write_b32 v83, v36
	v_min3_f32 v44, v40, v41, v44
	v_pk_add_f32 v[40:41], v[16:17], v[116:117]
	s_waitcnt lgkmcnt(0)
	v_min3_f32 v45, v40, v41, v45
	v_pk_add_f32 v[40:41], v[20:21], v[116:117]
	s_barrier
	v_min3_f32 v48, v40, v41, v48
	v_pk_add_f32 v[40:41], v[24:25], v[116:117]
	s_nop 0
	v_min3_f32 v49, v40, v41, v49
	v_pk_add_f32 v[40:41], v[28:29], v[116:117]
	s_nop 0
	;; [unrolled: 3-line block ×42, first 2 shown]
	v_min3_f32 v42, v40, v41, v42
	v_pk_add_f32 v[40:41], v[0:1], v[168:169]
	v_pk_add_f32 v[0:1], v[0:1], v[32:33]
	v_min3_f32 v43, v40, v41, v43
	v_min3_f32 v39, v0, v1, v39
	v_pk_add_f32 v[0:1], v[4:5], v[32:33]
	v_pk_add_f32 v[40:41], v[4:5], v[168:169]
	v_min3_f32 v4, v0, v1, v109
	v_pk_add_f32 v[0:1], v[8:9], v[32:33]
	v_min3_f32 v153, v40, v41, v103
	v_min3_f32 v5, v0, v1, v110
	v_pk_add_f32 v[0:1], v[12:13], v[32:33]
	v_pk_add_f32 v[40:41], v[8:9], v[168:169]
	v_min3_f32 v8, v0, v1, v111
	v_pk_add_f32 v[0:1], v[16:17], v[32:33]
	v_min3_f32 v156, v40, v41, v104
	v_min3_f32 v9, v0, v1, v112
	v_pk_add_f32 v[0:1], v[20:21], v[32:33]
	v_pk_add_f32 v[40:41], v[12:13], v[168:169]
	v_min3_f32 v12, v0, v1, v113
	v_pk_add_f32 v[0:1], v[24:25], v[32:33]
	v_min3_f32 v157, v40, v41, v105
	v_min3_f32 v13, v0, v1, v114
	v_pk_add_f32 v[0:1], v[28:29], v[32:33]
	v_pk_add_f32 v[40:41], v[16:17], v[168:169]
	v_min3_f32 v16, v0, v1, v115
	v_pk_add_f32 v[0:1], v[2:3], v[118:119]
	v_min3_f32 v160, v40, v41, v106
	v_min3_f32 v145, v0, v1, v37
	v_pk_add_f32 v[0:1], v[6:7], v[118:119]
	v_pk_add_f32 v[40:41], v[20:21], v[168:169]
	v_min3_f32 v144, v0, v1, v127
	v_pk_add_f32 v[0:1], v[10:11], v[118:119]
	v_min3_f32 v161, v40, v41, v107
	v_min3_f32 v143, v0, v1, v124
	v_pk_add_f32 v[0:1], v[14:15], v[118:119]
	v_pk_add_f32 v[40:41], v[24:25], v[168:169]
	v_min3_f32 v142, v0, v1, v44
	v_pk_add_f32 v[0:1], v[18:19], v[118:119]
	v_min3_f32 v164, v40, v41, v108
	v_min3_f32 v79, v0, v1, v45
	v_pk_add_f32 v[0:1], v[22:23], v[118:119]
	v_pk_add_f32 v[40:41], v[28:29], v[168:169]
	v_min3_f32 v77, v0, v1, v48
	v_pk_add_f32 v[0:1], v[26:27], v[118:119]
	v_min3_f32 v38, v40, v41, v38
	v_min3_f32 v78, v0, v1, v49
	v_pk_add_f32 v[0:1], v[30:31], v[118:119]
	s_nop 0
	v_min3_f32 v141, v0, v1, v52
	v_pk_add_f32 v[0:1], v[2:3], v[122:123]
	s_nop 0
	;; [unrolled: 3-line block ×57, first 2 shown]
	v_min3_f32 v88, v0, v1, v16
	s_cbranch_scc1 .LBB6_50
.LBB6_30:                               ; =>This Inner Loop Header: Depth=1
	v_add_u32_e32 v68, s28, v72
	v_add_u32_e32 v0, 8, v68
	v_cmp_le_i32_e64 s[10:11], s22, v0
	v_min_i32_e32 v0, s35, v0
	v_mad_i64_i32 v[0:1], s[12:13], v0, s23, 0
	s_or_b64 s[12:13], vcc, s[10:11]
	v_lshl_add_u64 v[0:1], v[0:1], 2, s[18:19]
	v_cndmask_b32_e64 v69, 0, v147, s[12:13]
	s_or_b64 s[12:13], s[26:27], s[12:13]
	s_xor_b64 s[38:39], s[12:13], -1
	v_lshl_add_u64 v[0:1], v[64:65], 2, v[0:1]
	s_and_saveexec_b64 s[12:13], s[38:39]
	s_cbranch_execz .LBB6_32
; %bb.31:                               ;   in Loop: Header=BB6_30 Depth=1
	flat_load_dword v2, v[0:1]
	s_waitcnt vmcnt(0) lgkmcnt(0)
	v_mul_f32_e32 v69, s33, v2
.LBB6_32:                               ;   in Loop: Header=BB6_30 Depth=1
	s_or_b64 exec, exec, s[12:13]
	s_or_b64 s[12:13], s[2:3], s[10:11]
	v_cndmask_b32_e64 v148, 0, v147, s[12:13]
	s_or_b64 s[12:13], s[26:27], s[12:13]
	s_xor_b64 s[38:39], s[12:13], -1
	s_and_saveexec_b64 s[12:13], s[38:39]
	s_cbranch_execz .LBB6_34
; %bb.33:                               ;   in Loop: Header=BB6_30 Depth=1
	flat_load_dword v2, v[0:1] offset:256
	s_waitcnt vmcnt(0) lgkmcnt(0)
	v_mul_f32_e32 v148, s33, v2
.LBB6_34:                               ;   in Loop: Header=BB6_30 Depth=1
	s_or_b64 exec, exec, s[12:13]
	s_or_b64 s[12:13], s[4:5], s[10:11]
	v_cndmask_b32_e64 v149, 0, v147, s[12:13]
	s_or_b64 s[12:13], s[26:27], s[12:13]
	s_xor_b64 s[38:39], s[12:13], -1
	s_and_saveexec_b64 s[12:13], s[38:39]
	s_cbranch_execz .LBB6_36
; %bb.35:                               ;   in Loop: Header=BB6_30 Depth=1
	flat_load_dword v2, v[0:1] offset:512
	s_waitcnt vmcnt(0) lgkmcnt(0)
	v_mul_f32_e32 v149, s33, v2
.LBB6_36:                               ;   in Loop: Header=BB6_30 Depth=1
	;; [unrolled: 12-line block ×3, first 2 shown]
	s_or_b64 exec, exec, s[10:11]
	v_add_u32_e32 v152, s28, v75
	v_add_u32_e32 v0, 8, v152
	v_cmp_le_i32_e64 s[10:11], s22, v0
	s_or_b64 s[10:11], s[10:11], s[8:9]
	s_nop 0
	v_cndmask_b32_e64 v151, 0, v147, s[10:11]
	s_or_b64 s[10:11], s[26:27], s[10:11]
	s_xor_b64 s[10:11], s[10:11], -1
	s_and_saveexec_b64 s[12:13], s[10:11]
	s_cbranch_execz .LBB6_40
; %bb.39:                               ;   in Loop: Header=BB6_30 Depth=1
	v_add_co_u32_e64 v0, s[10:11], -16, v66
	s_nop 1
	v_addc_co_u32_e64 v1, s[10:11], -1, v67, s[10:11]
	flat_load_dword v0, v[0:1]
	s_waitcnt vmcnt(0) lgkmcnt(0)
	v_mul_f32_e32 v151, s33, v0
.LBB6_40:                               ;   in Loop: Header=BB6_30 Depth=1
	s_or_b64 exec, exec, s[12:13]
	ds_read_b128 v[28:31], v126
	ds_read_b128 v[24:27], v126 offset:512
	ds_read_b128 v[20:23], v126 offset:1024
	;; [unrolled: 1-line block ×7, first 2 shown]
	ds_read_b128 v[60:63], v146
	ds_read_b128 v[56:59], v146 offset:128
	ds_read_b128 v[52:55], v146 offset:256
	;; [unrolled: 1-line block ×7, first 2 shown]
	v_add_u32_e32 v68, 12, v68
	v_cmp_le_i32_e64 s[10:11], s22, v68
	v_min_i32_e32 v68, s35, v68
	ds_write2st64_b32 v76, v69, v148 offset1:4
	ds_write2st64_b32 v76, v149, v150 offset0:8 offset1:12
	ds_write_b32 v80, v151
	v_mad_i64_i32 v[68:69], s[12:13], v68, s23, 0
	s_or_b64 s[12:13], vcc, s[10:11]
	v_lshl_add_u64 v[68:69], v[68:69], 2, s[18:19]
	v_cndmask_b32_e64 v148, 0, v147, s[12:13]
	s_or_b64 s[12:13], s[26:27], s[12:13]
	s_xor_b64 s[38:39], s[12:13], -1
	v_lshl_add_u64 v[68:69], v[64:65], 2, v[68:69]
	s_waitcnt lgkmcnt(0)
	s_barrier
	s_and_saveexec_b64 s[12:13], s[38:39]
	s_cbranch_execz .LBB6_42
; %bb.41:                               ;   in Loop: Header=BB6_30 Depth=1
	flat_load_dword v148, v[68:69]
	s_waitcnt vmcnt(0) lgkmcnt(0)
	v_mul_f32_e32 v148, s33, v148
.LBB6_42:                               ;   in Loop: Header=BB6_30 Depth=1
	s_or_b64 exec, exec, s[12:13]
	s_or_b64 s[12:13], s[2:3], s[10:11]
	v_cndmask_b32_e64 v149, 0, v147, s[12:13]
	s_or_b64 s[12:13], s[26:27], s[12:13]
	s_xor_b64 s[38:39], s[12:13], -1
	s_and_saveexec_b64 s[12:13], s[38:39]
	s_cbranch_execz .LBB6_44
; %bb.43:                               ;   in Loop: Header=BB6_30 Depth=1
	flat_load_dword v149, v[68:69] offset:256
	s_waitcnt vmcnt(0) lgkmcnt(0)
	v_mul_f32_e32 v149, s33, v149
.LBB6_44:                               ;   in Loop: Header=BB6_30 Depth=1
	s_or_b64 exec, exec, s[12:13]
	s_or_b64 s[12:13], s[4:5], s[10:11]
	v_cndmask_b32_e64 v150, 0, v147, s[12:13]
	s_or_b64 s[12:13], s[26:27], s[12:13]
	s_xor_b64 s[38:39], s[12:13], -1
	s_and_saveexec_b64 s[12:13], s[38:39]
	s_cbranch_execz .LBB6_46
; %bb.45:                               ;   in Loop: Header=BB6_30 Depth=1
	flat_load_dword v150, v[68:69] offset:512
	s_waitcnt vmcnt(0) lgkmcnt(0)
	v_mul_f32_e32 v150, s33, v150
.LBB6_46:                               ;   in Loop: Header=BB6_30 Depth=1
	;; [unrolled: 12-line block ×3, first 2 shown]
	s_or_b64 exec, exec, s[10:11]
	v_pk_add_f32 v[68:69], v[28:29], v[60:61]
	s_nop 0
	v_min3_f32 v145, v68, v69, v145
	v_pk_add_f32 v[68:69], v[24:25], v[60:61]
	s_nop 0
	v_min3_f32 v144, v68, v69, v144
	v_pk_add_f32 v[68:69], v[20:21], v[60:61]
	s_nop 0
	v_min3_f32 v143, v68, v69, v143
	v_pk_add_f32 v[68:69], v[16:17], v[60:61]
	s_nop 0
	v_min3_f32 v142, v68, v69, v142
	v_pk_add_f32 v[68:69], v[12:13], v[60:61]
	s_nop 0
	v_min3_f32 v79, v68, v69, v79
	v_pk_add_f32 v[68:69], v[8:9], v[60:61]
	s_nop 0
	v_min3_f32 v77, v68, v69, v77
	v_pk_add_f32 v[68:69], v[4:5], v[60:61]
	v_pk_add_f32 v[60:61], v[0:1], v[60:61]
	v_min3_f32 v68, v68, v69, v78
	v_min3_f32 v69, v60, v61, v141
	v_pk_add_f32 v[60:61], v[28:29], v[56:57]
	s_nop 0
	v_min3_f32 v78, v60, v61, v140
	v_pk_add_f32 v[60:61], v[24:25], v[56:57]
	s_nop 0
	v_min3_f32 v139, v60, v61, v139
	v_pk_add_f32 v[60:61], v[20:21], v[56:57]
	s_nop 0
	v_min3_f32 v138, v60, v61, v138
	v_pk_add_f32 v[60:61], v[16:17], v[56:57]
	s_nop 0
	v_min3_f32 v137, v60, v61, v137
	v_pk_add_f32 v[60:61], v[12:13], v[56:57]
	s_nop 0
	v_min3_f32 v136, v60, v61, v136
	v_pk_add_f32 v[60:61], v[8:9], v[56:57]
	s_nop 0
	v_min3_f32 v135, v60, v61, v135
	v_pk_add_f32 v[60:61], v[4:5], v[56:57]
	v_pk_add_f32 v[56:57], v[0:1], v[56:57]
	v_min3_f32 v134, v60, v61, v134
	v_min3_f32 v133, v56, v57, v133
	;; [unrolled: 22-line block ×6, first 2 shown]
	v_pk_add_f32 v[40:41], v[28:29], v[36:37]
	v_pk_add_f32 v[28:29], v[28:29], v[32:33]
	v_min3_f32 v153, v40, v41, v99
	v_pk_add_f32 v[40:41], v[24:25], v[36:37]
	v_pk_add_f32 v[24:25], v[24:25], v[32:33]
	v_min3_f32 v154, v40, v41, v98
	;; [unrolled: 3-line block ×6, first 2 shown]
	v_pk_add_f32 v[40:41], v[4:5], v[36:37]
	v_pk_add_f32 v[36:37], v[0:1], v[36:37]
	;; [unrolled: 1-line block ×4, first 2 shown]
	v_min3_f32 v4, v4, v5, v84
	v_min3_f32 v5, v0, v1, v88
	v_pk_add_f32 v[0:1], v[30:31], v[62:63]
	v_min3_f32 v36, v36, v37, v92
	v_min3_f32 v37, v0, v1, v145
	v_pk_add_f32 v[0:1], v[26:27], v[62:63]
	;; [unrolled: 3-line block ×9, first 2 shown]
	s_nop 0
	v_min3_f32 v53, v0, v1, v78
	v_pk_add_f32 v[0:1], v[26:27], v[58:59]
	s_nop 0
	v_min3_f32 v56, v0, v1, v139
	v_pk_add_f32 v[0:1], v[22:23], v[58:59]
	;; [unrolled: 3-line block ×55, first 2 shown]
	s_nop 0
	v_min3_f32 v115, v0, v1, v5
	v_add_u32_e32 v0, 12, v152
	v_cmp_le_i32_e64 s[10:11], s22, v0
	s_or_b64 s[10:11], s[10:11], s[8:9]
	s_nop 0
	v_cndmask_b32_e64 v36, 0, v147, s[10:11]
	s_or_b64 s[10:11], s[26:27], s[10:11]
	s_xor_b64 s[12:13], s[10:11], -1
	s_and_saveexec_b64 s[10:11], s[12:13]
	s_cbranch_execz .LBB6_29
; %bb.49:                               ;   in Loop: Header=BB6_30 Depth=1
	flat_load_dword v0, v[66:67]
	s_waitcnt vmcnt(0) lgkmcnt(0)
	v_mul_f32_e32 v36, s33, v0
	s_branch .LBB6_29
.LBB6_50:
	s_load_dwordx2 s[2:3], s[0:1], 0x78
	s_load_dword s29, s[0:1], 0x58
	s_load_dword s28, s[0:1], 0x70
	ds_read_b128 v[32:35], v73 offset:4096
	ds_read_b128 v[28:31], v73 offset:4608
	;; [unrolled: 1-line block ×16, first 2 shown]
	s_waitcnt lgkmcnt(0)
	s_lshl_b64 s[0:1], s[2:3], 2
	s_add_u32 s22, s16, s0
	v_add_u32_e32 v126, s34, v71
	s_addc_u32 s23, s17, s1
	v_mad_i64_i32 v[66:67], s[0:1], v126, s29, 0
	v_add_u32_e32 v64, s31, v70
	v_lshl_add_u64 v[82:83], v[66:67], 2, s[24:25]
	v_mad_i64_i32 v[66:67], s[0:1], v126, s28, 0
	v_cmp_gt_i32_e64 s[18:19], s21, v126
	v_lshl_add_u64 v[80:81], v[66:67], 2, s[22:23]
	v_cmp_gt_i32_e64 s[2:3], s20, v64
	v_cndmask_b32_e64 v66, 0, 1, s[14:15]
	s_and_b64 s[6:7], s[2:3], s[18:19]
	v_ashrrev_i32_e32 v65, 31, v64
	v_cmp_ne_u32_e64 s[0:1], 1, v66
	s_and_saveexec_b64 s[4:5], s[6:7]
	s_cbranch_execz .LBB6_55
; %bb.51:
	s_and_b64 vcc, exec, s[0:1]
	s_cbranch_vccnz .LBB6_53
; %bb.52:
	v_lshl_add_u64 v[66:67], v[64:65], 2, v[82:83]
	flat_load_dword v66, v[66:67]
	s_waitcnt vmcnt(0) lgkmcnt(0)
	v_mul_f32_e32 v66, s30, v66
	s_branch .LBB6_54
.LBB6_53:
	v_mov_b32_e32 v66, 0
.LBB6_54:
	v_pk_add_f32 v[68:69], v[32:33], v[60:61]
	s_nop 0
	v_min3_f32 v67, v68, v69, v145
	v_pk_add_f32 v[68:69], v[34:35], v[62:63]
	s_nop 0
	v_min_f32_e32 v68, v68, v69
	v_min3_f32 v68, v66, v68, v67
	v_lshl_add_u64 v[66:67], v[64:65], 2, v[80:81]
	global_store_dword v[66:67], v68, off
.LBB6_55:
	s_or_b64 exec, exec, s[4:5]
	v_add_u32_e32 v66, 32, v64
	v_cmp_gt_i32_e64 s[4:5], s20, v66
	s_and_b64 s[8:9], s[4:5], s[18:19]
	v_ashrrev_i32_e32 v67, 31, v66
	s_and_saveexec_b64 s[6:7], s[8:9]
	s_cbranch_execz .LBB6_60
; %bb.56:
	s_and_b64 vcc, exec, s[0:1]
	s_cbranch_vccnz .LBB6_58
; %bb.57:
	v_lshl_add_u64 v[68:69], v[66:67], 2, v[82:83]
	flat_load_dword v68, v[68:69]
	s_waitcnt vmcnt(0) lgkmcnt(0)
	v_mul_f32_e32 v68, s30, v68
	s_branch .LBB6_59
.LBB6_58:
	v_mov_b32_e32 v68, 0
.LBB6_59:
	v_pk_add_f32 v[70:71], v[28:29], v[60:61]
	s_nop 0
	v_min3_f32 v69, v70, v71, v144
	v_pk_add_f32 v[70:71], v[30:31], v[62:63]
	s_nop 0
	v_min_f32_e32 v70, v70, v71
	v_min3_f32 v70, v68, v70, v69
	v_lshl_add_u64 v[68:69], v[66:67], 2, v[80:81]
	global_store_dword v[68:69], v70, off
.LBB6_60:
	s_or_b64 exec, exec, s[6:7]
	v_add_u32_e32 v68, 64, v64
	v_cmp_gt_i32_e64 s[6:7], s20, v68
	s_and_b64 s[10:11], s[6:7], s[18:19]
	v_ashrrev_i32_e32 v69, 31, v68
	s_and_saveexec_b64 s[8:9], s[10:11]
	s_cbranch_execz .LBB6_65
; %bb.61:
	s_and_b64 vcc, exec, s[0:1]
	s_cbranch_vccnz .LBB6_63
; %bb.62:
	v_lshl_add_u64 v[70:71], v[68:69], 2, v[82:83]
	flat_load_dword v70, v[70:71]
	s_waitcnt vmcnt(0) lgkmcnt(0)
	v_mul_f32_e32 v70, s30, v70
	s_branch .LBB6_64
.LBB6_63:
	v_mov_b32_e32 v70, 0
.LBB6_64:
	v_pk_add_f32 v[72:73], v[24:25], v[60:61]
	s_nop 0
	v_min3_f32 v71, v72, v73, v143
	v_pk_add_f32 v[72:73], v[26:27], v[62:63]
	s_nop 0
	v_min_f32_e32 v72, v72, v73
	v_min3_f32 v72, v70, v72, v71
	v_lshl_add_u64 v[70:71], v[68:69], 2, v[80:81]
	global_store_dword v[70:71], v72, off
.LBB6_65:
	s_or_b64 exec, exec, s[8:9]
	v_add_u32_e32 v70, 0x60, v64
	v_cmp_gt_i32_e64 s[8:9], s20, v70
	s_and_b64 s[12:13], s[8:9], s[18:19]
	v_ashrrev_i32_e32 v71, 31, v70
	s_and_saveexec_b64 s[10:11], s[12:13]
	s_cbranch_execz .LBB6_70
; %bb.66:
	s_and_b64 vcc, exec, s[0:1]
	s_cbranch_vccnz .LBB6_68
; %bb.67:
	v_lshl_add_u64 v[72:73], v[70:71], 2, v[82:83]
	flat_load_dword v72, v[72:73]
	s_waitcnt vmcnt(0) lgkmcnt(0)
	v_mul_f32_e32 v72, s30, v72
	s_branch .LBB6_69
.LBB6_68:
	v_mov_b32_e32 v72, 0
.LBB6_69:
	v_pk_add_f32 v[74:75], v[20:21], v[60:61]
	s_nop 0
	v_min3_f32 v73, v74, v75, v142
	v_pk_add_f32 v[74:75], v[22:23], v[62:63]
	s_nop 0
	v_min_f32_e32 v74, v74, v75
	v_min3_f32 v74, v72, v74, v73
	v_lshl_add_u64 v[72:73], v[70:71], 2, v[80:81]
	global_store_dword v[72:73], v74, off
.LBB6_70:
	s_or_b64 exec, exec, s[10:11]
	v_add_u32_e32 v72, 0x80, v64
	v_cmp_gt_i32_e64 s[10:11], s20, v72
	s_and_b64 s[14:15], s[10:11], s[18:19]
	v_ashrrev_i32_e32 v73, 31, v72
	s_and_saveexec_b64 s[12:13], s[14:15]
	s_cbranch_execz .LBB6_75
; %bb.71:
	s_and_b64 vcc, exec, s[0:1]
	s_cbranch_vccnz .LBB6_73
; %bb.72:
	v_lshl_add_u64 v[74:75], v[72:73], 2, v[82:83]
	flat_load_dword v74, v[74:75]
	s_waitcnt vmcnt(0) lgkmcnt(0)
	v_mul_f32_e32 v74, s30, v74
	s_branch .LBB6_74
.LBB6_73:
	v_mov_b32_e32 v74, 0
.LBB6_74:
	v_pk_add_f32 v[142:143], v[16:17], v[60:61]
	s_nop 0
	v_min3_f32 v75, v142, v143, v79
	v_pk_add_f32 v[142:143], v[18:19], v[62:63]
	s_nop 0
	v_min_f32_e32 v76, v142, v143
	v_min3_f32 v76, v74, v76, v75
	v_lshl_add_u64 v[74:75], v[72:73], 2, v[80:81]
	global_store_dword v[74:75], v76, off
.LBB6_75:
	s_or_b64 exec, exec, s[12:13]
	v_add_u32_e32 v74, 0xa0, v64
	v_cmp_gt_i32_e64 s[12:13], s20, v74
	s_and_b64 s[16:17], s[12:13], s[18:19]
	v_ashrrev_i32_e32 v75, 31, v74
	s_and_saveexec_b64 s[14:15], s[16:17]
	s_cbranch_execz .LBB6_80
; %bb.76:
	s_and_b64 vcc, exec, s[0:1]
	s_cbranch_vccnz .LBB6_78
; %bb.77:
	v_lshl_add_u64 v[142:143], v[74:75], 2, v[82:83]
	flat_load_dword v76, v[142:143]
	s_waitcnt vmcnt(0) lgkmcnt(0)
	v_mul_f32_e32 v76, s30, v76
	s_branch .LBB6_79
.LBB6_78:
	v_mov_b32_e32 v76, 0
.LBB6_79:
	v_pk_add_f32 v[142:143], v[12:13], v[60:61]
	s_nop 0
	v_min3_f32 v77, v142, v143, v77
	v_pk_add_f32 v[142:143], v[14:15], v[62:63]
	s_nop 0
	v_min_f32_e32 v79, v142, v143
	v_min3_f32 v79, v76, v79, v77
	v_lshl_add_u64 v[76:77], v[74:75], 2, v[80:81]
	global_store_dword v[76:77], v79, off
.LBB6_80:
	s_or_b64 exec, exec, s[14:15]
	v_add_u32_e32 v76, 0xc0, v64
	v_cmp_gt_i32_e64 s[14:15], s20, v76
	s_and_b64 s[26:27], s[14:15], s[18:19]
	v_ashrrev_i32_e32 v77, 31, v76
	s_and_saveexec_b64 s[16:17], s[26:27]
	s_cbranch_execz .LBB6_85
; %bb.81:
	s_and_b64 vcc, exec, s[0:1]
	s_cbranch_vccnz .LBB6_83
; %bb.82:
	v_lshl_add_u64 v[142:143], v[76:77], 2, v[82:83]
	flat_load_dword v79, v[142:143]
	s_waitcnt vmcnt(0) lgkmcnt(0)
	v_mul_f32_e32 v79, s30, v79
	s_branch .LBB6_84
.LBB6_83:
	v_mov_b32_e32 v79, 0
.LBB6_84:
	v_pk_add_f32 v[142:143], v[8:9], v[60:61]
	s_nop 0
	v_min3_f32 v78, v142, v143, v78
	v_pk_add_f32 v[142:143], v[10:11], v[62:63]
	s_nop 0
	v_min_f32_e32 v142, v142, v143
	v_min3_f32 v142, v79, v142, v78
	v_lshl_add_u64 v[78:79], v[76:77], 2, v[80:81]
	global_store_dword v[78:79], v142, off
.LBB6_85:
	s_or_b64 exec, exec, s[16:17]
	v_add_u32_e32 v78, 0xe0, v64
	v_cmp_gt_i32_e64 s[16:17], s20, v78
	s_and_b64 s[26:27], s[16:17], s[18:19]
	v_ashrrev_i32_e32 v79, 31, v78
	s_and_saveexec_b64 s[18:19], s[26:27]
	s_cbranch_execz .LBB6_90
; %bb.86:
	s_and_b64 vcc, exec, s[0:1]
	s_cbranch_vccnz .LBB6_88
; %bb.87:
	v_lshl_add_u64 v[82:83], v[78:79], 2, v[82:83]
	flat_load_dword v82, v[82:83]
	s_waitcnt vmcnt(0) lgkmcnt(0)
	v_mul_f32_e32 v82, s30, v82
	s_branch .LBB6_89
.LBB6_88:
	v_mov_b32_e32 v82, 0
.LBB6_89:
	v_pk_add_f32 v[60:61], v[0:1], v[60:61]
	s_nop 0
	v_min3_f32 v83, v60, v61, v141
	v_pk_add_f32 v[60:61], v[2:3], v[62:63]
	s_nop 0
	v_min_f32_e32 v60, v60, v61
	v_min3_f32 v62, v82, v60, v83
	v_lshl_add_u64 v[60:61], v[78:79], 2, v[80:81]
	global_store_dword v[60:61], v62, off
.LBB6_90:
	s_or_b64 exec, exec, s[18:19]
	v_add_u32_e32 v80, 8, v126
	v_mad_i64_i32 v[60:61], s[26:27], v80, s29, 0
	v_cmp_gt_i32_e64 s[18:19], s21, v80
	v_lshl_add_u64 v[62:63], v[60:61], 2, s[24:25]
	v_mad_i64_i32 v[60:61], s[26:27], v80, s28, 0
	v_lshl_add_u64 v[60:61], v[60:61], 2, s[22:23]
	s_and_b64 s[34:35], s[2:3], s[18:19]
	s_and_saveexec_b64 s[26:27], s[34:35]
	s_cbranch_execnz .LBB6_98
; %bb.91:
	s_or_b64 exec, exec, s[26:27]
	s_and_b64 s[34:35], s[4:5], s[18:19]
	s_and_saveexec_b64 s[26:27], s[34:35]
	s_cbranch_execnz .LBB6_102
.LBB6_92:
	s_or_b64 exec, exec, s[26:27]
	s_and_b64 s[34:35], s[6:7], s[18:19]
	s_and_saveexec_b64 s[26:27], s[34:35]
	s_cbranch_execnz .LBB6_106
.LBB6_93:
	s_or_b64 exec, exec, s[26:27]
	s_and_b64 s[34:35], s[8:9], s[18:19]
	s_and_saveexec_b64 s[26:27], s[34:35]
	s_cbranch_execnz .LBB6_110
.LBB6_94:
	s_or_b64 exec, exec, s[26:27]
	s_and_b64 s[34:35], s[10:11], s[18:19]
	s_and_saveexec_b64 s[26:27], s[34:35]
	s_cbranch_execnz .LBB6_114
.LBB6_95:
	s_or_b64 exec, exec, s[26:27]
	s_and_b64 s[34:35], s[12:13], s[18:19]
	s_and_saveexec_b64 s[26:27], s[34:35]
	s_cbranch_execnz .LBB6_118
.LBB6_96:
	s_or_b64 exec, exec, s[26:27]
	s_and_b64 s[34:35], s[14:15], s[18:19]
	s_and_saveexec_b64 s[26:27], s[34:35]
	s_cbranch_execnz .LBB6_122
.LBB6_97:
	s_or_b64 exec, exec, s[26:27]
	s_and_b64 s[26:27], s[16:17], s[18:19]
	s_and_saveexec_b64 s[18:19], s[26:27]
	s_cbranch_execnz .LBB6_126
	s_branch .LBB6_130
.LBB6_98:
	s_and_b64 vcc, exec, s[0:1]
	s_cbranch_vccnz .LBB6_100
; %bb.99:
	v_lshl_add_u64 v[80:81], v[64:65], 2, v[62:63]
	flat_load_dword v80, v[80:81]
	s_waitcnt vmcnt(0) lgkmcnt(0)
	v_mul_f32_e32 v80, s30, v80
	s_branch .LBB6_101
.LBB6_100:
	v_mov_b32_e32 v80, 0
.LBB6_101:
	v_pk_add_f32 v[82:83], v[32:33], v[56:57]
	s_nop 0
	v_min3_f32 v81, v82, v83, v140
	v_pk_add_f32 v[82:83], v[34:35], v[58:59]
	s_nop 0
	v_min_f32_e32 v82, v82, v83
	v_min3_f32 v82, v80, v82, v81
	v_lshl_add_u64 v[80:81], v[64:65], 2, v[60:61]
	global_store_dword v[80:81], v82, off
	s_or_b64 exec, exec, s[26:27]
	s_and_b64 s[34:35], s[4:5], s[18:19]
	s_and_saveexec_b64 s[26:27], s[34:35]
	s_cbranch_execz .LBB6_92
.LBB6_102:
	s_and_b64 vcc, exec, s[0:1]
	s_cbranch_vccnz .LBB6_104
; %bb.103:
	v_lshl_add_u64 v[80:81], v[66:67], 2, v[62:63]
	flat_load_dword v80, v[80:81]
	s_waitcnt vmcnt(0) lgkmcnt(0)
	v_mul_f32_e32 v80, s30, v80
	s_branch .LBB6_105
.LBB6_104:
	v_mov_b32_e32 v80, 0
.LBB6_105:
	v_pk_add_f32 v[82:83], v[28:29], v[56:57]
	s_nop 0
	v_min3_f32 v81, v82, v83, v139
	v_pk_add_f32 v[82:83], v[30:31], v[58:59]
	s_nop 0
	v_min_f32_e32 v82, v82, v83
	v_min3_f32 v82, v80, v82, v81
	v_lshl_add_u64 v[80:81], v[66:67], 2, v[60:61]
	global_store_dword v[80:81], v82, off
	s_or_b64 exec, exec, s[26:27]
	s_and_b64 s[34:35], s[6:7], s[18:19]
	s_and_saveexec_b64 s[26:27], s[34:35]
	s_cbranch_execz .LBB6_93
.LBB6_106:
	s_and_b64 vcc, exec, s[0:1]
	s_cbranch_vccnz .LBB6_108
; %bb.107:
	v_lshl_add_u64 v[80:81], v[68:69], 2, v[62:63]
	flat_load_dword v80, v[80:81]
	s_waitcnt vmcnt(0) lgkmcnt(0)
	v_mul_f32_e32 v80, s30, v80
	s_branch .LBB6_109
.LBB6_108:
	v_mov_b32_e32 v80, 0
.LBB6_109:
	v_pk_add_f32 v[82:83], v[24:25], v[56:57]
	s_nop 0
	v_min3_f32 v81, v82, v83, v138
	v_pk_add_f32 v[82:83], v[26:27], v[58:59]
	s_nop 0
	v_min_f32_e32 v82, v82, v83
	v_min3_f32 v82, v80, v82, v81
	v_lshl_add_u64 v[80:81], v[68:69], 2, v[60:61]
	global_store_dword v[80:81], v82, off
	s_or_b64 exec, exec, s[26:27]
	s_and_b64 s[34:35], s[8:9], s[18:19]
	s_and_saveexec_b64 s[26:27], s[34:35]
	s_cbranch_execz .LBB6_94
.LBB6_110:
	s_and_b64 vcc, exec, s[0:1]
	s_cbranch_vccnz .LBB6_112
; %bb.111:
	v_lshl_add_u64 v[80:81], v[70:71], 2, v[62:63]
	flat_load_dword v80, v[80:81]
	s_waitcnt vmcnt(0) lgkmcnt(0)
	v_mul_f32_e32 v80, s30, v80
	s_branch .LBB6_113
.LBB6_112:
	v_mov_b32_e32 v80, 0
.LBB6_113:
	v_pk_add_f32 v[82:83], v[20:21], v[56:57]
	s_nop 0
	v_min3_f32 v81, v82, v83, v137
	v_pk_add_f32 v[82:83], v[22:23], v[58:59]
	s_nop 0
	v_min_f32_e32 v82, v82, v83
	v_min3_f32 v82, v80, v82, v81
	v_lshl_add_u64 v[80:81], v[70:71], 2, v[60:61]
	global_store_dword v[80:81], v82, off
	s_or_b64 exec, exec, s[26:27]
	s_and_b64 s[34:35], s[10:11], s[18:19]
	s_and_saveexec_b64 s[26:27], s[34:35]
	s_cbranch_execz .LBB6_95
.LBB6_114:
	s_and_b64 vcc, exec, s[0:1]
	s_cbranch_vccnz .LBB6_116
; %bb.115:
	v_lshl_add_u64 v[80:81], v[72:73], 2, v[62:63]
	flat_load_dword v80, v[80:81]
	s_waitcnt vmcnt(0) lgkmcnt(0)
	v_mul_f32_e32 v80, s30, v80
	s_branch .LBB6_117
.LBB6_116:
	v_mov_b32_e32 v80, 0
.LBB6_117:
	v_pk_add_f32 v[82:83], v[16:17], v[56:57]
	s_nop 0
	v_min3_f32 v81, v82, v83, v136
	v_pk_add_f32 v[82:83], v[18:19], v[58:59]
	s_nop 0
	v_min_f32_e32 v82, v82, v83
	v_min3_f32 v82, v80, v82, v81
	v_lshl_add_u64 v[80:81], v[72:73], 2, v[60:61]
	global_store_dword v[80:81], v82, off
	s_or_b64 exec, exec, s[26:27]
	s_and_b64 s[34:35], s[12:13], s[18:19]
	s_and_saveexec_b64 s[26:27], s[34:35]
	s_cbranch_execz .LBB6_96
.LBB6_118:
	s_and_b64 vcc, exec, s[0:1]
	s_cbranch_vccnz .LBB6_120
; %bb.119:
	v_lshl_add_u64 v[80:81], v[74:75], 2, v[62:63]
	flat_load_dword v80, v[80:81]
	s_waitcnt vmcnt(0) lgkmcnt(0)
	v_mul_f32_e32 v80, s30, v80
	s_branch .LBB6_121
.LBB6_120:
	v_mov_b32_e32 v80, 0
.LBB6_121:
	v_pk_add_f32 v[82:83], v[12:13], v[56:57]
	s_nop 0
	v_min3_f32 v81, v82, v83, v135
	v_pk_add_f32 v[82:83], v[14:15], v[58:59]
	s_nop 0
	v_min_f32_e32 v82, v82, v83
	v_min3_f32 v82, v80, v82, v81
	v_lshl_add_u64 v[80:81], v[74:75], 2, v[60:61]
	global_store_dword v[80:81], v82, off
	s_or_b64 exec, exec, s[26:27]
	s_and_b64 s[34:35], s[14:15], s[18:19]
	s_and_saveexec_b64 s[26:27], s[34:35]
	s_cbranch_execz .LBB6_97
.LBB6_122:
	s_and_b64 vcc, exec, s[0:1]
	s_cbranch_vccnz .LBB6_124
; %bb.123:
	v_lshl_add_u64 v[80:81], v[76:77], 2, v[62:63]
	flat_load_dword v80, v[80:81]
	s_waitcnt vmcnt(0) lgkmcnt(0)
	v_mul_f32_e32 v80, s30, v80
	s_branch .LBB6_125
.LBB6_124:
	v_mov_b32_e32 v80, 0
.LBB6_125:
	v_pk_add_f32 v[82:83], v[8:9], v[56:57]
	s_nop 0
	v_min3_f32 v81, v82, v83, v134
	v_pk_add_f32 v[82:83], v[10:11], v[58:59]
	s_nop 0
	v_min_f32_e32 v82, v82, v83
	v_min3_f32 v82, v80, v82, v81
	v_lshl_add_u64 v[80:81], v[76:77], 2, v[60:61]
	global_store_dword v[80:81], v82, off
	s_or_b64 exec, exec, s[26:27]
	s_and_b64 s[26:27], s[16:17], s[18:19]
	s_and_saveexec_b64 s[18:19], s[26:27]
	s_cbranch_execz .LBB6_130
.LBB6_126:
	s_and_b64 vcc, exec, s[0:1]
	s_cbranch_vccnz .LBB6_128
; %bb.127:
	v_lshl_add_u64 v[62:63], v[78:79], 2, v[62:63]
	flat_load_dword v62, v[62:63]
	s_waitcnt vmcnt(0) lgkmcnt(0)
	v_mul_f32_e32 v62, s30, v62
	s_branch .LBB6_129
.LBB6_128:
	v_mov_b32_e32 v62, 0
.LBB6_129:
	v_pk_add_f32 v[56:57], v[0:1], v[56:57]
	s_nop 0
	v_min3_f32 v63, v56, v57, v133
	v_pk_add_f32 v[56:57], v[2:3], v[58:59]
	s_nop 0
	v_min_f32_e32 v56, v56, v57
	v_min3_f32 v58, v62, v56, v63
	v_lshl_add_u64 v[56:57], v[78:79], 2, v[60:61]
	global_store_dword v[56:57], v58, off
.LBB6_130:
	s_or_b64 exec, exec, s[18:19]
	v_add_u32_e32 v60, 16, v126
	v_mad_i64_i32 v[56:57], s[26:27], v60, s29, 0
	v_cmp_gt_i32_e64 s[18:19], s21, v60
	v_lshl_add_u64 v[58:59], v[56:57], 2, s[24:25]
	v_mad_i64_i32 v[56:57], s[26:27], v60, s28, 0
	v_lshl_add_u64 v[56:57], v[56:57], 2, s[22:23]
	s_and_b64 s[34:35], s[2:3], s[18:19]
	s_and_saveexec_b64 s[26:27], s[34:35]
	s_cbranch_execnz .LBB6_138
; %bb.131:
	s_or_b64 exec, exec, s[26:27]
	s_and_b64 s[34:35], s[4:5], s[18:19]
	s_and_saveexec_b64 s[26:27], s[34:35]
	s_cbranch_execnz .LBB6_142
.LBB6_132:
	s_or_b64 exec, exec, s[26:27]
	s_and_b64 s[34:35], s[6:7], s[18:19]
	s_and_saveexec_b64 s[26:27], s[34:35]
	s_cbranch_execnz .LBB6_146
.LBB6_133:
	s_or_b64 exec, exec, s[26:27]
	s_and_b64 s[34:35], s[8:9], s[18:19]
	s_and_saveexec_b64 s[26:27], s[34:35]
	s_cbranch_execnz .LBB6_150
.LBB6_134:
	s_or_b64 exec, exec, s[26:27]
	s_and_b64 s[34:35], s[10:11], s[18:19]
	s_and_saveexec_b64 s[26:27], s[34:35]
	s_cbranch_execnz .LBB6_154
.LBB6_135:
	s_or_b64 exec, exec, s[26:27]
	s_and_b64 s[34:35], s[12:13], s[18:19]
	s_and_saveexec_b64 s[26:27], s[34:35]
	s_cbranch_execnz .LBB6_158
.LBB6_136:
	s_or_b64 exec, exec, s[26:27]
	s_and_b64 s[34:35], s[14:15], s[18:19]
	s_and_saveexec_b64 s[26:27], s[34:35]
	s_cbranch_execnz .LBB6_162
.LBB6_137:
	s_or_b64 exec, exec, s[26:27]
	s_and_b64 s[26:27], s[16:17], s[18:19]
	s_and_saveexec_b64 s[18:19], s[26:27]
	s_cbranch_execnz .LBB6_166
	s_branch .LBB6_170
.LBB6_138:
	s_and_b64 vcc, exec, s[0:1]
	s_cbranch_vccnz .LBB6_140
; %bb.139:
	v_lshl_add_u64 v[60:61], v[64:65], 2, v[58:59]
	flat_load_dword v60, v[60:61]
	s_waitcnt vmcnt(0) lgkmcnt(0)
	v_mul_f32_e32 v60, s30, v60
	s_branch .LBB6_141
.LBB6_140:
	v_mov_b32_e32 v60, 0
.LBB6_141:
	v_pk_add_f32 v[62:63], v[32:33], v[52:53]
	s_nop 0
	v_min3_f32 v61, v62, v63, v132
	v_pk_add_f32 v[62:63], v[34:35], v[54:55]
	s_nop 0
	v_min_f32_e32 v62, v62, v63
	v_min3_f32 v62, v60, v62, v61
	v_lshl_add_u64 v[60:61], v[64:65], 2, v[56:57]
	global_store_dword v[60:61], v62, off
	s_or_b64 exec, exec, s[26:27]
	s_and_b64 s[34:35], s[4:5], s[18:19]
	s_and_saveexec_b64 s[26:27], s[34:35]
	s_cbranch_execz .LBB6_132
.LBB6_142:
	s_and_b64 vcc, exec, s[0:1]
	s_cbranch_vccnz .LBB6_144
; %bb.143:
	v_lshl_add_u64 v[60:61], v[66:67], 2, v[58:59]
	flat_load_dword v60, v[60:61]
	s_waitcnt vmcnt(0) lgkmcnt(0)
	v_mul_f32_e32 v60, s30, v60
	s_branch .LBB6_145
.LBB6_144:
	v_mov_b32_e32 v60, 0
.LBB6_145:
	v_pk_add_f32 v[62:63], v[28:29], v[52:53]
	s_nop 0
	v_min3_f32 v61, v62, v63, v131
	v_pk_add_f32 v[62:63], v[30:31], v[54:55]
	s_nop 0
	v_min_f32_e32 v62, v62, v63
	v_min3_f32 v62, v60, v62, v61
	v_lshl_add_u64 v[60:61], v[66:67], 2, v[56:57]
	global_store_dword v[60:61], v62, off
	s_or_b64 exec, exec, s[26:27]
	s_and_b64 s[34:35], s[6:7], s[18:19]
	s_and_saveexec_b64 s[26:27], s[34:35]
	s_cbranch_execz .LBB6_133
.LBB6_146:
	s_and_b64 vcc, exec, s[0:1]
	s_cbranch_vccnz .LBB6_148
; %bb.147:
	v_lshl_add_u64 v[60:61], v[68:69], 2, v[58:59]
	flat_load_dword v60, v[60:61]
	s_waitcnt vmcnt(0) lgkmcnt(0)
	v_mul_f32_e32 v60, s30, v60
	s_branch .LBB6_149
.LBB6_148:
	v_mov_b32_e32 v60, 0
.LBB6_149:
	v_pk_add_f32 v[62:63], v[24:25], v[52:53]
	s_nop 0
	v_min3_f32 v61, v62, v63, v130
	v_pk_add_f32 v[62:63], v[26:27], v[54:55]
	s_nop 0
	v_min_f32_e32 v62, v62, v63
	v_min3_f32 v62, v60, v62, v61
	v_lshl_add_u64 v[60:61], v[68:69], 2, v[56:57]
	global_store_dword v[60:61], v62, off
	s_or_b64 exec, exec, s[26:27]
	s_and_b64 s[34:35], s[8:9], s[18:19]
	s_and_saveexec_b64 s[26:27], s[34:35]
	s_cbranch_execz .LBB6_134
.LBB6_150:
	s_and_b64 vcc, exec, s[0:1]
	s_cbranch_vccnz .LBB6_152
; %bb.151:
	v_lshl_add_u64 v[60:61], v[70:71], 2, v[58:59]
	flat_load_dword v60, v[60:61]
	s_waitcnt vmcnt(0) lgkmcnt(0)
	v_mul_f32_e32 v60, s30, v60
	s_branch .LBB6_153
.LBB6_152:
	v_mov_b32_e32 v60, 0
.LBB6_153:
	v_pk_add_f32 v[62:63], v[20:21], v[52:53]
	s_nop 0
	v_min3_f32 v61, v62, v63, v129
	v_pk_add_f32 v[62:63], v[22:23], v[54:55]
	s_nop 0
	v_min_f32_e32 v62, v62, v63
	v_min3_f32 v62, v60, v62, v61
	v_lshl_add_u64 v[60:61], v[70:71], 2, v[56:57]
	global_store_dword v[60:61], v62, off
	s_or_b64 exec, exec, s[26:27]
	s_and_b64 s[34:35], s[10:11], s[18:19]
	s_and_saveexec_b64 s[26:27], s[34:35]
	s_cbranch_execz .LBB6_135
.LBB6_154:
	s_and_b64 vcc, exec, s[0:1]
	s_cbranch_vccnz .LBB6_156
; %bb.155:
	v_lshl_add_u64 v[60:61], v[72:73], 2, v[58:59]
	flat_load_dword v60, v[60:61]
	s_waitcnt vmcnt(0) lgkmcnt(0)
	v_mul_f32_e32 v60, s30, v60
	s_branch .LBB6_157
.LBB6_156:
	v_mov_b32_e32 v60, 0
.LBB6_157:
	v_pk_add_f32 v[62:63], v[16:17], v[52:53]
	s_nop 0
	v_min3_f32 v61, v62, v63, v128
	v_pk_add_f32 v[62:63], v[18:19], v[54:55]
	s_nop 0
	v_min_f32_e32 v62, v62, v63
	v_min3_f32 v62, v60, v62, v61
	v_lshl_add_u64 v[60:61], v[72:73], 2, v[56:57]
	global_store_dword v[60:61], v62, off
	s_or_b64 exec, exec, s[26:27]
	s_and_b64 s[34:35], s[12:13], s[18:19]
	s_and_saveexec_b64 s[26:27], s[34:35]
	s_cbranch_execz .LBB6_136
.LBB6_158:
	s_and_b64 vcc, exec, s[0:1]
	s_cbranch_vccnz .LBB6_160
; %bb.159:
	v_lshl_add_u64 v[60:61], v[74:75], 2, v[58:59]
	flat_load_dword v60, v[60:61]
	s_waitcnt vmcnt(0) lgkmcnt(0)
	v_mul_f32_e32 v60, s30, v60
	s_branch .LBB6_161
.LBB6_160:
	v_mov_b32_e32 v60, 0
.LBB6_161:
	v_pk_add_f32 v[62:63], v[12:13], v[52:53]
	s_nop 0
	v_min3_f32 v61, v62, v63, v125
	v_pk_add_f32 v[62:63], v[14:15], v[54:55]
	s_nop 0
	v_min_f32_e32 v62, v62, v63
	v_min3_f32 v62, v60, v62, v61
	v_lshl_add_u64 v[60:61], v[74:75], 2, v[56:57]
	global_store_dword v[60:61], v62, off
	s_or_b64 exec, exec, s[26:27]
	s_and_b64 s[34:35], s[14:15], s[18:19]
	s_and_saveexec_b64 s[26:27], s[34:35]
	s_cbranch_execz .LBB6_137
.LBB6_162:
	s_and_b64 vcc, exec, s[0:1]
	s_cbranch_vccnz .LBB6_164
; %bb.163:
	v_lshl_add_u64 v[60:61], v[76:77], 2, v[58:59]
	flat_load_dword v60, v[60:61]
	s_waitcnt vmcnt(0) lgkmcnt(0)
	v_mul_f32_e32 v60, s30, v60
	s_branch .LBB6_165
.LBB6_164:
	v_mov_b32_e32 v60, 0
.LBB6_165:
	v_pk_add_f32 v[62:63], v[8:9], v[52:53]
	s_nop 0
	v_min3_f32 v61, v62, v63, v123
	v_pk_add_f32 v[62:63], v[10:11], v[54:55]
	s_nop 0
	v_min_f32_e32 v62, v62, v63
	v_min3_f32 v62, v60, v62, v61
	v_lshl_add_u64 v[60:61], v[76:77], 2, v[56:57]
	global_store_dword v[60:61], v62, off
	s_or_b64 exec, exec, s[26:27]
	s_and_b64 s[26:27], s[16:17], s[18:19]
	s_and_saveexec_b64 s[18:19], s[26:27]
	s_cbranch_execz .LBB6_170
.LBB6_166:
	s_and_b64 vcc, exec, s[0:1]
	s_cbranch_vccnz .LBB6_168
; %bb.167:
	v_lshl_add_u64 v[58:59], v[78:79], 2, v[58:59]
	flat_load_dword v58, v[58:59]
	s_waitcnt vmcnt(0) lgkmcnt(0)
	v_mul_f32_e32 v58, s30, v58
	s_branch .LBB6_169
.LBB6_168:
	v_mov_b32_e32 v58, 0
.LBB6_169:
	v_pk_add_f32 v[52:53], v[0:1], v[52:53]
	s_nop 0
	v_min3_f32 v59, v52, v53, v127
	v_pk_add_f32 v[52:53], v[2:3], v[54:55]
	s_nop 0
	v_min_f32_e32 v52, v52, v53
	v_min3_f32 v54, v58, v52, v59
	v_lshl_add_u64 v[52:53], v[78:79], 2, v[56:57]
	global_store_dword v[52:53], v54, off
.LBB6_170:
	s_or_b64 exec, exec, s[18:19]
	v_add_u32_e32 v56, 24, v126
	v_mad_i64_i32 v[52:53], s[26:27], v56, s29, 0
	v_cmp_gt_i32_e64 s[18:19], s21, v56
	v_lshl_add_u64 v[54:55], v[52:53], 2, s[24:25]
	v_mad_i64_i32 v[52:53], s[26:27], v56, s28, 0
	v_lshl_add_u64 v[52:53], v[52:53], 2, s[22:23]
	s_and_b64 s[34:35], s[2:3], s[18:19]
	s_and_saveexec_b64 s[26:27], s[34:35]
	s_cbranch_execnz .LBB6_178
; %bb.171:
	s_or_b64 exec, exec, s[26:27]
	s_and_b64 s[34:35], s[4:5], s[18:19]
	s_and_saveexec_b64 s[26:27], s[34:35]
	s_cbranch_execnz .LBB6_182
.LBB6_172:
	s_or_b64 exec, exec, s[26:27]
	s_and_b64 s[34:35], s[6:7], s[18:19]
	s_and_saveexec_b64 s[26:27], s[34:35]
	s_cbranch_execnz .LBB6_186
.LBB6_173:
	s_or_b64 exec, exec, s[26:27]
	s_and_b64 s[34:35], s[8:9], s[18:19]
	s_and_saveexec_b64 s[26:27], s[34:35]
	s_cbranch_execnz .LBB6_190
.LBB6_174:
	s_or_b64 exec, exec, s[26:27]
	s_and_b64 s[34:35], s[10:11], s[18:19]
	s_and_saveexec_b64 s[26:27], s[34:35]
	s_cbranch_execnz .LBB6_194
.LBB6_175:
	s_or_b64 exec, exec, s[26:27]
	s_and_b64 s[34:35], s[12:13], s[18:19]
	s_and_saveexec_b64 s[26:27], s[34:35]
	s_cbranch_execnz .LBB6_198
.LBB6_176:
	s_or_b64 exec, exec, s[26:27]
	s_and_b64 s[34:35], s[14:15], s[18:19]
	s_and_saveexec_b64 s[26:27], s[34:35]
	s_cbranch_execnz .LBB6_202
.LBB6_177:
	s_or_b64 exec, exec, s[26:27]
	s_and_b64 s[26:27], s[16:17], s[18:19]
	s_and_saveexec_b64 s[18:19], s[26:27]
	s_cbranch_execnz .LBB6_206
	s_branch .LBB6_210
.LBB6_178:
	s_and_b64 vcc, exec, s[0:1]
	s_cbranch_vccnz .LBB6_180
; %bb.179:
	v_lshl_add_u64 v[56:57], v[64:65], 2, v[54:55]
	flat_load_dword v56, v[56:57]
	s_waitcnt vmcnt(0) lgkmcnt(0)
	v_mul_f32_e32 v56, s30, v56
	s_branch .LBB6_181
.LBB6_180:
	v_mov_b32_e32 v56, 0
.LBB6_181:
	v_pk_add_f32 v[58:59], v[32:33], v[48:49]
	s_nop 0
	v_min3_f32 v57, v58, v59, v124
	v_pk_add_f32 v[58:59], v[34:35], v[50:51]
	s_nop 0
	v_min_f32_e32 v58, v58, v59
	v_min3_f32 v58, v56, v58, v57
	v_lshl_add_u64 v[56:57], v[64:65], 2, v[52:53]
	global_store_dword v[56:57], v58, off
	s_or_b64 exec, exec, s[26:27]
	s_and_b64 s[34:35], s[4:5], s[18:19]
	s_and_saveexec_b64 s[26:27], s[34:35]
	s_cbranch_execz .LBB6_172
.LBB6_182:
	s_and_b64 vcc, exec, s[0:1]
	s_cbranch_vccnz .LBB6_184
; %bb.183:
	v_lshl_add_u64 v[56:57], v[66:67], 2, v[54:55]
	flat_load_dword v56, v[56:57]
	s_waitcnt vmcnt(0) lgkmcnt(0)
	v_mul_f32_e32 v56, s30, v56
	s_branch .LBB6_185
.LBB6_184:
	v_mov_b32_e32 v56, 0
.LBB6_185:
	v_pk_add_f32 v[58:59], v[28:29], v[48:49]
	s_nop 0
	v_min3_f32 v57, v58, v59, v122
	v_pk_add_f32 v[58:59], v[30:31], v[50:51]
	s_nop 0
	v_min_f32_e32 v58, v58, v59
	v_min3_f32 v58, v56, v58, v57
	v_lshl_add_u64 v[56:57], v[66:67], 2, v[52:53]
	global_store_dword v[56:57], v58, off
	s_or_b64 exec, exec, s[26:27]
	s_and_b64 s[34:35], s[6:7], s[18:19]
	s_and_saveexec_b64 s[26:27], s[34:35]
	s_cbranch_execz .LBB6_173
.LBB6_186:
	s_and_b64 vcc, exec, s[0:1]
	s_cbranch_vccnz .LBB6_188
; %bb.187:
	v_lshl_add_u64 v[56:57], v[68:69], 2, v[54:55]
	flat_load_dword v56, v[56:57]
	s_waitcnt vmcnt(0) lgkmcnt(0)
	v_mul_f32_e32 v56, s30, v56
	s_branch .LBB6_189
.LBB6_188:
	v_mov_b32_e32 v56, 0
.LBB6_189:
	v_pk_add_f32 v[58:59], v[24:25], v[48:49]
	s_nop 0
	v_min3_f32 v57, v58, v59, v121
	v_pk_add_f32 v[58:59], v[26:27], v[50:51]
	s_nop 0
	v_min_f32_e32 v58, v58, v59
	v_min3_f32 v58, v56, v58, v57
	v_lshl_add_u64 v[56:57], v[68:69], 2, v[52:53]
	global_store_dword v[56:57], v58, off
	s_or_b64 exec, exec, s[26:27]
	s_and_b64 s[34:35], s[8:9], s[18:19]
	s_and_saveexec_b64 s[26:27], s[34:35]
	s_cbranch_execz .LBB6_174
.LBB6_190:
	s_and_b64 vcc, exec, s[0:1]
	s_cbranch_vccnz .LBB6_192
; %bb.191:
	v_lshl_add_u64 v[56:57], v[70:71], 2, v[54:55]
	flat_load_dword v56, v[56:57]
	s_waitcnt vmcnt(0) lgkmcnt(0)
	v_mul_f32_e32 v56, s30, v56
	s_branch .LBB6_193
.LBB6_192:
	v_mov_b32_e32 v56, 0
.LBB6_193:
	v_pk_add_f32 v[58:59], v[20:21], v[48:49]
	s_nop 0
	v_min3_f32 v57, v58, v59, v120
	v_pk_add_f32 v[58:59], v[22:23], v[50:51]
	s_nop 0
	v_min_f32_e32 v58, v58, v59
	v_min3_f32 v58, v56, v58, v57
	v_lshl_add_u64 v[56:57], v[70:71], 2, v[52:53]
	global_store_dword v[56:57], v58, off
	s_or_b64 exec, exec, s[26:27]
	s_and_b64 s[34:35], s[10:11], s[18:19]
	s_and_saveexec_b64 s[26:27], s[34:35]
	s_cbranch_execz .LBB6_175
.LBB6_194:
	s_and_b64 vcc, exec, s[0:1]
	s_cbranch_vccnz .LBB6_196
; %bb.195:
	v_lshl_add_u64 v[56:57], v[72:73], 2, v[54:55]
	flat_load_dword v56, v[56:57]
	s_waitcnt vmcnt(0) lgkmcnt(0)
	v_mul_f32_e32 v56, s30, v56
	s_branch .LBB6_197
.LBB6_196:
	v_mov_b32_e32 v56, 0
.LBB6_197:
	v_pk_add_f32 v[58:59], v[16:17], v[48:49]
	s_nop 0
	v_min3_f32 v57, v58, v59, v119
	v_pk_add_f32 v[58:59], v[18:19], v[50:51]
	s_nop 0
	v_min_f32_e32 v58, v58, v59
	v_min3_f32 v58, v56, v58, v57
	v_lshl_add_u64 v[56:57], v[72:73], 2, v[52:53]
	global_store_dword v[56:57], v58, off
	s_or_b64 exec, exec, s[26:27]
	s_and_b64 s[34:35], s[12:13], s[18:19]
	s_and_saveexec_b64 s[26:27], s[34:35]
	s_cbranch_execz .LBB6_176
.LBB6_198:
	s_and_b64 vcc, exec, s[0:1]
	s_cbranch_vccnz .LBB6_200
; %bb.199:
	v_lshl_add_u64 v[56:57], v[74:75], 2, v[54:55]
	flat_load_dword v56, v[56:57]
	s_waitcnt vmcnt(0) lgkmcnt(0)
	v_mul_f32_e32 v56, s30, v56
	s_branch .LBB6_201
.LBB6_200:
	v_mov_b32_e32 v56, 0
.LBB6_201:
	v_pk_add_f32 v[58:59], v[12:13], v[48:49]
	s_nop 0
	v_min3_f32 v57, v58, v59, v118
	v_pk_add_f32 v[58:59], v[14:15], v[50:51]
	s_nop 0
	v_min_f32_e32 v58, v58, v59
	v_min3_f32 v58, v56, v58, v57
	v_lshl_add_u64 v[56:57], v[74:75], 2, v[52:53]
	global_store_dword v[56:57], v58, off
	s_or_b64 exec, exec, s[26:27]
	s_and_b64 s[34:35], s[14:15], s[18:19]
	s_and_saveexec_b64 s[26:27], s[34:35]
	s_cbranch_execz .LBB6_177
.LBB6_202:
	s_and_b64 vcc, exec, s[0:1]
	s_cbranch_vccnz .LBB6_204
; %bb.203:
	v_lshl_add_u64 v[56:57], v[76:77], 2, v[54:55]
	flat_load_dword v56, v[56:57]
	s_waitcnt vmcnt(0) lgkmcnt(0)
	v_mul_f32_e32 v56, s30, v56
	s_branch .LBB6_205
.LBB6_204:
	v_mov_b32_e32 v56, 0
.LBB6_205:
	v_pk_add_f32 v[58:59], v[8:9], v[48:49]
	s_nop 0
	v_min3_f32 v57, v58, v59, v117
	v_pk_add_f32 v[58:59], v[10:11], v[50:51]
	s_nop 0
	v_min_f32_e32 v58, v58, v59
	v_min3_f32 v58, v56, v58, v57
	v_lshl_add_u64 v[56:57], v[76:77], 2, v[52:53]
	global_store_dword v[56:57], v58, off
	s_or_b64 exec, exec, s[26:27]
	s_and_b64 s[26:27], s[16:17], s[18:19]
	s_and_saveexec_b64 s[18:19], s[26:27]
	s_cbranch_execz .LBB6_210
.LBB6_206:
	s_and_b64 vcc, exec, s[0:1]
	s_cbranch_vccnz .LBB6_208
; %bb.207:
	v_lshl_add_u64 v[54:55], v[78:79], 2, v[54:55]
	flat_load_dword v54, v[54:55]
	s_waitcnt vmcnt(0) lgkmcnt(0)
	v_mul_f32_e32 v54, s30, v54
	s_branch .LBB6_209
.LBB6_208:
	v_mov_b32_e32 v54, 0
.LBB6_209:
	v_pk_add_f32 v[48:49], v[0:1], v[48:49]
	s_nop 0
	v_min3_f32 v55, v48, v49, v116
	v_pk_add_f32 v[48:49], v[2:3], v[50:51]
	s_nop 0
	v_min_f32_e32 v48, v48, v49
	v_min3_f32 v50, v54, v48, v55
	v_lshl_add_u64 v[48:49], v[78:79], 2, v[52:53]
	global_store_dword v[48:49], v50, off
.LBB6_210:
	s_or_b64 exec, exec, s[18:19]
	v_add_u32_e32 v52, 32, v126
	v_mad_i64_i32 v[48:49], s[26:27], v52, s29, 0
	v_cmp_gt_i32_e64 s[18:19], s21, v52
	v_lshl_add_u64 v[50:51], v[48:49], 2, s[24:25]
	v_mad_i64_i32 v[48:49], s[26:27], v52, s28, 0
	v_lshl_add_u64 v[48:49], v[48:49], 2, s[22:23]
	s_and_b64 s[34:35], s[2:3], s[18:19]
	s_and_saveexec_b64 s[26:27], s[34:35]
	s_cbranch_execnz .LBB6_218
; %bb.211:
	s_or_b64 exec, exec, s[26:27]
	s_and_b64 s[34:35], s[4:5], s[18:19]
	s_and_saveexec_b64 s[26:27], s[34:35]
	s_cbranch_execnz .LBB6_222
.LBB6_212:
	s_or_b64 exec, exec, s[26:27]
	s_and_b64 s[34:35], s[6:7], s[18:19]
	s_and_saveexec_b64 s[26:27], s[34:35]
	s_cbranch_execnz .LBB6_226
.LBB6_213:
	s_or_b64 exec, exec, s[26:27]
	s_and_b64 s[34:35], s[8:9], s[18:19]
	s_and_saveexec_b64 s[26:27], s[34:35]
	s_cbranch_execnz .LBB6_230
.LBB6_214:
	s_or_b64 exec, exec, s[26:27]
	s_and_b64 s[34:35], s[10:11], s[18:19]
	s_and_saveexec_b64 s[26:27], s[34:35]
	s_cbranch_execnz .LBB6_234
.LBB6_215:
	s_or_b64 exec, exec, s[26:27]
	s_and_b64 s[34:35], s[12:13], s[18:19]
	s_and_saveexec_b64 s[26:27], s[34:35]
	s_cbranch_execnz .LBB6_238
.LBB6_216:
	s_or_b64 exec, exec, s[26:27]
	s_and_b64 s[34:35], s[14:15], s[18:19]
	s_and_saveexec_b64 s[26:27], s[34:35]
	s_cbranch_execnz .LBB6_242
.LBB6_217:
	s_or_b64 exec, exec, s[26:27]
	s_and_b64 s[26:27], s[16:17], s[18:19]
	s_and_saveexec_b64 s[18:19], s[26:27]
	s_cbranch_execnz .LBB6_246
	s_branch .LBB6_250
.LBB6_218:
	s_and_b64 vcc, exec, s[0:1]
	s_cbranch_vccnz .LBB6_220
; %bb.219:
	v_lshl_add_u64 v[52:53], v[64:65], 2, v[50:51]
	flat_load_dword v52, v[52:53]
	s_waitcnt vmcnt(0) lgkmcnt(0)
	v_mul_f32_e32 v52, s30, v52
	s_branch .LBB6_221
.LBB6_220:
	v_mov_b32_e32 v52, 0
.LBB6_221:
	v_pk_add_f32 v[54:55], v[32:33], v[44:45]
	s_nop 0
	v_min3_f32 v53, v54, v55, v115
	v_pk_add_f32 v[54:55], v[34:35], v[46:47]
	s_nop 0
	v_min_f32_e32 v54, v54, v55
	v_min3_f32 v54, v52, v54, v53
	v_lshl_add_u64 v[52:53], v[64:65], 2, v[48:49]
	global_store_dword v[52:53], v54, off
	s_or_b64 exec, exec, s[26:27]
	s_and_b64 s[34:35], s[4:5], s[18:19]
	s_and_saveexec_b64 s[26:27], s[34:35]
	s_cbranch_execz .LBB6_212
.LBB6_222:
	s_and_b64 vcc, exec, s[0:1]
	s_cbranch_vccnz .LBB6_224
; %bb.223:
	v_lshl_add_u64 v[52:53], v[66:67], 2, v[50:51]
	flat_load_dword v52, v[52:53]
	s_waitcnt vmcnt(0) lgkmcnt(0)
	v_mul_f32_e32 v52, s30, v52
	s_branch .LBB6_225
.LBB6_224:
	v_mov_b32_e32 v52, 0
.LBB6_225:
	v_pk_add_f32 v[54:55], v[28:29], v[44:45]
	s_nop 0
	v_min3_f32 v53, v54, v55, v114
	v_pk_add_f32 v[54:55], v[30:31], v[46:47]
	s_nop 0
	v_min_f32_e32 v54, v54, v55
	v_min3_f32 v54, v52, v54, v53
	v_lshl_add_u64 v[52:53], v[66:67], 2, v[48:49]
	global_store_dword v[52:53], v54, off
	s_or_b64 exec, exec, s[26:27]
	s_and_b64 s[34:35], s[6:7], s[18:19]
	s_and_saveexec_b64 s[26:27], s[34:35]
	s_cbranch_execz .LBB6_213
.LBB6_226:
	s_and_b64 vcc, exec, s[0:1]
	s_cbranch_vccnz .LBB6_228
; %bb.227:
	v_lshl_add_u64 v[52:53], v[68:69], 2, v[50:51]
	flat_load_dword v52, v[52:53]
	s_waitcnt vmcnt(0) lgkmcnt(0)
	v_mul_f32_e32 v52, s30, v52
	s_branch .LBB6_229
.LBB6_228:
	v_mov_b32_e32 v52, 0
.LBB6_229:
	v_pk_add_f32 v[54:55], v[24:25], v[44:45]
	s_nop 0
	v_min3_f32 v53, v54, v55, v113
	v_pk_add_f32 v[54:55], v[26:27], v[46:47]
	s_nop 0
	v_min_f32_e32 v54, v54, v55
	v_min3_f32 v54, v52, v54, v53
	v_lshl_add_u64 v[52:53], v[68:69], 2, v[48:49]
	global_store_dword v[52:53], v54, off
	s_or_b64 exec, exec, s[26:27]
	s_and_b64 s[34:35], s[8:9], s[18:19]
	s_and_saveexec_b64 s[26:27], s[34:35]
	s_cbranch_execz .LBB6_214
.LBB6_230:
	s_and_b64 vcc, exec, s[0:1]
	s_cbranch_vccnz .LBB6_232
; %bb.231:
	v_lshl_add_u64 v[52:53], v[70:71], 2, v[50:51]
	flat_load_dword v52, v[52:53]
	s_waitcnt vmcnt(0) lgkmcnt(0)
	v_mul_f32_e32 v52, s30, v52
	s_branch .LBB6_233
.LBB6_232:
	v_mov_b32_e32 v52, 0
.LBB6_233:
	v_pk_add_f32 v[54:55], v[20:21], v[44:45]
	s_nop 0
	v_min3_f32 v53, v54, v55, v112
	v_pk_add_f32 v[54:55], v[22:23], v[46:47]
	s_nop 0
	v_min_f32_e32 v54, v54, v55
	v_min3_f32 v54, v52, v54, v53
	v_lshl_add_u64 v[52:53], v[70:71], 2, v[48:49]
	global_store_dword v[52:53], v54, off
	s_or_b64 exec, exec, s[26:27]
	s_and_b64 s[34:35], s[10:11], s[18:19]
	s_and_saveexec_b64 s[26:27], s[34:35]
	s_cbranch_execz .LBB6_215
.LBB6_234:
	s_and_b64 vcc, exec, s[0:1]
	s_cbranch_vccnz .LBB6_236
; %bb.235:
	v_lshl_add_u64 v[52:53], v[72:73], 2, v[50:51]
	flat_load_dword v52, v[52:53]
	s_waitcnt vmcnt(0) lgkmcnt(0)
	v_mul_f32_e32 v52, s30, v52
	s_branch .LBB6_237
.LBB6_236:
	v_mov_b32_e32 v52, 0
.LBB6_237:
	v_pk_add_f32 v[54:55], v[16:17], v[44:45]
	s_nop 0
	v_min3_f32 v53, v54, v55, v111
	v_pk_add_f32 v[54:55], v[18:19], v[46:47]
	s_nop 0
	v_min_f32_e32 v54, v54, v55
	v_min3_f32 v54, v52, v54, v53
	v_lshl_add_u64 v[52:53], v[72:73], 2, v[48:49]
	global_store_dword v[52:53], v54, off
	s_or_b64 exec, exec, s[26:27]
	s_and_b64 s[34:35], s[12:13], s[18:19]
	s_and_saveexec_b64 s[26:27], s[34:35]
	s_cbranch_execz .LBB6_216
.LBB6_238:
	s_and_b64 vcc, exec, s[0:1]
	s_cbranch_vccnz .LBB6_240
; %bb.239:
	v_lshl_add_u64 v[52:53], v[74:75], 2, v[50:51]
	flat_load_dword v52, v[52:53]
	s_waitcnt vmcnt(0) lgkmcnt(0)
	v_mul_f32_e32 v52, s30, v52
	s_branch .LBB6_241
.LBB6_240:
	v_mov_b32_e32 v52, 0
.LBB6_241:
	v_pk_add_f32 v[54:55], v[12:13], v[44:45]
	s_nop 0
	v_min3_f32 v53, v54, v55, v110
	v_pk_add_f32 v[54:55], v[14:15], v[46:47]
	s_nop 0
	v_min_f32_e32 v54, v54, v55
	v_min3_f32 v54, v52, v54, v53
	v_lshl_add_u64 v[52:53], v[74:75], 2, v[48:49]
	global_store_dword v[52:53], v54, off
	s_or_b64 exec, exec, s[26:27]
	s_and_b64 s[34:35], s[14:15], s[18:19]
	s_and_saveexec_b64 s[26:27], s[34:35]
	s_cbranch_execz .LBB6_217
.LBB6_242:
	s_and_b64 vcc, exec, s[0:1]
	s_cbranch_vccnz .LBB6_244
; %bb.243:
	v_lshl_add_u64 v[52:53], v[76:77], 2, v[50:51]
	flat_load_dword v52, v[52:53]
	s_waitcnt vmcnt(0) lgkmcnt(0)
	v_mul_f32_e32 v52, s30, v52
	s_branch .LBB6_245
.LBB6_244:
	v_mov_b32_e32 v52, 0
.LBB6_245:
	v_pk_add_f32 v[54:55], v[8:9], v[44:45]
	s_nop 0
	v_min3_f32 v53, v54, v55, v109
	v_pk_add_f32 v[54:55], v[10:11], v[46:47]
	s_nop 0
	v_min_f32_e32 v54, v54, v55
	v_min3_f32 v54, v52, v54, v53
	v_lshl_add_u64 v[52:53], v[76:77], 2, v[48:49]
	global_store_dword v[52:53], v54, off
	s_or_b64 exec, exec, s[26:27]
	s_and_b64 s[26:27], s[16:17], s[18:19]
	s_and_saveexec_b64 s[18:19], s[26:27]
	s_cbranch_execz .LBB6_250
.LBB6_246:
	s_and_b64 vcc, exec, s[0:1]
	s_cbranch_vccnz .LBB6_248
; %bb.247:
	v_lshl_add_u64 v[50:51], v[78:79], 2, v[50:51]
	flat_load_dword v50, v[50:51]
	s_waitcnt vmcnt(0) lgkmcnt(0)
	v_mul_f32_e32 v50, s30, v50
	s_branch .LBB6_249
.LBB6_248:
	v_mov_b32_e32 v50, 0
.LBB6_249:
	v_pk_add_f32 v[44:45], v[0:1], v[44:45]
	s_nop 0
	v_min3_f32 v51, v44, v45, v108
	v_pk_add_f32 v[44:45], v[2:3], v[46:47]
	s_nop 0
	v_min_f32_e32 v44, v44, v45
	v_min3_f32 v46, v50, v44, v51
	v_lshl_add_u64 v[44:45], v[78:79], 2, v[48:49]
	global_store_dword v[44:45], v46, off
.LBB6_250:
	s_or_b64 exec, exec, s[18:19]
	v_add_u32_e32 v48, 40, v126
	v_mad_i64_i32 v[44:45], s[26:27], v48, s29, 0
	v_cmp_gt_i32_e64 s[18:19], s21, v48
	v_lshl_add_u64 v[46:47], v[44:45], 2, s[24:25]
	v_mad_i64_i32 v[44:45], s[26:27], v48, s28, 0
	v_lshl_add_u64 v[44:45], v[44:45], 2, s[22:23]
	s_and_b64 s[34:35], s[2:3], s[18:19]
	s_and_saveexec_b64 s[26:27], s[34:35]
	s_cbranch_execnz .LBB6_258
; %bb.251:
	s_or_b64 exec, exec, s[26:27]
	s_and_b64 s[34:35], s[4:5], s[18:19]
	s_and_saveexec_b64 s[26:27], s[34:35]
	s_cbranch_execnz .LBB6_262
.LBB6_252:
	s_or_b64 exec, exec, s[26:27]
	s_and_b64 s[34:35], s[6:7], s[18:19]
	s_and_saveexec_b64 s[26:27], s[34:35]
	s_cbranch_execnz .LBB6_266
.LBB6_253:
	s_or_b64 exec, exec, s[26:27]
	s_and_b64 s[34:35], s[8:9], s[18:19]
	s_and_saveexec_b64 s[26:27], s[34:35]
	s_cbranch_execnz .LBB6_270
.LBB6_254:
	s_or_b64 exec, exec, s[26:27]
	s_and_b64 s[34:35], s[10:11], s[18:19]
	s_and_saveexec_b64 s[26:27], s[34:35]
	s_cbranch_execnz .LBB6_274
.LBB6_255:
	s_or_b64 exec, exec, s[26:27]
	s_and_b64 s[34:35], s[12:13], s[18:19]
	s_and_saveexec_b64 s[26:27], s[34:35]
	s_cbranch_execnz .LBB6_278
.LBB6_256:
	s_or_b64 exec, exec, s[26:27]
	s_and_b64 s[34:35], s[14:15], s[18:19]
	s_and_saveexec_b64 s[26:27], s[34:35]
	s_cbranch_execnz .LBB6_282
.LBB6_257:
	s_or_b64 exec, exec, s[26:27]
	s_and_b64 s[26:27], s[16:17], s[18:19]
	s_and_saveexec_b64 s[18:19], s[26:27]
	s_cbranch_execnz .LBB6_286
	s_branch .LBB6_290
.LBB6_258:
	s_and_b64 vcc, exec, s[0:1]
	s_cbranch_vccnz .LBB6_260
; %bb.259:
	v_lshl_add_u64 v[48:49], v[64:65], 2, v[46:47]
	flat_load_dword v48, v[48:49]
	s_waitcnt vmcnt(0) lgkmcnt(0)
	v_mul_f32_e32 v48, s30, v48
	s_branch .LBB6_261
.LBB6_260:
	v_mov_b32_e32 v48, 0
.LBB6_261:
	v_pk_add_f32 v[50:51], v[32:33], v[40:41]
	s_nop 0
	v_min3_f32 v49, v50, v51, v107
	v_pk_add_f32 v[50:51], v[34:35], v[42:43]
	s_nop 0
	v_min_f32_e32 v50, v50, v51
	v_min3_f32 v50, v48, v50, v49
	v_lshl_add_u64 v[48:49], v[64:65], 2, v[44:45]
	global_store_dword v[48:49], v50, off
	s_or_b64 exec, exec, s[26:27]
	s_and_b64 s[34:35], s[4:5], s[18:19]
	s_and_saveexec_b64 s[26:27], s[34:35]
	s_cbranch_execz .LBB6_252
.LBB6_262:
	s_and_b64 vcc, exec, s[0:1]
	s_cbranch_vccnz .LBB6_264
; %bb.263:
	v_lshl_add_u64 v[48:49], v[66:67], 2, v[46:47]
	flat_load_dword v48, v[48:49]
	s_waitcnt vmcnt(0) lgkmcnt(0)
	v_mul_f32_e32 v48, s30, v48
	s_branch .LBB6_265
.LBB6_264:
	v_mov_b32_e32 v48, 0
.LBB6_265:
	v_pk_add_f32 v[50:51], v[28:29], v[40:41]
	s_nop 0
	v_min3_f32 v49, v50, v51, v106
	v_pk_add_f32 v[50:51], v[30:31], v[42:43]
	s_nop 0
	v_min_f32_e32 v50, v50, v51
	v_min3_f32 v50, v48, v50, v49
	v_lshl_add_u64 v[48:49], v[66:67], 2, v[44:45]
	global_store_dword v[48:49], v50, off
	s_or_b64 exec, exec, s[26:27]
	s_and_b64 s[34:35], s[6:7], s[18:19]
	s_and_saveexec_b64 s[26:27], s[34:35]
	s_cbranch_execz .LBB6_253
.LBB6_266:
	s_and_b64 vcc, exec, s[0:1]
	s_cbranch_vccnz .LBB6_268
; %bb.267:
	v_lshl_add_u64 v[48:49], v[68:69], 2, v[46:47]
	flat_load_dword v48, v[48:49]
	s_waitcnt vmcnt(0) lgkmcnt(0)
	v_mul_f32_e32 v48, s30, v48
	s_branch .LBB6_269
.LBB6_268:
	v_mov_b32_e32 v48, 0
.LBB6_269:
	v_pk_add_f32 v[50:51], v[24:25], v[40:41]
	s_nop 0
	v_min3_f32 v49, v50, v51, v105
	v_pk_add_f32 v[50:51], v[26:27], v[42:43]
	s_nop 0
	v_min_f32_e32 v50, v50, v51
	v_min3_f32 v50, v48, v50, v49
	v_lshl_add_u64 v[48:49], v[68:69], 2, v[44:45]
	global_store_dword v[48:49], v50, off
	s_or_b64 exec, exec, s[26:27]
	s_and_b64 s[34:35], s[8:9], s[18:19]
	s_and_saveexec_b64 s[26:27], s[34:35]
	s_cbranch_execz .LBB6_254
.LBB6_270:
	s_and_b64 vcc, exec, s[0:1]
	s_cbranch_vccnz .LBB6_272
; %bb.271:
	v_lshl_add_u64 v[48:49], v[70:71], 2, v[46:47]
	flat_load_dword v48, v[48:49]
	s_waitcnt vmcnt(0) lgkmcnt(0)
	v_mul_f32_e32 v48, s30, v48
	s_branch .LBB6_273
.LBB6_272:
	v_mov_b32_e32 v48, 0
.LBB6_273:
	v_pk_add_f32 v[50:51], v[20:21], v[40:41]
	s_nop 0
	v_min3_f32 v49, v50, v51, v104
	v_pk_add_f32 v[50:51], v[22:23], v[42:43]
	s_nop 0
	v_min_f32_e32 v50, v50, v51
	v_min3_f32 v50, v48, v50, v49
	v_lshl_add_u64 v[48:49], v[70:71], 2, v[44:45]
	global_store_dword v[48:49], v50, off
	s_or_b64 exec, exec, s[26:27]
	s_and_b64 s[34:35], s[10:11], s[18:19]
	s_and_saveexec_b64 s[26:27], s[34:35]
	s_cbranch_execz .LBB6_255
.LBB6_274:
	s_and_b64 vcc, exec, s[0:1]
	s_cbranch_vccnz .LBB6_276
; %bb.275:
	v_lshl_add_u64 v[48:49], v[72:73], 2, v[46:47]
	flat_load_dword v48, v[48:49]
	s_waitcnt vmcnt(0) lgkmcnt(0)
	v_mul_f32_e32 v48, s30, v48
	s_branch .LBB6_277
.LBB6_276:
	v_mov_b32_e32 v48, 0
.LBB6_277:
	v_pk_add_f32 v[50:51], v[16:17], v[40:41]
	s_nop 0
	v_min3_f32 v49, v50, v51, v103
	v_pk_add_f32 v[50:51], v[18:19], v[42:43]
	s_nop 0
	v_min_f32_e32 v50, v50, v51
	v_min3_f32 v50, v48, v50, v49
	v_lshl_add_u64 v[48:49], v[72:73], 2, v[44:45]
	global_store_dword v[48:49], v50, off
	s_or_b64 exec, exec, s[26:27]
	s_and_b64 s[34:35], s[12:13], s[18:19]
	s_and_saveexec_b64 s[26:27], s[34:35]
	s_cbranch_execz .LBB6_256
.LBB6_278:
	s_and_b64 vcc, exec, s[0:1]
	s_cbranch_vccnz .LBB6_280
; %bb.279:
	v_lshl_add_u64 v[48:49], v[74:75], 2, v[46:47]
	flat_load_dword v48, v[48:49]
	s_waitcnt vmcnt(0) lgkmcnt(0)
	v_mul_f32_e32 v48, s30, v48
	s_branch .LBB6_281
.LBB6_280:
	v_mov_b32_e32 v48, 0
.LBB6_281:
	v_pk_add_f32 v[50:51], v[12:13], v[40:41]
	s_nop 0
	v_min3_f32 v49, v50, v51, v102
	v_pk_add_f32 v[50:51], v[14:15], v[42:43]
	s_nop 0
	v_min_f32_e32 v50, v50, v51
	v_min3_f32 v50, v48, v50, v49
	v_lshl_add_u64 v[48:49], v[74:75], 2, v[44:45]
	global_store_dword v[48:49], v50, off
	s_or_b64 exec, exec, s[26:27]
	s_and_b64 s[34:35], s[14:15], s[18:19]
	s_and_saveexec_b64 s[26:27], s[34:35]
	s_cbranch_execz .LBB6_257
.LBB6_282:
	s_and_b64 vcc, exec, s[0:1]
	s_cbranch_vccnz .LBB6_284
; %bb.283:
	v_lshl_add_u64 v[48:49], v[76:77], 2, v[46:47]
	flat_load_dword v48, v[48:49]
	s_waitcnt vmcnt(0) lgkmcnt(0)
	v_mul_f32_e32 v48, s30, v48
	s_branch .LBB6_285
.LBB6_284:
	v_mov_b32_e32 v48, 0
.LBB6_285:
	v_pk_add_f32 v[50:51], v[8:9], v[40:41]
	s_nop 0
	v_min3_f32 v49, v50, v51, v101
	v_pk_add_f32 v[50:51], v[10:11], v[42:43]
	s_nop 0
	v_min_f32_e32 v50, v50, v51
	v_min3_f32 v50, v48, v50, v49
	v_lshl_add_u64 v[48:49], v[76:77], 2, v[44:45]
	global_store_dword v[48:49], v50, off
	s_or_b64 exec, exec, s[26:27]
	s_and_b64 s[26:27], s[16:17], s[18:19]
	s_and_saveexec_b64 s[18:19], s[26:27]
	s_cbranch_execz .LBB6_290
.LBB6_286:
	s_and_b64 vcc, exec, s[0:1]
	s_cbranch_vccnz .LBB6_288
; %bb.287:
	v_lshl_add_u64 v[46:47], v[78:79], 2, v[46:47]
	flat_load_dword v46, v[46:47]
	s_waitcnt vmcnt(0) lgkmcnt(0)
	v_mul_f32_e32 v46, s30, v46
	s_branch .LBB6_289
.LBB6_288:
	v_mov_b32_e32 v46, 0
.LBB6_289:
	v_pk_add_f32 v[40:41], v[0:1], v[40:41]
	s_nop 0
	v_min3_f32 v47, v40, v41, v100
	v_pk_add_f32 v[40:41], v[2:3], v[42:43]
	s_nop 0
	v_min_f32_e32 v40, v40, v41
	v_min3_f32 v42, v46, v40, v47
	v_lshl_add_u64 v[40:41], v[78:79], 2, v[44:45]
	global_store_dword v[40:41], v42, off
.LBB6_290:
	s_or_b64 exec, exec, s[18:19]
	v_add_u32_e32 v44, 48, v126
	v_mad_i64_i32 v[40:41], s[26:27], v44, s29, 0
	v_cmp_gt_i32_e64 s[18:19], s21, v44
	v_lshl_add_u64 v[42:43], v[40:41], 2, s[24:25]
	v_mad_i64_i32 v[40:41], s[26:27], v44, s28, 0
	v_lshl_add_u64 v[40:41], v[40:41], 2, s[22:23]
	s_and_b64 s[34:35], s[2:3], s[18:19]
	s_and_saveexec_b64 s[26:27], s[34:35]
	s_cbranch_execnz .LBB6_298
; %bb.291:
	s_or_b64 exec, exec, s[26:27]
	s_and_b64 s[34:35], s[4:5], s[18:19]
	s_and_saveexec_b64 s[26:27], s[34:35]
	s_cbranch_execnz .LBB6_302
.LBB6_292:
	s_or_b64 exec, exec, s[26:27]
	s_and_b64 s[34:35], s[6:7], s[18:19]
	s_and_saveexec_b64 s[26:27], s[34:35]
	s_cbranch_execnz .LBB6_306
.LBB6_293:
	s_or_b64 exec, exec, s[26:27]
	s_and_b64 s[34:35], s[8:9], s[18:19]
	s_and_saveexec_b64 s[26:27], s[34:35]
	s_cbranch_execnz .LBB6_310
.LBB6_294:
	s_or_b64 exec, exec, s[26:27]
	s_and_b64 s[34:35], s[10:11], s[18:19]
	s_and_saveexec_b64 s[26:27], s[34:35]
	s_cbranch_execnz .LBB6_314
.LBB6_295:
	s_or_b64 exec, exec, s[26:27]
	s_and_b64 s[34:35], s[12:13], s[18:19]
	s_and_saveexec_b64 s[26:27], s[34:35]
	s_cbranch_execnz .LBB6_318
.LBB6_296:
	s_or_b64 exec, exec, s[26:27]
	s_and_b64 s[34:35], s[14:15], s[18:19]
	s_and_saveexec_b64 s[26:27], s[34:35]
	s_cbranch_execnz .LBB6_322
.LBB6_297:
	s_or_b64 exec, exec, s[26:27]
	s_and_b64 s[26:27], s[16:17], s[18:19]
	s_and_saveexec_b64 s[18:19], s[26:27]
	s_cbranch_execnz .LBB6_326
	s_branch .LBB6_330
.LBB6_298:
	s_and_b64 vcc, exec, s[0:1]
	s_cbranch_vccnz .LBB6_300
; %bb.299:
	v_lshl_add_u64 v[44:45], v[64:65], 2, v[42:43]
	flat_load_dword v44, v[44:45]
	s_waitcnt vmcnt(0) lgkmcnt(0)
	v_mul_f32_e32 v44, s30, v44
	s_branch .LBB6_301
.LBB6_300:
	v_mov_b32_e32 v44, 0
.LBB6_301:
	v_pk_add_f32 v[46:47], v[32:33], v[36:37]
	s_nop 0
	v_min3_f32 v45, v46, v47, v99
	v_pk_add_f32 v[46:47], v[34:35], v[38:39]
	s_nop 0
	v_min_f32_e32 v46, v46, v47
	v_min3_f32 v46, v44, v46, v45
	v_lshl_add_u64 v[44:45], v[64:65], 2, v[40:41]
	global_store_dword v[44:45], v46, off
	s_or_b64 exec, exec, s[26:27]
	s_and_b64 s[34:35], s[4:5], s[18:19]
	s_and_saveexec_b64 s[26:27], s[34:35]
	s_cbranch_execz .LBB6_292
.LBB6_302:
	s_and_b64 vcc, exec, s[0:1]
	s_cbranch_vccnz .LBB6_304
; %bb.303:
	v_lshl_add_u64 v[44:45], v[66:67], 2, v[42:43]
	flat_load_dword v44, v[44:45]
	s_waitcnt vmcnt(0) lgkmcnt(0)
	v_mul_f32_e32 v44, s30, v44
	s_branch .LBB6_305
.LBB6_304:
	v_mov_b32_e32 v44, 0
.LBB6_305:
	v_pk_add_f32 v[46:47], v[28:29], v[36:37]
	s_nop 0
	v_min3_f32 v45, v46, v47, v98
	v_pk_add_f32 v[46:47], v[30:31], v[38:39]
	s_nop 0
	v_min_f32_e32 v46, v46, v47
	v_min3_f32 v46, v44, v46, v45
	v_lshl_add_u64 v[44:45], v[66:67], 2, v[40:41]
	global_store_dword v[44:45], v46, off
	s_or_b64 exec, exec, s[26:27]
	s_and_b64 s[34:35], s[6:7], s[18:19]
	s_and_saveexec_b64 s[26:27], s[34:35]
	s_cbranch_execz .LBB6_293
.LBB6_306:
	s_and_b64 vcc, exec, s[0:1]
	s_cbranch_vccnz .LBB6_308
; %bb.307:
	v_lshl_add_u64 v[44:45], v[68:69], 2, v[42:43]
	flat_load_dword v44, v[44:45]
	s_waitcnt vmcnt(0) lgkmcnt(0)
	v_mul_f32_e32 v44, s30, v44
	s_branch .LBB6_309
.LBB6_308:
	v_mov_b32_e32 v44, 0
.LBB6_309:
	v_pk_add_f32 v[46:47], v[24:25], v[36:37]
	s_nop 0
	v_min3_f32 v45, v46, v47, v97
	v_pk_add_f32 v[46:47], v[26:27], v[38:39]
	s_nop 0
	v_min_f32_e32 v46, v46, v47
	v_min3_f32 v46, v44, v46, v45
	v_lshl_add_u64 v[44:45], v[68:69], 2, v[40:41]
	global_store_dword v[44:45], v46, off
	s_or_b64 exec, exec, s[26:27]
	s_and_b64 s[34:35], s[8:9], s[18:19]
	s_and_saveexec_b64 s[26:27], s[34:35]
	s_cbranch_execz .LBB6_294
.LBB6_310:
	s_and_b64 vcc, exec, s[0:1]
	s_cbranch_vccnz .LBB6_312
; %bb.311:
	v_lshl_add_u64 v[44:45], v[70:71], 2, v[42:43]
	flat_load_dword v44, v[44:45]
	s_waitcnt vmcnt(0) lgkmcnt(0)
	v_mul_f32_e32 v44, s30, v44
	s_branch .LBB6_313
.LBB6_312:
	v_mov_b32_e32 v44, 0
.LBB6_313:
	v_pk_add_f32 v[46:47], v[20:21], v[36:37]
	s_nop 0
	v_min3_f32 v45, v46, v47, v96
	v_pk_add_f32 v[46:47], v[22:23], v[38:39]
	s_nop 0
	v_min_f32_e32 v46, v46, v47
	v_min3_f32 v46, v44, v46, v45
	v_lshl_add_u64 v[44:45], v[70:71], 2, v[40:41]
	global_store_dword v[44:45], v46, off
	s_or_b64 exec, exec, s[26:27]
	s_and_b64 s[34:35], s[10:11], s[18:19]
	s_and_saveexec_b64 s[26:27], s[34:35]
	s_cbranch_execz .LBB6_295
.LBB6_314:
	s_and_b64 vcc, exec, s[0:1]
	s_cbranch_vccnz .LBB6_316
; %bb.315:
	v_lshl_add_u64 v[44:45], v[72:73], 2, v[42:43]
	flat_load_dword v44, v[44:45]
	s_waitcnt vmcnt(0) lgkmcnt(0)
	v_mul_f32_e32 v44, s30, v44
	s_branch .LBB6_317
.LBB6_316:
	v_mov_b32_e32 v44, 0
.LBB6_317:
	v_pk_add_f32 v[46:47], v[16:17], v[36:37]
	s_nop 0
	v_min3_f32 v45, v46, v47, v95
	v_pk_add_f32 v[46:47], v[18:19], v[38:39]
	s_nop 0
	v_min_f32_e32 v46, v46, v47
	v_min3_f32 v46, v44, v46, v45
	v_lshl_add_u64 v[44:45], v[72:73], 2, v[40:41]
	global_store_dword v[44:45], v46, off
	s_or_b64 exec, exec, s[26:27]
	s_and_b64 s[34:35], s[12:13], s[18:19]
	s_and_saveexec_b64 s[26:27], s[34:35]
	s_cbranch_execz .LBB6_296
.LBB6_318:
	s_and_b64 vcc, exec, s[0:1]
	s_cbranch_vccnz .LBB6_320
; %bb.319:
	v_lshl_add_u64 v[44:45], v[74:75], 2, v[42:43]
	flat_load_dword v44, v[44:45]
	s_waitcnt vmcnt(0) lgkmcnt(0)
	v_mul_f32_e32 v44, s30, v44
	s_branch .LBB6_321
.LBB6_320:
	v_mov_b32_e32 v44, 0
.LBB6_321:
	v_pk_add_f32 v[46:47], v[12:13], v[36:37]
	s_nop 0
	v_min3_f32 v45, v46, v47, v94
	v_pk_add_f32 v[46:47], v[14:15], v[38:39]
	s_nop 0
	v_min_f32_e32 v46, v46, v47
	v_min3_f32 v46, v44, v46, v45
	v_lshl_add_u64 v[44:45], v[74:75], 2, v[40:41]
	global_store_dword v[44:45], v46, off
	s_or_b64 exec, exec, s[26:27]
	s_and_b64 s[34:35], s[14:15], s[18:19]
	s_and_saveexec_b64 s[26:27], s[34:35]
	s_cbranch_execz .LBB6_297
.LBB6_322:
	s_and_b64 vcc, exec, s[0:1]
	s_cbranch_vccnz .LBB6_324
; %bb.323:
	v_lshl_add_u64 v[44:45], v[76:77], 2, v[42:43]
	flat_load_dword v44, v[44:45]
	s_waitcnt vmcnt(0) lgkmcnt(0)
	v_mul_f32_e32 v44, s30, v44
	s_branch .LBB6_325
.LBB6_324:
	v_mov_b32_e32 v44, 0
.LBB6_325:
	v_pk_add_f32 v[46:47], v[8:9], v[36:37]
	s_nop 0
	v_min3_f32 v45, v46, v47, v93
	v_pk_add_f32 v[46:47], v[10:11], v[38:39]
	s_nop 0
	v_min_f32_e32 v46, v46, v47
	v_min3_f32 v46, v44, v46, v45
	v_lshl_add_u64 v[44:45], v[76:77], 2, v[40:41]
	global_store_dword v[44:45], v46, off
	s_or_b64 exec, exec, s[26:27]
	s_and_b64 s[26:27], s[16:17], s[18:19]
	s_and_saveexec_b64 s[18:19], s[26:27]
	s_cbranch_execz .LBB6_330
.LBB6_326:
	s_and_b64 vcc, exec, s[0:1]
	s_cbranch_vccnz .LBB6_328
; %bb.327:
	v_lshl_add_u64 v[42:43], v[78:79], 2, v[42:43]
	flat_load_dword v42, v[42:43]
	s_waitcnt vmcnt(0) lgkmcnt(0)
	v_mul_f32_e32 v42, s30, v42
	s_branch .LBB6_329
.LBB6_328:
	v_mov_b32_e32 v42, 0
.LBB6_329:
	v_pk_add_f32 v[36:37], v[0:1], v[36:37]
	s_nop 0
	v_min3_f32 v43, v36, v37, v92
	v_pk_add_f32 v[36:37], v[2:3], v[38:39]
	s_nop 0
	v_min_f32_e32 v36, v36, v37
	v_min3_f32 v38, v42, v36, v43
	v_lshl_add_u64 v[36:37], v[78:79], 2, v[40:41]
	global_store_dword v[36:37], v38, off
.LBB6_330:
	s_or_b64 exec, exec, s[18:19]
	v_add_u32_e32 v40, 56, v126
	v_cmp_gt_i32_e64 s[18:19], s21, v40
	v_mad_i64_i32 v[36:37], s[20:21], v40, s29, 0
	v_lshl_add_u64 v[38:39], v[36:37], 2, s[24:25]
	v_mad_i64_i32 v[36:37], s[20:21], v40, s28, 0
	v_lshl_add_u64 v[36:37], v[36:37], 2, s[22:23]
	s_and_b64 s[20:21], s[2:3], s[18:19]
	s_and_saveexec_b64 s[2:3], s[20:21]
	s_cbranch_execnz .LBB6_339
; %bb.331:
	s_or_b64 exec, exec, s[2:3]
	s_and_b64 s[4:5], s[4:5], s[18:19]
	s_and_saveexec_b64 s[2:3], s[4:5]
	s_cbranch_execnz .LBB6_343
.LBB6_332:
	s_or_b64 exec, exec, s[2:3]
	s_and_b64 s[4:5], s[6:7], s[18:19]
	s_and_saveexec_b64 s[2:3], s[4:5]
	s_cbranch_execnz .LBB6_347
.LBB6_333:
	s_or_b64 exec, exec, s[2:3]
	s_and_b64 s[4:5], s[8:9], s[18:19]
	s_and_saveexec_b64 s[2:3], s[4:5]
	s_cbranch_execnz .LBB6_351
.LBB6_334:
	s_or_b64 exec, exec, s[2:3]
	s_and_b64 s[4:5], s[10:11], s[18:19]
	s_and_saveexec_b64 s[2:3], s[4:5]
	s_cbranch_execnz .LBB6_355
.LBB6_335:
	s_or_b64 exec, exec, s[2:3]
	s_and_b64 s[4:5], s[12:13], s[18:19]
	s_and_saveexec_b64 s[2:3], s[4:5]
	s_cbranch_execnz .LBB6_359
.LBB6_336:
	s_or_b64 exec, exec, s[2:3]
	s_and_b64 s[4:5], s[14:15], s[18:19]
	s_and_saveexec_b64 s[2:3], s[4:5]
	s_cbranch_execnz .LBB6_363
.LBB6_337:
	s_or_b64 exec, exec, s[2:3]
	s_and_b64 s[2:3], s[16:17], s[18:19]
	s_and_saveexec_b64 s[4:5], s[2:3]
	s_cbranch_execnz .LBB6_367
.LBB6_338:
	s_endpgm
.LBB6_339:
	s_and_b64 vcc, exec, s[0:1]
	s_cbranch_vccnz .LBB6_341
; %bb.340:
	v_lshl_add_u64 v[40:41], v[64:65], 2, v[38:39]
	flat_load_dword v40, v[40:41]
	s_waitcnt vmcnt(0) lgkmcnt(0)
	v_mul_f32_e32 v40, s30, v40
	s_branch .LBB6_342
.LBB6_341:
	v_mov_b32_e32 v40, 0
.LBB6_342:
	v_pk_add_f32 v[32:33], v[32:33], v[4:5]
	s_nop 0
	v_min3_f32 v41, v32, v33, v91
	v_pk_add_f32 v[32:33], v[34:35], v[6:7]
	s_nop 0
	v_min_f32_e32 v32, v32, v33
	v_min3_f32 v34, v40, v32, v41
	v_lshl_add_u64 v[32:33], v[64:65], 2, v[36:37]
	global_store_dword v[32:33], v34, off
	s_or_b64 exec, exec, s[2:3]
	s_and_b64 s[4:5], s[4:5], s[18:19]
	s_and_saveexec_b64 s[2:3], s[4:5]
	s_cbranch_execz .LBB6_332
.LBB6_343:
	s_and_b64 vcc, exec, s[0:1]
	s_cbranch_vccnz .LBB6_345
; %bb.344:
	v_lshl_add_u64 v[32:33], v[66:67], 2, v[38:39]
	flat_load_dword v32, v[32:33]
	s_waitcnt vmcnt(0) lgkmcnt(0)
	v_mul_f32_e32 v32, s30, v32
	s_branch .LBB6_346
.LBB6_345:
	v_mov_b32_e32 v32, 0
.LBB6_346:
	v_pk_add_f32 v[28:29], v[28:29], v[4:5]
	s_nop 0
	v_min3_f32 v33, v28, v29, v90
	v_pk_add_f32 v[28:29], v[30:31], v[6:7]
	s_nop 0
	v_min_f32_e32 v28, v28, v29
	v_min3_f32 v30, v32, v28, v33
	v_lshl_add_u64 v[28:29], v[66:67], 2, v[36:37]
	global_store_dword v[28:29], v30, off
	s_or_b64 exec, exec, s[2:3]
	s_and_b64 s[4:5], s[6:7], s[18:19]
	s_and_saveexec_b64 s[2:3], s[4:5]
	s_cbranch_execz .LBB6_333
.LBB6_347:
	s_and_b64 vcc, exec, s[0:1]
	s_cbranch_vccnz .LBB6_349
; %bb.348:
	v_lshl_add_u64 v[28:29], v[68:69], 2, v[38:39]
	flat_load_dword v28, v[28:29]
	s_waitcnt vmcnt(0) lgkmcnt(0)
	v_mul_f32_e32 v28, s30, v28
	s_branch .LBB6_350
.LBB6_349:
	v_mov_b32_e32 v28, 0
.LBB6_350:
	v_pk_add_f32 v[24:25], v[24:25], v[4:5]
	s_nop 0
	v_min3_f32 v29, v24, v25, v89
	v_pk_add_f32 v[24:25], v[26:27], v[6:7]
	s_nop 0
	v_min_f32_e32 v24, v24, v25
	v_min3_f32 v26, v28, v24, v29
	v_lshl_add_u64 v[24:25], v[68:69], 2, v[36:37]
	global_store_dword v[24:25], v26, off
	s_or_b64 exec, exec, s[2:3]
	s_and_b64 s[4:5], s[8:9], s[18:19]
	s_and_saveexec_b64 s[2:3], s[4:5]
	s_cbranch_execz .LBB6_334
.LBB6_351:
	s_and_b64 vcc, exec, s[0:1]
	s_cbranch_vccnz .LBB6_353
; %bb.352:
	v_lshl_add_u64 v[24:25], v[70:71], 2, v[38:39]
	flat_load_dword v24, v[24:25]
	s_waitcnt vmcnt(0) lgkmcnt(0)
	v_mul_f32_e32 v24, s30, v24
	s_branch .LBB6_354
.LBB6_353:
	v_mov_b32_e32 v24, 0
.LBB6_354:
	v_pk_add_f32 v[20:21], v[20:21], v[4:5]
	s_nop 0
	v_min3_f32 v25, v20, v21, v87
	v_pk_add_f32 v[20:21], v[22:23], v[6:7]
	s_nop 0
	v_min_f32_e32 v20, v20, v21
	v_min3_f32 v22, v24, v20, v25
	v_lshl_add_u64 v[20:21], v[70:71], 2, v[36:37]
	global_store_dword v[20:21], v22, off
	s_or_b64 exec, exec, s[2:3]
	s_and_b64 s[4:5], s[10:11], s[18:19]
	s_and_saveexec_b64 s[2:3], s[4:5]
	s_cbranch_execz .LBB6_335
.LBB6_355:
	s_and_b64 vcc, exec, s[0:1]
	s_cbranch_vccnz .LBB6_357
; %bb.356:
	v_lshl_add_u64 v[20:21], v[72:73], 2, v[38:39]
	flat_load_dword v20, v[20:21]
	s_waitcnt vmcnt(0) lgkmcnt(0)
	v_mul_f32_e32 v20, s30, v20
	s_branch .LBB6_358
.LBB6_357:
	v_mov_b32_e32 v20, 0
.LBB6_358:
	v_pk_add_f32 v[16:17], v[16:17], v[4:5]
	s_nop 0
	v_min3_f32 v21, v16, v17, v86
	v_pk_add_f32 v[16:17], v[18:19], v[6:7]
	s_nop 0
	v_min_f32_e32 v16, v16, v17
	v_min3_f32 v18, v20, v16, v21
	v_lshl_add_u64 v[16:17], v[72:73], 2, v[36:37]
	global_store_dword v[16:17], v18, off
	s_or_b64 exec, exec, s[2:3]
	s_and_b64 s[4:5], s[12:13], s[18:19]
	s_and_saveexec_b64 s[2:3], s[4:5]
	s_cbranch_execz .LBB6_336
.LBB6_359:
	s_and_b64 vcc, exec, s[0:1]
	s_cbranch_vccnz .LBB6_361
; %bb.360:
	v_lshl_add_u64 v[16:17], v[74:75], 2, v[38:39]
	flat_load_dword v16, v[16:17]
	s_waitcnt vmcnt(0) lgkmcnt(0)
	v_mul_f32_e32 v16, s30, v16
	s_branch .LBB6_362
.LBB6_361:
	v_mov_b32_e32 v16, 0
.LBB6_362:
	v_pk_add_f32 v[12:13], v[12:13], v[4:5]
	s_nop 0
	v_min3_f32 v17, v12, v13, v85
	v_pk_add_f32 v[12:13], v[14:15], v[6:7]
	s_nop 0
	v_min_f32_e32 v12, v12, v13
	v_min3_f32 v14, v16, v12, v17
	v_lshl_add_u64 v[12:13], v[74:75], 2, v[36:37]
	global_store_dword v[12:13], v14, off
	s_or_b64 exec, exec, s[2:3]
	s_and_b64 s[4:5], s[14:15], s[18:19]
	s_and_saveexec_b64 s[2:3], s[4:5]
	s_cbranch_execz .LBB6_337
.LBB6_363:
	s_and_b64 vcc, exec, s[0:1]
	s_cbranch_vccnz .LBB6_365
; %bb.364:
	v_lshl_add_u64 v[12:13], v[76:77], 2, v[38:39]
	flat_load_dword v12, v[12:13]
	s_waitcnt vmcnt(0) lgkmcnt(0)
	v_mul_f32_e32 v12, s30, v12
	s_branch .LBB6_366
.LBB6_365:
	v_mov_b32_e32 v12, 0
.LBB6_366:
	v_pk_add_f32 v[8:9], v[8:9], v[4:5]
	s_nop 0
	v_min3_f32 v13, v8, v9, v84
	v_pk_add_f32 v[8:9], v[10:11], v[6:7]
	s_nop 0
	v_min_f32_e32 v8, v8, v9
	v_min3_f32 v10, v12, v8, v13
	v_lshl_add_u64 v[8:9], v[76:77], 2, v[36:37]
	global_store_dword v[8:9], v10, off
	s_or_b64 exec, exec, s[2:3]
	s_and_b64 s[2:3], s[16:17], s[18:19]
	s_and_saveexec_b64 s[4:5], s[2:3]
	s_cbranch_execz .LBB6_338
.LBB6_367:
	s_and_b64 vcc, exec, s[0:1]
	s_cbranch_vccnz .LBB6_369
; %bb.368:
	v_lshl_add_u64 v[8:9], v[78:79], 2, v[38:39]
	flat_load_dword v8, v[8:9]
	s_waitcnt vmcnt(0) lgkmcnt(0)
	v_mul_f32_e32 v8, s30, v8
	s_branch .LBB6_370
.LBB6_369:
	v_mov_b32_e32 v8, 0
.LBB6_370:
	v_pk_add_f32 v[0:1], v[0:1], v[4:5]
	s_nop 0
	v_min3_f32 v4, v0, v1, v88
	v_pk_add_f32 v[0:1], v[2:3], v[6:7]
	s_nop 0
	v_min_f32_e32 v0, v0, v1
	v_min3_f32 v2, v8, v0, v4
	v_lshl_add_u64 v[0:1], v[78:79], 2, v[36:37]
	global_store_dword v[0:1], v2, off
	s_endpgm
	.section	.rodata,"a",@progbits
	.p2align	6, 0x0
	.amdhsa_kernel _ZN12_GLOBAL__N_120geam_min_plus_kernelIf15HIP_vector_typeIfLj2EEfLi32ELi8ELi256ELi64ELi4ELi64ELi4ELi4ELi64ELc78ELc78ELb0ELb1ELb1EPKfKS4_KPfEEviiiT16_PT17_ilSA_ilS8_SA_ilPT18_ili26rocblas_geam_ex_operation_
		.amdhsa_group_segment_fixed_size 10240
		.amdhsa_private_segment_fixed_size 0
		.amdhsa_kernarg_size 136
		.amdhsa_user_sgpr_count 2
		.amdhsa_user_sgpr_dispatch_ptr 0
		.amdhsa_user_sgpr_queue_ptr 0
		.amdhsa_user_sgpr_kernarg_segment_ptr 1
		.amdhsa_user_sgpr_dispatch_id 0
		.amdhsa_user_sgpr_kernarg_preload_length 0
		.amdhsa_user_sgpr_kernarg_preload_offset 0
		.amdhsa_user_sgpr_private_segment_size 0
		.amdhsa_uses_dynamic_stack 0
		.amdhsa_enable_private_segment 0
		.amdhsa_system_sgpr_workgroup_id_x 1
		.amdhsa_system_sgpr_workgroup_id_y 0
		.amdhsa_system_sgpr_workgroup_id_z 1
		.amdhsa_system_sgpr_workgroup_info 0
		.amdhsa_system_vgpr_workitem_id 1
		.amdhsa_next_free_vgpr 172
		.amdhsa_next_free_sgpr 40
		.amdhsa_accum_offset 172
		.amdhsa_reserve_vcc 1
		.amdhsa_float_round_mode_32 0
		.amdhsa_float_round_mode_16_64 0
		.amdhsa_float_denorm_mode_32 3
		.amdhsa_float_denorm_mode_16_64 3
		.amdhsa_dx10_clamp 1
		.amdhsa_ieee_mode 1
		.amdhsa_fp16_overflow 0
		.amdhsa_tg_split 0
		.amdhsa_exception_fp_ieee_invalid_op 0
		.amdhsa_exception_fp_denorm_src 0
		.amdhsa_exception_fp_ieee_div_zero 0
		.amdhsa_exception_fp_ieee_overflow 0
		.amdhsa_exception_fp_ieee_underflow 0
		.amdhsa_exception_fp_ieee_inexact 0
		.amdhsa_exception_int_div_zero 0
	.end_amdhsa_kernel
	.section	.text._ZN12_GLOBAL__N_120geam_min_plus_kernelIf15HIP_vector_typeIfLj2EEfLi32ELi8ELi256ELi64ELi4ELi64ELi4ELi4ELi64ELc78ELc78ELb0ELb1ELb1EPKfKS4_KPfEEviiiT16_PT17_ilSA_ilS8_SA_ilPT18_ili26rocblas_geam_ex_operation_,"axG",@progbits,_ZN12_GLOBAL__N_120geam_min_plus_kernelIf15HIP_vector_typeIfLj2EEfLi32ELi8ELi256ELi64ELi4ELi64ELi4ELi4ELi64ELc78ELc78ELb0ELb1ELb1EPKfKS4_KPfEEviiiT16_PT17_ilSA_ilS8_SA_ilPT18_ili26rocblas_geam_ex_operation_,comdat
.Lfunc_end6:
	.size	_ZN12_GLOBAL__N_120geam_min_plus_kernelIf15HIP_vector_typeIfLj2EEfLi32ELi8ELi256ELi64ELi4ELi64ELi4ELi4ELi64ELc78ELc78ELb0ELb1ELb1EPKfKS4_KPfEEviiiT16_PT17_ilSA_ilS8_SA_ilPT18_ili26rocblas_geam_ex_operation_, .Lfunc_end6-_ZN12_GLOBAL__N_120geam_min_plus_kernelIf15HIP_vector_typeIfLj2EEfLi32ELi8ELi256ELi64ELi4ELi64ELi4ELi4ELi64ELc78ELc78ELb0ELb1ELb1EPKfKS4_KPfEEviiiT16_PT17_ilSA_ilS8_SA_ilPT18_ili26rocblas_geam_ex_operation_
                                        ; -- End function
	.section	.AMDGPU.csdata,"",@progbits
; Kernel info:
; codeLenInByte = 18752
; NumSgprs: 46
; NumVgprs: 172
; NumAgprs: 0
; TotalNumVgprs: 172
; ScratchSize: 0
; MemoryBound: 0
; FloatMode: 240
; IeeeMode: 1
; LDSByteSize: 10240 bytes/workgroup (compile time only)
; SGPRBlocks: 5
; VGPRBlocks: 21
; NumSGPRsForWavesPerEU: 46
; NumVGPRsForWavesPerEU: 172
; AccumOffset: 172
; Occupancy: 2
; WaveLimiterHint : 1
; COMPUTE_PGM_RSRC2:SCRATCH_EN: 0
; COMPUTE_PGM_RSRC2:USER_SGPR: 2
; COMPUTE_PGM_RSRC2:TRAP_HANDLER: 0
; COMPUTE_PGM_RSRC2:TGID_X_EN: 1
; COMPUTE_PGM_RSRC2:TGID_Y_EN: 0
; COMPUTE_PGM_RSRC2:TGID_Z_EN: 1
; COMPUTE_PGM_RSRC2:TIDIG_COMP_CNT: 1
; COMPUTE_PGM_RSRC3_GFX90A:ACCUM_OFFSET: 42
; COMPUTE_PGM_RSRC3_GFX90A:TG_SPLIT: 0
	.section	.text._ZN12_GLOBAL__N_120geam_min_plus_kernelIf15HIP_vector_typeIfLj2EEfLi32ELi8ELi256ELi64ELi4ELi64ELi4ELi4ELi64ELc78ELc78ELb1ELb1ELb1EfKPKfKPfEEviiiT16_PT17_ilSA_ilS8_SA_ilPT18_ili26rocblas_geam_ex_operation_,"axG",@progbits,_ZN12_GLOBAL__N_120geam_min_plus_kernelIf15HIP_vector_typeIfLj2EEfLi32ELi8ELi256ELi64ELi4ELi64ELi4ELi4ELi64ELc78ELc78ELb1ELb1ELb1EfKPKfKPfEEviiiT16_PT17_ilSA_ilS8_SA_ilPT18_ili26rocblas_geam_ex_operation_,comdat
	.globl	_ZN12_GLOBAL__N_120geam_min_plus_kernelIf15HIP_vector_typeIfLj2EEfLi32ELi8ELi256ELi64ELi4ELi64ELi4ELi4ELi64ELc78ELc78ELb1ELb1ELb1EfKPKfKPfEEviiiT16_PT17_ilSA_ilS8_SA_ilPT18_ili26rocblas_geam_ex_operation_ ; -- Begin function _ZN12_GLOBAL__N_120geam_min_plus_kernelIf15HIP_vector_typeIfLj2EEfLi32ELi8ELi256ELi64ELi4ELi64ELi4ELi4ELi64ELc78ELc78ELb1ELb1ELb1EfKPKfKPfEEviiiT16_PT17_ilSA_ilS8_SA_ilPT18_ili26rocblas_geam_ex_operation_
	.p2align	8
	.type	_ZN12_GLOBAL__N_120geam_min_plus_kernelIf15HIP_vector_typeIfLj2EEfLi32ELi8ELi256ELi64ELi4ELi64ELi4ELi4ELi64ELc78ELc78ELb1ELb1ELb1EfKPKfKPfEEviiiT16_PT17_ilSA_ilS8_SA_ilPT18_ili26rocblas_geam_ex_operation_,@function
_ZN12_GLOBAL__N_120geam_min_plus_kernelIf15HIP_vector_typeIfLj2EEfLi32ELi8ELi256ELi64ELi4ELi64ELi4ELi4ELi64ELc78ELc78ELb1ELb1ELb1EfKPKfKPfEEviiiT16_PT17_ilSA_ilS8_SA_ilPT18_ili26rocblas_geam_ex_operation_: ; @_ZN12_GLOBAL__N_120geam_min_plus_kernelIf15HIP_vector_typeIfLj2EEfLi32ELi8ELi256ELi64ELi4ELi64ELi4ELi4ELi64ELc78ELc78ELb1ELb1ELb1EfKPKfKPfEEviiiT16_PT17_ilSA_ilS8_SA_ilPT18_ili26rocblas_geam_ex_operation_
; %bb.0:
	s_load_dwordx4 s[20:23], s[0:1], 0x0
	s_load_dwordx4 s[4:7], s[0:1], 0x20
	s_mov_b32 s8, s3
	s_mov_b32 s9, 0
	s_waitcnt lgkmcnt(0)
	v_cmp_eq_f32_e64 s[10:11], s23, 0
	s_and_b64 vcc, exec, s[10:11]
	s_cbranch_vccnz .LBB7_3
; %bb.1:
	s_load_dwordx2 s[12:13], s[0:1], 0x10
	s_lshl_b64 s[14:15], s[8:9], 3
	s_waitcnt lgkmcnt(0)
	s_add_u32 s12, s12, s14
	s_addc_u32 s13, s13, s15
	s_load_dwordx2 s[12:13], s[12:13], 0x0
	s_lshl_b64 s[4:5], s[4:5], 2
	s_waitcnt lgkmcnt(0)
	s_add_u32 s16, s12, s4
	s_addc_u32 s17, s13, s5
	s_andn2_b64 vcc, exec, s[10:11]
	s_cbranch_vccnz .LBB7_4
.LBB7_2:
	s_mov_b64 s[18:19], 0
	s_cbranch_execz .LBB7_5
	s_branch .LBB7_6
.LBB7_3:
	s_mov_b64 s[16:17], 0
	s_andn2_b64 vcc, exec, s[10:11]
	s_cbranch_vccz .LBB7_2
.LBB7_4:
                                        ; implicit-def: $sgpr18_sgpr19
.LBB7_5:
	s_lshl_b64 s[10:11], s[8:9], 3
	s_add_u32 s6, s6, s10
	s_load_dwordx2 s[4:5], s[0:1], 0x38
	s_addc_u32 s7, s7, s11
	s_load_dwordx2 s[6:7], s[6:7], 0x0
	s_waitcnt lgkmcnt(0)
	s_lshl_b64 s[4:5], s[4:5], 2
	s_add_u32 s18, s6, s4
	s_addc_u32 s19, s7, s5
.LBB7_6:
	s_load_dword s30, s[0:1], 0x40
	s_load_dwordx4 s[4:7], s[0:1], 0x58
	s_waitcnt lgkmcnt(0)
	v_cmp_eq_f32_e64 s[10:11], s30, 0
	v_cmp_neq_f32_e64 s[12:13], s30, 0
	s_and_b64 vcc, exec, s[10:11]
	s_cbranch_vccnz .LBB7_8
; %bb.7:
	s_load_dwordx2 s[10:11], s[0:1], 0x48
	s_lshl_b64 s[14:15], s[8:9], 3
	s_waitcnt lgkmcnt(0)
	s_add_u32 s10, s10, s14
	s_addc_u32 s11, s11, s15
	s_load_dwordx2 s[10:11], s[10:11], 0x0
	s_lshl_b64 s[4:5], s[4:5], 2
	s_waitcnt lgkmcnt(0)
	s_add_u32 s24, s10, s4
	s_addc_u32 s25, s11, s5
	s_branch .LBB7_9
.LBB7_8:
	s_mov_b64 s[24:25], 0
.LBB7_9:
	s_lshl_b64 s[4:5], s[8:9], 3
	s_add_u32 s4, s6, s4
	s_addc_u32 s5, s7, s5
	s_add_i32 s3, s20, -1
	s_ashr_i32 s6, s3, 31
	s_lshr_b32 s6, s6, 24
	s_add_i32 s3, s3, s6
	s_ashr_i32 s3, s3, 8
	s_add_i32 s6, s3, 1
	v_cvt_f32_u32_e32 v1, s6
	v_and_b32_e32 v74, 0x3ff, v0
	v_bfe_u32 v75, v0, 10, 10
	s_load_dwordx2 s[14:15], s[4:5], 0x0
	v_rcp_iflag_f32_e32 v1, v1
	s_not_b32 s3, s3
	s_load_dword s26, s[0:1], 0x18
	v_lshl_add_u32 v7, v75, 5, v74
	v_mul_f32_e32 v0, 0x4f7ffffe, v1
	v_cvt_u32_f32_e32 v0, v0
	v_and_b32_e32 v2, 63, v7
	v_lshrrev_b32_e32 v77, 6, v7
	v_cmp_le_i32_e64 s[8:9], s22, v77
	v_readfirstlane_b32 s4, v0
	s_mul_i32 s3, s3, s4
	s_mul_hi_u32 s3, s4, s3
	s_add_i32 s4, s4, s3
	s_mul_hi_u32 s3, s2, s4
	s_mul_i32 s4, s3, s6
	s_sub_i32 s4, s2, s4
	s_add_i32 s5, s3, 1
	s_sub_i32 s7, s4, s6
	s_cmp_ge_u32 s4, s6
	s_cselect_b32 s3, s5, s3
	s_cselect_b32 s4, s7, s4
	s_add_i32 s5, s3, 1
	s_cmp_ge_u32 s4, s6
	s_cselect_b32 s10, s5, s3
	s_mul_i32 s3, s10, s6
	s_sub_i32 s2, s2, s3
	s_lshl_b32 s31, s2, 8
	v_or_b32_e32 v56, s31, v2
	s_waitcnt lgkmcnt(0)
	v_mad_i64_i32 v[0:1], s[2:3], s26, v77, 0
	v_cmp_le_i32_e32 vcc, s20, v56
	s_or_b64 s[2:3], s[8:9], vcc
	v_lshl_add_u64 v[0:1], v[0:1], 2, s[16:17]
	s_xor_b64 s[4:5], s[2:3], -1
	v_mov_b32_e32 v3, 0x7f7fffff
	v_ashrrev_i32_e32 v57, 31, v56
	v_mov_b32_e32 v4, 0x7f7fffff
	s_and_saveexec_b64 s[2:3], s[4:5]
	s_cbranch_execz .LBB7_11
; %bb.10:
	v_lshl_add_u64 v[4:5], v[56:57], 2, v[0:1]
	flat_load_dword v4, v[4:5]
.LBB7_11:
	s_or_b64 exec, exec, s[2:3]
	v_or_b32_e32 v5, 64, v56
	v_cmp_le_i32_e64 s[2:3], s20, v5
	s_or_b64 s[4:5], s[8:9], s[2:3]
	s_xor_b64 s[6:7], s[4:5], -1
	s_and_saveexec_b64 s[4:5], s[6:7]
	s_cbranch_execz .LBB7_13
; %bb.12:
	v_lshl_add_u64 v[8:9], v[56:57], 2, v[0:1]
	flat_load_dword v3, v[8:9] offset:256
.LBB7_13:
	s_or_b64 exec, exec, s[4:5]
	v_or_b32_e32 v5, 0x80, v56
	v_cmp_le_i32_e64 s[4:5], s20, v5
	s_or_b64 s[6:7], s[8:9], s[4:5]
	s_ashr_i32 s27, s26, 31
	s_xor_b64 s[28:29], s[6:7], -1
	v_mov_b32_e32 v5, 0x7f7fffff
	v_mov_b32_e32 v6, 0x7f7fffff
	s_and_saveexec_b64 s[6:7], s[28:29]
	s_cbranch_execz .LBB7_15
; %bb.14:
	v_lshl_add_u64 v[8:9], v[56:57], 2, v[0:1]
	flat_load_dword v6, v[8:9] offset:512
.LBB7_15:
	s_or_b64 exec, exec, s[6:7]
	v_or_b32_e32 v8, 0xc0, v56
	v_cmp_le_i32_e64 s[6:7], s20, v8
	s_or_b64 s[8:9], s[8:9], s[6:7]
	s_xor_b64 s[28:29], s[8:9], -1
	s_and_saveexec_b64 s[8:9], s[28:29]
	s_cbranch_execz .LBB7_17
; %bb.16:
	v_lshl_add_u64 v[0:1], v[56:57], 2, v[0:1]
	flat_load_dword v5, v[0:1] offset:768
.LBB7_17:
	s_or_b64 exec, exec, s[8:9]
	s_load_dword s34, s[0:1], 0x30
	v_lshrrev_b32_e32 v7, 2, v7
	s_lshl_b32 s33, s10, 6
	v_add_u32_e32 v60, s33, v7
	v_and_b32_e32 v79, 3, v74
	v_cmp_le_i32_e64 s[10:11], s21, v60
	v_cmp_gt_i32_e64 s[8:9], s22, v79
	s_xor_b64 s[10:11], s[10:11], -1
	s_and_b64 s[28:29], s[8:9], s[10:11]
	v_mov_b32_e32 v61, 0x7f7fffff
	v_lshlrev_b32_e32 v58, 2, v79
	v_mov_b32_e32 v8, 0x7f7fffff
	s_and_saveexec_b64 s[8:9], s[28:29]
	s_cbranch_execz .LBB7_19
; %bb.18:
	s_waitcnt lgkmcnt(0)
	v_mad_i64_i32 v[0:1], s[28:29], v60, s34, 0
	v_lshl_add_u64 v[0:1], v[0:1], 2, s[18:19]
	v_mov_b32_e32 v59, 0
	v_lshl_add_u64 v[0:1], v[0:1], 0, v[58:59]
	flat_load_dword v8, v[0:1]
.LBB7_19:
	s_or_b64 exec, exec, s[8:9]
	v_add_u32_e32 v0, 4, v77
	v_cmp_le_i32_e64 s[8:9], s22, v0
	v_mad_i64_i32 v[0:1], s[28:29], s26, v0, 0
	s_or_b64 s[28:29], vcc, s[8:9]
	v_lshl_add_u64 v[0:1], v[0:1], 2, s[16:17]
	s_xor_b64 s[36:37], s[28:29], -1
	s_and_saveexec_b64 s[28:29], s[36:37]
	s_cbranch_execz .LBB7_21
; %bb.20:
	v_lshl_add_u64 v[10:11], v[56:57], 2, v[0:1]
	flat_load_dword v61, v[10:11]
.LBB7_21:
	s_or_b64 exec, exec, s[28:29]
	s_or_b64 s[28:29], s[2:3], s[8:9]
	s_xor_b64 s[36:37], s[28:29], -1
	v_mov_b32_e32 v62, 0x7f7fffff
	v_mov_b32_e32 v63, 0x7f7fffff
	s_and_saveexec_b64 s[28:29], s[36:37]
	s_cbranch_execz .LBB7_23
; %bb.22:
	v_lshl_add_u64 v[10:11], v[56:57], 2, v[0:1]
	flat_load_dword v63, v[10:11] offset:256
.LBB7_23:
	s_or_b64 exec, exec, s[28:29]
	s_or_b64 s[28:29], s[4:5], s[8:9]
	s_xor_b64 s[36:37], s[28:29], -1
	s_and_saveexec_b64 s[28:29], s[36:37]
	s_cbranch_execz .LBB7_25
; %bb.24:
	v_lshl_add_u64 v[10:11], v[56:57], 2, v[0:1]
	flat_load_dword v62, v[10:11] offset:512
.LBB7_25:
	s_or_b64 exec, exec, s[28:29]
	s_or_b64 s[8:9], s[6:7], s[8:9]
	s_xor_b64 s[28:29], s[8:9], -1
	v_mov_b32_e32 v59, 0x7f7fffff
	v_mov_b32_e32 v64, 0x7f7fffff
	s_and_saveexec_b64 s[8:9], s[28:29]
	s_cbranch_execz .LBB7_27
; %bb.26:
	v_lshl_add_u64 v[0:1], v[56:57], 2, v[0:1]
	flat_load_dword v64, v[0:1] offset:768
.LBB7_27:
	s_or_b64 exec, exec, s[8:9]
	v_or_b32_e32 v0, 4, v79
	v_cmp_gt_i32_e64 s[8:9], s22, v0
	s_and_b64 s[28:29], s[8:9], s[10:11]
	s_and_saveexec_b64 s[8:9], s[28:29]
	s_cbranch_execz .LBB7_29
; %bb.28:
	s_waitcnt lgkmcnt(0)
	v_mad_i64_i32 v[0:1], s[28:29], v60, s34, 0
	v_lshl_add_u64 v[0:1], v[0:1], 2, s[18:19]
	v_mov_b32_e32 v59, 0
	v_lshl_add_u64 v[0:1], v[0:1], 0, v[58:59]
	flat_load_dword v59, v[0:1] offset:16
.LBB7_29:
	s_or_b64 exec, exec, s[8:9]
	v_lshlrev_b32_e32 v0, 2, v77
	v_lshl_add_u32 v80, v2, 4, v0
	v_lshl_or_b32 v65, v7, 4, v58
	v_lshlrev_b32_e32 v76, 4, v74
	v_lshlrev_b32_e32 v78, 4, v75
	s_waitcnt vmcnt(0) lgkmcnt(0)
	ds_write2st64_b32 v80, v4, v3 offset1:4
	ds_write2st64_b32 v80, v6, v5 offset0:8 offset1:12
	ds_write_b32 v65, v8 offset:8192
	s_waitcnt lgkmcnt(0)
	s_barrier
	ds_read_b128 v[12:15], v76
	ds_read_b128 v[20:23], v76 offset:512
	ds_read_b128 v[24:27], v76 offset:1024
	;; [unrolled: 1-line block ×13, first 2 shown]
	s_waitcnt lgkmcnt(5)
	v_pk_add_f32 v[66:67], v[12:13], v[52:53]
	s_mov_b32 s8, 0x7f7fffff
	v_min3_f32 v68, v66, v67, s8
	v_pk_add_f32 v[66:67], v[20:21], v[52:53]
	s_cmp_lt_i32 s22, 9
	v_min3_f32 v69, v66, v67, s8
	v_pk_add_f32 v[66:67], v[24:25], v[52:53]
	s_nop 0
	v_min3_f32 v70, v66, v67, s8
	v_pk_add_f32 v[66:67], v[28:29], v[52:53]
	s_nop 0
	v_min3_f32 v71, v66, v67, s8
	v_pk_add_f32 v[66:67], v[16:17], v[52:53]
	s_nop 0
	v_min3_f32 v72, v66, v67, s8
	v_pk_add_f32 v[66:67], v[8:9], v[52:53]
	s_nop 0
	v_min3_f32 v73, v66, v67, s8
	v_pk_add_f32 v[66:67], v[4:5], v[52:53]
	v_pk_add_f32 v[52:53], v[0:1], v[52:53]
	v_min3_f32 v66, v66, v67, s8
	v_min3_f32 v67, v52, v53, s8
	s_waitcnt lgkmcnt(4)
	v_pk_add_f32 v[52:53], v[12:13], v[48:49]
	s_nop 0
	v_min3_f32 v81, v52, v53, s8
	v_pk_add_f32 v[52:53], v[20:21], v[48:49]
	s_nop 0
	v_min3_f32 v82, v52, v53, s8
	v_pk_add_f32 v[52:53], v[24:25], v[48:49]
	s_nop 0
	v_min3_f32 v83, v52, v53, s8
	v_pk_add_f32 v[52:53], v[28:29], v[48:49]
	s_nop 0
	v_min3_f32 v84, v52, v53, s8
	v_pk_add_f32 v[52:53], v[16:17], v[48:49]
	s_nop 0
	v_min3_f32 v85, v52, v53, s8
	v_pk_add_f32 v[52:53], v[8:9], v[48:49]
	s_nop 0
	v_min3_f32 v86, v52, v53, s8
	v_pk_add_f32 v[52:53], v[4:5], v[48:49]
	v_pk_add_f32 v[48:49], v[0:1], v[48:49]
	v_min3_f32 v52, v52, v53, s8
	v_min3_f32 v87, v48, v49, s8
	s_waitcnt lgkmcnt(3)
	v_pk_add_f32 v[48:49], v[12:13], v[44:45]
	s_nop 0
	v_min3_f32 v88, v48, v49, s8
	v_pk_add_f32 v[48:49], v[20:21], v[44:45]
	s_nop 0
	;; [unrolled: 23-line block ×5, first 2 shown]
	v_min3_f32 v149, v36, v37, s8
	v_pk_add_f32 v[36:37], v[24:25], v[32:33]
	s_nop 0
	v_min3_f32 v150, v36, v37, s8
	v_pk_add_f32 v[36:37], v[28:29], v[32:33]
	s_nop 0
	;; [unrolled: 3-line block ×11, first 2 shown]
	v_min3_f32 v66, v36, v37, s8
	v_pk_add_f32 v[36:37], v[4:5], v[32:33]
	v_pk_add_f32 v[32:33], v[0:1], v[32:33]
	v_min3_f32 v68, v36, v37, s8
	v_pk_add_f32 v[36:37], v[2:3], v[54:55]
	s_nop 0
	v_min3_f32 v141, v36, v37, v67
	v_pk_add_f32 v[36:37], v[14:15], v[50:51]
	v_min3_f32 v67, v32, v33, s8
	v_min3_f32 v140, v36, v37, v81
	v_pk_add_f32 v[36:37], v[22:23], v[50:51]
	s_nop 0
	v_min3_f32 v139, v36, v37, v82
	v_pk_add_f32 v[36:37], v[26:27], v[50:51]
	s_nop 0
	;; [unrolled: 3-line block ×6, first 2 shown]
	v_min3_f32 v131, v36, v37, v52
	ds_read_b128 v[52:55], v78 offset:8960
	v_pk_add_f32 v[36:37], v[2:3], v[50:51]
	ds_read_b128 v[48:51], v78 offset:9088
	v_min3_f32 v136, v36, v37, v87
	ds_write2st64_b32 v80, v61, v63 offset0:16 offset1:20
	ds_write2st64_b32 v80, v62, v64 offset0:24 offset1:28
	ds_write_b32 v65, v59 offset:9216
	s_waitcnt lgkmcnt(4)
	v_pk_add_f32 v[32:33], v[12:13], v[52:53]
	v_pk_add_f32 v[36:37], v[28:29], v[52:53]
	v_min3_f32 v69, v32, v33, s8
	v_pk_add_f32 v[32:33], v[14:15], v[46:47]
	s_waitcnt lgkmcnt(3)
	v_pk_add_f32 v[12:13], v[12:13], v[48:49]
	v_min3_f32 v134, v32, v33, v88
	v_pk_add_f32 v[32:33], v[22:23], v[46:47]
	s_waitcnt lgkmcnt(0)
	v_min3_f32 v132, v32, v33, v89
	v_pk_add_f32 v[32:33], v[26:27], v[46:47]
	s_barrier
	v_min3_f32 v130, v32, v33, v90
	v_pk_add_f32 v[32:33], v[30:31], v[46:47]
	s_nop 0
	v_min3_f32 v129, v32, v33, v91
	v_pk_add_f32 v[32:33], v[18:19], v[46:47]
	s_nop 0
	;; [unrolled: 3-line block ×6, first 2 shown]
	v_min3_f32 v71, v32, v33, s8
	v_pk_add_f32 v[32:33], v[2:3], v[46:47]
	v_min3_f32 v46, v36, v37, s8
	v_min3_f32 v125, v32, v33, v95
	v_pk_add_f32 v[32:33], v[14:15], v[42:43]
	v_pk_add_f32 v[36:37], v[16:17], v[52:53]
	v_min3_f32 v124, v32, v33, v96
	v_pk_add_f32 v[32:33], v[22:23], v[42:43]
	v_min3_f32 v47, v36, v37, s8
	v_min3_f32 v122, v32, v33, v97
	v_pk_add_f32 v[32:33], v[26:27], v[42:43]
	v_pk_add_f32 v[36:37], v[0:1], v[52:53]
	v_min3_f32 v121, v32, v33, v98
	v_pk_add_f32 v[32:33], v[30:31], v[42:43]
	v_min3_f32 v36, v36, v37, s8
	v_min3_f32 v120, v32, v33, v99
	v_pk_add_f32 v[32:33], v[18:19], v[42:43]
	v_min3_f32 v37, v12, v13, s8
	v_min3_f32 v119, v32, v33, v100
	v_pk_add_f32 v[32:33], v[10:11], v[42:43]
	v_pk_add_f32 v[12:13], v[14:15], v[34:35]
	v_min3_f32 v118, v32, v33, v101
	v_pk_add_f32 v[32:33], v[6:7], v[42:43]
	v_pk_add_f32 v[0:1], v[0:1], v[48:49]
	;; [unrolled: 3-line block ×3, first 2 shown]
	v_min3_f32 v44, v32, v33, s8
	v_pk_add_f32 v[32:33], v[4:5], v[52:53]
	v_min3_f32 v16, v16, v17, s8
	v_min3_f32 v72, v32, v33, s8
	v_pk_add_f32 v[32:33], v[2:3], v[42:43]
	v_pk_add_f32 v[8:9], v[8:9], v[48:49]
	v_min3_f32 v116, v32, v33, v45
	v_pk_add_f32 v[32:33], v[14:15], v[38:39]
	v_min3_f32 v8, v8, v9, s8
	v_min3_f32 v115, v32, v33, v102
	v_pk_add_f32 v[32:33], v[22:23], v[38:39]
	v_pk_add_f32 v[4:5], v[4:5], v[48:49]
	;; [unrolled: 6-line block ×3, first 2 shown]
	v_min3_f32 v112, v32, v33, v105
	v_pk_add_f32 v[32:33], v[18:19], v[38:39]
	v_min3_f32 v92, v4, v5, v36
	v_min3_f32 v111, v32, v33, v106
	v_pk_add_f32 v[32:33], v[10:11], v[38:39]
	s_nop 0
	v_min3_f32 v110, v32, v33, v107
	v_min3_f32 v107, v12, v13, v123
	v_pk_add_f32 v[12:13], v[22:23], v[34:35]
	v_pk_add_f32 v[32:33], v[6:7], v[38:39]
	v_min3_f32 v106, v12, v13, v149
	v_pk_add_f32 v[12:13], v[26:27], v[34:35]
	v_min3_f32 v109, v32, v33, v40
	v_min3_f32 v105, v12, v13, v150
	v_pk_add_f32 v[12:13], v[30:31], v[34:35]
	v_pk_add_f32 v[32:33], v[2:3], v[38:39]
	v_min3_f32 v104, v12, v13, v151
	v_pk_add_f32 v[12:13], v[18:19], v[34:35]
	v_min3_f32 v108, v32, v33, v41
	v_min3_f32 v103, v12, v13, v152
	v_pk_add_f32 v[12:13], v[10:11], v[34:35]
	s_nop 0
	v_min3_f32 v102, v12, v13, v66
	v_pk_add_f32 v[12:13], v[6:7], v[34:35]
	s_nop 0
	v_min3_f32 v101, v12, v13, v68
	v_pk_add_f32 v[12:13], v[20:21], v[48:49]
	v_pk_add_f32 v[20:21], v[28:29], v[48:49]
	v_min3_f32 v32, v12, v13, s8
	v_pk_add_f32 v[12:13], v[24:25], v[48:49]
	v_min3_f32 v20, v20, v21, s8
	v_min3_f32 v24, v12, v13, s8
	v_pk_add_f32 v[12:13], v[2:3], v[34:35]
	s_nop 0
	v_min3_f32 v100, v12, v13, v67
	v_pk_add_f32 v[12:13], v[14:15], v[54:55]
	s_nop 0
	;; [unrolled: 3-line block ×8, first 2 shown]
	v_min3_f32 v93, v12, v13, v72
	v_min3_f32 v12, v0, v1, s8
	v_pk_add_f32 v[0:1], v[14:15], v[50:51]
	s_nop 0
	v_min3_f32 v91, v0, v1, v37
	v_pk_add_f32 v[0:1], v[22:23], v[50:51]
	s_nop 0
	;; [unrolled: 3-line block ×8, first 2 shown]
	v_min3_f32 v88, v0, v1, v12
	s_cbranch_scc1 .LBB7_52
; %bb.30:
	v_mov_b32_e32 v0, 0x1000
	v_lshl_add_u32 v149, v74, 4, v0
	v_mov_b32_e32 v0, 0x2400
	v_lshl_add_u32 v150, v75, 4, v0
	v_mad_i64_i32 v[0:1], s[8:9], s34, v60, 0
	v_mov_b32_e32 v59, 0
	v_lshl_add_u64 v[0:1], v[0:1], 2, v[58:59]
	v_lshl_add_u64 v[0:1], v[0:1], 0, s[18:19]
	v_add_u32_e32 v81, 0x2000, v65
	v_add_u32_e32 v123, 0x2400, v65
	v_lshl_add_u64 v[64:65], v[0:1], 0, 48
	v_add_u32_e32 v0, 8, v77
	v_mad_i64_i32 v[0:1], s[8:9], v0, s26, 0
	v_lshlrev_b64 v[66:67], 2, v[0:1]
	v_add_u32_e32 v0, 12, v77
	v_mad_i64_i32 v[0:1], s[8:9], v0, s26, 0
	v_add_u32_e32 v82, 0x2000, v78
	v_add_u32_e32 v83, 0x1000, v80
	s_add_i32 s23, s22, -8
	v_lshl_add_u64 v[68:69], v[56:57], 2, s[16:17]
	s_lshl_b64 s[16:17], s[26:27], 5
	v_lshlrev_b64 v[70:71], 2, v[0:1]
	s_mov_b32 s26, 0
	s_branch .LBB7_32
.LBB7_31:                               ;   in Loop: Header=BB7_32 Depth=1
	s_or_b64 exec, exec, s[8:9]
	ds_read_b128 v[0:3], v76
	ds_read_b128 v[4:7], v76 offset:512
	ds_read_b128 v[8:11], v76 offset:1024
	;; [unrolled: 1-line block ×7, first 2 shown]
	ds_read_b128 v[118:121], v82
	ds_read_b128 v[124:127], v82 offset:128
	ds_read_b128 v[156:159], v82 offset:256
	;; [unrolled: 1-line block ×7, first 2 shown]
	s_waitcnt lgkmcnt(0)
	v_pk_add_f32 v[128:129], v[0:1], v[118:119]
	s_add_i32 s26, s26, 8
	v_min3_f32 v122, v128, v129, v36
	v_pk_add_f32 v[128:129], v[4:5], v[118:119]
	v_lshl_add_u64 v[64:65], v[64:65], 0, 32
	v_min3_f32 v128, v128, v129, v37
	v_pk_add_f32 v[36:37], v[8:9], v[118:119]
	s_cmp_ge_i32 s26, s23
	v_min3_f32 v40, v36, v37, v40
	v_pk_add_f32 v[36:37], v[12:13], v[118:119]
	v_lshl_add_u64 v[68:69], v[68:69], 0, s[16:17]
	v_min3_f32 v41, v36, v37, v41
	v_pk_add_f32 v[36:37], v[16:17], v[118:119]
	s_waitcnt vmcnt(0)
	ds_write2st64_b32 v83, v151, v153 offset1:4
	ds_write2st64_b32 v83, v152, v155 offset0:8 offset1:12
	ds_write_b32 v123, v154
	v_min3_f32 v44, v36, v37, v44
	v_pk_add_f32 v[36:37], v[20:21], v[118:119]
	s_waitcnt lgkmcnt(0)
	v_min3_f32 v45, v36, v37, v45
	v_pk_add_f32 v[36:37], v[24:25], v[118:119]
	s_barrier
	v_min3_f32 v48, v36, v37, v48
	v_pk_add_f32 v[36:37], v[28:29], v[118:119]
	s_nop 0
	v_min3_f32 v49, v36, v37, v49
	v_pk_add_f32 v[36:37], v[0:1], v[124:125]
	s_nop 0
	;; [unrolled: 3-line block ×41, first 2 shown]
	v_min3_f32 v42, v36, v37, v42
	v_pk_add_f32 v[36:37], v[0:1], v[172:173]
	v_pk_add_f32 v[0:1], v[0:1], v[32:33]
	v_min3_f32 v43, v36, v37, v43
	v_pk_add_f32 v[36:37], v[4:5], v[172:173]
	s_nop 0
	v_min3_f32 v160, v36, v37, v105
	v_pk_add_f32 v[36:37], v[8:9], v[172:173]
	s_nop 0
	;; [unrolled: 3-line block ×7, first 2 shown]
	v_min3_f32 v36, v36, v37, v38
	v_min3_f32 v37, v0, v1, v39
	v_pk_add_f32 v[0:1], v[4:5], v[32:33]
	s_nop 0
	v_min3_f32 v4, v0, v1, v111
	v_pk_add_f32 v[0:1], v[8:9], v[32:33]
	s_nop 0
	;; [unrolled: 3-line block ×71, first 2 shown]
	v_min3_f32 v88, v0, v1, v16
	s_cbranch_scc1 .LBB7_52
.LBB7_32:                               ; =>This Inner Loop Header: Depth=1
	v_add_u32_e32 v72, s26, v77
	v_add_u32_e32 v0, 8, v72
	v_cmp_le_i32_e64 s[8:9], s22, v0
	s_or_b64 s[18:19], vcc, s[8:9]
	s_xor_b64 s[28:29], s[18:19], -1
	v_mov_b32_e32 v73, 0x7f7fffff
	v_lshl_add_u64 v[0:1], v[68:69], 0, v[66:67]
	v_mov_b32_e32 v152, 0x7f7fffff
	s_and_saveexec_b64 s[18:19], s[28:29]
	s_cbranch_execz .LBB7_34
; %bb.33:                               ;   in Loop: Header=BB7_32 Depth=1
	flat_load_dword v152, v[0:1]
.LBB7_34:                               ;   in Loop: Header=BB7_32 Depth=1
	s_or_b64 exec, exec, s[18:19]
	s_or_b64 s[18:19], s[2:3], s[8:9]
	s_xor_b64 s[28:29], s[18:19], -1
	s_and_saveexec_b64 s[18:19], s[28:29]
	s_cbranch_execz .LBB7_36
; %bb.35:                               ;   in Loop: Header=BB7_32 Depth=1
	flat_load_dword v73, v[0:1] offset:256
.LBB7_36:                               ;   in Loop: Header=BB7_32 Depth=1
	s_or_b64 exec, exec, s[18:19]
	s_or_b64 s[18:19], s[4:5], s[8:9]
	s_xor_b64 s[28:29], s[18:19], -1
	v_mov_b32_e32 v153, 0x7f7fffff
	v_mov_b32_e32 v154, 0x7f7fffff
	s_and_saveexec_b64 s[18:19], s[28:29]
	s_cbranch_execz .LBB7_38
; %bb.37:                               ;   in Loop: Header=BB7_32 Depth=1
	flat_load_dword v154, v[0:1] offset:512
.LBB7_38:                               ;   in Loop: Header=BB7_32 Depth=1
	s_or_b64 exec, exec, s[18:19]
	s_or_b64 s[8:9], s[6:7], s[8:9]
	s_xor_b64 s[18:19], s[8:9], -1
	s_and_saveexec_b64 s[8:9], s[18:19]
	s_cbranch_execz .LBB7_40
; %bb.39:                               ;   in Loop: Header=BB7_32 Depth=1
	flat_load_dword v153, v[0:1] offset:768
.LBB7_40:                               ;   in Loop: Header=BB7_32 Depth=1
	s_or_b64 exec, exec, s[8:9]
	v_add_u32_e32 v156, s26, v79
	v_add_u32_e32 v0, 8, v156
	v_cmp_gt_i32_e64 s[8:9], s22, v0
	s_and_b64 s[8:9], s[8:9], s[10:11]
	v_mov_b32_e32 v151, 0x7f7fffff
	v_mov_b32_e32 v155, 0x7f7fffff
	s_and_saveexec_b64 s[18:19], s[8:9]
	s_cbranch_execz .LBB7_42
; %bb.41:                               ;   in Loop: Header=BB7_32 Depth=1
	v_add_co_u32_e64 v0, s[8:9], -16, v64
	s_nop 1
	v_addc_co_u32_e64 v1, s[8:9], -1, v65, s[8:9]
	flat_load_dword v155, v[0:1]
.LBB7_42:                               ;   in Loop: Header=BB7_32 Depth=1
	s_or_b64 exec, exec, s[18:19]
	ds_read_b128 v[28:31], v149
	ds_read_b128 v[24:27], v149 offset:512
	ds_read_b128 v[20:23], v149 offset:1024
	;; [unrolled: 1-line block ×7, first 2 shown]
	ds_read_b128 v[60:63], v150
	ds_read_b128 v[56:59], v150 offset:128
	ds_read_b128 v[52:55], v150 offset:256
	;; [unrolled: 1-line block ×7, first 2 shown]
	v_add_u32_e32 v72, 12, v72
	v_cmp_le_i32_e64 s[8:9], s22, v72
	s_or_b64 s[18:19], vcc, s[8:9]
	s_waitcnt vmcnt(0) lgkmcnt(0)
	ds_write2st64_b32 v80, v152, v73 offset1:4
	ds_write2st64_b32 v80, v154, v153 offset0:8 offset1:12
	ds_write_b32 v81, v155
	s_xor_b64 s[28:29], s[18:19], -1
	v_lshl_add_u64 v[72:73], v[68:69], 0, v[70:71]
	s_waitcnt lgkmcnt(0)
	s_barrier
	s_and_saveexec_b64 s[18:19], s[28:29]
	s_cbranch_execz .LBB7_44
; %bb.43:                               ;   in Loop: Header=BB7_32 Depth=1
	flat_load_dword v151, v[72:73]
.LBB7_44:                               ;   in Loop: Header=BB7_32 Depth=1
	s_or_b64 exec, exec, s[18:19]
	s_or_b64 s[18:19], s[2:3], s[8:9]
	s_xor_b64 s[28:29], s[18:19], -1
	v_mov_b32_e32 v152, 0x7f7fffff
	v_mov_b32_e32 v153, 0x7f7fffff
	s_and_saveexec_b64 s[18:19], s[28:29]
	s_cbranch_execz .LBB7_46
; %bb.45:                               ;   in Loop: Header=BB7_32 Depth=1
	flat_load_dword v153, v[72:73] offset:256
.LBB7_46:                               ;   in Loop: Header=BB7_32 Depth=1
	s_or_b64 exec, exec, s[18:19]
	s_or_b64 s[18:19], s[4:5], s[8:9]
	s_xor_b64 s[28:29], s[18:19], -1
	s_and_saveexec_b64 s[18:19], s[28:29]
	s_cbranch_execz .LBB7_48
; %bb.47:                               ;   in Loop: Header=BB7_32 Depth=1
	flat_load_dword v152, v[72:73] offset:512
.LBB7_48:                               ;   in Loop: Header=BB7_32 Depth=1
	s_or_b64 exec, exec, s[18:19]
	s_or_b64 s[8:9], s[6:7], s[8:9]
	s_xor_b64 s[18:19], s[8:9], -1
	v_mov_b32_e32 v154, 0x7f7fffff
	v_mov_b32_e32 v155, 0x7f7fffff
	s_and_saveexec_b64 s[8:9], s[18:19]
	s_cbranch_execz .LBB7_50
; %bb.49:                               ;   in Loop: Header=BB7_32 Depth=1
	flat_load_dword v155, v[72:73] offset:768
.LBB7_50:                               ;   in Loop: Header=BB7_32 Depth=1
	s_or_b64 exec, exec, s[8:9]
	v_pk_add_f32 v[72:73], v[28:29], v[60:61]
	s_nop 0
	v_min3_f32 v148, v72, v73, v148
	v_pk_add_f32 v[72:73], v[24:25], v[60:61]
	s_nop 0
	v_min3_f32 v147, v72, v73, v147
	v_pk_add_f32 v[72:73], v[20:21], v[60:61]
	s_nop 0
	v_min3_f32 v146, v72, v73, v146
	v_pk_add_f32 v[72:73], v[16:17], v[60:61]
	s_nop 0
	v_min3_f32 v145, v72, v73, v145
	v_pk_add_f32 v[72:73], v[12:13], v[60:61]
	s_nop 0
	v_min3_f32 v144, v72, v73, v144
	v_pk_add_f32 v[72:73], v[8:9], v[60:61]
	s_nop 0
	v_min3_f32 v143, v72, v73, v143
	v_pk_add_f32 v[72:73], v[4:5], v[60:61]
	v_pk_add_f32 v[60:61], v[0:1], v[60:61]
	v_min3_f32 v72, v72, v73, v142
	v_min3_f32 v73, v60, v61, v141
	v_pk_add_f32 v[60:61], v[28:29], v[56:57]
	s_nop 0
	v_min3_f32 v140, v60, v61, v140
	v_pk_add_f32 v[60:61], v[24:25], v[56:57]
	s_nop 0
	v_min3_f32 v139, v60, v61, v139
	v_pk_add_f32 v[60:61], v[20:21], v[56:57]
	s_nop 0
	v_min3_f32 v138, v60, v61, v138
	v_pk_add_f32 v[60:61], v[16:17], v[56:57]
	s_nop 0
	v_min3_f32 v137, v60, v61, v137
	v_pk_add_f32 v[60:61], v[12:13], v[56:57]
	s_nop 0
	v_min3_f32 v135, v60, v61, v135
	v_pk_add_f32 v[60:61], v[8:9], v[56:57]
	s_nop 0
	v_min3_f32 v133, v60, v61, v133
	v_pk_add_f32 v[60:61], v[4:5], v[56:57]
	v_pk_add_f32 v[56:57], v[0:1], v[56:57]
	v_min3_f32 v131, v60, v61, v131
	v_min3_f32 v136, v56, v57, v136
	v_pk_add_f32 v[56:57], v[28:29], v[52:53]
	s_nop 0
	v_min3_f32 v134, v56, v57, v134
	v_pk_add_f32 v[56:57], v[24:25], v[52:53]
	s_nop 0
	v_min3_f32 v132, v56, v57, v132
	v_pk_add_f32 v[56:57], v[20:21], v[52:53]
	s_nop 0
	v_min3_f32 v130, v56, v57, v130
	v_pk_add_f32 v[56:57], v[16:17], v[52:53]
	s_nop 0
	v_min3_f32 v129, v56, v57, v129
	v_pk_add_f32 v[56:57], v[12:13], v[52:53]
	s_nop 0
	v_min3_f32 v128, v56, v57, v128
	v_pk_add_f32 v[56:57], v[8:9], v[52:53]
	s_nop 0
	v_min3_f32 v127, v56, v57, v127
	v_pk_add_f32 v[56:57], v[4:5], v[52:53]
	v_pk_add_f32 v[52:53], v[0:1], v[52:53]
	v_min3_f32 v126, v56, v57, v126
	v_min3_f32 v125, v52, v53, v125
	v_pk_add_f32 v[52:53], v[28:29], v[48:49]
	s_nop 0
	v_min3_f32 v124, v52, v53, v124
	v_pk_add_f32 v[52:53], v[24:25], v[48:49]
	s_nop 0
	v_min3_f32 v122, v52, v53, v122
	v_pk_add_f32 v[52:53], v[20:21], v[48:49]
	s_nop 0
	v_min3_f32 v121, v52, v53, v121
	v_pk_add_f32 v[52:53], v[16:17], v[48:49]
	s_nop 0
	v_min3_f32 v120, v52, v53, v120
	v_pk_add_f32 v[52:53], v[12:13], v[48:49]
	s_nop 0
	v_min3_f32 v119, v52, v53, v119
	v_pk_add_f32 v[52:53], v[8:9], v[48:49]
	s_nop 0
	v_min3_f32 v118, v52, v53, v118
	v_pk_add_f32 v[52:53], v[4:5], v[48:49]
	v_pk_add_f32 v[48:49], v[0:1], v[48:49]
	v_min3_f32 v117, v52, v53, v117
	v_min3_f32 v116, v48, v49, v116
	v_pk_add_f32 v[48:49], v[28:29], v[44:45]
	s_nop 0
	v_min3_f32 v115, v48, v49, v115
	v_pk_add_f32 v[48:49], v[24:25], v[44:45]
	s_nop 0
	v_min3_f32 v114, v48, v49, v114
	v_pk_add_f32 v[48:49], v[20:21], v[44:45]
	s_nop 0
	v_min3_f32 v113, v48, v49, v113
	v_pk_add_f32 v[48:49], v[16:17], v[44:45]
	s_nop 0
	v_min3_f32 v112, v48, v49, v112
	v_pk_add_f32 v[48:49], v[12:13], v[44:45]
	s_nop 0
	v_min3_f32 v111, v48, v49, v111
	v_pk_add_f32 v[48:49], v[8:9], v[44:45]
	s_nop 0
	v_min3_f32 v110, v48, v49, v110
	v_pk_add_f32 v[48:49], v[4:5], v[44:45]
	v_pk_add_f32 v[44:45], v[0:1], v[44:45]
	v_min3_f32 v109, v48, v49, v109
	v_min3_f32 v108, v44, v45, v108
	v_pk_add_f32 v[44:45], v[28:29], v[40:41]
	s_nop 0
	v_min3_f32 v107, v44, v45, v107
	v_pk_add_f32 v[44:45], v[24:25], v[40:41]
	s_nop 0
	v_min3_f32 v106, v44, v45, v106
	v_pk_add_f32 v[44:45], v[20:21], v[40:41]
	s_nop 0
	v_min3_f32 v105, v44, v45, v105
	v_pk_add_f32 v[44:45], v[16:17], v[40:41]
	s_nop 0
	v_min3_f32 v104, v44, v45, v104
	v_pk_add_f32 v[44:45], v[12:13], v[40:41]
	s_nop 0
	v_min3_f32 v103, v44, v45, v103
	v_pk_add_f32 v[44:45], v[8:9], v[40:41]
	s_nop 0
	v_min3_f32 v141, v44, v45, v102
	v_pk_add_f32 v[44:45], v[4:5], v[40:41]
	v_pk_add_f32 v[40:41], v[0:1], v[40:41]
	v_min3_f32 v142, v44, v45, v101
	v_min3_f32 v157, v40, v41, v100
	v_pk_add_f32 v[40:41], v[28:29], v[36:37]
	v_pk_add_f32 v[28:29], v[28:29], v[32:33]
	v_min3_f32 v158, v40, v41, v99
	v_pk_add_f32 v[40:41], v[24:25], v[36:37]
	v_pk_add_f32 v[24:25], v[24:25], v[32:33]
	v_min3_f32 v159, v40, v41, v98
	v_pk_add_f32 v[40:41], v[20:21], v[36:37]
	v_pk_add_f32 v[20:21], v[20:21], v[32:33]
	v_min3_f32 v160, v40, v41, v97
	v_pk_add_f32 v[40:41], v[16:17], v[36:37]
	v_pk_add_f32 v[16:17], v[16:17], v[32:33]
	v_min3_f32 v161, v40, v41, v96
	v_pk_add_f32 v[40:41], v[12:13], v[36:37]
	v_pk_add_f32 v[12:13], v[12:13], v[32:33]
	v_min3_f32 v162, v40, v41, v95
	v_pk_add_f32 v[40:41], v[8:9], v[36:37]
	v_pk_add_f32 v[8:9], v[8:9], v[32:33]
	v_min3_f32 v163, v40, v41, v94
	v_pk_add_f32 v[40:41], v[4:5], v[36:37]
	v_pk_add_f32 v[36:37], v[0:1], v[36:37]
	;; [unrolled: 1-line block ×4, first 2 shown]
	v_min3_f32 v4, v4, v5, v84
	v_min3_f32 v5, v0, v1, v88
	v_pk_add_f32 v[0:1], v[30:31], v[62:63]
	v_min3_f32 v165, v36, v37, v92
	v_min3_f32 v36, v0, v1, v148
	v_pk_add_f32 v[0:1], v[26:27], v[62:63]
	;; [unrolled: 3-line block ×9, first 2 shown]
	s_nop 0
	v_min3_f32 v52, v0, v1, v140
	v_pk_add_f32 v[0:1], v[26:27], v[58:59]
	s_nop 0
	v_min3_f32 v53, v0, v1, v139
	v_pk_add_f32 v[0:1], v[22:23], v[58:59]
	;; [unrolled: 3-line block ×55, first 2 shown]
	s_nop 0
	v_min3_f32 v117, v0, v1, v5
	v_add_u32_e32 v0, 12, v156
	v_cmp_gt_i32_e64 s[8:9], s22, v0
	s_and_b64 s[18:19], s[8:9], s[10:11]
	s_and_saveexec_b64 s[8:9], s[18:19]
	s_cbranch_execz .LBB7_31
; %bb.51:                               ;   in Loop: Header=BB7_32 Depth=1
	flat_load_dword v154, v[64:65]
	s_branch .LBB7_31
.LBB7_52:
	s_load_dwordx2 s[2:3], s[0:1], 0x70
	s_load_dword s29, s[0:1], 0x50
	s_load_dword s28, s[0:1], 0x68
	ds_read_b128 v[32:35], v76 offset:4096
	ds_read_b128 v[28:31], v76 offset:4608
	;; [unrolled: 1-line block ×16, first 2 shown]
	s_waitcnt lgkmcnt(0)
	s_lshl_b64 s[0:1], s[2:3], 2
	s_add_u32 s22, s14, s0
	v_add_u32_e32 v123, s33, v75
	s_addc_u32 s23, s15, s1
	v_mad_i64_i32 v[66:67], s[0:1], v123, s29, 0
	v_add_u32_e32 v64, s31, v74
	v_lshl_add_u64 v[82:83], v[66:67], 2, s[24:25]
	v_mad_i64_i32 v[66:67], s[0:1], v123, s28, 0
	v_cmp_gt_i32_e64 s[18:19], s21, v123
	v_lshl_add_u64 v[80:81], v[66:67], 2, s[22:23]
	v_cmp_gt_i32_e64 s[2:3], s20, v64
	v_cndmask_b32_e64 v66, 0, 1, s[12:13]
	s_and_b64 s[6:7], s[2:3], s[18:19]
	v_ashrrev_i32_e32 v65, 31, v64
	v_cmp_ne_u32_e64 s[0:1], 1, v66
	s_and_saveexec_b64 s[4:5], s[6:7]
	s_cbranch_execz .LBB7_57
; %bb.53:
	s_and_b64 vcc, exec, s[0:1]
	s_cbranch_vccnz .LBB7_55
; %bb.54:
	v_lshl_add_u64 v[66:67], v[64:65], 2, v[82:83]
	flat_load_dword v66, v[66:67]
	s_waitcnt vmcnt(0) lgkmcnt(0)
	v_mul_f32_e32 v66, s30, v66
	s_branch .LBB7_56
.LBB7_55:
	v_mov_b32_e32 v66, 0
.LBB7_56:
	v_pk_add_f32 v[68:69], v[32:33], v[60:61]
	s_nop 0
	v_min3_f32 v67, v68, v69, v148
	v_pk_add_f32 v[68:69], v[34:35], v[62:63]
	s_nop 0
	v_min_f32_e32 v68, v68, v69
	v_min3_f32 v68, v66, v68, v67
	v_lshl_add_u64 v[66:67], v[64:65], 2, v[80:81]
	global_store_dword v[66:67], v68, off
.LBB7_57:
	s_or_b64 exec, exec, s[4:5]
	v_add_u32_e32 v66, 32, v64
	v_cmp_gt_i32_e64 s[4:5], s20, v66
	s_and_b64 s[8:9], s[4:5], s[18:19]
	v_ashrrev_i32_e32 v67, 31, v66
	s_and_saveexec_b64 s[6:7], s[8:9]
	s_cbranch_execz .LBB7_62
; %bb.58:
	s_and_b64 vcc, exec, s[0:1]
	s_cbranch_vccnz .LBB7_60
; %bb.59:
	v_lshl_add_u64 v[68:69], v[66:67], 2, v[82:83]
	flat_load_dword v68, v[68:69]
	s_waitcnt vmcnt(0) lgkmcnt(0)
	v_mul_f32_e32 v68, s30, v68
	s_branch .LBB7_61
.LBB7_60:
	v_mov_b32_e32 v68, 0
.LBB7_61:
	v_pk_add_f32 v[70:71], v[28:29], v[60:61]
	s_nop 0
	v_min3_f32 v69, v70, v71, v147
	v_pk_add_f32 v[70:71], v[30:31], v[62:63]
	s_nop 0
	v_min_f32_e32 v70, v70, v71
	v_min3_f32 v70, v68, v70, v69
	v_lshl_add_u64 v[68:69], v[66:67], 2, v[80:81]
	global_store_dword v[68:69], v70, off
.LBB7_62:
	s_or_b64 exec, exec, s[6:7]
	v_add_u32_e32 v68, 64, v64
	v_cmp_gt_i32_e64 s[6:7], s20, v68
	s_and_b64 s[10:11], s[6:7], s[18:19]
	v_ashrrev_i32_e32 v69, 31, v68
	s_and_saveexec_b64 s[8:9], s[10:11]
	s_cbranch_execz .LBB7_67
; %bb.63:
	s_and_b64 vcc, exec, s[0:1]
	s_cbranch_vccnz .LBB7_65
; %bb.64:
	v_lshl_add_u64 v[70:71], v[68:69], 2, v[82:83]
	flat_load_dword v70, v[70:71]
	s_waitcnt vmcnt(0) lgkmcnt(0)
	v_mul_f32_e32 v70, s30, v70
	s_branch .LBB7_66
.LBB7_65:
	v_mov_b32_e32 v70, 0
.LBB7_66:
	v_pk_add_f32 v[72:73], v[24:25], v[60:61]
	s_nop 0
	v_min3_f32 v71, v72, v73, v146
	v_pk_add_f32 v[72:73], v[26:27], v[62:63]
	s_nop 0
	v_min_f32_e32 v72, v72, v73
	v_min3_f32 v72, v70, v72, v71
	v_lshl_add_u64 v[70:71], v[68:69], 2, v[80:81]
	global_store_dword v[70:71], v72, off
.LBB7_67:
	s_or_b64 exec, exec, s[8:9]
	v_add_u32_e32 v70, 0x60, v64
	v_cmp_gt_i32_e64 s[8:9], s20, v70
	s_and_b64 s[12:13], s[8:9], s[18:19]
	v_ashrrev_i32_e32 v71, 31, v70
	s_and_saveexec_b64 s[10:11], s[12:13]
	s_cbranch_execz .LBB7_72
; %bb.68:
	s_and_b64 vcc, exec, s[0:1]
	s_cbranch_vccnz .LBB7_70
; %bb.69:
	v_lshl_add_u64 v[72:73], v[70:71], 2, v[82:83]
	flat_load_dword v72, v[72:73]
	s_waitcnt vmcnt(0) lgkmcnt(0)
	v_mul_f32_e32 v72, s30, v72
	s_branch .LBB7_71
.LBB7_70:
	v_mov_b32_e32 v72, 0
.LBB7_71:
	v_pk_add_f32 v[74:75], v[20:21], v[60:61]
	s_nop 0
	v_min3_f32 v73, v74, v75, v145
	v_pk_add_f32 v[74:75], v[22:23], v[62:63]
	s_nop 0
	v_min_f32_e32 v74, v74, v75
	v_min3_f32 v74, v72, v74, v73
	v_lshl_add_u64 v[72:73], v[70:71], 2, v[80:81]
	global_store_dword v[72:73], v74, off
.LBB7_72:
	s_or_b64 exec, exec, s[10:11]
	v_add_u32_e32 v72, 0x80, v64
	v_cmp_gt_i32_e64 s[10:11], s20, v72
	s_and_b64 s[14:15], s[10:11], s[18:19]
	v_ashrrev_i32_e32 v73, 31, v72
	s_and_saveexec_b64 s[12:13], s[14:15]
	s_cbranch_execz .LBB7_77
; %bb.73:
	s_and_b64 vcc, exec, s[0:1]
	s_cbranch_vccnz .LBB7_75
; %bb.74:
	v_lshl_add_u64 v[74:75], v[72:73], 2, v[82:83]
	flat_load_dword v74, v[74:75]
	s_waitcnt vmcnt(0) lgkmcnt(0)
	v_mul_f32_e32 v74, s30, v74
	s_branch .LBB7_76
.LBB7_75:
	v_mov_b32_e32 v74, 0
.LBB7_76:
	v_pk_add_f32 v[76:77], v[16:17], v[60:61]
	s_nop 0
	v_min3_f32 v75, v76, v77, v144
	v_pk_add_f32 v[76:77], v[18:19], v[62:63]
	s_nop 0
	v_min_f32_e32 v76, v76, v77
	v_min3_f32 v76, v74, v76, v75
	v_lshl_add_u64 v[74:75], v[72:73], 2, v[80:81]
	global_store_dword v[74:75], v76, off
.LBB7_77:
	s_or_b64 exec, exec, s[12:13]
	v_add_u32_e32 v74, 0xa0, v64
	v_cmp_gt_i32_e64 s[12:13], s20, v74
	s_and_b64 s[16:17], s[12:13], s[18:19]
	v_ashrrev_i32_e32 v75, 31, v74
	s_and_saveexec_b64 s[14:15], s[16:17]
	s_cbranch_execz .LBB7_82
; %bb.78:
	s_and_b64 vcc, exec, s[0:1]
	s_cbranch_vccnz .LBB7_80
; %bb.79:
	v_lshl_add_u64 v[76:77], v[74:75], 2, v[82:83]
	flat_load_dword v76, v[76:77]
	s_waitcnt vmcnt(0) lgkmcnt(0)
	v_mul_f32_e32 v76, s30, v76
	s_branch .LBB7_81
.LBB7_80:
	v_mov_b32_e32 v76, 0
.LBB7_81:
	v_pk_add_f32 v[78:79], v[12:13], v[60:61]
	s_nop 0
	v_min3_f32 v77, v78, v79, v143
	v_pk_add_f32 v[78:79], v[14:15], v[62:63]
	s_nop 0
	v_min_f32_e32 v78, v78, v79
	v_min3_f32 v78, v76, v78, v77
	v_lshl_add_u64 v[76:77], v[74:75], 2, v[80:81]
	global_store_dword v[76:77], v78, off
.LBB7_82:
	s_or_b64 exec, exec, s[14:15]
	v_add_u32_e32 v76, 0xc0, v64
	v_cmp_gt_i32_e64 s[14:15], s20, v76
	s_and_b64 s[26:27], s[14:15], s[18:19]
	v_ashrrev_i32_e32 v77, 31, v76
	s_and_saveexec_b64 s[16:17], s[26:27]
	s_cbranch_execz .LBB7_87
; %bb.83:
	s_and_b64 vcc, exec, s[0:1]
	s_cbranch_vccnz .LBB7_85
; %bb.84:
	v_lshl_add_u64 v[78:79], v[76:77], 2, v[82:83]
	flat_load_dword v78, v[78:79]
	s_waitcnt vmcnt(0) lgkmcnt(0)
	v_mul_f32_e32 v78, s30, v78
	s_branch .LBB7_86
.LBB7_85:
	v_mov_b32_e32 v78, 0
.LBB7_86:
	v_pk_add_f32 v[144:145], v[8:9], v[60:61]
	s_nop 0
	v_min3_f32 v79, v144, v145, v142
	v_pk_add_f32 v[142:143], v[10:11], v[62:63]
	s_nop 0
	v_min_f32_e32 v142, v142, v143
	v_min3_f32 v142, v78, v142, v79
	v_lshl_add_u64 v[78:79], v[76:77], 2, v[80:81]
	global_store_dword v[78:79], v142, off
.LBB7_87:
	s_or_b64 exec, exec, s[16:17]
	v_add_u32_e32 v78, 0xe0, v64
	v_cmp_gt_i32_e64 s[16:17], s20, v78
	s_and_b64 s[26:27], s[16:17], s[18:19]
	v_ashrrev_i32_e32 v79, 31, v78
	s_and_saveexec_b64 s[18:19], s[26:27]
	s_cbranch_execz .LBB7_92
; %bb.88:
	s_and_b64 vcc, exec, s[0:1]
	s_cbranch_vccnz .LBB7_90
; %bb.89:
	v_lshl_add_u64 v[82:83], v[78:79], 2, v[82:83]
	flat_load_dword v82, v[82:83]
	s_waitcnt vmcnt(0) lgkmcnt(0)
	v_mul_f32_e32 v82, s30, v82
	s_branch .LBB7_91
.LBB7_90:
	v_mov_b32_e32 v82, 0
.LBB7_91:
	v_pk_add_f32 v[60:61], v[0:1], v[60:61]
	s_nop 0
	v_min3_f32 v83, v60, v61, v141
	v_pk_add_f32 v[60:61], v[2:3], v[62:63]
	s_nop 0
	v_min_f32_e32 v60, v60, v61
	v_min3_f32 v62, v82, v60, v83
	v_lshl_add_u64 v[60:61], v[78:79], 2, v[80:81]
	global_store_dword v[60:61], v62, off
.LBB7_92:
	s_or_b64 exec, exec, s[18:19]
	v_add_u32_e32 v80, 8, v123
	v_mad_i64_i32 v[60:61], s[26:27], v80, s29, 0
	v_cmp_gt_i32_e64 s[18:19], s21, v80
	v_lshl_add_u64 v[62:63], v[60:61], 2, s[24:25]
	v_mad_i64_i32 v[60:61], s[26:27], v80, s28, 0
	v_lshl_add_u64 v[60:61], v[60:61], 2, s[22:23]
	s_and_b64 s[34:35], s[2:3], s[18:19]
	s_and_saveexec_b64 s[26:27], s[34:35]
	s_cbranch_execnz .LBB7_100
; %bb.93:
	s_or_b64 exec, exec, s[26:27]
	s_and_b64 s[34:35], s[4:5], s[18:19]
	s_and_saveexec_b64 s[26:27], s[34:35]
	s_cbranch_execnz .LBB7_104
.LBB7_94:
	s_or_b64 exec, exec, s[26:27]
	s_and_b64 s[34:35], s[6:7], s[18:19]
	s_and_saveexec_b64 s[26:27], s[34:35]
	s_cbranch_execnz .LBB7_108
.LBB7_95:
	s_or_b64 exec, exec, s[26:27]
	s_and_b64 s[34:35], s[8:9], s[18:19]
	s_and_saveexec_b64 s[26:27], s[34:35]
	s_cbranch_execnz .LBB7_112
.LBB7_96:
	s_or_b64 exec, exec, s[26:27]
	s_and_b64 s[34:35], s[10:11], s[18:19]
	s_and_saveexec_b64 s[26:27], s[34:35]
	s_cbranch_execnz .LBB7_116
.LBB7_97:
	s_or_b64 exec, exec, s[26:27]
	s_and_b64 s[34:35], s[12:13], s[18:19]
	s_and_saveexec_b64 s[26:27], s[34:35]
	s_cbranch_execnz .LBB7_120
.LBB7_98:
	s_or_b64 exec, exec, s[26:27]
	s_and_b64 s[34:35], s[14:15], s[18:19]
	s_and_saveexec_b64 s[26:27], s[34:35]
	s_cbranch_execnz .LBB7_124
.LBB7_99:
	s_or_b64 exec, exec, s[26:27]
	s_and_b64 s[26:27], s[16:17], s[18:19]
	s_and_saveexec_b64 s[18:19], s[26:27]
	s_cbranch_execnz .LBB7_128
	s_branch .LBB7_132
.LBB7_100:
	s_and_b64 vcc, exec, s[0:1]
	s_cbranch_vccnz .LBB7_102
; %bb.101:
	v_lshl_add_u64 v[80:81], v[64:65], 2, v[62:63]
	flat_load_dword v80, v[80:81]
	s_waitcnt vmcnt(0) lgkmcnt(0)
	v_mul_f32_e32 v80, s30, v80
	s_branch .LBB7_103
.LBB7_102:
	v_mov_b32_e32 v80, 0
.LBB7_103:
	v_pk_add_f32 v[82:83], v[32:33], v[56:57]
	s_nop 0
	v_min3_f32 v81, v82, v83, v140
	v_pk_add_f32 v[82:83], v[34:35], v[58:59]
	s_nop 0
	v_min_f32_e32 v82, v82, v83
	v_min3_f32 v82, v80, v82, v81
	v_lshl_add_u64 v[80:81], v[64:65], 2, v[60:61]
	global_store_dword v[80:81], v82, off
	s_or_b64 exec, exec, s[26:27]
	s_and_b64 s[34:35], s[4:5], s[18:19]
	s_and_saveexec_b64 s[26:27], s[34:35]
	s_cbranch_execz .LBB7_94
.LBB7_104:
	s_and_b64 vcc, exec, s[0:1]
	s_cbranch_vccnz .LBB7_106
; %bb.105:
	v_lshl_add_u64 v[80:81], v[66:67], 2, v[62:63]
	flat_load_dword v80, v[80:81]
	s_waitcnt vmcnt(0) lgkmcnt(0)
	v_mul_f32_e32 v80, s30, v80
	s_branch .LBB7_107
.LBB7_106:
	v_mov_b32_e32 v80, 0
.LBB7_107:
	v_pk_add_f32 v[82:83], v[28:29], v[56:57]
	s_nop 0
	v_min3_f32 v81, v82, v83, v139
	v_pk_add_f32 v[82:83], v[30:31], v[58:59]
	s_nop 0
	v_min_f32_e32 v82, v82, v83
	v_min3_f32 v82, v80, v82, v81
	v_lshl_add_u64 v[80:81], v[66:67], 2, v[60:61]
	global_store_dword v[80:81], v82, off
	s_or_b64 exec, exec, s[26:27]
	s_and_b64 s[34:35], s[6:7], s[18:19]
	s_and_saveexec_b64 s[26:27], s[34:35]
	s_cbranch_execz .LBB7_95
.LBB7_108:
	s_and_b64 vcc, exec, s[0:1]
	s_cbranch_vccnz .LBB7_110
; %bb.109:
	v_lshl_add_u64 v[80:81], v[68:69], 2, v[62:63]
	flat_load_dword v80, v[80:81]
	s_waitcnt vmcnt(0) lgkmcnt(0)
	v_mul_f32_e32 v80, s30, v80
	s_branch .LBB7_111
.LBB7_110:
	v_mov_b32_e32 v80, 0
.LBB7_111:
	v_pk_add_f32 v[82:83], v[24:25], v[56:57]
	s_nop 0
	v_min3_f32 v81, v82, v83, v138
	v_pk_add_f32 v[82:83], v[26:27], v[58:59]
	s_nop 0
	v_min_f32_e32 v82, v82, v83
	v_min3_f32 v82, v80, v82, v81
	v_lshl_add_u64 v[80:81], v[68:69], 2, v[60:61]
	global_store_dword v[80:81], v82, off
	s_or_b64 exec, exec, s[26:27]
	s_and_b64 s[34:35], s[8:9], s[18:19]
	s_and_saveexec_b64 s[26:27], s[34:35]
	s_cbranch_execz .LBB7_96
.LBB7_112:
	s_and_b64 vcc, exec, s[0:1]
	s_cbranch_vccnz .LBB7_114
; %bb.113:
	v_lshl_add_u64 v[80:81], v[70:71], 2, v[62:63]
	flat_load_dword v80, v[80:81]
	s_waitcnt vmcnt(0) lgkmcnt(0)
	v_mul_f32_e32 v80, s30, v80
	s_branch .LBB7_115
.LBB7_114:
	v_mov_b32_e32 v80, 0
.LBB7_115:
	v_pk_add_f32 v[82:83], v[20:21], v[56:57]
	s_nop 0
	v_min3_f32 v81, v82, v83, v137
	v_pk_add_f32 v[82:83], v[22:23], v[58:59]
	s_nop 0
	v_min_f32_e32 v82, v82, v83
	v_min3_f32 v82, v80, v82, v81
	v_lshl_add_u64 v[80:81], v[70:71], 2, v[60:61]
	global_store_dword v[80:81], v82, off
	s_or_b64 exec, exec, s[26:27]
	s_and_b64 s[34:35], s[10:11], s[18:19]
	s_and_saveexec_b64 s[26:27], s[34:35]
	s_cbranch_execz .LBB7_97
.LBB7_116:
	s_and_b64 vcc, exec, s[0:1]
	s_cbranch_vccnz .LBB7_118
; %bb.117:
	v_lshl_add_u64 v[80:81], v[72:73], 2, v[62:63]
	flat_load_dword v80, v[80:81]
	s_waitcnt vmcnt(0) lgkmcnt(0)
	v_mul_f32_e32 v80, s30, v80
	s_branch .LBB7_119
.LBB7_118:
	v_mov_b32_e32 v80, 0
.LBB7_119:
	v_pk_add_f32 v[82:83], v[16:17], v[56:57]
	s_nop 0
	v_min3_f32 v81, v82, v83, v135
	v_pk_add_f32 v[82:83], v[18:19], v[58:59]
	s_nop 0
	v_min_f32_e32 v82, v82, v83
	v_min3_f32 v82, v80, v82, v81
	v_lshl_add_u64 v[80:81], v[72:73], 2, v[60:61]
	global_store_dword v[80:81], v82, off
	s_or_b64 exec, exec, s[26:27]
	s_and_b64 s[34:35], s[12:13], s[18:19]
	s_and_saveexec_b64 s[26:27], s[34:35]
	s_cbranch_execz .LBB7_98
.LBB7_120:
	s_and_b64 vcc, exec, s[0:1]
	s_cbranch_vccnz .LBB7_122
; %bb.121:
	v_lshl_add_u64 v[80:81], v[74:75], 2, v[62:63]
	flat_load_dword v80, v[80:81]
	s_waitcnt vmcnt(0) lgkmcnt(0)
	v_mul_f32_e32 v80, s30, v80
	s_branch .LBB7_123
.LBB7_122:
	v_mov_b32_e32 v80, 0
.LBB7_123:
	v_pk_add_f32 v[82:83], v[12:13], v[56:57]
	s_nop 0
	v_min3_f32 v81, v82, v83, v133
	v_pk_add_f32 v[82:83], v[14:15], v[58:59]
	s_nop 0
	v_min_f32_e32 v82, v82, v83
	v_min3_f32 v82, v80, v82, v81
	v_lshl_add_u64 v[80:81], v[74:75], 2, v[60:61]
	global_store_dword v[80:81], v82, off
	s_or_b64 exec, exec, s[26:27]
	s_and_b64 s[34:35], s[14:15], s[18:19]
	s_and_saveexec_b64 s[26:27], s[34:35]
	s_cbranch_execz .LBB7_99
.LBB7_124:
	s_and_b64 vcc, exec, s[0:1]
	s_cbranch_vccnz .LBB7_126
; %bb.125:
	v_lshl_add_u64 v[80:81], v[76:77], 2, v[62:63]
	flat_load_dword v80, v[80:81]
	s_waitcnt vmcnt(0) lgkmcnt(0)
	v_mul_f32_e32 v80, s30, v80
	s_branch .LBB7_127
.LBB7_126:
	v_mov_b32_e32 v80, 0
.LBB7_127:
	v_pk_add_f32 v[82:83], v[8:9], v[56:57]
	s_nop 0
	v_min3_f32 v81, v82, v83, v131
	v_pk_add_f32 v[82:83], v[10:11], v[58:59]
	s_nop 0
	v_min_f32_e32 v82, v82, v83
	v_min3_f32 v82, v80, v82, v81
	v_lshl_add_u64 v[80:81], v[76:77], 2, v[60:61]
	global_store_dword v[80:81], v82, off
	s_or_b64 exec, exec, s[26:27]
	s_and_b64 s[26:27], s[16:17], s[18:19]
	s_and_saveexec_b64 s[18:19], s[26:27]
	s_cbranch_execz .LBB7_132
.LBB7_128:
	s_and_b64 vcc, exec, s[0:1]
	s_cbranch_vccnz .LBB7_130
; %bb.129:
	v_lshl_add_u64 v[62:63], v[78:79], 2, v[62:63]
	flat_load_dword v62, v[62:63]
	s_waitcnt vmcnt(0) lgkmcnt(0)
	v_mul_f32_e32 v62, s30, v62
	s_branch .LBB7_131
.LBB7_130:
	v_mov_b32_e32 v62, 0
.LBB7_131:
	v_pk_add_f32 v[56:57], v[0:1], v[56:57]
	s_nop 0
	v_min3_f32 v63, v56, v57, v136
	v_pk_add_f32 v[56:57], v[2:3], v[58:59]
	s_nop 0
	v_min_f32_e32 v56, v56, v57
	v_min3_f32 v58, v62, v56, v63
	v_lshl_add_u64 v[56:57], v[78:79], 2, v[60:61]
	global_store_dword v[56:57], v58, off
.LBB7_132:
	s_or_b64 exec, exec, s[18:19]
	v_add_u32_e32 v60, 16, v123
	v_mad_i64_i32 v[56:57], s[26:27], v60, s29, 0
	v_cmp_gt_i32_e64 s[18:19], s21, v60
	v_lshl_add_u64 v[58:59], v[56:57], 2, s[24:25]
	v_mad_i64_i32 v[56:57], s[26:27], v60, s28, 0
	v_lshl_add_u64 v[56:57], v[56:57], 2, s[22:23]
	s_and_b64 s[34:35], s[2:3], s[18:19]
	s_and_saveexec_b64 s[26:27], s[34:35]
	s_cbranch_execnz .LBB7_140
; %bb.133:
	s_or_b64 exec, exec, s[26:27]
	s_and_b64 s[34:35], s[4:5], s[18:19]
	s_and_saveexec_b64 s[26:27], s[34:35]
	s_cbranch_execnz .LBB7_144
.LBB7_134:
	s_or_b64 exec, exec, s[26:27]
	s_and_b64 s[34:35], s[6:7], s[18:19]
	s_and_saveexec_b64 s[26:27], s[34:35]
	s_cbranch_execnz .LBB7_148
.LBB7_135:
	s_or_b64 exec, exec, s[26:27]
	s_and_b64 s[34:35], s[8:9], s[18:19]
	s_and_saveexec_b64 s[26:27], s[34:35]
	s_cbranch_execnz .LBB7_152
.LBB7_136:
	s_or_b64 exec, exec, s[26:27]
	s_and_b64 s[34:35], s[10:11], s[18:19]
	s_and_saveexec_b64 s[26:27], s[34:35]
	s_cbranch_execnz .LBB7_156
.LBB7_137:
	s_or_b64 exec, exec, s[26:27]
	s_and_b64 s[34:35], s[12:13], s[18:19]
	s_and_saveexec_b64 s[26:27], s[34:35]
	s_cbranch_execnz .LBB7_160
.LBB7_138:
	s_or_b64 exec, exec, s[26:27]
	s_and_b64 s[34:35], s[14:15], s[18:19]
	s_and_saveexec_b64 s[26:27], s[34:35]
	s_cbranch_execnz .LBB7_164
.LBB7_139:
	s_or_b64 exec, exec, s[26:27]
	s_and_b64 s[26:27], s[16:17], s[18:19]
	s_and_saveexec_b64 s[18:19], s[26:27]
	s_cbranch_execnz .LBB7_168
	s_branch .LBB7_172
.LBB7_140:
	s_and_b64 vcc, exec, s[0:1]
	s_cbranch_vccnz .LBB7_142
; %bb.141:
	v_lshl_add_u64 v[60:61], v[64:65], 2, v[58:59]
	flat_load_dword v60, v[60:61]
	s_waitcnt vmcnt(0) lgkmcnt(0)
	v_mul_f32_e32 v60, s30, v60
	s_branch .LBB7_143
.LBB7_142:
	v_mov_b32_e32 v60, 0
.LBB7_143:
	v_pk_add_f32 v[62:63], v[32:33], v[52:53]
	s_nop 0
	v_min3_f32 v61, v62, v63, v134
	v_pk_add_f32 v[62:63], v[34:35], v[54:55]
	s_nop 0
	v_min_f32_e32 v62, v62, v63
	v_min3_f32 v62, v60, v62, v61
	v_lshl_add_u64 v[60:61], v[64:65], 2, v[56:57]
	global_store_dword v[60:61], v62, off
	s_or_b64 exec, exec, s[26:27]
	s_and_b64 s[34:35], s[4:5], s[18:19]
	s_and_saveexec_b64 s[26:27], s[34:35]
	s_cbranch_execz .LBB7_134
.LBB7_144:
	s_and_b64 vcc, exec, s[0:1]
	s_cbranch_vccnz .LBB7_146
; %bb.145:
	v_lshl_add_u64 v[60:61], v[66:67], 2, v[58:59]
	flat_load_dword v60, v[60:61]
	s_waitcnt vmcnt(0) lgkmcnt(0)
	v_mul_f32_e32 v60, s30, v60
	s_branch .LBB7_147
.LBB7_146:
	v_mov_b32_e32 v60, 0
.LBB7_147:
	v_pk_add_f32 v[62:63], v[28:29], v[52:53]
	s_nop 0
	v_min3_f32 v61, v62, v63, v132
	v_pk_add_f32 v[62:63], v[30:31], v[54:55]
	s_nop 0
	v_min_f32_e32 v62, v62, v63
	v_min3_f32 v62, v60, v62, v61
	v_lshl_add_u64 v[60:61], v[66:67], 2, v[56:57]
	global_store_dword v[60:61], v62, off
	s_or_b64 exec, exec, s[26:27]
	s_and_b64 s[34:35], s[6:7], s[18:19]
	s_and_saveexec_b64 s[26:27], s[34:35]
	s_cbranch_execz .LBB7_135
.LBB7_148:
	s_and_b64 vcc, exec, s[0:1]
	s_cbranch_vccnz .LBB7_150
; %bb.149:
	v_lshl_add_u64 v[60:61], v[68:69], 2, v[58:59]
	flat_load_dword v60, v[60:61]
	s_waitcnt vmcnt(0) lgkmcnt(0)
	v_mul_f32_e32 v60, s30, v60
	s_branch .LBB7_151
.LBB7_150:
	v_mov_b32_e32 v60, 0
.LBB7_151:
	v_pk_add_f32 v[62:63], v[24:25], v[52:53]
	s_nop 0
	v_min3_f32 v61, v62, v63, v130
	v_pk_add_f32 v[62:63], v[26:27], v[54:55]
	s_nop 0
	v_min_f32_e32 v62, v62, v63
	v_min3_f32 v62, v60, v62, v61
	v_lshl_add_u64 v[60:61], v[68:69], 2, v[56:57]
	global_store_dword v[60:61], v62, off
	s_or_b64 exec, exec, s[26:27]
	s_and_b64 s[34:35], s[8:9], s[18:19]
	s_and_saveexec_b64 s[26:27], s[34:35]
	s_cbranch_execz .LBB7_136
.LBB7_152:
	s_and_b64 vcc, exec, s[0:1]
	s_cbranch_vccnz .LBB7_154
; %bb.153:
	v_lshl_add_u64 v[60:61], v[70:71], 2, v[58:59]
	flat_load_dword v60, v[60:61]
	s_waitcnt vmcnt(0) lgkmcnt(0)
	v_mul_f32_e32 v60, s30, v60
	s_branch .LBB7_155
.LBB7_154:
	v_mov_b32_e32 v60, 0
.LBB7_155:
	v_pk_add_f32 v[62:63], v[20:21], v[52:53]
	s_nop 0
	v_min3_f32 v61, v62, v63, v129
	v_pk_add_f32 v[62:63], v[22:23], v[54:55]
	s_nop 0
	v_min_f32_e32 v62, v62, v63
	v_min3_f32 v62, v60, v62, v61
	v_lshl_add_u64 v[60:61], v[70:71], 2, v[56:57]
	global_store_dword v[60:61], v62, off
	s_or_b64 exec, exec, s[26:27]
	s_and_b64 s[34:35], s[10:11], s[18:19]
	s_and_saveexec_b64 s[26:27], s[34:35]
	s_cbranch_execz .LBB7_137
.LBB7_156:
	s_and_b64 vcc, exec, s[0:1]
	s_cbranch_vccnz .LBB7_158
; %bb.157:
	v_lshl_add_u64 v[60:61], v[72:73], 2, v[58:59]
	flat_load_dword v60, v[60:61]
	s_waitcnt vmcnt(0) lgkmcnt(0)
	v_mul_f32_e32 v60, s30, v60
	s_branch .LBB7_159
.LBB7_158:
	v_mov_b32_e32 v60, 0
.LBB7_159:
	v_pk_add_f32 v[62:63], v[16:17], v[52:53]
	s_nop 0
	v_min3_f32 v61, v62, v63, v128
	v_pk_add_f32 v[62:63], v[18:19], v[54:55]
	s_nop 0
	v_min_f32_e32 v62, v62, v63
	v_min3_f32 v62, v60, v62, v61
	v_lshl_add_u64 v[60:61], v[72:73], 2, v[56:57]
	global_store_dword v[60:61], v62, off
	s_or_b64 exec, exec, s[26:27]
	s_and_b64 s[34:35], s[12:13], s[18:19]
	s_and_saveexec_b64 s[26:27], s[34:35]
	s_cbranch_execz .LBB7_138
.LBB7_160:
	s_and_b64 vcc, exec, s[0:1]
	s_cbranch_vccnz .LBB7_162
; %bb.161:
	v_lshl_add_u64 v[60:61], v[74:75], 2, v[58:59]
	flat_load_dword v60, v[60:61]
	s_waitcnt vmcnt(0) lgkmcnt(0)
	v_mul_f32_e32 v60, s30, v60
	s_branch .LBB7_163
.LBB7_162:
	v_mov_b32_e32 v60, 0
.LBB7_163:
	v_pk_add_f32 v[62:63], v[12:13], v[52:53]
	s_nop 0
	v_min3_f32 v61, v62, v63, v127
	v_pk_add_f32 v[62:63], v[14:15], v[54:55]
	s_nop 0
	v_min_f32_e32 v62, v62, v63
	v_min3_f32 v62, v60, v62, v61
	v_lshl_add_u64 v[60:61], v[74:75], 2, v[56:57]
	global_store_dword v[60:61], v62, off
	s_or_b64 exec, exec, s[26:27]
	s_and_b64 s[34:35], s[14:15], s[18:19]
	s_and_saveexec_b64 s[26:27], s[34:35]
	s_cbranch_execz .LBB7_139
.LBB7_164:
	s_and_b64 vcc, exec, s[0:1]
	s_cbranch_vccnz .LBB7_166
; %bb.165:
	v_lshl_add_u64 v[60:61], v[76:77], 2, v[58:59]
	flat_load_dword v60, v[60:61]
	s_waitcnt vmcnt(0) lgkmcnt(0)
	v_mul_f32_e32 v60, s30, v60
	s_branch .LBB7_167
.LBB7_166:
	v_mov_b32_e32 v60, 0
.LBB7_167:
	v_pk_add_f32 v[62:63], v[8:9], v[52:53]
	s_nop 0
	v_min3_f32 v61, v62, v63, v126
	v_pk_add_f32 v[62:63], v[10:11], v[54:55]
	s_nop 0
	v_min_f32_e32 v62, v62, v63
	v_min3_f32 v62, v60, v62, v61
	v_lshl_add_u64 v[60:61], v[76:77], 2, v[56:57]
	global_store_dword v[60:61], v62, off
	s_or_b64 exec, exec, s[26:27]
	s_and_b64 s[26:27], s[16:17], s[18:19]
	s_and_saveexec_b64 s[18:19], s[26:27]
	s_cbranch_execz .LBB7_172
.LBB7_168:
	s_and_b64 vcc, exec, s[0:1]
	s_cbranch_vccnz .LBB7_170
; %bb.169:
	v_lshl_add_u64 v[58:59], v[78:79], 2, v[58:59]
	flat_load_dword v58, v[58:59]
	s_waitcnt vmcnt(0) lgkmcnt(0)
	v_mul_f32_e32 v58, s30, v58
	s_branch .LBB7_171
.LBB7_170:
	v_mov_b32_e32 v58, 0
.LBB7_171:
	v_pk_add_f32 v[52:53], v[0:1], v[52:53]
	s_nop 0
	v_min3_f32 v59, v52, v53, v125
	v_pk_add_f32 v[52:53], v[2:3], v[54:55]
	s_nop 0
	v_min_f32_e32 v52, v52, v53
	v_min3_f32 v54, v58, v52, v59
	v_lshl_add_u64 v[52:53], v[78:79], 2, v[56:57]
	global_store_dword v[52:53], v54, off
.LBB7_172:
	s_or_b64 exec, exec, s[18:19]
	v_add_u32_e32 v56, 24, v123
	v_mad_i64_i32 v[52:53], s[26:27], v56, s29, 0
	v_cmp_gt_i32_e64 s[18:19], s21, v56
	v_lshl_add_u64 v[54:55], v[52:53], 2, s[24:25]
	v_mad_i64_i32 v[52:53], s[26:27], v56, s28, 0
	v_lshl_add_u64 v[52:53], v[52:53], 2, s[22:23]
	s_and_b64 s[34:35], s[2:3], s[18:19]
	s_and_saveexec_b64 s[26:27], s[34:35]
	s_cbranch_execnz .LBB7_180
; %bb.173:
	s_or_b64 exec, exec, s[26:27]
	s_and_b64 s[34:35], s[4:5], s[18:19]
	s_and_saveexec_b64 s[26:27], s[34:35]
	s_cbranch_execnz .LBB7_184
.LBB7_174:
	s_or_b64 exec, exec, s[26:27]
	s_and_b64 s[34:35], s[6:7], s[18:19]
	s_and_saveexec_b64 s[26:27], s[34:35]
	s_cbranch_execnz .LBB7_188
.LBB7_175:
	s_or_b64 exec, exec, s[26:27]
	s_and_b64 s[34:35], s[8:9], s[18:19]
	s_and_saveexec_b64 s[26:27], s[34:35]
	s_cbranch_execnz .LBB7_192
.LBB7_176:
	s_or_b64 exec, exec, s[26:27]
	s_and_b64 s[34:35], s[10:11], s[18:19]
	s_and_saveexec_b64 s[26:27], s[34:35]
	s_cbranch_execnz .LBB7_196
.LBB7_177:
	s_or_b64 exec, exec, s[26:27]
	s_and_b64 s[34:35], s[12:13], s[18:19]
	s_and_saveexec_b64 s[26:27], s[34:35]
	s_cbranch_execnz .LBB7_200
.LBB7_178:
	s_or_b64 exec, exec, s[26:27]
	s_and_b64 s[34:35], s[14:15], s[18:19]
	s_and_saveexec_b64 s[26:27], s[34:35]
	s_cbranch_execnz .LBB7_204
.LBB7_179:
	s_or_b64 exec, exec, s[26:27]
	s_and_b64 s[26:27], s[16:17], s[18:19]
	s_and_saveexec_b64 s[18:19], s[26:27]
	s_cbranch_execnz .LBB7_208
	s_branch .LBB7_212
.LBB7_180:
	s_and_b64 vcc, exec, s[0:1]
	s_cbranch_vccnz .LBB7_182
; %bb.181:
	v_lshl_add_u64 v[56:57], v[64:65], 2, v[54:55]
	flat_load_dword v56, v[56:57]
	s_waitcnt vmcnt(0) lgkmcnt(0)
	v_mul_f32_e32 v56, s30, v56
	s_branch .LBB7_183
.LBB7_182:
	v_mov_b32_e32 v56, 0
.LBB7_183:
	v_pk_add_f32 v[58:59], v[32:33], v[48:49]
	s_nop 0
	v_min3_f32 v57, v58, v59, v124
	v_pk_add_f32 v[58:59], v[34:35], v[50:51]
	s_nop 0
	v_min_f32_e32 v58, v58, v59
	v_min3_f32 v58, v56, v58, v57
	v_lshl_add_u64 v[56:57], v[64:65], 2, v[52:53]
	global_store_dword v[56:57], v58, off
	s_or_b64 exec, exec, s[26:27]
	s_and_b64 s[34:35], s[4:5], s[18:19]
	s_and_saveexec_b64 s[26:27], s[34:35]
	s_cbranch_execz .LBB7_174
.LBB7_184:
	s_and_b64 vcc, exec, s[0:1]
	s_cbranch_vccnz .LBB7_186
; %bb.185:
	v_lshl_add_u64 v[56:57], v[66:67], 2, v[54:55]
	flat_load_dword v56, v[56:57]
	s_waitcnt vmcnt(0) lgkmcnt(0)
	v_mul_f32_e32 v56, s30, v56
	s_branch .LBB7_187
.LBB7_186:
	v_mov_b32_e32 v56, 0
.LBB7_187:
	v_pk_add_f32 v[58:59], v[28:29], v[48:49]
	s_nop 0
	v_min3_f32 v57, v58, v59, v122
	v_pk_add_f32 v[58:59], v[30:31], v[50:51]
	s_nop 0
	v_min_f32_e32 v58, v58, v59
	v_min3_f32 v58, v56, v58, v57
	v_lshl_add_u64 v[56:57], v[66:67], 2, v[52:53]
	global_store_dword v[56:57], v58, off
	s_or_b64 exec, exec, s[26:27]
	s_and_b64 s[34:35], s[6:7], s[18:19]
	s_and_saveexec_b64 s[26:27], s[34:35]
	s_cbranch_execz .LBB7_175
.LBB7_188:
	s_and_b64 vcc, exec, s[0:1]
	s_cbranch_vccnz .LBB7_190
; %bb.189:
	v_lshl_add_u64 v[56:57], v[68:69], 2, v[54:55]
	flat_load_dword v56, v[56:57]
	s_waitcnt vmcnt(0) lgkmcnt(0)
	v_mul_f32_e32 v56, s30, v56
	s_branch .LBB7_191
.LBB7_190:
	v_mov_b32_e32 v56, 0
.LBB7_191:
	v_pk_add_f32 v[58:59], v[24:25], v[48:49]
	s_nop 0
	v_min3_f32 v57, v58, v59, v121
	v_pk_add_f32 v[58:59], v[26:27], v[50:51]
	s_nop 0
	v_min_f32_e32 v58, v58, v59
	v_min3_f32 v58, v56, v58, v57
	v_lshl_add_u64 v[56:57], v[68:69], 2, v[52:53]
	global_store_dword v[56:57], v58, off
	s_or_b64 exec, exec, s[26:27]
	s_and_b64 s[34:35], s[8:9], s[18:19]
	s_and_saveexec_b64 s[26:27], s[34:35]
	s_cbranch_execz .LBB7_176
.LBB7_192:
	s_and_b64 vcc, exec, s[0:1]
	s_cbranch_vccnz .LBB7_194
; %bb.193:
	v_lshl_add_u64 v[56:57], v[70:71], 2, v[54:55]
	flat_load_dword v56, v[56:57]
	s_waitcnt vmcnt(0) lgkmcnt(0)
	v_mul_f32_e32 v56, s30, v56
	s_branch .LBB7_195
.LBB7_194:
	v_mov_b32_e32 v56, 0
.LBB7_195:
	v_pk_add_f32 v[58:59], v[20:21], v[48:49]
	s_nop 0
	v_min3_f32 v57, v58, v59, v120
	v_pk_add_f32 v[58:59], v[22:23], v[50:51]
	s_nop 0
	v_min_f32_e32 v58, v58, v59
	v_min3_f32 v58, v56, v58, v57
	v_lshl_add_u64 v[56:57], v[70:71], 2, v[52:53]
	global_store_dword v[56:57], v58, off
	s_or_b64 exec, exec, s[26:27]
	s_and_b64 s[34:35], s[10:11], s[18:19]
	s_and_saveexec_b64 s[26:27], s[34:35]
	s_cbranch_execz .LBB7_177
.LBB7_196:
	s_and_b64 vcc, exec, s[0:1]
	s_cbranch_vccnz .LBB7_198
; %bb.197:
	v_lshl_add_u64 v[56:57], v[72:73], 2, v[54:55]
	flat_load_dword v56, v[56:57]
	s_waitcnt vmcnt(0) lgkmcnt(0)
	v_mul_f32_e32 v56, s30, v56
	s_branch .LBB7_199
.LBB7_198:
	v_mov_b32_e32 v56, 0
.LBB7_199:
	v_pk_add_f32 v[58:59], v[16:17], v[48:49]
	s_nop 0
	v_min3_f32 v57, v58, v59, v119
	v_pk_add_f32 v[58:59], v[18:19], v[50:51]
	s_nop 0
	v_min_f32_e32 v58, v58, v59
	v_min3_f32 v58, v56, v58, v57
	v_lshl_add_u64 v[56:57], v[72:73], 2, v[52:53]
	global_store_dword v[56:57], v58, off
	s_or_b64 exec, exec, s[26:27]
	s_and_b64 s[34:35], s[12:13], s[18:19]
	s_and_saveexec_b64 s[26:27], s[34:35]
	s_cbranch_execz .LBB7_178
.LBB7_200:
	s_and_b64 vcc, exec, s[0:1]
	s_cbranch_vccnz .LBB7_202
; %bb.201:
	v_lshl_add_u64 v[56:57], v[74:75], 2, v[54:55]
	flat_load_dword v56, v[56:57]
	s_waitcnt vmcnt(0) lgkmcnt(0)
	v_mul_f32_e32 v56, s30, v56
	s_branch .LBB7_203
.LBB7_202:
	v_mov_b32_e32 v56, 0
.LBB7_203:
	v_pk_add_f32 v[58:59], v[12:13], v[48:49]
	s_nop 0
	v_min3_f32 v57, v58, v59, v118
	v_pk_add_f32 v[58:59], v[14:15], v[50:51]
	s_nop 0
	v_min_f32_e32 v58, v58, v59
	v_min3_f32 v58, v56, v58, v57
	v_lshl_add_u64 v[56:57], v[74:75], 2, v[52:53]
	global_store_dword v[56:57], v58, off
	s_or_b64 exec, exec, s[26:27]
	s_and_b64 s[34:35], s[14:15], s[18:19]
	s_and_saveexec_b64 s[26:27], s[34:35]
	s_cbranch_execz .LBB7_179
.LBB7_204:
	s_and_b64 vcc, exec, s[0:1]
	s_cbranch_vccnz .LBB7_206
; %bb.205:
	v_lshl_add_u64 v[56:57], v[76:77], 2, v[54:55]
	flat_load_dword v56, v[56:57]
	s_waitcnt vmcnt(0) lgkmcnt(0)
	v_mul_f32_e32 v56, s30, v56
	s_branch .LBB7_207
.LBB7_206:
	v_mov_b32_e32 v56, 0
.LBB7_207:
	v_pk_add_f32 v[58:59], v[8:9], v[48:49]
	s_nop 0
	v_min3_f32 v57, v58, v59, v117
	v_pk_add_f32 v[58:59], v[10:11], v[50:51]
	s_nop 0
	v_min_f32_e32 v58, v58, v59
	v_min3_f32 v58, v56, v58, v57
	v_lshl_add_u64 v[56:57], v[76:77], 2, v[52:53]
	global_store_dword v[56:57], v58, off
	s_or_b64 exec, exec, s[26:27]
	s_and_b64 s[26:27], s[16:17], s[18:19]
	s_and_saveexec_b64 s[18:19], s[26:27]
	s_cbranch_execz .LBB7_212
.LBB7_208:
	s_and_b64 vcc, exec, s[0:1]
	s_cbranch_vccnz .LBB7_210
; %bb.209:
	v_lshl_add_u64 v[54:55], v[78:79], 2, v[54:55]
	flat_load_dword v54, v[54:55]
	s_waitcnt vmcnt(0) lgkmcnt(0)
	v_mul_f32_e32 v54, s30, v54
	s_branch .LBB7_211
.LBB7_210:
	v_mov_b32_e32 v54, 0
.LBB7_211:
	v_pk_add_f32 v[48:49], v[0:1], v[48:49]
	s_nop 0
	v_min3_f32 v55, v48, v49, v116
	v_pk_add_f32 v[48:49], v[2:3], v[50:51]
	s_nop 0
	v_min_f32_e32 v48, v48, v49
	v_min3_f32 v50, v54, v48, v55
	v_lshl_add_u64 v[48:49], v[78:79], 2, v[52:53]
	global_store_dword v[48:49], v50, off
.LBB7_212:
	s_or_b64 exec, exec, s[18:19]
	v_add_u32_e32 v52, 32, v123
	v_mad_i64_i32 v[48:49], s[26:27], v52, s29, 0
	v_cmp_gt_i32_e64 s[18:19], s21, v52
	v_lshl_add_u64 v[50:51], v[48:49], 2, s[24:25]
	v_mad_i64_i32 v[48:49], s[26:27], v52, s28, 0
	v_lshl_add_u64 v[48:49], v[48:49], 2, s[22:23]
	s_and_b64 s[34:35], s[2:3], s[18:19]
	s_and_saveexec_b64 s[26:27], s[34:35]
	s_cbranch_execnz .LBB7_220
; %bb.213:
	s_or_b64 exec, exec, s[26:27]
	s_and_b64 s[34:35], s[4:5], s[18:19]
	s_and_saveexec_b64 s[26:27], s[34:35]
	s_cbranch_execnz .LBB7_224
.LBB7_214:
	s_or_b64 exec, exec, s[26:27]
	s_and_b64 s[34:35], s[6:7], s[18:19]
	s_and_saveexec_b64 s[26:27], s[34:35]
	s_cbranch_execnz .LBB7_228
.LBB7_215:
	s_or_b64 exec, exec, s[26:27]
	s_and_b64 s[34:35], s[8:9], s[18:19]
	s_and_saveexec_b64 s[26:27], s[34:35]
	s_cbranch_execnz .LBB7_232
.LBB7_216:
	s_or_b64 exec, exec, s[26:27]
	s_and_b64 s[34:35], s[10:11], s[18:19]
	s_and_saveexec_b64 s[26:27], s[34:35]
	s_cbranch_execnz .LBB7_236
.LBB7_217:
	s_or_b64 exec, exec, s[26:27]
	s_and_b64 s[34:35], s[12:13], s[18:19]
	s_and_saveexec_b64 s[26:27], s[34:35]
	s_cbranch_execnz .LBB7_240
.LBB7_218:
	s_or_b64 exec, exec, s[26:27]
	s_and_b64 s[34:35], s[14:15], s[18:19]
	s_and_saveexec_b64 s[26:27], s[34:35]
	s_cbranch_execnz .LBB7_244
.LBB7_219:
	s_or_b64 exec, exec, s[26:27]
	s_and_b64 s[26:27], s[16:17], s[18:19]
	s_and_saveexec_b64 s[18:19], s[26:27]
	s_cbranch_execnz .LBB7_248
	s_branch .LBB7_252
.LBB7_220:
	s_and_b64 vcc, exec, s[0:1]
	s_cbranch_vccnz .LBB7_222
; %bb.221:
	v_lshl_add_u64 v[52:53], v[64:65], 2, v[50:51]
	flat_load_dword v52, v[52:53]
	s_waitcnt vmcnt(0) lgkmcnt(0)
	v_mul_f32_e32 v52, s30, v52
	s_branch .LBB7_223
.LBB7_222:
	v_mov_b32_e32 v52, 0
.LBB7_223:
	v_pk_add_f32 v[54:55], v[32:33], v[44:45]
	s_nop 0
	v_min3_f32 v53, v54, v55, v115
	v_pk_add_f32 v[54:55], v[34:35], v[46:47]
	s_nop 0
	v_min_f32_e32 v54, v54, v55
	v_min3_f32 v54, v52, v54, v53
	v_lshl_add_u64 v[52:53], v[64:65], 2, v[48:49]
	global_store_dword v[52:53], v54, off
	s_or_b64 exec, exec, s[26:27]
	s_and_b64 s[34:35], s[4:5], s[18:19]
	s_and_saveexec_b64 s[26:27], s[34:35]
	s_cbranch_execz .LBB7_214
.LBB7_224:
	s_and_b64 vcc, exec, s[0:1]
	s_cbranch_vccnz .LBB7_226
; %bb.225:
	v_lshl_add_u64 v[52:53], v[66:67], 2, v[50:51]
	flat_load_dword v52, v[52:53]
	s_waitcnt vmcnt(0) lgkmcnt(0)
	v_mul_f32_e32 v52, s30, v52
	s_branch .LBB7_227
.LBB7_226:
	v_mov_b32_e32 v52, 0
.LBB7_227:
	v_pk_add_f32 v[54:55], v[28:29], v[44:45]
	s_nop 0
	v_min3_f32 v53, v54, v55, v114
	v_pk_add_f32 v[54:55], v[30:31], v[46:47]
	s_nop 0
	v_min_f32_e32 v54, v54, v55
	v_min3_f32 v54, v52, v54, v53
	v_lshl_add_u64 v[52:53], v[66:67], 2, v[48:49]
	global_store_dword v[52:53], v54, off
	s_or_b64 exec, exec, s[26:27]
	s_and_b64 s[34:35], s[6:7], s[18:19]
	s_and_saveexec_b64 s[26:27], s[34:35]
	s_cbranch_execz .LBB7_215
.LBB7_228:
	s_and_b64 vcc, exec, s[0:1]
	s_cbranch_vccnz .LBB7_230
; %bb.229:
	v_lshl_add_u64 v[52:53], v[68:69], 2, v[50:51]
	flat_load_dword v52, v[52:53]
	s_waitcnt vmcnt(0) lgkmcnt(0)
	v_mul_f32_e32 v52, s30, v52
	s_branch .LBB7_231
.LBB7_230:
	v_mov_b32_e32 v52, 0
.LBB7_231:
	v_pk_add_f32 v[54:55], v[24:25], v[44:45]
	s_nop 0
	v_min3_f32 v53, v54, v55, v113
	v_pk_add_f32 v[54:55], v[26:27], v[46:47]
	s_nop 0
	v_min_f32_e32 v54, v54, v55
	v_min3_f32 v54, v52, v54, v53
	v_lshl_add_u64 v[52:53], v[68:69], 2, v[48:49]
	global_store_dword v[52:53], v54, off
	s_or_b64 exec, exec, s[26:27]
	s_and_b64 s[34:35], s[8:9], s[18:19]
	s_and_saveexec_b64 s[26:27], s[34:35]
	s_cbranch_execz .LBB7_216
.LBB7_232:
	s_and_b64 vcc, exec, s[0:1]
	s_cbranch_vccnz .LBB7_234
; %bb.233:
	v_lshl_add_u64 v[52:53], v[70:71], 2, v[50:51]
	flat_load_dword v52, v[52:53]
	s_waitcnt vmcnt(0) lgkmcnt(0)
	v_mul_f32_e32 v52, s30, v52
	s_branch .LBB7_235
.LBB7_234:
	v_mov_b32_e32 v52, 0
.LBB7_235:
	v_pk_add_f32 v[54:55], v[20:21], v[44:45]
	s_nop 0
	v_min3_f32 v53, v54, v55, v112
	v_pk_add_f32 v[54:55], v[22:23], v[46:47]
	s_nop 0
	v_min_f32_e32 v54, v54, v55
	v_min3_f32 v54, v52, v54, v53
	v_lshl_add_u64 v[52:53], v[70:71], 2, v[48:49]
	global_store_dword v[52:53], v54, off
	s_or_b64 exec, exec, s[26:27]
	s_and_b64 s[34:35], s[10:11], s[18:19]
	s_and_saveexec_b64 s[26:27], s[34:35]
	s_cbranch_execz .LBB7_217
.LBB7_236:
	s_and_b64 vcc, exec, s[0:1]
	s_cbranch_vccnz .LBB7_238
; %bb.237:
	v_lshl_add_u64 v[52:53], v[72:73], 2, v[50:51]
	flat_load_dword v52, v[52:53]
	s_waitcnt vmcnt(0) lgkmcnt(0)
	v_mul_f32_e32 v52, s30, v52
	s_branch .LBB7_239
.LBB7_238:
	v_mov_b32_e32 v52, 0
.LBB7_239:
	v_pk_add_f32 v[54:55], v[16:17], v[44:45]
	s_nop 0
	v_min3_f32 v53, v54, v55, v111
	v_pk_add_f32 v[54:55], v[18:19], v[46:47]
	s_nop 0
	v_min_f32_e32 v54, v54, v55
	v_min3_f32 v54, v52, v54, v53
	v_lshl_add_u64 v[52:53], v[72:73], 2, v[48:49]
	global_store_dword v[52:53], v54, off
	s_or_b64 exec, exec, s[26:27]
	s_and_b64 s[34:35], s[12:13], s[18:19]
	s_and_saveexec_b64 s[26:27], s[34:35]
	s_cbranch_execz .LBB7_218
.LBB7_240:
	s_and_b64 vcc, exec, s[0:1]
	s_cbranch_vccnz .LBB7_242
; %bb.241:
	v_lshl_add_u64 v[52:53], v[74:75], 2, v[50:51]
	flat_load_dword v52, v[52:53]
	s_waitcnt vmcnt(0) lgkmcnt(0)
	v_mul_f32_e32 v52, s30, v52
	s_branch .LBB7_243
.LBB7_242:
	v_mov_b32_e32 v52, 0
.LBB7_243:
	v_pk_add_f32 v[54:55], v[12:13], v[44:45]
	s_nop 0
	v_min3_f32 v53, v54, v55, v110
	v_pk_add_f32 v[54:55], v[14:15], v[46:47]
	s_nop 0
	v_min_f32_e32 v54, v54, v55
	v_min3_f32 v54, v52, v54, v53
	v_lshl_add_u64 v[52:53], v[74:75], 2, v[48:49]
	global_store_dword v[52:53], v54, off
	s_or_b64 exec, exec, s[26:27]
	s_and_b64 s[34:35], s[14:15], s[18:19]
	s_and_saveexec_b64 s[26:27], s[34:35]
	s_cbranch_execz .LBB7_219
.LBB7_244:
	s_and_b64 vcc, exec, s[0:1]
	s_cbranch_vccnz .LBB7_246
; %bb.245:
	v_lshl_add_u64 v[52:53], v[76:77], 2, v[50:51]
	flat_load_dword v52, v[52:53]
	s_waitcnt vmcnt(0) lgkmcnt(0)
	v_mul_f32_e32 v52, s30, v52
	s_branch .LBB7_247
.LBB7_246:
	v_mov_b32_e32 v52, 0
.LBB7_247:
	v_pk_add_f32 v[54:55], v[8:9], v[44:45]
	s_nop 0
	v_min3_f32 v53, v54, v55, v109
	v_pk_add_f32 v[54:55], v[10:11], v[46:47]
	s_nop 0
	v_min_f32_e32 v54, v54, v55
	v_min3_f32 v54, v52, v54, v53
	v_lshl_add_u64 v[52:53], v[76:77], 2, v[48:49]
	global_store_dword v[52:53], v54, off
	s_or_b64 exec, exec, s[26:27]
	s_and_b64 s[26:27], s[16:17], s[18:19]
	s_and_saveexec_b64 s[18:19], s[26:27]
	s_cbranch_execz .LBB7_252
.LBB7_248:
	s_and_b64 vcc, exec, s[0:1]
	s_cbranch_vccnz .LBB7_250
; %bb.249:
	v_lshl_add_u64 v[50:51], v[78:79], 2, v[50:51]
	flat_load_dword v50, v[50:51]
	s_waitcnt vmcnt(0) lgkmcnt(0)
	v_mul_f32_e32 v50, s30, v50
	s_branch .LBB7_251
.LBB7_250:
	v_mov_b32_e32 v50, 0
.LBB7_251:
	v_pk_add_f32 v[44:45], v[0:1], v[44:45]
	s_nop 0
	v_min3_f32 v51, v44, v45, v108
	v_pk_add_f32 v[44:45], v[2:3], v[46:47]
	s_nop 0
	v_min_f32_e32 v44, v44, v45
	v_min3_f32 v46, v50, v44, v51
	v_lshl_add_u64 v[44:45], v[78:79], 2, v[48:49]
	global_store_dword v[44:45], v46, off
.LBB7_252:
	s_or_b64 exec, exec, s[18:19]
	v_add_u32_e32 v48, 40, v123
	v_mad_i64_i32 v[44:45], s[26:27], v48, s29, 0
	v_cmp_gt_i32_e64 s[18:19], s21, v48
	v_lshl_add_u64 v[46:47], v[44:45], 2, s[24:25]
	v_mad_i64_i32 v[44:45], s[26:27], v48, s28, 0
	v_lshl_add_u64 v[44:45], v[44:45], 2, s[22:23]
	s_and_b64 s[34:35], s[2:3], s[18:19]
	s_and_saveexec_b64 s[26:27], s[34:35]
	s_cbranch_execnz .LBB7_260
; %bb.253:
	s_or_b64 exec, exec, s[26:27]
	s_and_b64 s[34:35], s[4:5], s[18:19]
	s_and_saveexec_b64 s[26:27], s[34:35]
	s_cbranch_execnz .LBB7_264
.LBB7_254:
	s_or_b64 exec, exec, s[26:27]
	s_and_b64 s[34:35], s[6:7], s[18:19]
	s_and_saveexec_b64 s[26:27], s[34:35]
	s_cbranch_execnz .LBB7_268
.LBB7_255:
	s_or_b64 exec, exec, s[26:27]
	s_and_b64 s[34:35], s[8:9], s[18:19]
	s_and_saveexec_b64 s[26:27], s[34:35]
	s_cbranch_execnz .LBB7_272
.LBB7_256:
	s_or_b64 exec, exec, s[26:27]
	s_and_b64 s[34:35], s[10:11], s[18:19]
	s_and_saveexec_b64 s[26:27], s[34:35]
	s_cbranch_execnz .LBB7_276
.LBB7_257:
	s_or_b64 exec, exec, s[26:27]
	s_and_b64 s[34:35], s[12:13], s[18:19]
	s_and_saveexec_b64 s[26:27], s[34:35]
	s_cbranch_execnz .LBB7_280
.LBB7_258:
	s_or_b64 exec, exec, s[26:27]
	s_and_b64 s[34:35], s[14:15], s[18:19]
	s_and_saveexec_b64 s[26:27], s[34:35]
	s_cbranch_execnz .LBB7_284
.LBB7_259:
	s_or_b64 exec, exec, s[26:27]
	s_and_b64 s[26:27], s[16:17], s[18:19]
	s_and_saveexec_b64 s[18:19], s[26:27]
	s_cbranch_execnz .LBB7_288
	s_branch .LBB7_292
.LBB7_260:
	s_and_b64 vcc, exec, s[0:1]
	s_cbranch_vccnz .LBB7_262
; %bb.261:
	v_lshl_add_u64 v[48:49], v[64:65], 2, v[46:47]
	flat_load_dword v48, v[48:49]
	s_waitcnt vmcnt(0) lgkmcnt(0)
	v_mul_f32_e32 v48, s30, v48
	s_branch .LBB7_263
.LBB7_262:
	v_mov_b32_e32 v48, 0
.LBB7_263:
	v_pk_add_f32 v[50:51], v[32:33], v[40:41]
	s_nop 0
	v_min3_f32 v49, v50, v51, v107
	v_pk_add_f32 v[50:51], v[34:35], v[42:43]
	s_nop 0
	v_min_f32_e32 v50, v50, v51
	v_min3_f32 v50, v48, v50, v49
	v_lshl_add_u64 v[48:49], v[64:65], 2, v[44:45]
	global_store_dword v[48:49], v50, off
	s_or_b64 exec, exec, s[26:27]
	s_and_b64 s[34:35], s[4:5], s[18:19]
	s_and_saveexec_b64 s[26:27], s[34:35]
	s_cbranch_execz .LBB7_254
.LBB7_264:
	s_and_b64 vcc, exec, s[0:1]
	s_cbranch_vccnz .LBB7_266
; %bb.265:
	v_lshl_add_u64 v[48:49], v[66:67], 2, v[46:47]
	flat_load_dword v48, v[48:49]
	s_waitcnt vmcnt(0) lgkmcnt(0)
	v_mul_f32_e32 v48, s30, v48
	s_branch .LBB7_267
.LBB7_266:
	v_mov_b32_e32 v48, 0
.LBB7_267:
	v_pk_add_f32 v[50:51], v[28:29], v[40:41]
	s_nop 0
	v_min3_f32 v49, v50, v51, v106
	v_pk_add_f32 v[50:51], v[30:31], v[42:43]
	s_nop 0
	v_min_f32_e32 v50, v50, v51
	v_min3_f32 v50, v48, v50, v49
	v_lshl_add_u64 v[48:49], v[66:67], 2, v[44:45]
	global_store_dword v[48:49], v50, off
	s_or_b64 exec, exec, s[26:27]
	s_and_b64 s[34:35], s[6:7], s[18:19]
	s_and_saveexec_b64 s[26:27], s[34:35]
	s_cbranch_execz .LBB7_255
.LBB7_268:
	s_and_b64 vcc, exec, s[0:1]
	s_cbranch_vccnz .LBB7_270
; %bb.269:
	v_lshl_add_u64 v[48:49], v[68:69], 2, v[46:47]
	flat_load_dword v48, v[48:49]
	s_waitcnt vmcnt(0) lgkmcnt(0)
	v_mul_f32_e32 v48, s30, v48
	s_branch .LBB7_271
.LBB7_270:
	v_mov_b32_e32 v48, 0
.LBB7_271:
	v_pk_add_f32 v[50:51], v[24:25], v[40:41]
	s_nop 0
	v_min3_f32 v49, v50, v51, v105
	v_pk_add_f32 v[50:51], v[26:27], v[42:43]
	s_nop 0
	v_min_f32_e32 v50, v50, v51
	v_min3_f32 v50, v48, v50, v49
	v_lshl_add_u64 v[48:49], v[68:69], 2, v[44:45]
	global_store_dword v[48:49], v50, off
	s_or_b64 exec, exec, s[26:27]
	s_and_b64 s[34:35], s[8:9], s[18:19]
	s_and_saveexec_b64 s[26:27], s[34:35]
	s_cbranch_execz .LBB7_256
.LBB7_272:
	s_and_b64 vcc, exec, s[0:1]
	s_cbranch_vccnz .LBB7_274
; %bb.273:
	v_lshl_add_u64 v[48:49], v[70:71], 2, v[46:47]
	flat_load_dword v48, v[48:49]
	s_waitcnt vmcnt(0) lgkmcnt(0)
	v_mul_f32_e32 v48, s30, v48
	s_branch .LBB7_275
.LBB7_274:
	v_mov_b32_e32 v48, 0
.LBB7_275:
	v_pk_add_f32 v[50:51], v[20:21], v[40:41]
	s_nop 0
	v_min3_f32 v49, v50, v51, v104
	v_pk_add_f32 v[50:51], v[22:23], v[42:43]
	s_nop 0
	v_min_f32_e32 v50, v50, v51
	v_min3_f32 v50, v48, v50, v49
	v_lshl_add_u64 v[48:49], v[70:71], 2, v[44:45]
	global_store_dword v[48:49], v50, off
	s_or_b64 exec, exec, s[26:27]
	s_and_b64 s[34:35], s[10:11], s[18:19]
	s_and_saveexec_b64 s[26:27], s[34:35]
	s_cbranch_execz .LBB7_257
.LBB7_276:
	s_and_b64 vcc, exec, s[0:1]
	s_cbranch_vccnz .LBB7_278
; %bb.277:
	v_lshl_add_u64 v[48:49], v[72:73], 2, v[46:47]
	flat_load_dword v48, v[48:49]
	s_waitcnt vmcnt(0) lgkmcnt(0)
	v_mul_f32_e32 v48, s30, v48
	s_branch .LBB7_279
.LBB7_278:
	v_mov_b32_e32 v48, 0
.LBB7_279:
	v_pk_add_f32 v[50:51], v[16:17], v[40:41]
	s_nop 0
	v_min3_f32 v49, v50, v51, v103
	v_pk_add_f32 v[50:51], v[18:19], v[42:43]
	s_nop 0
	v_min_f32_e32 v50, v50, v51
	v_min3_f32 v50, v48, v50, v49
	v_lshl_add_u64 v[48:49], v[72:73], 2, v[44:45]
	global_store_dword v[48:49], v50, off
	s_or_b64 exec, exec, s[26:27]
	s_and_b64 s[34:35], s[12:13], s[18:19]
	s_and_saveexec_b64 s[26:27], s[34:35]
	s_cbranch_execz .LBB7_258
.LBB7_280:
	s_and_b64 vcc, exec, s[0:1]
	s_cbranch_vccnz .LBB7_282
; %bb.281:
	v_lshl_add_u64 v[48:49], v[74:75], 2, v[46:47]
	flat_load_dword v48, v[48:49]
	s_waitcnt vmcnt(0) lgkmcnt(0)
	v_mul_f32_e32 v48, s30, v48
	s_branch .LBB7_283
.LBB7_282:
	v_mov_b32_e32 v48, 0
.LBB7_283:
	v_pk_add_f32 v[50:51], v[12:13], v[40:41]
	s_nop 0
	v_min3_f32 v49, v50, v51, v102
	v_pk_add_f32 v[50:51], v[14:15], v[42:43]
	s_nop 0
	v_min_f32_e32 v50, v50, v51
	v_min3_f32 v50, v48, v50, v49
	v_lshl_add_u64 v[48:49], v[74:75], 2, v[44:45]
	global_store_dword v[48:49], v50, off
	s_or_b64 exec, exec, s[26:27]
	s_and_b64 s[34:35], s[14:15], s[18:19]
	s_and_saveexec_b64 s[26:27], s[34:35]
	s_cbranch_execz .LBB7_259
.LBB7_284:
	s_and_b64 vcc, exec, s[0:1]
	s_cbranch_vccnz .LBB7_286
; %bb.285:
	v_lshl_add_u64 v[48:49], v[76:77], 2, v[46:47]
	flat_load_dword v48, v[48:49]
	s_waitcnt vmcnt(0) lgkmcnt(0)
	v_mul_f32_e32 v48, s30, v48
	s_branch .LBB7_287
.LBB7_286:
	v_mov_b32_e32 v48, 0
.LBB7_287:
	v_pk_add_f32 v[50:51], v[8:9], v[40:41]
	s_nop 0
	v_min3_f32 v49, v50, v51, v101
	v_pk_add_f32 v[50:51], v[10:11], v[42:43]
	s_nop 0
	v_min_f32_e32 v50, v50, v51
	v_min3_f32 v50, v48, v50, v49
	v_lshl_add_u64 v[48:49], v[76:77], 2, v[44:45]
	global_store_dword v[48:49], v50, off
	s_or_b64 exec, exec, s[26:27]
	s_and_b64 s[26:27], s[16:17], s[18:19]
	s_and_saveexec_b64 s[18:19], s[26:27]
	s_cbranch_execz .LBB7_292
.LBB7_288:
	s_and_b64 vcc, exec, s[0:1]
	s_cbranch_vccnz .LBB7_290
; %bb.289:
	v_lshl_add_u64 v[46:47], v[78:79], 2, v[46:47]
	flat_load_dword v46, v[46:47]
	s_waitcnt vmcnt(0) lgkmcnt(0)
	v_mul_f32_e32 v46, s30, v46
	s_branch .LBB7_291
.LBB7_290:
	v_mov_b32_e32 v46, 0
.LBB7_291:
	v_pk_add_f32 v[40:41], v[0:1], v[40:41]
	s_nop 0
	v_min3_f32 v47, v40, v41, v100
	v_pk_add_f32 v[40:41], v[2:3], v[42:43]
	s_nop 0
	v_min_f32_e32 v40, v40, v41
	v_min3_f32 v42, v46, v40, v47
	v_lshl_add_u64 v[40:41], v[78:79], 2, v[44:45]
	global_store_dword v[40:41], v42, off
.LBB7_292:
	s_or_b64 exec, exec, s[18:19]
	v_add_u32_e32 v44, 48, v123
	v_mad_i64_i32 v[40:41], s[26:27], v44, s29, 0
	v_cmp_gt_i32_e64 s[18:19], s21, v44
	v_lshl_add_u64 v[42:43], v[40:41], 2, s[24:25]
	v_mad_i64_i32 v[40:41], s[26:27], v44, s28, 0
	v_lshl_add_u64 v[40:41], v[40:41], 2, s[22:23]
	s_and_b64 s[34:35], s[2:3], s[18:19]
	s_and_saveexec_b64 s[26:27], s[34:35]
	s_cbranch_execnz .LBB7_300
; %bb.293:
	s_or_b64 exec, exec, s[26:27]
	s_and_b64 s[34:35], s[4:5], s[18:19]
	s_and_saveexec_b64 s[26:27], s[34:35]
	s_cbranch_execnz .LBB7_304
.LBB7_294:
	s_or_b64 exec, exec, s[26:27]
	s_and_b64 s[34:35], s[6:7], s[18:19]
	s_and_saveexec_b64 s[26:27], s[34:35]
	s_cbranch_execnz .LBB7_308
.LBB7_295:
	s_or_b64 exec, exec, s[26:27]
	s_and_b64 s[34:35], s[8:9], s[18:19]
	s_and_saveexec_b64 s[26:27], s[34:35]
	s_cbranch_execnz .LBB7_312
.LBB7_296:
	s_or_b64 exec, exec, s[26:27]
	s_and_b64 s[34:35], s[10:11], s[18:19]
	s_and_saveexec_b64 s[26:27], s[34:35]
	s_cbranch_execnz .LBB7_316
.LBB7_297:
	s_or_b64 exec, exec, s[26:27]
	s_and_b64 s[34:35], s[12:13], s[18:19]
	s_and_saveexec_b64 s[26:27], s[34:35]
	s_cbranch_execnz .LBB7_320
.LBB7_298:
	s_or_b64 exec, exec, s[26:27]
	s_and_b64 s[34:35], s[14:15], s[18:19]
	s_and_saveexec_b64 s[26:27], s[34:35]
	s_cbranch_execnz .LBB7_324
.LBB7_299:
	s_or_b64 exec, exec, s[26:27]
	s_and_b64 s[26:27], s[16:17], s[18:19]
	s_and_saveexec_b64 s[18:19], s[26:27]
	s_cbranch_execnz .LBB7_328
	s_branch .LBB7_332
.LBB7_300:
	s_and_b64 vcc, exec, s[0:1]
	s_cbranch_vccnz .LBB7_302
; %bb.301:
	v_lshl_add_u64 v[44:45], v[64:65], 2, v[42:43]
	flat_load_dword v44, v[44:45]
	s_waitcnt vmcnt(0) lgkmcnt(0)
	v_mul_f32_e32 v44, s30, v44
	s_branch .LBB7_303
.LBB7_302:
	v_mov_b32_e32 v44, 0
.LBB7_303:
	v_pk_add_f32 v[46:47], v[32:33], v[36:37]
	s_nop 0
	v_min3_f32 v45, v46, v47, v99
	v_pk_add_f32 v[46:47], v[34:35], v[38:39]
	s_nop 0
	v_min_f32_e32 v46, v46, v47
	v_min3_f32 v46, v44, v46, v45
	v_lshl_add_u64 v[44:45], v[64:65], 2, v[40:41]
	global_store_dword v[44:45], v46, off
	s_or_b64 exec, exec, s[26:27]
	s_and_b64 s[34:35], s[4:5], s[18:19]
	s_and_saveexec_b64 s[26:27], s[34:35]
	s_cbranch_execz .LBB7_294
.LBB7_304:
	s_and_b64 vcc, exec, s[0:1]
	s_cbranch_vccnz .LBB7_306
; %bb.305:
	v_lshl_add_u64 v[44:45], v[66:67], 2, v[42:43]
	flat_load_dword v44, v[44:45]
	s_waitcnt vmcnt(0) lgkmcnt(0)
	v_mul_f32_e32 v44, s30, v44
	s_branch .LBB7_307
.LBB7_306:
	v_mov_b32_e32 v44, 0
.LBB7_307:
	v_pk_add_f32 v[46:47], v[28:29], v[36:37]
	s_nop 0
	v_min3_f32 v45, v46, v47, v98
	v_pk_add_f32 v[46:47], v[30:31], v[38:39]
	s_nop 0
	v_min_f32_e32 v46, v46, v47
	v_min3_f32 v46, v44, v46, v45
	v_lshl_add_u64 v[44:45], v[66:67], 2, v[40:41]
	global_store_dword v[44:45], v46, off
	s_or_b64 exec, exec, s[26:27]
	s_and_b64 s[34:35], s[6:7], s[18:19]
	s_and_saveexec_b64 s[26:27], s[34:35]
	s_cbranch_execz .LBB7_295
.LBB7_308:
	s_and_b64 vcc, exec, s[0:1]
	s_cbranch_vccnz .LBB7_310
; %bb.309:
	v_lshl_add_u64 v[44:45], v[68:69], 2, v[42:43]
	flat_load_dword v44, v[44:45]
	s_waitcnt vmcnt(0) lgkmcnt(0)
	v_mul_f32_e32 v44, s30, v44
	s_branch .LBB7_311
.LBB7_310:
	v_mov_b32_e32 v44, 0
.LBB7_311:
	v_pk_add_f32 v[46:47], v[24:25], v[36:37]
	s_nop 0
	v_min3_f32 v45, v46, v47, v97
	v_pk_add_f32 v[46:47], v[26:27], v[38:39]
	s_nop 0
	v_min_f32_e32 v46, v46, v47
	v_min3_f32 v46, v44, v46, v45
	v_lshl_add_u64 v[44:45], v[68:69], 2, v[40:41]
	global_store_dword v[44:45], v46, off
	s_or_b64 exec, exec, s[26:27]
	s_and_b64 s[34:35], s[8:9], s[18:19]
	s_and_saveexec_b64 s[26:27], s[34:35]
	s_cbranch_execz .LBB7_296
.LBB7_312:
	s_and_b64 vcc, exec, s[0:1]
	s_cbranch_vccnz .LBB7_314
; %bb.313:
	v_lshl_add_u64 v[44:45], v[70:71], 2, v[42:43]
	flat_load_dword v44, v[44:45]
	s_waitcnt vmcnt(0) lgkmcnt(0)
	v_mul_f32_e32 v44, s30, v44
	s_branch .LBB7_315
.LBB7_314:
	v_mov_b32_e32 v44, 0
.LBB7_315:
	v_pk_add_f32 v[46:47], v[20:21], v[36:37]
	s_nop 0
	v_min3_f32 v45, v46, v47, v96
	v_pk_add_f32 v[46:47], v[22:23], v[38:39]
	s_nop 0
	v_min_f32_e32 v46, v46, v47
	v_min3_f32 v46, v44, v46, v45
	v_lshl_add_u64 v[44:45], v[70:71], 2, v[40:41]
	global_store_dword v[44:45], v46, off
	s_or_b64 exec, exec, s[26:27]
	s_and_b64 s[34:35], s[10:11], s[18:19]
	s_and_saveexec_b64 s[26:27], s[34:35]
	s_cbranch_execz .LBB7_297
.LBB7_316:
	s_and_b64 vcc, exec, s[0:1]
	s_cbranch_vccnz .LBB7_318
; %bb.317:
	v_lshl_add_u64 v[44:45], v[72:73], 2, v[42:43]
	flat_load_dword v44, v[44:45]
	s_waitcnt vmcnt(0) lgkmcnt(0)
	v_mul_f32_e32 v44, s30, v44
	s_branch .LBB7_319
.LBB7_318:
	v_mov_b32_e32 v44, 0
.LBB7_319:
	v_pk_add_f32 v[46:47], v[16:17], v[36:37]
	s_nop 0
	v_min3_f32 v45, v46, v47, v95
	v_pk_add_f32 v[46:47], v[18:19], v[38:39]
	s_nop 0
	v_min_f32_e32 v46, v46, v47
	v_min3_f32 v46, v44, v46, v45
	v_lshl_add_u64 v[44:45], v[72:73], 2, v[40:41]
	global_store_dword v[44:45], v46, off
	s_or_b64 exec, exec, s[26:27]
	s_and_b64 s[34:35], s[12:13], s[18:19]
	s_and_saveexec_b64 s[26:27], s[34:35]
	s_cbranch_execz .LBB7_298
.LBB7_320:
	s_and_b64 vcc, exec, s[0:1]
	s_cbranch_vccnz .LBB7_322
; %bb.321:
	v_lshl_add_u64 v[44:45], v[74:75], 2, v[42:43]
	flat_load_dword v44, v[44:45]
	s_waitcnt vmcnt(0) lgkmcnt(0)
	v_mul_f32_e32 v44, s30, v44
	s_branch .LBB7_323
.LBB7_322:
	v_mov_b32_e32 v44, 0
.LBB7_323:
	v_pk_add_f32 v[46:47], v[12:13], v[36:37]
	s_nop 0
	v_min3_f32 v45, v46, v47, v94
	v_pk_add_f32 v[46:47], v[14:15], v[38:39]
	s_nop 0
	v_min_f32_e32 v46, v46, v47
	v_min3_f32 v46, v44, v46, v45
	v_lshl_add_u64 v[44:45], v[74:75], 2, v[40:41]
	global_store_dword v[44:45], v46, off
	s_or_b64 exec, exec, s[26:27]
	s_and_b64 s[34:35], s[14:15], s[18:19]
	s_and_saveexec_b64 s[26:27], s[34:35]
	s_cbranch_execz .LBB7_299
.LBB7_324:
	s_and_b64 vcc, exec, s[0:1]
	s_cbranch_vccnz .LBB7_326
; %bb.325:
	v_lshl_add_u64 v[44:45], v[76:77], 2, v[42:43]
	flat_load_dword v44, v[44:45]
	s_waitcnt vmcnt(0) lgkmcnt(0)
	v_mul_f32_e32 v44, s30, v44
	s_branch .LBB7_327
.LBB7_326:
	v_mov_b32_e32 v44, 0
.LBB7_327:
	v_pk_add_f32 v[46:47], v[8:9], v[36:37]
	s_nop 0
	v_min3_f32 v45, v46, v47, v93
	v_pk_add_f32 v[46:47], v[10:11], v[38:39]
	s_nop 0
	v_min_f32_e32 v46, v46, v47
	v_min3_f32 v46, v44, v46, v45
	v_lshl_add_u64 v[44:45], v[76:77], 2, v[40:41]
	global_store_dword v[44:45], v46, off
	s_or_b64 exec, exec, s[26:27]
	s_and_b64 s[26:27], s[16:17], s[18:19]
	s_and_saveexec_b64 s[18:19], s[26:27]
	s_cbranch_execz .LBB7_332
.LBB7_328:
	s_and_b64 vcc, exec, s[0:1]
	s_cbranch_vccnz .LBB7_330
; %bb.329:
	v_lshl_add_u64 v[42:43], v[78:79], 2, v[42:43]
	flat_load_dword v42, v[42:43]
	s_waitcnt vmcnt(0) lgkmcnt(0)
	v_mul_f32_e32 v42, s30, v42
	s_branch .LBB7_331
.LBB7_330:
	v_mov_b32_e32 v42, 0
.LBB7_331:
	v_pk_add_f32 v[36:37], v[0:1], v[36:37]
	s_nop 0
	v_min3_f32 v43, v36, v37, v92
	v_pk_add_f32 v[36:37], v[2:3], v[38:39]
	s_nop 0
	v_min_f32_e32 v36, v36, v37
	v_min3_f32 v38, v42, v36, v43
	v_lshl_add_u64 v[36:37], v[78:79], 2, v[40:41]
	global_store_dword v[36:37], v38, off
.LBB7_332:
	s_or_b64 exec, exec, s[18:19]
	v_add_u32_e32 v40, 56, v123
	v_cmp_gt_i32_e64 s[18:19], s21, v40
	v_mad_i64_i32 v[36:37], s[20:21], v40, s29, 0
	v_lshl_add_u64 v[38:39], v[36:37], 2, s[24:25]
	v_mad_i64_i32 v[36:37], s[20:21], v40, s28, 0
	v_lshl_add_u64 v[36:37], v[36:37], 2, s[22:23]
	s_and_b64 s[20:21], s[2:3], s[18:19]
	s_and_saveexec_b64 s[2:3], s[20:21]
	s_cbranch_execnz .LBB7_341
; %bb.333:
	s_or_b64 exec, exec, s[2:3]
	s_and_b64 s[4:5], s[4:5], s[18:19]
	s_and_saveexec_b64 s[2:3], s[4:5]
	s_cbranch_execnz .LBB7_345
.LBB7_334:
	s_or_b64 exec, exec, s[2:3]
	s_and_b64 s[4:5], s[6:7], s[18:19]
	s_and_saveexec_b64 s[2:3], s[4:5]
	s_cbranch_execnz .LBB7_349
.LBB7_335:
	s_or_b64 exec, exec, s[2:3]
	s_and_b64 s[4:5], s[8:9], s[18:19]
	s_and_saveexec_b64 s[2:3], s[4:5]
	s_cbranch_execnz .LBB7_353
.LBB7_336:
	s_or_b64 exec, exec, s[2:3]
	s_and_b64 s[4:5], s[10:11], s[18:19]
	s_and_saveexec_b64 s[2:3], s[4:5]
	s_cbranch_execnz .LBB7_357
.LBB7_337:
	s_or_b64 exec, exec, s[2:3]
	s_and_b64 s[4:5], s[12:13], s[18:19]
	s_and_saveexec_b64 s[2:3], s[4:5]
	s_cbranch_execnz .LBB7_361
.LBB7_338:
	s_or_b64 exec, exec, s[2:3]
	s_and_b64 s[4:5], s[14:15], s[18:19]
	s_and_saveexec_b64 s[2:3], s[4:5]
	s_cbranch_execnz .LBB7_365
.LBB7_339:
	s_or_b64 exec, exec, s[2:3]
	s_and_b64 s[2:3], s[16:17], s[18:19]
	s_and_saveexec_b64 s[4:5], s[2:3]
	s_cbranch_execnz .LBB7_369
.LBB7_340:
	s_endpgm
.LBB7_341:
	s_and_b64 vcc, exec, s[0:1]
	s_cbranch_vccnz .LBB7_343
; %bb.342:
	v_lshl_add_u64 v[40:41], v[64:65], 2, v[38:39]
	flat_load_dword v40, v[40:41]
	s_waitcnt vmcnt(0) lgkmcnt(0)
	v_mul_f32_e32 v40, s30, v40
	s_branch .LBB7_344
.LBB7_343:
	v_mov_b32_e32 v40, 0
.LBB7_344:
	v_pk_add_f32 v[32:33], v[32:33], v[4:5]
	s_nop 0
	v_min3_f32 v41, v32, v33, v91
	v_pk_add_f32 v[32:33], v[34:35], v[6:7]
	s_nop 0
	v_min_f32_e32 v32, v32, v33
	v_min3_f32 v34, v40, v32, v41
	v_lshl_add_u64 v[32:33], v[64:65], 2, v[36:37]
	global_store_dword v[32:33], v34, off
	s_or_b64 exec, exec, s[2:3]
	s_and_b64 s[4:5], s[4:5], s[18:19]
	s_and_saveexec_b64 s[2:3], s[4:5]
	s_cbranch_execz .LBB7_334
.LBB7_345:
	s_and_b64 vcc, exec, s[0:1]
	s_cbranch_vccnz .LBB7_347
; %bb.346:
	v_lshl_add_u64 v[32:33], v[66:67], 2, v[38:39]
	flat_load_dword v32, v[32:33]
	s_waitcnt vmcnt(0) lgkmcnt(0)
	v_mul_f32_e32 v32, s30, v32
	s_branch .LBB7_348
.LBB7_347:
	v_mov_b32_e32 v32, 0
.LBB7_348:
	v_pk_add_f32 v[28:29], v[28:29], v[4:5]
	s_nop 0
	v_min3_f32 v33, v28, v29, v90
	v_pk_add_f32 v[28:29], v[30:31], v[6:7]
	s_nop 0
	v_min_f32_e32 v28, v28, v29
	v_min3_f32 v30, v32, v28, v33
	v_lshl_add_u64 v[28:29], v[66:67], 2, v[36:37]
	global_store_dword v[28:29], v30, off
	s_or_b64 exec, exec, s[2:3]
	s_and_b64 s[4:5], s[6:7], s[18:19]
	s_and_saveexec_b64 s[2:3], s[4:5]
	s_cbranch_execz .LBB7_335
.LBB7_349:
	s_and_b64 vcc, exec, s[0:1]
	s_cbranch_vccnz .LBB7_351
; %bb.350:
	v_lshl_add_u64 v[28:29], v[68:69], 2, v[38:39]
	flat_load_dword v28, v[28:29]
	s_waitcnt vmcnt(0) lgkmcnt(0)
	v_mul_f32_e32 v28, s30, v28
	s_branch .LBB7_352
.LBB7_351:
	v_mov_b32_e32 v28, 0
.LBB7_352:
	v_pk_add_f32 v[24:25], v[24:25], v[4:5]
	s_nop 0
	v_min3_f32 v29, v24, v25, v89
	v_pk_add_f32 v[24:25], v[26:27], v[6:7]
	s_nop 0
	v_min_f32_e32 v24, v24, v25
	v_min3_f32 v26, v28, v24, v29
	v_lshl_add_u64 v[24:25], v[68:69], 2, v[36:37]
	global_store_dword v[24:25], v26, off
	s_or_b64 exec, exec, s[2:3]
	s_and_b64 s[4:5], s[8:9], s[18:19]
	s_and_saveexec_b64 s[2:3], s[4:5]
	s_cbranch_execz .LBB7_336
.LBB7_353:
	s_and_b64 vcc, exec, s[0:1]
	s_cbranch_vccnz .LBB7_355
; %bb.354:
	v_lshl_add_u64 v[24:25], v[70:71], 2, v[38:39]
	flat_load_dword v24, v[24:25]
	s_waitcnt vmcnt(0) lgkmcnt(0)
	v_mul_f32_e32 v24, s30, v24
	s_branch .LBB7_356
.LBB7_355:
	v_mov_b32_e32 v24, 0
.LBB7_356:
	v_pk_add_f32 v[20:21], v[20:21], v[4:5]
	s_nop 0
	v_min3_f32 v25, v20, v21, v87
	v_pk_add_f32 v[20:21], v[22:23], v[6:7]
	s_nop 0
	v_min_f32_e32 v20, v20, v21
	v_min3_f32 v22, v24, v20, v25
	v_lshl_add_u64 v[20:21], v[70:71], 2, v[36:37]
	global_store_dword v[20:21], v22, off
	s_or_b64 exec, exec, s[2:3]
	s_and_b64 s[4:5], s[10:11], s[18:19]
	s_and_saveexec_b64 s[2:3], s[4:5]
	s_cbranch_execz .LBB7_337
.LBB7_357:
	s_and_b64 vcc, exec, s[0:1]
	s_cbranch_vccnz .LBB7_359
; %bb.358:
	v_lshl_add_u64 v[20:21], v[72:73], 2, v[38:39]
	flat_load_dword v20, v[20:21]
	s_waitcnt vmcnt(0) lgkmcnt(0)
	v_mul_f32_e32 v20, s30, v20
	s_branch .LBB7_360
.LBB7_359:
	v_mov_b32_e32 v20, 0
.LBB7_360:
	v_pk_add_f32 v[16:17], v[16:17], v[4:5]
	s_nop 0
	v_min3_f32 v21, v16, v17, v86
	v_pk_add_f32 v[16:17], v[18:19], v[6:7]
	s_nop 0
	v_min_f32_e32 v16, v16, v17
	v_min3_f32 v18, v20, v16, v21
	v_lshl_add_u64 v[16:17], v[72:73], 2, v[36:37]
	global_store_dword v[16:17], v18, off
	s_or_b64 exec, exec, s[2:3]
	s_and_b64 s[4:5], s[12:13], s[18:19]
	s_and_saveexec_b64 s[2:3], s[4:5]
	s_cbranch_execz .LBB7_338
.LBB7_361:
	s_and_b64 vcc, exec, s[0:1]
	s_cbranch_vccnz .LBB7_363
; %bb.362:
	v_lshl_add_u64 v[16:17], v[74:75], 2, v[38:39]
	flat_load_dword v16, v[16:17]
	s_waitcnt vmcnt(0) lgkmcnt(0)
	v_mul_f32_e32 v16, s30, v16
	s_branch .LBB7_364
.LBB7_363:
	v_mov_b32_e32 v16, 0
.LBB7_364:
	v_pk_add_f32 v[12:13], v[12:13], v[4:5]
	s_nop 0
	v_min3_f32 v17, v12, v13, v85
	v_pk_add_f32 v[12:13], v[14:15], v[6:7]
	s_nop 0
	v_min_f32_e32 v12, v12, v13
	v_min3_f32 v14, v16, v12, v17
	v_lshl_add_u64 v[12:13], v[74:75], 2, v[36:37]
	global_store_dword v[12:13], v14, off
	s_or_b64 exec, exec, s[2:3]
	s_and_b64 s[4:5], s[14:15], s[18:19]
	s_and_saveexec_b64 s[2:3], s[4:5]
	s_cbranch_execz .LBB7_339
.LBB7_365:
	s_and_b64 vcc, exec, s[0:1]
	s_cbranch_vccnz .LBB7_367
; %bb.366:
	v_lshl_add_u64 v[12:13], v[76:77], 2, v[38:39]
	flat_load_dword v12, v[12:13]
	s_waitcnt vmcnt(0) lgkmcnt(0)
	v_mul_f32_e32 v12, s30, v12
	s_branch .LBB7_368
.LBB7_367:
	v_mov_b32_e32 v12, 0
.LBB7_368:
	v_pk_add_f32 v[8:9], v[8:9], v[4:5]
	s_nop 0
	v_min3_f32 v13, v8, v9, v84
	v_pk_add_f32 v[8:9], v[10:11], v[6:7]
	s_nop 0
	v_min_f32_e32 v8, v8, v9
	v_min3_f32 v10, v12, v8, v13
	v_lshl_add_u64 v[8:9], v[76:77], 2, v[36:37]
	global_store_dword v[8:9], v10, off
	s_or_b64 exec, exec, s[2:3]
	s_and_b64 s[2:3], s[16:17], s[18:19]
	s_and_saveexec_b64 s[4:5], s[2:3]
	s_cbranch_execz .LBB7_340
.LBB7_369:
	s_and_b64 vcc, exec, s[0:1]
	s_cbranch_vccnz .LBB7_371
; %bb.370:
	v_lshl_add_u64 v[8:9], v[78:79], 2, v[38:39]
	flat_load_dword v8, v[8:9]
	s_waitcnt vmcnt(0) lgkmcnt(0)
	v_mul_f32_e32 v8, s30, v8
	s_branch .LBB7_372
.LBB7_371:
	v_mov_b32_e32 v8, 0
.LBB7_372:
	v_pk_add_f32 v[0:1], v[0:1], v[4:5]
	s_nop 0
	v_min3_f32 v4, v0, v1, v88
	v_pk_add_f32 v[0:1], v[2:3], v[6:7]
	s_nop 0
	v_min_f32_e32 v0, v0, v1
	v_min3_f32 v2, v8, v0, v4
	v_lshl_add_u64 v[0:1], v[78:79], 2, v[36:37]
	global_store_dword v[0:1], v2, off
	s_endpgm
	.section	.rodata,"a",@progbits
	.p2align	6, 0x0
	.amdhsa_kernel _ZN12_GLOBAL__N_120geam_min_plus_kernelIf15HIP_vector_typeIfLj2EEfLi32ELi8ELi256ELi64ELi4ELi64ELi4ELi4ELi64ELc78ELc78ELb1ELb1ELb1EfKPKfKPfEEviiiT16_PT17_ilSA_ilS8_SA_ilPT18_ili26rocblas_geam_ex_operation_
		.amdhsa_group_segment_fixed_size 10240
		.amdhsa_private_segment_fixed_size 0
		.amdhsa_kernarg_size 128
		.amdhsa_user_sgpr_count 2
		.amdhsa_user_sgpr_dispatch_ptr 0
		.amdhsa_user_sgpr_queue_ptr 0
		.amdhsa_user_sgpr_kernarg_segment_ptr 1
		.amdhsa_user_sgpr_dispatch_id 0
		.amdhsa_user_sgpr_kernarg_preload_length 0
		.amdhsa_user_sgpr_kernarg_preload_offset 0
		.amdhsa_user_sgpr_private_segment_size 0
		.amdhsa_uses_dynamic_stack 0
		.amdhsa_enable_private_segment 0
		.amdhsa_system_sgpr_workgroup_id_x 1
		.amdhsa_system_sgpr_workgroup_id_y 0
		.amdhsa_system_sgpr_workgroup_id_z 1
		.amdhsa_system_sgpr_workgroup_info 0
		.amdhsa_system_vgpr_workitem_id 1
		.amdhsa_next_free_vgpr 176
		.amdhsa_next_free_sgpr 38
		.amdhsa_accum_offset 176
		.amdhsa_reserve_vcc 1
		.amdhsa_float_round_mode_32 0
		.amdhsa_float_round_mode_16_64 0
		.amdhsa_float_denorm_mode_32 3
		.amdhsa_float_denorm_mode_16_64 3
		.amdhsa_dx10_clamp 1
		.amdhsa_ieee_mode 1
		.amdhsa_fp16_overflow 0
		.amdhsa_tg_split 0
		.amdhsa_exception_fp_ieee_invalid_op 0
		.amdhsa_exception_fp_denorm_src 0
		.amdhsa_exception_fp_ieee_div_zero 0
		.amdhsa_exception_fp_ieee_overflow 0
		.amdhsa_exception_fp_ieee_underflow 0
		.amdhsa_exception_fp_ieee_inexact 0
		.amdhsa_exception_int_div_zero 0
	.end_amdhsa_kernel
	.section	.text._ZN12_GLOBAL__N_120geam_min_plus_kernelIf15HIP_vector_typeIfLj2EEfLi32ELi8ELi256ELi64ELi4ELi64ELi4ELi4ELi64ELc78ELc78ELb1ELb1ELb1EfKPKfKPfEEviiiT16_PT17_ilSA_ilS8_SA_ilPT18_ili26rocblas_geam_ex_operation_,"axG",@progbits,_ZN12_GLOBAL__N_120geam_min_plus_kernelIf15HIP_vector_typeIfLj2EEfLi32ELi8ELi256ELi64ELi4ELi64ELi4ELi4ELi64ELc78ELc78ELb1ELb1ELb1EfKPKfKPfEEviiiT16_PT17_ilSA_ilS8_SA_ilPT18_ili26rocblas_geam_ex_operation_,comdat
.Lfunc_end7:
	.size	_ZN12_GLOBAL__N_120geam_min_plus_kernelIf15HIP_vector_typeIfLj2EEfLi32ELi8ELi256ELi64ELi4ELi64ELi4ELi4ELi64ELc78ELc78ELb1ELb1ELb1EfKPKfKPfEEviiiT16_PT17_ilSA_ilS8_SA_ilPT18_ili26rocblas_geam_ex_operation_, .Lfunc_end7-_ZN12_GLOBAL__N_120geam_min_plus_kernelIf15HIP_vector_typeIfLj2EEfLi32ELi8ELi256ELi64ELi4ELi64ELi4ELi4ELi64ELc78ELc78ELb1ELb1ELb1EfKPKfKPfEEviiiT16_PT17_ilSA_ilS8_SA_ilPT18_ili26rocblas_geam_ex_operation_
                                        ; -- End function
	.section	.AMDGPU.csdata,"",@progbits
; Kernel info:
; codeLenInByte = 18548
; NumSgprs: 44
; NumVgprs: 176
; NumAgprs: 0
; TotalNumVgprs: 176
; ScratchSize: 0
; MemoryBound: 0
; FloatMode: 240
; IeeeMode: 1
; LDSByteSize: 10240 bytes/workgroup (compile time only)
; SGPRBlocks: 5
; VGPRBlocks: 21
; NumSGPRsForWavesPerEU: 44
; NumVGPRsForWavesPerEU: 176
; AccumOffset: 176
; Occupancy: 2
; WaveLimiterHint : 1
; COMPUTE_PGM_RSRC2:SCRATCH_EN: 0
; COMPUTE_PGM_RSRC2:USER_SGPR: 2
; COMPUTE_PGM_RSRC2:TRAP_HANDLER: 0
; COMPUTE_PGM_RSRC2:TGID_X_EN: 1
; COMPUTE_PGM_RSRC2:TGID_Y_EN: 0
; COMPUTE_PGM_RSRC2:TGID_Z_EN: 1
; COMPUTE_PGM_RSRC2:TIDIG_COMP_CNT: 1
; COMPUTE_PGM_RSRC3_GFX90A:ACCUM_OFFSET: 43
; COMPUTE_PGM_RSRC3_GFX90A:TG_SPLIT: 0
	.section	.text._ZN12_GLOBAL__N_120geam_min_plus_kernelIf15HIP_vector_typeIfLj2EEfLi32ELi8ELi256ELi64ELi4ELi64ELi4ELi4ELi64ELc78ELc78ELb0ELb1ELb1EfKPKfKPfEEviiiT16_PT17_ilSA_ilS8_SA_ilPT18_ili26rocblas_geam_ex_operation_,"axG",@progbits,_ZN12_GLOBAL__N_120geam_min_plus_kernelIf15HIP_vector_typeIfLj2EEfLi32ELi8ELi256ELi64ELi4ELi64ELi4ELi4ELi64ELc78ELc78ELb0ELb1ELb1EfKPKfKPfEEviiiT16_PT17_ilSA_ilS8_SA_ilPT18_ili26rocblas_geam_ex_operation_,comdat
	.globl	_ZN12_GLOBAL__N_120geam_min_plus_kernelIf15HIP_vector_typeIfLj2EEfLi32ELi8ELi256ELi64ELi4ELi64ELi4ELi4ELi64ELc78ELc78ELb0ELb1ELb1EfKPKfKPfEEviiiT16_PT17_ilSA_ilS8_SA_ilPT18_ili26rocblas_geam_ex_operation_ ; -- Begin function _ZN12_GLOBAL__N_120geam_min_plus_kernelIf15HIP_vector_typeIfLj2EEfLi32ELi8ELi256ELi64ELi4ELi64ELi4ELi4ELi64ELc78ELc78ELb0ELb1ELb1EfKPKfKPfEEviiiT16_PT17_ilSA_ilS8_SA_ilPT18_ili26rocblas_geam_ex_operation_
	.p2align	8
	.type	_ZN12_GLOBAL__N_120geam_min_plus_kernelIf15HIP_vector_typeIfLj2EEfLi32ELi8ELi256ELi64ELi4ELi64ELi4ELi4ELi64ELc78ELc78ELb0ELb1ELb1EfKPKfKPfEEviiiT16_PT17_ilSA_ilS8_SA_ilPT18_ili26rocblas_geam_ex_operation_,@function
_ZN12_GLOBAL__N_120geam_min_plus_kernelIf15HIP_vector_typeIfLj2EEfLi32ELi8ELi256ELi64ELi4ELi64ELi4ELi4ELi64ELc78ELc78ELb0ELb1ELb1EfKPKfKPfEEviiiT16_PT17_ilSA_ilS8_SA_ilPT18_ili26rocblas_geam_ex_operation_: ; @_ZN12_GLOBAL__N_120geam_min_plus_kernelIf15HIP_vector_typeIfLj2EEfLi32ELi8ELi256ELi64ELi4ELi64ELi4ELi4ELi64ELc78ELc78ELb0ELb1ELb1EfKPKfKPfEEviiiT16_PT17_ilSA_ilS8_SA_ilPT18_ili26rocblas_geam_ex_operation_
; %bb.0:
	s_load_dwordx4 s[20:23], s[0:1], 0x0
	s_load_dwordx4 s[4:7], s[0:1], 0x20
	s_mov_b32 s8, s3
	s_mov_b32 s9, 0
	s_waitcnt lgkmcnt(0)
	v_cmp_eq_f32_e64 s[10:11], s23, 0
	s_and_b64 vcc, exec, s[10:11]
	s_cbranch_vccnz .LBB8_3
; %bb.1:
	s_load_dwordx2 s[12:13], s[0:1], 0x10
	s_lshl_b64 s[14:15], s[8:9], 3
	s_waitcnt lgkmcnt(0)
	s_add_u32 s12, s12, s14
	s_addc_u32 s13, s13, s15
	s_load_dwordx2 s[12:13], s[12:13], 0x0
	s_lshl_b64 s[4:5], s[4:5], 2
	s_waitcnt lgkmcnt(0)
	s_add_u32 s18, s12, s4
	s_addc_u32 s19, s13, s5
	s_andn2_b64 vcc, exec, s[10:11]
	s_cbranch_vccnz .LBB8_4
.LBB8_2:
	s_mov_b64 s[28:29], 0
	s_cbranch_execz .LBB8_5
	s_branch .LBB8_6
.LBB8_3:
	s_mov_b64 s[18:19], 0
	s_andn2_b64 vcc, exec, s[10:11]
	s_cbranch_vccz .LBB8_2
.LBB8_4:
                                        ; implicit-def: $sgpr28_sgpr29
.LBB8_5:
	s_lshl_b64 s[10:11], s[8:9], 3
	s_add_u32 s6, s6, s10
	s_load_dwordx2 s[4:5], s[0:1], 0x38
	s_addc_u32 s7, s7, s11
	s_load_dwordx2 s[6:7], s[6:7], 0x0
	s_waitcnt lgkmcnt(0)
	s_lshl_b64 s[4:5], s[4:5], 2
	s_add_u32 s28, s6, s4
	s_addc_u32 s29, s7, s5
.LBB8_6:
	s_load_dword s30, s[0:1], 0x40
	s_load_dwordx4 s[4:7], s[0:1], 0x58
	s_waitcnt lgkmcnt(0)
	v_cmp_eq_f32_e64 s[10:11], s30, 0
	v_cmp_neq_f32_e64 s[14:15], s30, 0
	s_and_b64 vcc, exec, s[10:11]
	s_cbranch_vccnz .LBB8_8
; %bb.7:
	s_load_dwordx2 s[10:11], s[0:1], 0x48
	s_lshl_b64 s[12:13], s[8:9], 3
	s_waitcnt lgkmcnt(0)
	s_add_u32 s10, s10, s12
	s_addc_u32 s11, s11, s13
	s_load_dwordx2 s[10:11], s[10:11], 0x0
	s_lshl_b64 s[4:5], s[4:5], 2
	s_waitcnt lgkmcnt(0)
	s_add_u32 s24, s10, s4
	s_addc_u32 s25, s11, s5
	s_branch .LBB8_9
.LBB8_8:
	s_mov_b64 s[24:25], 0
.LBB8_9:
	s_lshl_b64 s[4:5], s[8:9], 3
	s_add_u32 s4, s6, s4
	s_addc_u32 s5, s7, s5
	s_add_i32 s3, s20, -1
	s_ashr_i32 s6, s3, 31
	s_lshr_b32 s6, s6, 24
	s_add_i32 s3, s3, s6
	s_ashr_i32 s3, s3, 8
	s_add_i32 s6, s3, 1
	v_cvt_f32_u32_e32 v1, s6
	v_and_b32_e32 v70, 0x3ff, v0
	v_bfe_u32 v71, v0, 10, 10
	s_load_dwordx2 s[16:17], s[4:5], 0x0
	v_rcp_iflag_f32_e32 v1, v1
	s_not_b32 s3, s3
	s_load_dword s34, s[0:1], 0x18
	v_lshl_add_u32 v7, v71, 5, v70
	v_mul_f32_e32 v0, 0x4f7ffffe, v1
	v_cvt_u32_f32_e32 v0, v0
	v_and_b32_e32 v2, 63, v7
	v_lshrrev_b32_e32 v72, 6, v7
	v_cmp_le_i32_e64 s[8:9], s22, v72
	v_readfirstlane_b32 s4, v0
	s_mul_i32 s3, s3, s4
	s_mul_hi_u32 s3, s4, s3
	s_add_i32 s4, s4, s3
	s_mul_hi_u32 s3, s2, s4
	s_mul_i32 s4, s3, s6
	s_sub_i32 s4, s2, s4
	s_add_i32 s5, s3, 1
	s_sub_i32 s7, s4, s6
	s_cmp_ge_u32 s4, s6
	s_cselect_b32 s3, s5, s3
	s_cselect_b32 s4, s7, s4
	s_add_i32 s5, s3, 1
	s_cmp_ge_u32 s4, s6
	s_cselect_b32 s10, s5, s3
	s_mul_i32 s3, s10, s6
	s_sub_i32 s2, s2, s3
	s_lshl_b32 s31, s2, 8
	s_add_i32 s35, s22, -1
	v_or_b32_e32 v64, s31, v2
	v_min_i32_e32 v0, s35, v72
	s_waitcnt lgkmcnt(0)
	v_mad_i64_i32 v[0:1], s[2:3], s34, v0, 0
	v_cmp_le_i32_e32 vcc, s20, v64
	v_cmp_eq_f32_e64 s[26:27], s23, 0
	v_mov_b32_e32 v4, 0x7f7fffff
	s_or_b64 s[2:3], s[8:9], vcc
	v_cndmask_b32_e64 v3, 0, v4, s[2:3]
	s_or_b64 s[2:3], s[26:27], s[2:3]
	v_lshl_add_u64 v[0:1], v[0:1], 2, s[18:19]
	s_xor_b64 s[4:5], s[2:3], -1
	v_ashrrev_i32_e32 v65, 31, v64
	s_and_saveexec_b64 s[2:3], s[4:5]
	s_cbranch_execz .LBB8_11
; %bb.10:
	v_lshl_add_u64 v[8:9], v[64:65], 2, v[0:1]
	flat_load_dword v3, v[8:9]
	s_waitcnt vmcnt(0) lgkmcnt(0)
	v_mul_f32_e32 v3, s23, v3
.LBB8_11:
	s_or_b64 exec, exec, s[2:3]
	v_or_b32_e32 v5, 64, v64
	v_cmp_le_i32_e64 s[2:3], s20, v5
	s_or_b64 s[4:5], s[8:9], s[2:3]
	v_cndmask_b32_e64 v4, 0, v4, s[4:5]
	s_or_b64 s[4:5], s[26:27], s[4:5]
	s_xor_b64 s[6:7], s[4:5], -1
	s_and_saveexec_b64 s[4:5], s[6:7]
	s_cbranch_execz .LBB8_13
; %bb.12:
	v_lshl_add_u64 v[4:5], v[64:65], 2, v[0:1]
	flat_load_dword v4, v[4:5] offset:256
	s_waitcnt vmcnt(0) lgkmcnt(0)
	v_mul_f32_e32 v4, s23, v4
.LBB8_13:
	s_or_b64 exec, exec, s[4:5]
	v_or_b32_e32 v5, 0x80, v64
	v_cmp_le_i32_e64 s[4:5], s20, v5
	v_mov_b32_e32 v6, 0x7f7fffff
	s_or_b64 s[6:7], s[8:9], s[4:5]
	v_cndmask_b32_e64 v5, 0, v6, s[6:7]
	s_or_b64 s[6:7], s[26:27], s[6:7]
	s_xor_b64 s[12:13], s[6:7], -1
	s_and_saveexec_b64 s[6:7], s[12:13]
	s_cbranch_execz .LBB8_15
; %bb.14:
	v_lshl_add_u64 v[8:9], v[64:65], 2, v[0:1]
	flat_load_dword v5, v[8:9] offset:512
	s_waitcnt vmcnt(0) lgkmcnt(0)
	v_mul_f32_e32 v5, s23, v5
.LBB8_15:
	s_or_b64 exec, exec, s[6:7]
	v_or_b32_e32 v8, 0xc0, v64
	v_cmp_le_i32_e64 s[6:7], s20, v8
	s_or_b64 s[8:9], s[8:9], s[6:7]
	v_cndmask_b32_e64 v6, 0, v6, s[8:9]
	s_or_b64 s[8:9], s[26:27], s[8:9]
	s_xor_b64 s[12:13], s[8:9], -1
	s_and_saveexec_b64 s[8:9], s[12:13]
	s_cbranch_execz .LBB8_17
; %bb.16:
	v_lshl_add_u64 v[0:1], v[64:65], 2, v[0:1]
	flat_load_dword v0, v[0:1] offset:768
	s_waitcnt vmcnt(0) lgkmcnt(0)
	v_mul_f32_e32 v6, s23, v0
.LBB8_17:
	s_or_b64 exec, exec, s[8:9]
	v_lshrrev_b32_e32 v7, 2, v7
	s_lshl_b32 s33, s10, 6
	s_load_dword s37, s[0:1], 0x30
	v_and_b32_e32 v75, 3, v70
	v_add_u32_e32 v57, s33, v7
	v_cmp_le_i32_e64 s[10:11], s22, v75
	v_cmp_le_i32_e64 s[8:9], s21, v57
	v_mov_b32_e32 v9, 0x7f7fffff
	s_or_b64 s[10:11], s[10:11], s[8:9]
	v_cndmask_b32_e64 v8, 0, v9, s[10:11]
	s_or_b64 s[10:11], s[26:27], s[10:11]
	s_xor_b64 s[12:13], s[10:11], -1
	s_and_saveexec_b64 s[10:11], s[12:13]
	s_cbranch_execz .LBB8_19
; %bb.18:
	v_min_u32_e32 v8, s35, v75
	s_waitcnt lgkmcnt(0)
	v_mad_i64_i32 v[0:1], s[12:13], v57, s37, 0
	v_lshl_add_u64 v[0:1], v[0:1], 2, s[28:29]
	v_lshlrev_b32_e32 v10, 2, v8
	v_mov_b32_e32 v11, 0
	v_lshl_add_u64 v[0:1], v[0:1], 0, v[10:11]
	flat_load_dword v0, v[0:1]
	s_waitcnt vmcnt(0) lgkmcnt(0)
	v_mul_f32_e32 v8, s23, v0
.LBB8_19:
	s_or_b64 exec, exec, s[10:11]
	v_add_u32_e32 v0, 4, v72
	v_cmp_le_i32_e64 s[10:11], s22, v0
	v_min_i32_e32 v0, s35, v0
	v_mad_i64_i32 v[0:1], s[12:13], s34, v0, 0
	s_or_b64 s[12:13], vcc, s[10:11]
	s_nop 0
	v_cndmask_b32_e64 v58, 0, v9, s[12:13]
	s_or_b64 s[12:13], s[26:27], s[12:13]
	v_lshl_add_u64 v[0:1], v[0:1], 2, s[18:19]
	s_xor_b64 s[38:39], s[12:13], -1
	s_and_saveexec_b64 s[12:13], s[38:39]
	s_cbranch_execz .LBB8_21
; %bb.20:
	v_lshl_add_u64 v[10:11], v[64:65], 2, v[0:1]
	flat_load_dword v9, v[10:11]
	s_waitcnt vmcnt(0) lgkmcnt(0)
	v_mul_f32_e32 v58, s23, v9
.LBB8_21:
	s_or_b64 exec, exec, s[12:13]
	v_mov_b32_e32 v9, 0x7f7fffff
	s_or_b64 s[12:13], s[2:3], s[10:11]
	v_cndmask_b32_e64 v59, 0, v9, s[12:13]
	s_or_b64 s[12:13], s[26:27], s[12:13]
	s_xor_b64 s[38:39], s[12:13], -1
	s_and_saveexec_b64 s[12:13], s[38:39]
	s_cbranch_execz .LBB8_23
; %bb.22:
	v_lshl_add_u64 v[10:11], v[64:65], 2, v[0:1]
	flat_load_dword v10, v[10:11] offset:256
	s_waitcnt vmcnt(0) lgkmcnt(0)
	v_mul_f32_e32 v59, s23, v10
.LBB8_23:
	s_or_b64 exec, exec, s[12:13]
	s_or_b64 s[12:13], s[4:5], s[10:11]
	v_cndmask_b32_e64 v60, 0, v9, s[12:13]
	s_or_b64 s[12:13], s[26:27], s[12:13]
	s_xor_b64 s[38:39], s[12:13], -1
	s_and_saveexec_b64 s[12:13], s[38:39]
	s_cbranch_execz .LBB8_25
; %bb.24:
	v_lshl_add_u64 v[10:11], v[64:65], 2, v[0:1]
	flat_load_dword v9, v[10:11] offset:512
	s_waitcnt vmcnt(0) lgkmcnt(0)
	v_mul_f32_e32 v60, s23, v9
.LBB8_25:
	s_or_b64 exec, exec, s[12:13]
	v_mov_b32_e32 v9, 0x7f7fffff
	s_or_b64 s[10:11], s[6:7], s[10:11]
	v_cndmask_b32_e64 v61, 0, v9, s[10:11]
	s_or_b64 s[10:11], s[26:27], s[10:11]
	s_xor_b64 s[12:13], s[10:11], -1
	s_and_saveexec_b64 s[10:11], s[12:13]
	s_cbranch_execz .LBB8_27
; %bb.26:
	v_lshl_add_u64 v[0:1], v[64:65], 2, v[0:1]
	flat_load_dword v0, v[0:1] offset:768
	s_waitcnt vmcnt(0) lgkmcnt(0)
	v_mul_f32_e32 v61, s23, v0
.LBB8_27:
	s_or_b64 exec, exec, s[10:11]
	v_or_b32_e32 v0, 4, v75
	v_cmp_le_i32_e64 s[10:11], s22, v0
	s_or_b64 s[10:11], s[10:11], s[8:9]
	s_mov_b32 s12, 0x7f7fffff
	v_cndmask_b32_e64 v62, 0, v9, s[10:11]
	s_or_b64 s[10:11], s[26:27], s[10:11]
	s_xor_b64 s[38:39], s[10:11], -1
	s_and_saveexec_b64 s[10:11], s[38:39]
	s_cbranch_execz .LBB8_29
; %bb.28:
	v_min_u32_e32 v9, s35, v0
	s_waitcnt lgkmcnt(0)
	v_mad_i64_i32 v[0:1], s[38:39], v57, s37, 0
	v_lshl_add_u64 v[0:1], v[0:1], 2, s[28:29]
	v_lshlrev_b32_e32 v10, 2, v9
	v_mov_b32_e32 v11, 0
	v_lshl_add_u64 v[0:1], v[0:1], 0, v[10:11]
	flat_load_dword v0, v[0:1]
	s_waitcnt vmcnt(0) lgkmcnt(0)
	v_mul_f32_e32 v62, s23, v0
.LBB8_29:
	s_or_b64 exec, exec, s[10:11]
	v_lshlrev_b32_e32 v0, 2, v72
	v_lshlrev_b32_e32 v56, 2, v75
	v_lshl_add_u32 v76, v2, 4, v0
	v_lshl_or_b32 v63, v7, 4, v56
	v_lshlrev_b32_e32 v73, 4, v70
	v_lshlrev_b32_e32 v74, 4, v71
	ds_write2st64_b32 v76, v3, v4 offset1:4
	ds_write2st64_b32 v76, v5, v6 offset0:8 offset1:12
	ds_write_b32 v63, v8 offset:8192
	s_waitcnt lgkmcnt(0)
	s_barrier
	ds_read_b128 v[12:15], v73
	ds_read_b128 v[20:23], v73 offset:512
	ds_read_b128 v[24:27], v73 offset:1024
	ds_read_b128 v[28:31], v73 offset:1536
	ds_read_b128 v[16:19], v73 offset:2048
	ds_read_b128 v[8:11], v73 offset:2560
	ds_read_b128 v[4:7], v73 offset:3072
	ds_read_b128 v[0:3], v73 offset:3584
	ds_read_b128 v[52:55], v74 offset:8192
	ds_read_b128 v[48:51], v74 offset:8320
	ds_read_b128 v[44:47], v74 offset:8448
	ds_read_b128 v[40:43], v74 offset:8576
	ds_read_b128 v[36:39], v74 offset:8704
	ds_read_b128 v[32:35], v74 offset:8832
	s_waitcnt lgkmcnt(5)
	v_pk_add_f32 v[66:67], v[12:13], v[52:53]
	s_cmp_lt_i32 s22, 9
	v_min3_f32 v68, v66, v67, s12
	v_pk_add_f32 v[66:67], v[20:21], v[52:53]
	s_nop 0
	v_min3_f32 v69, v66, v67, s12
	v_pk_add_f32 v[66:67], v[24:25], v[52:53]
	s_nop 0
	v_min3_f32 v77, v66, v67, s12
	v_pk_add_f32 v[66:67], v[28:29], v[52:53]
	s_nop 0
	v_min3_f32 v78, v66, v67, s12
	v_pk_add_f32 v[66:67], v[16:17], v[52:53]
	s_nop 0
	v_min3_f32 v79, v66, v67, s12
	v_pk_add_f32 v[66:67], v[8:9], v[52:53]
	s_nop 0
	v_min3_f32 v80, v66, v67, s12
	v_pk_add_f32 v[66:67], v[4:5], v[52:53]
	v_pk_add_f32 v[52:53], v[0:1], v[52:53]
	v_min3_f32 v66, v66, v67, s12
	v_min3_f32 v67, v52, v53, s12
	s_waitcnt lgkmcnt(4)
	v_pk_add_f32 v[52:53], v[12:13], v[48:49]
	s_nop 0
	v_min3_f32 v81, v52, v53, s12
	v_pk_add_f32 v[52:53], v[20:21], v[48:49]
	s_nop 0
	v_min3_f32 v82, v52, v53, s12
	v_pk_add_f32 v[52:53], v[24:25], v[48:49]
	s_nop 0
	v_min3_f32 v83, v52, v53, s12
	v_pk_add_f32 v[52:53], v[28:29], v[48:49]
	s_nop 0
	v_min3_f32 v84, v52, v53, s12
	v_pk_add_f32 v[52:53], v[16:17], v[48:49]
	s_nop 0
	v_min3_f32 v85, v52, v53, s12
	v_pk_add_f32 v[52:53], v[8:9], v[48:49]
	s_nop 0
	v_min3_f32 v86, v52, v53, s12
	v_pk_add_f32 v[52:53], v[4:5], v[48:49]
	v_pk_add_f32 v[48:49], v[0:1], v[48:49]
	v_min3_f32 v52, v52, v53, s12
	v_min3_f32 v53, v48, v49, s12
	s_waitcnt lgkmcnt(3)
	v_pk_add_f32 v[48:49], v[12:13], v[44:45]
	s_nop 0
	;; [unrolled: 23-line block ×4, first 2 shown]
	v_min3_f32 v101, v40, v41, s12
	v_pk_add_f32 v[40:41], v[20:21], v[36:37]
	s_nop 0
	v_min3_f32 v102, v40, v41, s12
	v_pk_add_f32 v[40:41], v[24:25], v[36:37]
	s_nop 0
	;; [unrolled: 3-line block ×5, first 2 shown]
	v_min3_f32 v106, v40, v41, s12
	v_pk_add_f32 v[40:41], v[4:5], v[36:37]
	v_pk_add_f32 v[36:37], v[0:1], v[36:37]
	v_min3_f32 v107, v40, v41, s12
	v_min3_f32 v108, v36, v37, s12
	s_waitcnt lgkmcnt(0)
	v_pk_add_f32 v[36:37], v[12:13], v[32:33]
	v_pk_add_f32 v[40:41], v[4:5], v[32:33]
	v_min3_f32 v126, v36, v37, s12
	v_pk_add_f32 v[36:37], v[20:21], v[32:33]
	v_min3_f32 v40, v40, v41, s12
	v_min3_f32 v146, v36, v37, s12
	v_pk_add_f32 v[36:37], v[24:25], v[32:33]
	s_nop 0
	v_min3_f32 v147, v36, v37, s12
	v_pk_add_f32 v[36:37], v[28:29], v[32:33]
	s_nop 0
	;; [unrolled: 3-line block ×10, first 2 shown]
	v_min3_f32 v66, v36, v37, s12
	v_pk_add_f32 v[36:37], v[8:9], v[32:33]
	v_pk_add_f32 v[32:33], v[0:1], v[32:33]
	v_min3_f32 v68, v36, v37, s12
	v_min3_f32 v41, v32, v33, s12
	v_pk_add_f32 v[32:33], v[14:15], v[50:51]
	v_pk_add_f32 v[36:37], v[2:3], v[54:55]
	v_min3_f32 v140, v32, v33, v81
	v_pk_add_f32 v[32:33], v[22:23], v[50:51]
	v_min3_f32 v141, v36, v37, v67
	v_min3_f32 v139, v32, v33, v82
	v_pk_add_f32 v[32:33], v[26:27], v[50:51]
	s_nop 0
	v_min3_f32 v138, v32, v33, v83
	v_pk_add_f32 v[32:33], v[30:31], v[50:51]
	s_nop 0
	;; [unrolled: 3-line block ×5, first 2 shown]
	v_min3_f32 v134, v32, v33, v52
	v_pk_add_f32 v[32:33], v[2:3], v[50:51]
	ds_read_b128 v[48:51], v74 offset:8960
	v_min3_f32 v133, v32, v33, v53
	ds_read_b128 v[52:55], v74 offset:9088
	v_pk_add_f32 v[32:33], v[14:15], v[46:47]
	ds_write2st64_b32 v76, v58, v59 offset0:16 offset1:20
	ds_write2st64_b32 v76, v60, v61 offset0:24 offset1:28
	ds_write_b32 v63, v62 offset:9216
	v_min3_f32 v132, v32, v33, v87
	v_pk_add_f32 v[32:33], v[22:23], v[46:47]
	s_waitcnt lgkmcnt(4)
	v_pk_add_f32 v[36:37], v[24:25], v[48:49]
	v_min3_f32 v131, v32, v33, v88
	v_pk_add_f32 v[32:33], v[26:27], v[46:47]
	s_waitcnt lgkmcnt(0)
	v_min3_f32 v130, v32, v33, v89
	v_pk_add_f32 v[32:33], v[30:31], v[46:47]
	s_barrier
	v_min3_f32 v129, v32, v33, v90
	v_pk_add_f32 v[32:33], v[18:19], v[46:47]
	s_nop 0
	v_min3_f32 v128, v32, v33, v91
	v_pk_add_f32 v[32:33], v[10:11], v[46:47]
	s_nop 0
	;; [unrolled: 3-line block ×3, first 2 shown]
	v_min3_f32 v123, v32, v33, v93
	v_pk_add_f32 v[32:33], v[12:13], v[48:49]
	v_pk_add_f32 v[12:13], v[12:13], v[52:53]
	v_min3_f32 v67, v32, v33, s12
	v_pk_add_f32 v[32:33], v[20:21], v[48:49]
	s_nop 0
	v_min3_f32 v69, v32, v33, s12
	v_pk_add_f32 v[32:33], v[2:3], v[46:47]
	v_min3_f32 v46, v36, v37, s12
	v_min3_f32 v127, v32, v33, v94
	v_pk_add_f32 v[32:33], v[14:15], v[42:43]
	v_pk_add_f32 v[36:37], v[28:29], v[48:49]
	v_min3_f32 v124, v32, v33, v95
	v_pk_add_f32 v[32:33], v[22:23], v[42:43]
	v_min3_f32 v47, v36, v37, s12
	v_min3_f32 v122, v32, v33, v96
	v_pk_add_f32 v[32:33], v[26:27], v[42:43]
	v_pk_add_f32 v[36:37], v[4:5], v[48:49]
	v_min3_f32 v121, v32, v33, v97
	v_pk_add_f32 v[32:33], v[30:31], v[42:43]
	v_pk_add_f32 v[4:5], v[4:5], v[52:53]
	v_min3_f32 v120, v32, v33, v98
	v_pk_add_f32 v[32:33], v[18:19], v[42:43]
	v_min3_f32 v4, v4, v5, s12
	v_min3_f32 v119, v32, v33, v99
	v_pk_add_f32 v[32:33], v[10:11], v[42:43]
	s_nop 0
	v_min3_f32 v118, v32, v33, v100
	v_pk_add_f32 v[32:33], v[6:7], v[42:43]
	s_nop 0
	;; [unrolled: 3-line block ×3, first 2 shown]
	v_min3_f32 v44, v32, v33, s12
	v_pk_add_f32 v[32:33], v[8:9], v[48:49]
	v_pk_add_f32 v[8:9], v[8:9], v[52:53]
	v_min3_f32 v80, v32, v33, s12
	v_pk_add_f32 v[32:33], v[2:3], v[42:43]
	v_min3_f32 v42, v36, v37, s12
	v_min3_f32 v116, v32, v33, v45
	v_pk_add_f32 v[32:33], v[14:15], v[38:39]
	v_pk_add_f32 v[36:37], v[0:1], v[48:49]
	v_min3_f32 v115, v32, v33, v101
	v_pk_add_f32 v[32:33], v[22:23], v[38:39]
	v_pk_add_f32 v[0:1], v[0:1], v[52:53]
	v_min3_f32 v114, v32, v33, v102
	v_pk_add_f32 v[32:33], v[26:27], v[38:39]
	v_min3_f32 v5, v0, v1, s12
	v_min3_f32 v113, v32, v33, v103
	v_pk_add_f32 v[32:33], v[30:31], v[38:39]
	v_pk_add_f32 v[0:1], v[14:15], v[54:55]
	v_min3_f32 v112, v32, v33, v104
	v_pk_add_f32 v[32:33], v[18:19], v[38:39]
	v_min3_f32 v36, v36, v37, s12
	v_min3_f32 v111, v32, v33, v105
	v_pk_add_f32 v[32:33], v[10:11], v[38:39]
	s_nop 0
	v_min3_f32 v110, v32, v33, v106
	v_pk_add_f32 v[32:33], v[6:7], v[38:39]
	s_nop 0
	;; [unrolled: 3-line block ×10, first 2 shown]
	v_min3_f32 v101, v32, v33, v40
	v_min3_f32 v32, v12, v13, s12
	v_pk_add_f32 v[12:13], v[20:21], v[52:53]
	v_pk_add_f32 v[20:21], v[24:25], v[52:53]
	v_min3_f32 v33, v12, v13, s12
	v_pk_add_f32 v[12:13], v[2:3], v[34:35]
	v_min3_f32 v91, v0, v1, v32
	v_min3_f32 v100, v12, v13, v41
	v_pk_add_f32 v[12:13], v[14:15], v[50:51]
	v_pk_add_f32 v[0:1], v[22:23], v[54:55]
	v_min3_f32 v99, v12, v13, v67
	v_pk_add_f32 v[12:13], v[22:23], v[50:51]
	;; [unrolled: 6-line block ×4, first 2 shown]
	v_min3_f32 v20, v20, v21, s12
	v_min3_f32 v94, v12, v13, v80
	v_pk_add_f32 v[12:13], v[6:7], v[50:51]
	v_min3_f32 v89, v0, v1, v24
	v_min3_f32 v93, v12, v13, v42
	v_pk_add_f32 v[12:13], v[16:17], v[52:53]
	v_pk_add_f32 v[0:1], v[30:31], v[54:55]
	v_min3_f32 v12, v12, v13, s12
	v_min3_f32 v87, v0, v1, v20
	v_pk_add_f32 v[0:1], v[18:19], v[54:55]
	v_min3_f32 v13, v8, v9, s12
	v_min3_f32 v86, v0, v1, v12
	v_pk_add_f32 v[0:1], v[10:11], v[54:55]
	v_pk_add_f32 v[8:9], v[2:3], v[50:51]
	v_min3_f32 v85, v0, v1, v13
	v_pk_add_f32 v[0:1], v[6:7], v[54:55]
	v_min3_f32 v92, v8, v9, v36
	v_min3_f32 v84, v0, v1, v4
	v_pk_add_f32 v[0:1], v[2:3], v[54:55]
	s_nop 0
	v_min3_f32 v88, v0, v1, v5
	s_cbranch_scc1 .LBB8_52
; %bb.30:
	v_mov_b32_e32 v0, 0x1000
	v_lshl_add_u32 v126, v70, 4, v0
	v_mov_b32_e32 v0, 0x2400
	v_lshl_add_u32 v146, v71, 4, v0
	v_mad_i64_i32 v[0:1], s[10:11], s37, v57, 0
	v_mov_b32_e32 v57, 0
	v_lshl_add_u64 v[0:1], v[0:1], 2, v[56:57]
	v_lshl_add_u64 v[0:1], v[0:1], 0, s[28:29]
	v_add_u32_e32 v80, 0x2000, v63
	v_add_u32_e32 v81, 0x2000, v74
	;; [unrolled: 1-line block ×4, first 2 shown]
	s_add_i32 s36, s22, -8
	v_lshl_add_u64 v[66:67], v[0:1], 0, 48
	s_mov_b32 s28, 0
	v_mov_b32_e32 v147, 0x7f7fffff
	s_branch .LBB8_32
.LBB8_31:                               ;   in Loop: Header=BB8_32 Depth=1
	s_or_b64 exec, exec, s[10:11]
	ds_read_b128 v[0:3], v73
	ds_read_b128 v[4:7], v73 offset:512
	ds_read_b128 v[8:11], v73 offset:1024
	;; [unrolled: 1-line block ×7, first 2 shown]
	ds_read_b128 v[116:119], v81
	ds_read_b128 v[120:123], v81 offset:128
	ds_read_b128 v[152:155], v81 offset:256
	ds_read_b128 v[156:159], v81 offset:384
	ds_read_b128 v[160:163], v81 offset:512
	ds_read_b128 v[164:167], v81 offset:640
	ds_read_b128 v[168:171], v81 offset:768
	ds_read_b128 v[32:35], v81 offset:896
	s_waitcnt lgkmcnt(7)
	v_pk_add_f32 v[124:125], v[0:1], v[116:117]
	s_add_i32 s28, s28, 8
	v_min3_f32 v37, v124, v125, v37
	v_pk_add_f32 v[124:125], v[4:5], v[116:117]
	s_cmp_ge_i32 s28, s36
	v_min3_f32 v127, v124, v125, v40
	v_pk_add_f32 v[124:125], v[8:9], v[116:117]
	v_lshl_add_u64 v[66:67], v[66:67], 0, 32
	v_min3_f32 v124, v124, v125, v41
	v_pk_add_f32 v[40:41], v[12:13], v[116:117]
	ds_write2st64_b32 v82, v148, v149 offset1:4
	ds_write2st64_b32 v82, v150, v151 offset0:8 offset1:12
	ds_write_b32 v83, v36
	v_min3_f32 v44, v40, v41, v44
	v_pk_add_f32 v[40:41], v[16:17], v[116:117]
	s_waitcnt lgkmcnt(0)
	v_min3_f32 v45, v40, v41, v45
	v_pk_add_f32 v[40:41], v[20:21], v[116:117]
	s_barrier
	v_min3_f32 v48, v40, v41, v48
	v_pk_add_f32 v[40:41], v[24:25], v[116:117]
	s_nop 0
	v_min3_f32 v49, v40, v41, v49
	v_pk_add_f32 v[40:41], v[28:29], v[116:117]
	s_nop 0
	;; [unrolled: 3-line block ×42, first 2 shown]
	v_min3_f32 v42, v40, v41, v42
	v_pk_add_f32 v[40:41], v[0:1], v[168:169]
	v_pk_add_f32 v[0:1], v[0:1], v[32:33]
	v_min3_f32 v43, v40, v41, v43
	v_min3_f32 v39, v0, v1, v39
	v_pk_add_f32 v[0:1], v[4:5], v[32:33]
	v_pk_add_f32 v[40:41], v[4:5], v[168:169]
	v_min3_f32 v4, v0, v1, v109
	v_pk_add_f32 v[0:1], v[8:9], v[32:33]
	v_min3_f32 v153, v40, v41, v103
	v_min3_f32 v5, v0, v1, v110
	v_pk_add_f32 v[0:1], v[12:13], v[32:33]
	v_pk_add_f32 v[40:41], v[8:9], v[168:169]
	v_min3_f32 v8, v0, v1, v111
	;; [unrolled: 6-line block ×7, first 2 shown]
	v_pk_add_f32 v[0:1], v[26:27], v[118:119]
	v_min3_f32 v38, v40, v41, v38
	v_min3_f32 v78, v0, v1, v49
	v_pk_add_f32 v[0:1], v[30:31], v[118:119]
	s_nop 0
	v_min3_f32 v141, v0, v1, v52
	v_pk_add_f32 v[0:1], v[2:3], v[122:123]
	s_nop 0
	;; [unrolled: 3-line block ×57, first 2 shown]
	v_min3_f32 v88, v0, v1, v16
	s_cbranch_scc1 .LBB8_52
.LBB8_32:                               ; =>This Inner Loop Header: Depth=1
	v_add_u32_e32 v68, s28, v72
	v_add_u32_e32 v0, 8, v68
	v_cmp_le_i32_e64 s[10:11], s22, v0
	v_min_i32_e32 v0, s35, v0
	v_mad_i64_i32 v[0:1], s[12:13], v0, s34, 0
	s_or_b64 s[12:13], vcc, s[10:11]
	v_lshl_add_u64 v[0:1], v[0:1], 2, s[18:19]
	v_cndmask_b32_e64 v69, 0, v147, s[12:13]
	s_or_b64 s[12:13], s[26:27], s[12:13]
	s_xor_b64 s[38:39], s[12:13], -1
	v_lshl_add_u64 v[0:1], v[64:65], 2, v[0:1]
	s_and_saveexec_b64 s[12:13], s[38:39]
	s_cbranch_execz .LBB8_34
; %bb.33:                               ;   in Loop: Header=BB8_32 Depth=1
	flat_load_dword v2, v[0:1]
	s_waitcnt vmcnt(0) lgkmcnt(0)
	v_mul_f32_e32 v69, s23, v2
.LBB8_34:                               ;   in Loop: Header=BB8_32 Depth=1
	s_or_b64 exec, exec, s[12:13]
	s_or_b64 s[12:13], s[2:3], s[10:11]
	v_cndmask_b32_e64 v148, 0, v147, s[12:13]
	s_or_b64 s[12:13], s[26:27], s[12:13]
	s_xor_b64 s[38:39], s[12:13], -1
	s_and_saveexec_b64 s[12:13], s[38:39]
	s_cbranch_execz .LBB8_36
; %bb.35:                               ;   in Loop: Header=BB8_32 Depth=1
	flat_load_dword v2, v[0:1] offset:256
	s_waitcnt vmcnt(0) lgkmcnt(0)
	v_mul_f32_e32 v148, s23, v2
.LBB8_36:                               ;   in Loop: Header=BB8_32 Depth=1
	s_or_b64 exec, exec, s[12:13]
	s_or_b64 s[12:13], s[4:5], s[10:11]
	v_cndmask_b32_e64 v149, 0, v147, s[12:13]
	s_or_b64 s[12:13], s[26:27], s[12:13]
	s_xor_b64 s[38:39], s[12:13], -1
	s_and_saveexec_b64 s[12:13], s[38:39]
	s_cbranch_execz .LBB8_38
; %bb.37:                               ;   in Loop: Header=BB8_32 Depth=1
	flat_load_dword v2, v[0:1] offset:512
	s_waitcnt vmcnt(0) lgkmcnt(0)
	v_mul_f32_e32 v149, s23, v2
.LBB8_38:                               ;   in Loop: Header=BB8_32 Depth=1
	s_or_b64 exec, exec, s[12:13]
	s_or_b64 s[10:11], s[6:7], s[10:11]
	v_cndmask_b32_e64 v150, 0, v147, s[10:11]
	s_or_b64 s[10:11], s[26:27], s[10:11]
	s_xor_b64 s[12:13], s[10:11], -1
	s_and_saveexec_b64 s[10:11], s[12:13]
	s_cbranch_execz .LBB8_40
; %bb.39:                               ;   in Loop: Header=BB8_32 Depth=1
	flat_load_dword v0, v[0:1] offset:768
	s_waitcnt vmcnt(0) lgkmcnt(0)
	v_mul_f32_e32 v150, s23, v0
.LBB8_40:                               ;   in Loop: Header=BB8_32 Depth=1
	s_or_b64 exec, exec, s[10:11]
	v_add_u32_e32 v152, s28, v75
	v_add_u32_e32 v0, 8, v152
	v_cmp_le_i32_e64 s[10:11], s22, v0
	s_or_b64 s[10:11], s[10:11], s[8:9]
	s_nop 0
	v_cndmask_b32_e64 v151, 0, v147, s[10:11]
	s_or_b64 s[10:11], s[26:27], s[10:11]
	s_xor_b64 s[10:11], s[10:11], -1
	s_and_saveexec_b64 s[12:13], s[10:11]
	s_cbranch_execz .LBB8_42
; %bb.41:                               ;   in Loop: Header=BB8_32 Depth=1
	v_add_co_u32_e64 v0, s[10:11], -16, v66
	s_nop 1
	v_addc_co_u32_e64 v1, s[10:11], -1, v67, s[10:11]
	flat_load_dword v0, v[0:1]
	s_waitcnt vmcnt(0) lgkmcnt(0)
	v_mul_f32_e32 v151, s23, v0
.LBB8_42:                               ;   in Loop: Header=BB8_32 Depth=1
	s_or_b64 exec, exec, s[12:13]
	ds_read_b128 v[28:31], v126
	ds_read_b128 v[24:27], v126 offset:512
	ds_read_b128 v[20:23], v126 offset:1024
	;; [unrolled: 1-line block ×7, first 2 shown]
	ds_read_b128 v[60:63], v146
	ds_read_b128 v[56:59], v146 offset:128
	ds_read_b128 v[52:55], v146 offset:256
	;; [unrolled: 1-line block ×7, first 2 shown]
	v_add_u32_e32 v68, 12, v68
	v_cmp_le_i32_e64 s[10:11], s22, v68
	v_min_i32_e32 v68, s35, v68
	ds_write2st64_b32 v76, v69, v148 offset1:4
	ds_write2st64_b32 v76, v149, v150 offset0:8 offset1:12
	ds_write_b32 v80, v151
	v_mad_i64_i32 v[68:69], s[12:13], v68, s34, 0
	s_or_b64 s[12:13], vcc, s[10:11]
	v_lshl_add_u64 v[68:69], v[68:69], 2, s[18:19]
	v_cndmask_b32_e64 v148, 0, v147, s[12:13]
	s_or_b64 s[12:13], s[26:27], s[12:13]
	s_xor_b64 s[38:39], s[12:13], -1
	v_lshl_add_u64 v[68:69], v[64:65], 2, v[68:69]
	s_waitcnt lgkmcnt(0)
	s_barrier
	s_and_saveexec_b64 s[12:13], s[38:39]
	s_cbranch_execz .LBB8_44
; %bb.43:                               ;   in Loop: Header=BB8_32 Depth=1
	flat_load_dword v148, v[68:69]
	s_waitcnt vmcnt(0) lgkmcnt(0)
	v_mul_f32_e32 v148, s23, v148
.LBB8_44:                               ;   in Loop: Header=BB8_32 Depth=1
	s_or_b64 exec, exec, s[12:13]
	s_or_b64 s[12:13], s[2:3], s[10:11]
	v_cndmask_b32_e64 v149, 0, v147, s[12:13]
	s_or_b64 s[12:13], s[26:27], s[12:13]
	s_xor_b64 s[38:39], s[12:13], -1
	s_and_saveexec_b64 s[12:13], s[38:39]
	s_cbranch_execz .LBB8_46
; %bb.45:                               ;   in Loop: Header=BB8_32 Depth=1
	flat_load_dword v149, v[68:69] offset:256
	s_waitcnt vmcnt(0) lgkmcnt(0)
	v_mul_f32_e32 v149, s23, v149
.LBB8_46:                               ;   in Loop: Header=BB8_32 Depth=1
	s_or_b64 exec, exec, s[12:13]
	s_or_b64 s[12:13], s[4:5], s[10:11]
	v_cndmask_b32_e64 v150, 0, v147, s[12:13]
	s_or_b64 s[12:13], s[26:27], s[12:13]
	s_xor_b64 s[38:39], s[12:13], -1
	s_and_saveexec_b64 s[12:13], s[38:39]
	s_cbranch_execz .LBB8_48
; %bb.47:                               ;   in Loop: Header=BB8_32 Depth=1
	flat_load_dword v150, v[68:69] offset:512
	s_waitcnt vmcnt(0) lgkmcnt(0)
	v_mul_f32_e32 v150, s23, v150
.LBB8_48:                               ;   in Loop: Header=BB8_32 Depth=1
	;; [unrolled: 12-line block ×3, first 2 shown]
	s_or_b64 exec, exec, s[10:11]
	v_pk_add_f32 v[68:69], v[28:29], v[60:61]
	s_nop 0
	v_min3_f32 v145, v68, v69, v145
	v_pk_add_f32 v[68:69], v[24:25], v[60:61]
	s_nop 0
	v_min3_f32 v144, v68, v69, v144
	v_pk_add_f32 v[68:69], v[20:21], v[60:61]
	s_nop 0
	v_min3_f32 v143, v68, v69, v143
	v_pk_add_f32 v[68:69], v[16:17], v[60:61]
	s_nop 0
	v_min3_f32 v142, v68, v69, v142
	v_pk_add_f32 v[68:69], v[12:13], v[60:61]
	s_nop 0
	v_min3_f32 v79, v68, v69, v79
	v_pk_add_f32 v[68:69], v[8:9], v[60:61]
	s_nop 0
	v_min3_f32 v77, v68, v69, v77
	v_pk_add_f32 v[68:69], v[4:5], v[60:61]
	v_pk_add_f32 v[60:61], v[0:1], v[60:61]
	v_min3_f32 v68, v68, v69, v78
	v_min3_f32 v69, v60, v61, v141
	v_pk_add_f32 v[60:61], v[28:29], v[56:57]
	s_nop 0
	v_min3_f32 v78, v60, v61, v140
	v_pk_add_f32 v[60:61], v[24:25], v[56:57]
	s_nop 0
	v_min3_f32 v139, v60, v61, v139
	v_pk_add_f32 v[60:61], v[20:21], v[56:57]
	s_nop 0
	v_min3_f32 v138, v60, v61, v138
	v_pk_add_f32 v[60:61], v[16:17], v[56:57]
	s_nop 0
	v_min3_f32 v137, v60, v61, v137
	v_pk_add_f32 v[60:61], v[12:13], v[56:57]
	s_nop 0
	v_min3_f32 v136, v60, v61, v136
	v_pk_add_f32 v[60:61], v[8:9], v[56:57]
	s_nop 0
	v_min3_f32 v135, v60, v61, v135
	v_pk_add_f32 v[60:61], v[4:5], v[56:57]
	v_pk_add_f32 v[56:57], v[0:1], v[56:57]
	v_min3_f32 v134, v60, v61, v134
	v_min3_f32 v133, v56, v57, v133
	;; [unrolled: 22-line block ×6, first 2 shown]
	v_pk_add_f32 v[40:41], v[28:29], v[36:37]
	v_pk_add_f32 v[28:29], v[28:29], v[32:33]
	v_min3_f32 v153, v40, v41, v99
	v_pk_add_f32 v[40:41], v[24:25], v[36:37]
	v_pk_add_f32 v[24:25], v[24:25], v[32:33]
	v_min3_f32 v154, v40, v41, v98
	;; [unrolled: 3-line block ×6, first 2 shown]
	v_pk_add_f32 v[40:41], v[4:5], v[36:37]
	v_pk_add_f32 v[36:37], v[0:1], v[36:37]
	;; [unrolled: 1-line block ×4, first 2 shown]
	v_min3_f32 v4, v4, v5, v84
	v_min3_f32 v5, v0, v1, v88
	v_pk_add_f32 v[0:1], v[30:31], v[62:63]
	v_min3_f32 v36, v36, v37, v92
	v_min3_f32 v37, v0, v1, v145
	v_pk_add_f32 v[0:1], v[26:27], v[62:63]
	v_min3_f32 v159, v40, v41, v93
	v_min3_f32 v40, v0, v1, v144
	v_pk_add_f32 v[0:1], v[22:23], v[62:63]
	v_min3_f32 v8, v8, v9, v85
	v_min3_f32 v41, v0, v1, v143
	v_pk_add_f32 v[0:1], v[18:19], v[62:63]
	v_min3_f32 v12, v12, v13, v86
	v_min3_f32 v44, v0, v1, v142
	v_pk_add_f32 v[0:1], v[14:15], v[62:63]
	v_min3_f32 v16, v16, v17, v87
	v_min3_f32 v45, v0, v1, v79
	v_pk_add_f32 v[0:1], v[10:11], v[62:63]
	v_min3_f32 v20, v20, v21, v89
	v_min3_f32 v48, v0, v1, v77
	v_pk_add_f32 v[0:1], v[6:7], v[62:63]
	v_min3_f32 v24, v24, v25, v90
	v_min3_f32 v49, v0, v1, v68
	v_pk_add_f32 v[0:1], v[2:3], v[62:63]
	v_min3_f32 v28, v28, v29, v91
	v_min3_f32 v52, v0, v1, v69
	v_pk_add_f32 v[0:1], v[30:31], v[58:59]
	s_nop 0
	v_min3_f32 v53, v0, v1, v78
	v_pk_add_f32 v[0:1], v[26:27], v[58:59]
	s_nop 0
	v_min3_f32 v56, v0, v1, v139
	v_pk_add_f32 v[0:1], v[22:23], v[58:59]
	;; [unrolled: 3-line block ×55, first 2 shown]
	s_nop 0
	v_min3_f32 v115, v0, v1, v5
	v_add_u32_e32 v0, 12, v152
	v_cmp_le_i32_e64 s[10:11], s22, v0
	s_or_b64 s[10:11], s[10:11], s[8:9]
	s_nop 0
	v_cndmask_b32_e64 v36, 0, v147, s[10:11]
	s_or_b64 s[10:11], s[26:27], s[10:11]
	s_xor_b64 s[12:13], s[10:11], -1
	s_and_saveexec_b64 s[10:11], s[12:13]
	s_cbranch_execz .LBB8_31
; %bb.51:                               ;   in Loop: Header=BB8_32 Depth=1
	flat_load_dword v0, v[66:67]
	s_waitcnt vmcnt(0) lgkmcnt(0)
	v_mul_f32_e32 v36, s23, v0
	s_branch .LBB8_31
.LBB8_52:
	s_load_dwordx2 s[2:3], s[0:1], 0x70
	s_load_dword s29, s[0:1], 0x50
	s_load_dword s28, s[0:1], 0x68
	ds_read_b128 v[32:35], v73 offset:4096
	ds_read_b128 v[28:31], v73 offset:4608
	;; [unrolled: 1-line block ×16, first 2 shown]
	s_waitcnt lgkmcnt(0)
	s_lshl_b64 s[0:1], s[2:3], 2
	s_add_u32 s22, s16, s0
	v_add_u32_e32 v126, s33, v71
	s_addc_u32 s23, s17, s1
	v_mad_i64_i32 v[66:67], s[0:1], v126, s29, 0
	v_add_u32_e32 v64, s31, v70
	v_lshl_add_u64 v[82:83], v[66:67], 2, s[24:25]
	v_mad_i64_i32 v[66:67], s[0:1], v126, s28, 0
	v_cmp_gt_i32_e64 s[18:19], s21, v126
	v_lshl_add_u64 v[80:81], v[66:67], 2, s[22:23]
	v_cmp_gt_i32_e64 s[2:3], s20, v64
	v_cndmask_b32_e64 v66, 0, 1, s[14:15]
	s_and_b64 s[6:7], s[2:3], s[18:19]
	v_ashrrev_i32_e32 v65, 31, v64
	v_cmp_ne_u32_e64 s[0:1], 1, v66
	s_and_saveexec_b64 s[4:5], s[6:7]
	s_cbranch_execz .LBB8_57
; %bb.53:
	s_and_b64 vcc, exec, s[0:1]
	s_cbranch_vccnz .LBB8_55
; %bb.54:
	v_lshl_add_u64 v[66:67], v[64:65], 2, v[82:83]
	flat_load_dword v66, v[66:67]
	s_waitcnt vmcnt(0) lgkmcnt(0)
	v_mul_f32_e32 v66, s30, v66
	s_branch .LBB8_56
.LBB8_55:
	v_mov_b32_e32 v66, 0
.LBB8_56:
	v_pk_add_f32 v[68:69], v[32:33], v[60:61]
	s_nop 0
	v_min3_f32 v67, v68, v69, v145
	v_pk_add_f32 v[68:69], v[34:35], v[62:63]
	s_nop 0
	v_min_f32_e32 v68, v68, v69
	v_min3_f32 v68, v66, v68, v67
	v_lshl_add_u64 v[66:67], v[64:65], 2, v[80:81]
	global_store_dword v[66:67], v68, off
.LBB8_57:
	s_or_b64 exec, exec, s[4:5]
	v_add_u32_e32 v66, 32, v64
	v_cmp_gt_i32_e64 s[4:5], s20, v66
	s_and_b64 s[8:9], s[4:5], s[18:19]
	v_ashrrev_i32_e32 v67, 31, v66
	s_and_saveexec_b64 s[6:7], s[8:9]
	s_cbranch_execz .LBB8_62
; %bb.58:
	s_and_b64 vcc, exec, s[0:1]
	s_cbranch_vccnz .LBB8_60
; %bb.59:
	v_lshl_add_u64 v[68:69], v[66:67], 2, v[82:83]
	flat_load_dword v68, v[68:69]
	s_waitcnt vmcnt(0) lgkmcnt(0)
	v_mul_f32_e32 v68, s30, v68
	s_branch .LBB8_61
.LBB8_60:
	v_mov_b32_e32 v68, 0
.LBB8_61:
	v_pk_add_f32 v[70:71], v[28:29], v[60:61]
	s_nop 0
	v_min3_f32 v69, v70, v71, v144
	v_pk_add_f32 v[70:71], v[30:31], v[62:63]
	s_nop 0
	v_min_f32_e32 v70, v70, v71
	v_min3_f32 v70, v68, v70, v69
	v_lshl_add_u64 v[68:69], v[66:67], 2, v[80:81]
	global_store_dword v[68:69], v70, off
.LBB8_62:
	s_or_b64 exec, exec, s[6:7]
	v_add_u32_e32 v68, 64, v64
	v_cmp_gt_i32_e64 s[6:7], s20, v68
	s_and_b64 s[10:11], s[6:7], s[18:19]
	v_ashrrev_i32_e32 v69, 31, v68
	;; [unrolled: 29-line block ×7, first 2 shown]
	s_and_saveexec_b64 s[18:19], s[26:27]
	s_cbranch_execz .LBB8_92
; %bb.88:
	s_and_b64 vcc, exec, s[0:1]
	s_cbranch_vccnz .LBB8_90
; %bb.89:
	v_lshl_add_u64 v[82:83], v[78:79], 2, v[82:83]
	flat_load_dword v82, v[82:83]
	s_waitcnt vmcnt(0) lgkmcnt(0)
	v_mul_f32_e32 v82, s30, v82
	s_branch .LBB8_91
.LBB8_90:
	v_mov_b32_e32 v82, 0
.LBB8_91:
	v_pk_add_f32 v[60:61], v[0:1], v[60:61]
	s_nop 0
	v_min3_f32 v83, v60, v61, v141
	v_pk_add_f32 v[60:61], v[2:3], v[62:63]
	s_nop 0
	v_min_f32_e32 v60, v60, v61
	v_min3_f32 v62, v82, v60, v83
	v_lshl_add_u64 v[60:61], v[78:79], 2, v[80:81]
	global_store_dword v[60:61], v62, off
.LBB8_92:
	s_or_b64 exec, exec, s[18:19]
	v_add_u32_e32 v80, 8, v126
	v_mad_i64_i32 v[60:61], s[26:27], v80, s29, 0
	v_cmp_gt_i32_e64 s[18:19], s21, v80
	v_lshl_add_u64 v[62:63], v[60:61], 2, s[24:25]
	v_mad_i64_i32 v[60:61], s[26:27], v80, s28, 0
	v_lshl_add_u64 v[60:61], v[60:61], 2, s[22:23]
	s_and_b64 s[34:35], s[2:3], s[18:19]
	s_and_saveexec_b64 s[26:27], s[34:35]
	s_cbranch_execnz .LBB8_100
; %bb.93:
	s_or_b64 exec, exec, s[26:27]
	s_and_b64 s[34:35], s[4:5], s[18:19]
	s_and_saveexec_b64 s[26:27], s[34:35]
	s_cbranch_execnz .LBB8_104
.LBB8_94:
	s_or_b64 exec, exec, s[26:27]
	s_and_b64 s[34:35], s[6:7], s[18:19]
	s_and_saveexec_b64 s[26:27], s[34:35]
	s_cbranch_execnz .LBB8_108
.LBB8_95:
	s_or_b64 exec, exec, s[26:27]
	s_and_b64 s[34:35], s[8:9], s[18:19]
	s_and_saveexec_b64 s[26:27], s[34:35]
	s_cbranch_execnz .LBB8_112
.LBB8_96:
	s_or_b64 exec, exec, s[26:27]
	s_and_b64 s[34:35], s[10:11], s[18:19]
	s_and_saveexec_b64 s[26:27], s[34:35]
	s_cbranch_execnz .LBB8_116
.LBB8_97:
	s_or_b64 exec, exec, s[26:27]
	s_and_b64 s[34:35], s[12:13], s[18:19]
	s_and_saveexec_b64 s[26:27], s[34:35]
	s_cbranch_execnz .LBB8_120
.LBB8_98:
	s_or_b64 exec, exec, s[26:27]
	s_and_b64 s[34:35], s[14:15], s[18:19]
	s_and_saveexec_b64 s[26:27], s[34:35]
	s_cbranch_execnz .LBB8_124
.LBB8_99:
	s_or_b64 exec, exec, s[26:27]
	s_and_b64 s[26:27], s[16:17], s[18:19]
	s_and_saveexec_b64 s[18:19], s[26:27]
	s_cbranch_execnz .LBB8_128
	s_branch .LBB8_132
.LBB8_100:
	s_and_b64 vcc, exec, s[0:1]
	s_cbranch_vccnz .LBB8_102
; %bb.101:
	v_lshl_add_u64 v[80:81], v[64:65], 2, v[62:63]
	flat_load_dword v80, v[80:81]
	s_waitcnt vmcnt(0) lgkmcnt(0)
	v_mul_f32_e32 v80, s30, v80
	s_branch .LBB8_103
.LBB8_102:
	v_mov_b32_e32 v80, 0
.LBB8_103:
	v_pk_add_f32 v[82:83], v[32:33], v[56:57]
	s_nop 0
	v_min3_f32 v81, v82, v83, v140
	v_pk_add_f32 v[82:83], v[34:35], v[58:59]
	s_nop 0
	v_min_f32_e32 v82, v82, v83
	v_min3_f32 v82, v80, v82, v81
	v_lshl_add_u64 v[80:81], v[64:65], 2, v[60:61]
	global_store_dword v[80:81], v82, off
	s_or_b64 exec, exec, s[26:27]
	s_and_b64 s[34:35], s[4:5], s[18:19]
	s_and_saveexec_b64 s[26:27], s[34:35]
	s_cbranch_execz .LBB8_94
.LBB8_104:
	s_and_b64 vcc, exec, s[0:1]
	s_cbranch_vccnz .LBB8_106
; %bb.105:
	v_lshl_add_u64 v[80:81], v[66:67], 2, v[62:63]
	flat_load_dword v80, v[80:81]
	s_waitcnt vmcnt(0) lgkmcnt(0)
	v_mul_f32_e32 v80, s30, v80
	s_branch .LBB8_107
.LBB8_106:
	v_mov_b32_e32 v80, 0
.LBB8_107:
	v_pk_add_f32 v[82:83], v[28:29], v[56:57]
	s_nop 0
	v_min3_f32 v81, v82, v83, v139
	v_pk_add_f32 v[82:83], v[30:31], v[58:59]
	s_nop 0
	v_min_f32_e32 v82, v82, v83
	v_min3_f32 v82, v80, v82, v81
	v_lshl_add_u64 v[80:81], v[66:67], 2, v[60:61]
	global_store_dword v[80:81], v82, off
	s_or_b64 exec, exec, s[26:27]
	s_and_b64 s[34:35], s[6:7], s[18:19]
	s_and_saveexec_b64 s[26:27], s[34:35]
	s_cbranch_execz .LBB8_95
.LBB8_108:
	s_and_b64 vcc, exec, s[0:1]
	s_cbranch_vccnz .LBB8_110
; %bb.109:
	v_lshl_add_u64 v[80:81], v[68:69], 2, v[62:63]
	flat_load_dword v80, v[80:81]
	s_waitcnt vmcnt(0) lgkmcnt(0)
	v_mul_f32_e32 v80, s30, v80
	s_branch .LBB8_111
.LBB8_110:
	v_mov_b32_e32 v80, 0
.LBB8_111:
	v_pk_add_f32 v[82:83], v[24:25], v[56:57]
	s_nop 0
	v_min3_f32 v81, v82, v83, v138
	v_pk_add_f32 v[82:83], v[26:27], v[58:59]
	s_nop 0
	v_min_f32_e32 v82, v82, v83
	v_min3_f32 v82, v80, v82, v81
	v_lshl_add_u64 v[80:81], v[68:69], 2, v[60:61]
	global_store_dword v[80:81], v82, off
	s_or_b64 exec, exec, s[26:27]
	s_and_b64 s[34:35], s[8:9], s[18:19]
	s_and_saveexec_b64 s[26:27], s[34:35]
	s_cbranch_execz .LBB8_96
.LBB8_112:
	s_and_b64 vcc, exec, s[0:1]
	s_cbranch_vccnz .LBB8_114
; %bb.113:
	v_lshl_add_u64 v[80:81], v[70:71], 2, v[62:63]
	flat_load_dword v80, v[80:81]
	s_waitcnt vmcnt(0) lgkmcnt(0)
	v_mul_f32_e32 v80, s30, v80
	s_branch .LBB8_115
.LBB8_114:
	v_mov_b32_e32 v80, 0
.LBB8_115:
	v_pk_add_f32 v[82:83], v[20:21], v[56:57]
	s_nop 0
	v_min3_f32 v81, v82, v83, v137
	v_pk_add_f32 v[82:83], v[22:23], v[58:59]
	s_nop 0
	v_min_f32_e32 v82, v82, v83
	v_min3_f32 v82, v80, v82, v81
	v_lshl_add_u64 v[80:81], v[70:71], 2, v[60:61]
	global_store_dword v[80:81], v82, off
	s_or_b64 exec, exec, s[26:27]
	s_and_b64 s[34:35], s[10:11], s[18:19]
	s_and_saveexec_b64 s[26:27], s[34:35]
	s_cbranch_execz .LBB8_97
.LBB8_116:
	s_and_b64 vcc, exec, s[0:1]
	s_cbranch_vccnz .LBB8_118
; %bb.117:
	v_lshl_add_u64 v[80:81], v[72:73], 2, v[62:63]
	flat_load_dword v80, v[80:81]
	s_waitcnt vmcnt(0) lgkmcnt(0)
	v_mul_f32_e32 v80, s30, v80
	s_branch .LBB8_119
.LBB8_118:
	v_mov_b32_e32 v80, 0
.LBB8_119:
	v_pk_add_f32 v[82:83], v[16:17], v[56:57]
	s_nop 0
	v_min3_f32 v81, v82, v83, v136
	v_pk_add_f32 v[82:83], v[18:19], v[58:59]
	s_nop 0
	v_min_f32_e32 v82, v82, v83
	v_min3_f32 v82, v80, v82, v81
	v_lshl_add_u64 v[80:81], v[72:73], 2, v[60:61]
	global_store_dword v[80:81], v82, off
	s_or_b64 exec, exec, s[26:27]
	s_and_b64 s[34:35], s[12:13], s[18:19]
	s_and_saveexec_b64 s[26:27], s[34:35]
	s_cbranch_execz .LBB8_98
.LBB8_120:
	s_and_b64 vcc, exec, s[0:1]
	s_cbranch_vccnz .LBB8_122
; %bb.121:
	v_lshl_add_u64 v[80:81], v[74:75], 2, v[62:63]
	flat_load_dword v80, v[80:81]
	s_waitcnt vmcnt(0) lgkmcnt(0)
	v_mul_f32_e32 v80, s30, v80
	s_branch .LBB8_123
.LBB8_122:
	v_mov_b32_e32 v80, 0
.LBB8_123:
	v_pk_add_f32 v[82:83], v[12:13], v[56:57]
	s_nop 0
	v_min3_f32 v81, v82, v83, v135
	v_pk_add_f32 v[82:83], v[14:15], v[58:59]
	s_nop 0
	v_min_f32_e32 v82, v82, v83
	v_min3_f32 v82, v80, v82, v81
	v_lshl_add_u64 v[80:81], v[74:75], 2, v[60:61]
	global_store_dword v[80:81], v82, off
	s_or_b64 exec, exec, s[26:27]
	s_and_b64 s[34:35], s[14:15], s[18:19]
	s_and_saveexec_b64 s[26:27], s[34:35]
	s_cbranch_execz .LBB8_99
.LBB8_124:
	s_and_b64 vcc, exec, s[0:1]
	s_cbranch_vccnz .LBB8_126
; %bb.125:
	v_lshl_add_u64 v[80:81], v[76:77], 2, v[62:63]
	flat_load_dword v80, v[80:81]
	s_waitcnt vmcnt(0) lgkmcnt(0)
	v_mul_f32_e32 v80, s30, v80
	s_branch .LBB8_127
.LBB8_126:
	v_mov_b32_e32 v80, 0
.LBB8_127:
	v_pk_add_f32 v[82:83], v[8:9], v[56:57]
	s_nop 0
	v_min3_f32 v81, v82, v83, v134
	v_pk_add_f32 v[82:83], v[10:11], v[58:59]
	s_nop 0
	v_min_f32_e32 v82, v82, v83
	v_min3_f32 v82, v80, v82, v81
	v_lshl_add_u64 v[80:81], v[76:77], 2, v[60:61]
	global_store_dword v[80:81], v82, off
	s_or_b64 exec, exec, s[26:27]
	s_and_b64 s[26:27], s[16:17], s[18:19]
	s_and_saveexec_b64 s[18:19], s[26:27]
	s_cbranch_execz .LBB8_132
.LBB8_128:
	s_and_b64 vcc, exec, s[0:1]
	s_cbranch_vccnz .LBB8_130
; %bb.129:
	v_lshl_add_u64 v[62:63], v[78:79], 2, v[62:63]
	flat_load_dword v62, v[62:63]
	s_waitcnt vmcnt(0) lgkmcnt(0)
	v_mul_f32_e32 v62, s30, v62
	s_branch .LBB8_131
.LBB8_130:
	v_mov_b32_e32 v62, 0
.LBB8_131:
	v_pk_add_f32 v[56:57], v[0:1], v[56:57]
	s_nop 0
	v_min3_f32 v63, v56, v57, v133
	v_pk_add_f32 v[56:57], v[2:3], v[58:59]
	s_nop 0
	v_min_f32_e32 v56, v56, v57
	v_min3_f32 v58, v62, v56, v63
	v_lshl_add_u64 v[56:57], v[78:79], 2, v[60:61]
	global_store_dword v[56:57], v58, off
.LBB8_132:
	s_or_b64 exec, exec, s[18:19]
	v_add_u32_e32 v60, 16, v126
	v_mad_i64_i32 v[56:57], s[26:27], v60, s29, 0
	v_cmp_gt_i32_e64 s[18:19], s21, v60
	v_lshl_add_u64 v[58:59], v[56:57], 2, s[24:25]
	v_mad_i64_i32 v[56:57], s[26:27], v60, s28, 0
	v_lshl_add_u64 v[56:57], v[56:57], 2, s[22:23]
	s_and_b64 s[34:35], s[2:3], s[18:19]
	s_and_saveexec_b64 s[26:27], s[34:35]
	s_cbranch_execnz .LBB8_140
; %bb.133:
	s_or_b64 exec, exec, s[26:27]
	s_and_b64 s[34:35], s[4:5], s[18:19]
	s_and_saveexec_b64 s[26:27], s[34:35]
	s_cbranch_execnz .LBB8_144
.LBB8_134:
	s_or_b64 exec, exec, s[26:27]
	s_and_b64 s[34:35], s[6:7], s[18:19]
	s_and_saveexec_b64 s[26:27], s[34:35]
	s_cbranch_execnz .LBB8_148
.LBB8_135:
	s_or_b64 exec, exec, s[26:27]
	s_and_b64 s[34:35], s[8:9], s[18:19]
	s_and_saveexec_b64 s[26:27], s[34:35]
	s_cbranch_execnz .LBB8_152
.LBB8_136:
	s_or_b64 exec, exec, s[26:27]
	s_and_b64 s[34:35], s[10:11], s[18:19]
	s_and_saveexec_b64 s[26:27], s[34:35]
	s_cbranch_execnz .LBB8_156
.LBB8_137:
	s_or_b64 exec, exec, s[26:27]
	s_and_b64 s[34:35], s[12:13], s[18:19]
	s_and_saveexec_b64 s[26:27], s[34:35]
	s_cbranch_execnz .LBB8_160
.LBB8_138:
	s_or_b64 exec, exec, s[26:27]
	s_and_b64 s[34:35], s[14:15], s[18:19]
	s_and_saveexec_b64 s[26:27], s[34:35]
	s_cbranch_execnz .LBB8_164
.LBB8_139:
	s_or_b64 exec, exec, s[26:27]
	s_and_b64 s[26:27], s[16:17], s[18:19]
	s_and_saveexec_b64 s[18:19], s[26:27]
	s_cbranch_execnz .LBB8_168
	s_branch .LBB8_172
.LBB8_140:
	s_and_b64 vcc, exec, s[0:1]
	s_cbranch_vccnz .LBB8_142
; %bb.141:
	v_lshl_add_u64 v[60:61], v[64:65], 2, v[58:59]
	flat_load_dword v60, v[60:61]
	s_waitcnt vmcnt(0) lgkmcnt(0)
	v_mul_f32_e32 v60, s30, v60
	s_branch .LBB8_143
.LBB8_142:
	v_mov_b32_e32 v60, 0
.LBB8_143:
	v_pk_add_f32 v[62:63], v[32:33], v[52:53]
	s_nop 0
	v_min3_f32 v61, v62, v63, v132
	v_pk_add_f32 v[62:63], v[34:35], v[54:55]
	s_nop 0
	v_min_f32_e32 v62, v62, v63
	v_min3_f32 v62, v60, v62, v61
	v_lshl_add_u64 v[60:61], v[64:65], 2, v[56:57]
	global_store_dword v[60:61], v62, off
	s_or_b64 exec, exec, s[26:27]
	s_and_b64 s[34:35], s[4:5], s[18:19]
	s_and_saveexec_b64 s[26:27], s[34:35]
	s_cbranch_execz .LBB8_134
.LBB8_144:
	s_and_b64 vcc, exec, s[0:1]
	s_cbranch_vccnz .LBB8_146
; %bb.145:
	v_lshl_add_u64 v[60:61], v[66:67], 2, v[58:59]
	flat_load_dword v60, v[60:61]
	s_waitcnt vmcnt(0) lgkmcnt(0)
	v_mul_f32_e32 v60, s30, v60
	s_branch .LBB8_147
.LBB8_146:
	v_mov_b32_e32 v60, 0
.LBB8_147:
	v_pk_add_f32 v[62:63], v[28:29], v[52:53]
	s_nop 0
	v_min3_f32 v61, v62, v63, v131
	v_pk_add_f32 v[62:63], v[30:31], v[54:55]
	s_nop 0
	v_min_f32_e32 v62, v62, v63
	v_min3_f32 v62, v60, v62, v61
	v_lshl_add_u64 v[60:61], v[66:67], 2, v[56:57]
	global_store_dword v[60:61], v62, off
	s_or_b64 exec, exec, s[26:27]
	s_and_b64 s[34:35], s[6:7], s[18:19]
	s_and_saveexec_b64 s[26:27], s[34:35]
	s_cbranch_execz .LBB8_135
.LBB8_148:
	s_and_b64 vcc, exec, s[0:1]
	s_cbranch_vccnz .LBB8_150
; %bb.149:
	v_lshl_add_u64 v[60:61], v[68:69], 2, v[58:59]
	flat_load_dword v60, v[60:61]
	s_waitcnt vmcnt(0) lgkmcnt(0)
	v_mul_f32_e32 v60, s30, v60
	s_branch .LBB8_151
.LBB8_150:
	v_mov_b32_e32 v60, 0
.LBB8_151:
	v_pk_add_f32 v[62:63], v[24:25], v[52:53]
	s_nop 0
	v_min3_f32 v61, v62, v63, v130
	v_pk_add_f32 v[62:63], v[26:27], v[54:55]
	s_nop 0
	v_min_f32_e32 v62, v62, v63
	v_min3_f32 v62, v60, v62, v61
	v_lshl_add_u64 v[60:61], v[68:69], 2, v[56:57]
	global_store_dword v[60:61], v62, off
	s_or_b64 exec, exec, s[26:27]
	s_and_b64 s[34:35], s[8:9], s[18:19]
	s_and_saveexec_b64 s[26:27], s[34:35]
	s_cbranch_execz .LBB8_136
.LBB8_152:
	s_and_b64 vcc, exec, s[0:1]
	s_cbranch_vccnz .LBB8_154
; %bb.153:
	v_lshl_add_u64 v[60:61], v[70:71], 2, v[58:59]
	flat_load_dword v60, v[60:61]
	s_waitcnt vmcnt(0) lgkmcnt(0)
	v_mul_f32_e32 v60, s30, v60
	s_branch .LBB8_155
.LBB8_154:
	v_mov_b32_e32 v60, 0
.LBB8_155:
	v_pk_add_f32 v[62:63], v[20:21], v[52:53]
	s_nop 0
	v_min3_f32 v61, v62, v63, v129
	v_pk_add_f32 v[62:63], v[22:23], v[54:55]
	s_nop 0
	v_min_f32_e32 v62, v62, v63
	v_min3_f32 v62, v60, v62, v61
	v_lshl_add_u64 v[60:61], v[70:71], 2, v[56:57]
	global_store_dword v[60:61], v62, off
	s_or_b64 exec, exec, s[26:27]
	s_and_b64 s[34:35], s[10:11], s[18:19]
	s_and_saveexec_b64 s[26:27], s[34:35]
	s_cbranch_execz .LBB8_137
.LBB8_156:
	s_and_b64 vcc, exec, s[0:1]
	s_cbranch_vccnz .LBB8_158
; %bb.157:
	v_lshl_add_u64 v[60:61], v[72:73], 2, v[58:59]
	flat_load_dword v60, v[60:61]
	s_waitcnt vmcnt(0) lgkmcnt(0)
	v_mul_f32_e32 v60, s30, v60
	s_branch .LBB8_159
.LBB8_158:
	v_mov_b32_e32 v60, 0
.LBB8_159:
	v_pk_add_f32 v[62:63], v[16:17], v[52:53]
	s_nop 0
	v_min3_f32 v61, v62, v63, v128
	v_pk_add_f32 v[62:63], v[18:19], v[54:55]
	s_nop 0
	v_min_f32_e32 v62, v62, v63
	v_min3_f32 v62, v60, v62, v61
	v_lshl_add_u64 v[60:61], v[72:73], 2, v[56:57]
	global_store_dword v[60:61], v62, off
	s_or_b64 exec, exec, s[26:27]
	s_and_b64 s[34:35], s[12:13], s[18:19]
	s_and_saveexec_b64 s[26:27], s[34:35]
	s_cbranch_execz .LBB8_138
.LBB8_160:
	s_and_b64 vcc, exec, s[0:1]
	s_cbranch_vccnz .LBB8_162
; %bb.161:
	v_lshl_add_u64 v[60:61], v[74:75], 2, v[58:59]
	flat_load_dword v60, v[60:61]
	s_waitcnt vmcnt(0) lgkmcnt(0)
	v_mul_f32_e32 v60, s30, v60
	s_branch .LBB8_163
.LBB8_162:
	v_mov_b32_e32 v60, 0
.LBB8_163:
	v_pk_add_f32 v[62:63], v[12:13], v[52:53]
	s_nop 0
	v_min3_f32 v61, v62, v63, v125
	v_pk_add_f32 v[62:63], v[14:15], v[54:55]
	s_nop 0
	v_min_f32_e32 v62, v62, v63
	v_min3_f32 v62, v60, v62, v61
	v_lshl_add_u64 v[60:61], v[74:75], 2, v[56:57]
	global_store_dword v[60:61], v62, off
	s_or_b64 exec, exec, s[26:27]
	s_and_b64 s[34:35], s[14:15], s[18:19]
	s_and_saveexec_b64 s[26:27], s[34:35]
	s_cbranch_execz .LBB8_139
.LBB8_164:
	s_and_b64 vcc, exec, s[0:1]
	s_cbranch_vccnz .LBB8_166
; %bb.165:
	v_lshl_add_u64 v[60:61], v[76:77], 2, v[58:59]
	flat_load_dword v60, v[60:61]
	s_waitcnt vmcnt(0) lgkmcnt(0)
	v_mul_f32_e32 v60, s30, v60
	s_branch .LBB8_167
.LBB8_166:
	v_mov_b32_e32 v60, 0
.LBB8_167:
	v_pk_add_f32 v[62:63], v[8:9], v[52:53]
	s_nop 0
	v_min3_f32 v61, v62, v63, v123
	v_pk_add_f32 v[62:63], v[10:11], v[54:55]
	s_nop 0
	v_min_f32_e32 v62, v62, v63
	v_min3_f32 v62, v60, v62, v61
	v_lshl_add_u64 v[60:61], v[76:77], 2, v[56:57]
	global_store_dword v[60:61], v62, off
	s_or_b64 exec, exec, s[26:27]
	s_and_b64 s[26:27], s[16:17], s[18:19]
	s_and_saveexec_b64 s[18:19], s[26:27]
	s_cbranch_execz .LBB8_172
.LBB8_168:
	s_and_b64 vcc, exec, s[0:1]
	s_cbranch_vccnz .LBB8_170
; %bb.169:
	v_lshl_add_u64 v[58:59], v[78:79], 2, v[58:59]
	flat_load_dword v58, v[58:59]
	s_waitcnt vmcnt(0) lgkmcnt(0)
	v_mul_f32_e32 v58, s30, v58
	s_branch .LBB8_171
.LBB8_170:
	v_mov_b32_e32 v58, 0
.LBB8_171:
	v_pk_add_f32 v[52:53], v[0:1], v[52:53]
	s_nop 0
	v_min3_f32 v59, v52, v53, v127
	v_pk_add_f32 v[52:53], v[2:3], v[54:55]
	s_nop 0
	v_min_f32_e32 v52, v52, v53
	v_min3_f32 v54, v58, v52, v59
	v_lshl_add_u64 v[52:53], v[78:79], 2, v[56:57]
	global_store_dword v[52:53], v54, off
.LBB8_172:
	s_or_b64 exec, exec, s[18:19]
	v_add_u32_e32 v56, 24, v126
	v_mad_i64_i32 v[52:53], s[26:27], v56, s29, 0
	v_cmp_gt_i32_e64 s[18:19], s21, v56
	v_lshl_add_u64 v[54:55], v[52:53], 2, s[24:25]
	v_mad_i64_i32 v[52:53], s[26:27], v56, s28, 0
	v_lshl_add_u64 v[52:53], v[52:53], 2, s[22:23]
	s_and_b64 s[34:35], s[2:3], s[18:19]
	s_and_saveexec_b64 s[26:27], s[34:35]
	s_cbranch_execnz .LBB8_180
; %bb.173:
	s_or_b64 exec, exec, s[26:27]
	s_and_b64 s[34:35], s[4:5], s[18:19]
	s_and_saveexec_b64 s[26:27], s[34:35]
	s_cbranch_execnz .LBB8_184
.LBB8_174:
	s_or_b64 exec, exec, s[26:27]
	s_and_b64 s[34:35], s[6:7], s[18:19]
	s_and_saveexec_b64 s[26:27], s[34:35]
	s_cbranch_execnz .LBB8_188
.LBB8_175:
	s_or_b64 exec, exec, s[26:27]
	s_and_b64 s[34:35], s[8:9], s[18:19]
	s_and_saveexec_b64 s[26:27], s[34:35]
	s_cbranch_execnz .LBB8_192
.LBB8_176:
	s_or_b64 exec, exec, s[26:27]
	s_and_b64 s[34:35], s[10:11], s[18:19]
	s_and_saveexec_b64 s[26:27], s[34:35]
	s_cbranch_execnz .LBB8_196
.LBB8_177:
	s_or_b64 exec, exec, s[26:27]
	s_and_b64 s[34:35], s[12:13], s[18:19]
	s_and_saveexec_b64 s[26:27], s[34:35]
	s_cbranch_execnz .LBB8_200
.LBB8_178:
	s_or_b64 exec, exec, s[26:27]
	s_and_b64 s[34:35], s[14:15], s[18:19]
	s_and_saveexec_b64 s[26:27], s[34:35]
	s_cbranch_execnz .LBB8_204
.LBB8_179:
	s_or_b64 exec, exec, s[26:27]
	s_and_b64 s[26:27], s[16:17], s[18:19]
	s_and_saveexec_b64 s[18:19], s[26:27]
	s_cbranch_execnz .LBB8_208
	s_branch .LBB8_212
.LBB8_180:
	s_and_b64 vcc, exec, s[0:1]
	s_cbranch_vccnz .LBB8_182
; %bb.181:
	v_lshl_add_u64 v[56:57], v[64:65], 2, v[54:55]
	flat_load_dword v56, v[56:57]
	s_waitcnt vmcnt(0) lgkmcnt(0)
	v_mul_f32_e32 v56, s30, v56
	s_branch .LBB8_183
.LBB8_182:
	v_mov_b32_e32 v56, 0
.LBB8_183:
	v_pk_add_f32 v[58:59], v[32:33], v[48:49]
	s_nop 0
	v_min3_f32 v57, v58, v59, v124
	v_pk_add_f32 v[58:59], v[34:35], v[50:51]
	s_nop 0
	v_min_f32_e32 v58, v58, v59
	v_min3_f32 v58, v56, v58, v57
	v_lshl_add_u64 v[56:57], v[64:65], 2, v[52:53]
	global_store_dword v[56:57], v58, off
	s_or_b64 exec, exec, s[26:27]
	s_and_b64 s[34:35], s[4:5], s[18:19]
	s_and_saveexec_b64 s[26:27], s[34:35]
	s_cbranch_execz .LBB8_174
.LBB8_184:
	s_and_b64 vcc, exec, s[0:1]
	s_cbranch_vccnz .LBB8_186
; %bb.185:
	v_lshl_add_u64 v[56:57], v[66:67], 2, v[54:55]
	flat_load_dword v56, v[56:57]
	s_waitcnt vmcnt(0) lgkmcnt(0)
	v_mul_f32_e32 v56, s30, v56
	s_branch .LBB8_187
.LBB8_186:
	v_mov_b32_e32 v56, 0
.LBB8_187:
	v_pk_add_f32 v[58:59], v[28:29], v[48:49]
	s_nop 0
	v_min3_f32 v57, v58, v59, v122
	v_pk_add_f32 v[58:59], v[30:31], v[50:51]
	s_nop 0
	v_min_f32_e32 v58, v58, v59
	v_min3_f32 v58, v56, v58, v57
	v_lshl_add_u64 v[56:57], v[66:67], 2, v[52:53]
	global_store_dword v[56:57], v58, off
	s_or_b64 exec, exec, s[26:27]
	s_and_b64 s[34:35], s[6:7], s[18:19]
	s_and_saveexec_b64 s[26:27], s[34:35]
	s_cbranch_execz .LBB8_175
.LBB8_188:
	s_and_b64 vcc, exec, s[0:1]
	s_cbranch_vccnz .LBB8_190
; %bb.189:
	v_lshl_add_u64 v[56:57], v[68:69], 2, v[54:55]
	flat_load_dword v56, v[56:57]
	s_waitcnt vmcnt(0) lgkmcnt(0)
	v_mul_f32_e32 v56, s30, v56
	s_branch .LBB8_191
.LBB8_190:
	v_mov_b32_e32 v56, 0
.LBB8_191:
	v_pk_add_f32 v[58:59], v[24:25], v[48:49]
	s_nop 0
	v_min3_f32 v57, v58, v59, v121
	v_pk_add_f32 v[58:59], v[26:27], v[50:51]
	s_nop 0
	v_min_f32_e32 v58, v58, v59
	v_min3_f32 v58, v56, v58, v57
	v_lshl_add_u64 v[56:57], v[68:69], 2, v[52:53]
	global_store_dword v[56:57], v58, off
	s_or_b64 exec, exec, s[26:27]
	s_and_b64 s[34:35], s[8:9], s[18:19]
	s_and_saveexec_b64 s[26:27], s[34:35]
	s_cbranch_execz .LBB8_176
.LBB8_192:
	s_and_b64 vcc, exec, s[0:1]
	s_cbranch_vccnz .LBB8_194
; %bb.193:
	v_lshl_add_u64 v[56:57], v[70:71], 2, v[54:55]
	flat_load_dword v56, v[56:57]
	s_waitcnt vmcnt(0) lgkmcnt(0)
	v_mul_f32_e32 v56, s30, v56
	s_branch .LBB8_195
.LBB8_194:
	v_mov_b32_e32 v56, 0
.LBB8_195:
	v_pk_add_f32 v[58:59], v[20:21], v[48:49]
	s_nop 0
	v_min3_f32 v57, v58, v59, v120
	v_pk_add_f32 v[58:59], v[22:23], v[50:51]
	s_nop 0
	v_min_f32_e32 v58, v58, v59
	v_min3_f32 v58, v56, v58, v57
	v_lshl_add_u64 v[56:57], v[70:71], 2, v[52:53]
	global_store_dword v[56:57], v58, off
	s_or_b64 exec, exec, s[26:27]
	s_and_b64 s[34:35], s[10:11], s[18:19]
	s_and_saveexec_b64 s[26:27], s[34:35]
	s_cbranch_execz .LBB8_177
.LBB8_196:
	s_and_b64 vcc, exec, s[0:1]
	s_cbranch_vccnz .LBB8_198
; %bb.197:
	v_lshl_add_u64 v[56:57], v[72:73], 2, v[54:55]
	flat_load_dword v56, v[56:57]
	s_waitcnt vmcnt(0) lgkmcnt(0)
	v_mul_f32_e32 v56, s30, v56
	s_branch .LBB8_199
.LBB8_198:
	v_mov_b32_e32 v56, 0
.LBB8_199:
	v_pk_add_f32 v[58:59], v[16:17], v[48:49]
	s_nop 0
	v_min3_f32 v57, v58, v59, v119
	v_pk_add_f32 v[58:59], v[18:19], v[50:51]
	s_nop 0
	v_min_f32_e32 v58, v58, v59
	v_min3_f32 v58, v56, v58, v57
	v_lshl_add_u64 v[56:57], v[72:73], 2, v[52:53]
	global_store_dword v[56:57], v58, off
	s_or_b64 exec, exec, s[26:27]
	s_and_b64 s[34:35], s[12:13], s[18:19]
	s_and_saveexec_b64 s[26:27], s[34:35]
	s_cbranch_execz .LBB8_178
.LBB8_200:
	s_and_b64 vcc, exec, s[0:1]
	s_cbranch_vccnz .LBB8_202
; %bb.201:
	v_lshl_add_u64 v[56:57], v[74:75], 2, v[54:55]
	flat_load_dword v56, v[56:57]
	s_waitcnt vmcnt(0) lgkmcnt(0)
	v_mul_f32_e32 v56, s30, v56
	s_branch .LBB8_203
.LBB8_202:
	v_mov_b32_e32 v56, 0
.LBB8_203:
	v_pk_add_f32 v[58:59], v[12:13], v[48:49]
	s_nop 0
	v_min3_f32 v57, v58, v59, v118
	v_pk_add_f32 v[58:59], v[14:15], v[50:51]
	s_nop 0
	v_min_f32_e32 v58, v58, v59
	v_min3_f32 v58, v56, v58, v57
	v_lshl_add_u64 v[56:57], v[74:75], 2, v[52:53]
	global_store_dword v[56:57], v58, off
	s_or_b64 exec, exec, s[26:27]
	s_and_b64 s[34:35], s[14:15], s[18:19]
	s_and_saveexec_b64 s[26:27], s[34:35]
	s_cbranch_execz .LBB8_179
.LBB8_204:
	s_and_b64 vcc, exec, s[0:1]
	s_cbranch_vccnz .LBB8_206
; %bb.205:
	v_lshl_add_u64 v[56:57], v[76:77], 2, v[54:55]
	flat_load_dword v56, v[56:57]
	s_waitcnt vmcnt(0) lgkmcnt(0)
	v_mul_f32_e32 v56, s30, v56
	s_branch .LBB8_207
.LBB8_206:
	v_mov_b32_e32 v56, 0
.LBB8_207:
	v_pk_add_f32 v[58:59], v[8:9], v[48:49]
	s_nop 0
	v_min3_f32 v57, v58, v59, v117
	v_pk_add_f32 v[58:59], v[10:11], v[50:51]
	s_nop 0
	v_min_f32_e32 v58, v58, v59
	v_min3_f32 v58, v56, v58, v57
	v_lshl_add_u64 v[56:57], v[76:77], 2, v[52:53]
	global_store_dword v[56:57], v58, off
	s_or_b64 exec, exec, s[26:27]
	s_and_b64 s[26:27], s[16:17], s[18:19]
	s_and_saveexec_b64 s[18:19], s[26:27]
	s_cbranch_execz .LBB8_212
.LBB8_208:
	s_and_b64 vcc, exec, s[0:1]
	s_cbranch_vccnz .LBB8_210
; %bb.209:
	v_lshl_add_u64 v[54:55], v[78:79], 2, v[54:55]
	flat_load_dword v54, v[54:55]
	s_waitcnt vmcnt(0) lgkmcnt(0)
	v_mul_f32_e32 v54, s30, v54
	s_branch .LBB8_211
.LBB8_210:
	v_mov_b32_e32 v54, 0
.LBB8_211:
	v_pk_add_f32 v[48:49], v[0:1], v[48:49]
	s_nop 0
	v_min3_f32 v55, v48, v49, v116
	v_pk_add_f32 v[48:49], v[2:3], v[50:51]
	s_nop 0
	v_min_f32_e32 v48, v48, v49
	v_min3_f32 v50, v54, v48, v55
	v_lshl_add_u64 v[48:49], v[78:79], 2, v[52:53]
	global_store_dword v[48:49], v50, off
.LBB8_212:
	s_or_b64 exec, exec, s[18:19]
	v_add_u32_e32 v52, 32, v126
	v_mad_i64_i32 v[48:49], s[26:27], v52, s29, 0
	v_cmp_gt_i32_e64 s[18:19], s21, v52
	v_lshl_add_u64 v[50:51], v[48:49], 2, s[24:25]
	v_mad_i64_i32 v[48:49], s[26:27], v52, s28, 0
	v_lshl_add_u64 v[48:49], v[48:49], 2, s[22:23]
	s_and_b64 s[34:35], s[2:3], s[18:19]
	s_and_saveexec_b64 s[26:27], s[34:35]
	s_cbranch_execnz .LBB8_220
; %bb.213:
	s_or_b64 exec, exec, s[26:27]
	s_and_b64 s[34:35], s[4:5], s[18:19]
	s_and_saveexec_b64 s[26:27], s[34:35]
	s_cbranch_execnz .LBB8_224
.LBB8_214:
	s_or_b64 exec, exec, s[26:27]
	s_and_b64 s[34:35], s[6:7], s[18:19]
	s_and_saveexec_b64 s[26:27], s[34:35]
	s_cbranch_execnz .LBB8_228
.LBB8_215:
	s_or_b64 exec, exec, s[26:27]
	s_and_b64 s[34:35], s[8:9], s[18:19]
	s_and_saveexec_b64 s[26:27], s[34:35]
	s_cbranch_execnz .LBB8_232
.LBB8_216:
	s_or_b64 exec, exec, s[26:27]
	s_and_b64 s[34:35], s[10:11], s[18:19]
	s_and_saveexec_b64 s[26:27], s[34:35]
	s_cbranch_execnz .LBB8_236
.LBB8_217:
	s_or_b64 exec, exec, s[26:27]
	s_and_b64 s[34:35], s[12:13], s[18:19]
	s_and_saveexec_b64 s[26:27], s[34:35]
	s_cbranch_execnz .LBB8_240
.LBB8_218:
	s_or_b64 exec, exec, s[26:27]
	s_and_b64 s[34:35], s[14:15], s[18:19]
	s_and_saveexec_b64 s[26:27], s[34:35]
	s_cbranch_execnz .LBB8_244
.LBB8_219:
	s_or_b64 exec, exec, s[26:27]
	s_and_b64 s[26:27], s[16:17], s[18:19]
	s_and_saveexec_b64 s[18:19], s[26:27]
	s_cbranch_execnz .LBB8_248
	s_branch .LBB8_252
.LBB8_220:
	s_and_b64 vcc, exec, s[0:1]
	s_cbranch_vccnz .LBB8_222
; %bb.221:
	v_lshl_add_u64 v[52:53], v[64:65], 2, v[50:51]
	flat_load_dword v52, v[52:53]
	s_waitcnt vmcnt(0) lgkmcnt(0)
	v_mul_f32_e32 v52, s30, v52
	s_branch .LBB8_223
.LBB8_222:
	v_mov_b32_e32 v52, 0
.LBB8_223:
	v_pk_add_f32 v[54:55], v[32:33], v[44:45]
	s_nop 0
	v_min3_f32 v53, v54, v55, v115
	v_pk_add_f32 v[54:55], v[34:35], v[46:47]
	s_nop 0
	v_min_f32_e32 v54, v54, v55
	v_min3_f32 v54, v52, v54, v53
	v_lshl_add_u64 v[52:53], v[64:65], 2, v[48:49]
	global_store_dword v[52:53], v54, off
	s_or_b64 exec, exec, s[26:27]
	s_and_b64 s[34:35], s[4:5], s[18:19]
	s_and_saveexec_b64 s[26:27], s[34:35]
	s_cbranch_execz .LBB8_214
.LBB8_224:
	s_and_b64 vcc, exec, s[0:1]
	s_cbranch_vccnz .LBB8_226
; %bb.225:
	v_lshl_add_u64 v[52:53], v[66:67], 2, v[50:51]
	flat_load_dword v52, v[52:53]
	s_waitcnt vmcnt(0) lgkmcnt(0)
	v_mul_f32_e32 v52, s30, v52
	s_branch .LBB8_227
.LBB8_226:
	v_mov_b32_e32 v52, 0
.LBB8_227:
	v_pk_add_f32 v[54:55], v[28:29], v[44:45]
	s_nop 0
	v_min3_f32 v53, v54, v55, v114
	v_pk_add_f32 v[54:55], v[30:31], v[46:47]
	s_nop 0
	v_min_f32_e32 v54, v54, v55
	v_min3_f32 v54, v52, v54, v53
	v_lshl_add_u64 v[52:53], v[66:67], 2, v[48:49]
	global_store_dword v[52:53], v54, off
	s_or_b64 exec, exec, s[26:27]
	s_and_b64 s[34:35], s[6:7], s[18:19]
	s_and_saveexec_b64 s[26:27], s[34:35]
	s_cbranch_execz .LBB8_215
.LBB8_228:
	s_and_b64 vcc, exec, s[0:1]
	s_cbranch_vccnz .LBB8_230
; %bb.229:
	v_lshl_add_u64 v[52:53], v[68:69], 2, v[50:51]
	flat_load_dword v52, v[52:53]
	s_waitcnt vmcnt(0) lgkmcnt(0)
	v_mul_f32_e32 v52, s30, v52
	s_branch .LBB8_231
.LBB8_230:
	v_mov_b32_e32 v52, 0
.LBB8_231:
	v_pk_add_f32 v[54:55], v[24:25], v[44:45]
	s_nop 0
	v_min3_f32 v53, v54, v55, v113
	v_pk_add_f32 v[54:55], v[26:27], v[46:47]
	s_nop 0
	v_min_f32_e32 v54, v54, v55
	v_min3_f32 v54, v52, v54, v53
	v_lshl_add_u64 v[52:53], v[68:69], 2, v[48:49]
	global_store_dword v[52:53], v54, off
	s_or_b64 exec, exec, s[26:27]
	s_and_b64 s[34:35], s[8:9], s[18:19]
	s_and_saveexec_b64 s[26:27], s[34:35]
	s_cbranch_execz .LBB8_216
.LBB8_232:
	s_and_b64 vcc, exec, s[0:1]
	s_cbranch_vccnz .LBB8_234
; %bb.233:
	v_lshl_add_u64 v[52:53], v[70:71], 2, v[50:51]
	flat_load_dword v52, v[52:53]
	s_waitcnt vmcnt(0) lgkmcnt(0)
	v_mul_f32_e32 v52, s30, v52
	s_branch .LBB8_235
.LBB8_234:
	v_mov_b32_e32 v52, 0
.LBB8_235:
	v_pk_add_f32 v[54:55], v[20:21], v[44:45]
	s_nop 0
	v_min3_f32 v53, v54, v55, v112
	v_pk_add_f32 v[54:55], v[22:23], v[46:47]
	s_nop 0
	v_min_f32_e32 v54, v54, v55
	v_min3_f32 v54, v52, v54, v53
	v_lshl_add_u64 v[52:53], v[70:71], 2, v[48:49]
	global_store_dword v[52:53], v54, off
	s_or_b64 exec, exec, s[26:27]
	s_and_b64 s[34:35], s[10:11], s[18:19]
	s_and_saveexec_b64 s[26:27], s[34:35]
	s_cbranch_execz .LBB8_217
.LBB8_236:
	s_and_b64 vcc, exec, s[0:1]
	s_cbranch_vccnz .LBB8_238
; %bb.237:
	v_lshl_add_u64 v[52:53], v[72:73], 2, v[50:51]
	flat_load_dword v52, v[52:53]
	s_waitcnt vmcnt(0) lgkmcnt(0)
	v_mul_f32_e32 v52, s30, v52
	s_branch .LBB8_239
.LBB8_238:
	v_mov_b32_e32 v52, 0
.LBB8_239:
	v_pk_add_f32 v[54:55], v[16:17], v[44:45]
	s_nop 0
	v_min3_f32 v53, v54, v55, v111
	v_pk_add_f32 v[54:55], v[18:19], v[46:47]
	s_nop 0
	v_min_f32_e32 v54, v54, v55
	v_min3_f32 v54, v52, v54, v53
	v_lshl_add_u64 v[52:53], v[72:73], 2, v[48:49]
	global_store_dword v[52:53], v54, off
	s_or_b64 exec, exec, s[26:27]
	s_and_b64 s[34:35], s[12:13], s[18:19]
	s_and_saveexec_b64 s[26:27], s[34:35]
	s_cbranch_execz .LBB8_218
.LBB8_240:
	s_and_b64 vcc, exec, s[0:1]
	s_cbranch_vccnz .LBB8_242
; %bb.241:
	v_lshl_add_u64 v[52:53], v[74:75], 2, v[50:51]
	flat_load_dword v52, v[52:53]
	s_waitcnt vmcnt(0) lgkmcnt(0)
	v_mul_f32_e32 v52, s30, v52
	s_branch .LBB8_243
.LBB8_242:
	v_mov_b32_e32 v52, 0
.LBB8_243:
	v_pk_add_f32 v[54:55], v[12:13], v[44:45]
	s_nop 0
	v_min3_f32 v53, v54, v55, v110
	v_pk_add_f32 v[54:55], v[14:15], v[46:47]
	s_nop 0
	v_min_f32_e32 v54, v54, v55
	v_min3_f32 v54, v52, v54, v53
	v_lshl_add_u64 v[52:53], v[74:75], 2, v[48:49]
	global_store_dword v[52:53], v54, off
	s_or_b64 exec, exec, s[26:27]
	s_and_b64 s[34:35], s[14:15], s[18:19]
	s_and_saveexec_b64 s[26:27], s[34:35]
	s_cbranch_execz .LBB8_219
.LBB8_244:
	s_and_b64 vcc, exec, s[0:1]
	s_cbranch_vccnz .LBB8_246
; %bb.245:
	v_lshl_add_u64 v[52:53], v[76:77], 2, v[50:51]
	flat_load_dword v52, v[52:53]
	s_waitcnt vmcnt(0) lgkmcnt(0)
	v_mul_f32_e32 v52, s30, v52
	s_branch .LBB8_247
.LBB8_246:
	v_mov_b32_e32 v52, 0
.LBB8_247:
	v_pk_add_f32 v[54:55], v[8:9], v[44:45]
	s_nop 0
	v_min3_f32 v53, v54, v55, v109
	v_pk_add_f32 v[54:55], v[10:11], v[46:47]
	s_nop 0
	v_min_f32_e32 v54, v54, v55
	v_min3_f32 v54, v52, v54, v53
	v_lshl_add_u64 v[52:53], v[76:77], 2, v[48:49]
	global_store_dword v[52:53], v54, off
	s_or_b64 exec, exec, s[26:27]
	s_and_b64 s[26:27], s[16:17], s[18:19]
	s_and_saveexec_b64 s[18:19], s[26:27]
	s_cbranch_execz .LBB8_252
.LBB8_248:
	s_and_b64 vcc, exec, s[0:1]
	s_cbranch_vccnz .LBB8_250
; %bb.249:
	v_lshl_add_u64 v[50:51], v[78:79], 2, v[50:51]
	flat_load_dword v50, v[50:51]
	s_waitcnt vmcnt(0) lgkmcnt(0)
	v_mul_f32_e32 v50, s30, v50
	s_branch .LBB8_251
.LBB8_250:
	v_mov_b32_e32 v50, 0
.LBB8_251:
	v_pk_add_f32 v[44:45], v[0:1], v[44:45]
	s_nop 0
	v_min3_f32 v51, v44, v45, v108
	v_pk_add_f32 v[44:45], v[2:3], v[46:47]
	s_nop 0
	v_min_f32_e32 v44, v44, v45
	v_min3_f32 v46, v50, v44, v51
	v_lshl_add_u64 v[44:45], v[78:79], 2, v[48:49]
	global_store_dword v[44:45], v46, off
.LBB8_252:
	s_or_b64 exec, exec, s[18:19]
	v_add_u32_e32 v48, 40, v126
	v_mad_i64_i32 v[44:45], s[26:27], v48, s29, 0
	v_cmp_gt_i32_e64 s[18:19], s21, v48
	v_lshl_add_u64 v[46:47], v[44:45], 2, s[24:25]
	v_mad_i64_i32 v[44:45], s[26:27], v48, s28, 0
	v_lshl_add_u64 v[44:45], v[44:45], 2, s[22:23]
	s_and_b64 s[34:35], s[2:3], s[18:19]
	s_and_saveexec_b64 s[26:27], s[34:35]
	s_cbranch_execnz .LBB8_260
; %bb.253:
	s_or_b64 exec, exec, s[26:27]
	s_and_b64 s[34:35], s[4:5], s[18:19]
	s_and_saveexec_b64 s[26:27], s[34:35]
	s_cbranch_execnz .LBB8_264
.LBB8_254:
	s_or_b64 exec, exec, s[26:27]
	s_and_b64 s[34:35], s[6:7], s[18:19]
	s_and_saveexec_b64 s[26:27], s[34:35]
	s_cbranch_execnz .LBB8_268
.LBB8_255:
	s_or_b64 exec, exec, s[26:27]
	s_and_b64 s[34:35], s[8:9], s[18:19]
	s_and_saveexec_b64 s[26:27], s[34:35]
	s_cbranch_execnz .LBB8_272
.LBB8_256:
	s_or_b64 exec, exec, s[26:27]
	s_and_b64 s[34:35], s[10:11], s[18:19]
	s_and_saveexec_b64 s[26:27], s[34:35]
	s_cbranch_execnz .LBB8_276
.LBB8_257:
	s_or_b64 exec, exec, s[26:27]
	s_and_b64 s[34:35], s[12:13], s[18:19]
	s_and_saveexec_b64 s[26:27], s[34:35]
	s_cbranch_execnz .LBB8_280
.LBB8_258:
	s_or_b64 exec, exec, s[26:27]
	s_and_b64 s[34:35], s[14:15], s[18:19]
	s_and_saveexec_b64 s[26:27], s[34:35]
	s_cbranch_execnz .LBB8_284
.LBB8_259:
	s_or_b64 exec, exec, s[26:27]
	s_and_b64 s[26:27], s[16:17], s[18:19]
	s_and_saveexec_b64 s[18:19], s[26:27]
	s_cbranch_execnz .LBB8_288
	s_branch .LBB8_292
.LBB8_260:
	s_and_b64 vcc, exec, s[0:1]
	s_cbranch_vccnz .LBB8_262
; %bb.261:
	v_lshl_add_u64 v[48:49], v[64:65], 2, v[46:47]
	flat_load_dword v48, v[48:49]
	s_waitcnt vmcnt(0) lgkmcnt(0)
	v_mul_f32_e32 v48, s30, v48
	s_branch .LBB8_263
.LBB8_262:
	v_mov_b32_e32 v48, 0
.LBB8_263:
	v_pk_add_f32 v[50:51], v[32:33], v[40:41]
	s_nop 0
	v_min3_f32 v49, v50, v51, v107
	v_pk_add_f32 v[50:51], v[34:35], v[42:43]
	s_nop 0
	v_min_f32_e32 v50, v50, v51
	v_min3_f32 v50, v48, v50, v49
	v_lshl_add_u64 v[48:49], v[64:65], 2, v[44:45]
	global_store_dword v[48:49], v50, off
	s_or_b64 exec, exec, s[26:27]
	s_and_b64 s[34:35], s[4:5], s[18:19]
	s_and_saveexec_b64 s[26:27], s[34:35]
	s_cbranch_execz .LBB8_254
.LBB8_264:
	s_and_b64 vcc, exec, s[0:1]
	s_cbranch_vccnz .LBB8_266
; %bb.265:
	v_lshl_add_u64 v[48:49], v[66:67], 2, v[46:47]
	flat_load_dword v48, v[48:49]
	s_waitcnt vmcnt(0) lgkmcnt(0)
	v_mul_f32_e32 v48, s30, v48
	s_branch .LBB8_267
.LBB8_266:
	v_mov_b32_e32 v48, 0
.LBB8_267:
	v_pk_add_f32 v[50:51], v[28:29], v[40:41]
	s_nop 0
	v_min3_f32 v49, v50, v51, v106
	v_pk_add_f32 v[50:51], v[30:31], v[42:43]
	s_nop 0
	v_min_f32_e32 v50, v50, v51
	v_min3_f32 v50, v48, v50, v49
	v_lshl_add_u64 v[48:49], v[66:67], 2, v[44:45]
	global_store_dword v[48:49], v50, off
	s_or_b64 exec, exec, s[26:27]
	s_and_b64 s[34:35], s[6:7], s[18:19]
	s_and_saveexec_b64 s[26:27], s[34:35]
	s_cbranch_execz .LBB8_255
.LBB8_268:
	s_and_b64 vcc, exec, s[0:1]
	s_cbranch_vccnz .LBB8_270
; %bb.269:
	v_lshl_add_u64 v[48:49], v[68:69], 2, v[46:47]
	flat_load_dword v48, v[48:49]
	s_waitcnt vmcnt(0) lgkmcnt(0)
	v_mul_f32_e32 v48, s30, v48
	s_branch .LBB8_271
.LBB8_270:
	v_mov_b32_e32 v48, 0
.LBB8_271:
	v_pk_add_f32 v[50:51], v[24:25], v[40:41]
	s_nop 0
	v_min3_f32 v49, v50, v51, v105
	v_pk_add_f32 v[50:51], v[26:27], v[42:43]
	s_nop 0
	v_min_f32_e32 v50, v50, v51
	v_min3_f32 v50, v48, v50, v49
	v_lshl_add_u64 v[48:49], v[68:69], 2, v[44:45]
	global_store_dword v[48:49], v50, off
	s_or_b64 exec, exec, s[26:27]
	s_and_b64 s[34:35], s[8:9], s[18:19]
	s_and_saveexec_b64 s[26:27], s[34:35]
	s_cbranch_execz .LBB8_256
.LBB8_272:
	s_and_b64 vcc, exec, s[0:1]
	s_cbranch_vccnz .LBB8_274
; %bb.273:
	v_lshl_add_u64 v[48:49], v[70:71], 2, v[46:47]
	flat_load_dword v48, v[48:49]
	s_waitcnt vmcnt(0) lgkmcnt(0)
	v_mul_f32_e32 v48, s30, v48
	s_branch .LBB8_275
.LBB8_274:
	v_mov_b32_e32 v48, 0
.LBB8_275:
	v_pk_add_f32 v[50:51], v[20:21], v[40:41]
	s_nop 0
	v_min3_f32 v49, v50, v51, v104
	v_pk_add_f32 v[50:51], v[22:23], v[42:43]
	s_nop 0
	v_min_f32_e32 v50, v50, v51
	v_min3_f32 v50, v48, v50, v49
	v_lshl_add_u64 v[48:49], v[70:71], 2, v[44:45]
	global_store_dword v[48:49], v50, off
	s_or_b64 exec, exec, s[26:27]
	s_and_b64 s[34:35], s[10:11], s[18:19]
	s_and_saveexec_b64 s[26:27], s[34:35]
	s_cbranch_execz .LBB8_257
.LBB8_276:
	s_and_b64 vcc, exec, s[0:1]
	s_cbranch_vccnz .LBB8_278
; %bb.277:
	v_lshl_add_u64 v[48:49], v[72:73], 2, v[46:47]
	flat_load_dword v48, v[48:49]
	s_waitcnt vmcnt(0) lgkmcnt(0)
	v_mul_f32_e32 v48, s30, v48
	s_branch .LBB8_279
.LBB8_278:
	v_mov_b32_e32 v48, 0
.LBB8_279:
	v_pk_add_f32 v[50:51], v[16:17], v[40:41]
	s_nop 0
	v_min3_f32 v49, v50, v51, v103
	v_pk_add_f32 v[50:51], v[18:19], v[42:43]
	s_nop 0
	v_min_f32_e32 v50, v50, v51
	v_min3_f32 v50, v48, v50, v49
	v_lshl_add_u64 v[48:49], v[72:73], 2, v[44:45]
	global_store_dword v[48:49], v50, off
	s_or_b64 exec, exec, s[26:27]
	s_and_b64 s[34:35], s[12:13], s[18:19]
	s_and_saveexec_b64 s[26:27], s[34:35]
	s_cbranch_execz .LBB8_258
.LBB8_280:
	s_and_b64 vcc, exec, s[0:1]
	s_cbranch_vccnz .LBB8_282
; %bb.281:
	v_lshl_add_u64 v[48:49], v[74:75], 2, v[46:47]
	flat_load_dword v48, v[48:49]
	s_waitcnt vmcnt(0) lgkmcnt(0)
	v_mul_f32_e32 v48, s30, v48
	s_branch .LBB8_283
.LBB8_282:
	v_mov_b32_e32 v48, 0
.LBB8_283:
	v_pk_add_f32 v[50:51], v[12:13], v[40:41]
	s_nop 0
	v_min3_f32 v49, v50, v51, v102
	v_pk_add_f32 v[50:51], v[14:15], v[42:43]
	s_nop 0
	v_min_f32_e32 v50, v50, v51
	v_min3_f32 v50, v48, v50, v49
	v_lshl_add_u64 v[48:49], v[74:75], 2, v[44:45]
	global_store_dword v[48:49], v50, off
	s_or_b64 exec, exec, s[26:27]
	s_and_b64 s[34:35], s[14:15], s[18:19]
	s_and_saveexec_b64 s[26:27], s[34:35]
	s_cbranch_execz .LBB8_259
.LBB8_284:
	s_and_b64 vcc, exec, s[0:1]
	s_cbranch_vccnz .LBB8_286
; %bb.285:
	v_lshl_add_u64 v[48:49], v[76:77], 2, v[46:47]
	flat_load_dword v48, v[48:49]
	s_waitcnt vmcnt(0) lgkmcnt(0)
	v_mul_f32_e32 v48, s30, v48
	s_branch .LBB8_287
.LBB8_286:
	v_mov_b32_e32 v48, 0
.LBB8_287:
	v_pk_add_f32 v[50:51], v[8:9], v[40:41]
	s_nop 0
	v_min3_f32 v49, v50, v51, v101
	v_pk_add_f32 v[50:51], v[10:11], v[42:43]
	s_nop 0
	v_min_f32_e32 v50, v50, v51
	v_min3_f32 v50, v48, v50, v49
	v_lshl_add_u64 v[48:49], v[76:77], 2, v[44:45]
	global_store_dword v[48:49], v50, off
	s_or_b64 exec, exec, s[26:27]
	s_and_b64 s[26:27], s[16:17], s[18:19]
	s_and_saveexec_b64 s[18:19], s[26:27]
	s_cbranch_execz .LBB8_292
.LBB8_288:
	s_and_b64 vcc, exec, s[0:1]
	s_cbranch_vccnz .LBB8_290
; %bb.289:
	v_lshl_add_u64 v[46:47], v[78:79], 2, v[46:47]
	flat_load_dword v46, v[46:47]
	s_waitcnt vmcnt(0) lgkmcnt(0)
	v_mul_f32_e32 v46, s30, v46
	s_branch .LBB8_291
.LBB8_290:
	v_mov_b32_e32 v46, 0
.LBB8_291:
	v_pk_add_f32 v[40:41], v[0:1], v[40:41]
	s_nop 0
	v_min3_f32 v47, v40, v41, v100
	v_pk_add_f32 v[40:41], v[2:3], v[42:43]
	s_nop 0
	v_min_f32_e32 v40, v40, v41
	v_min3_f32 v42, v46, v40, v47
	v_lshl_add_u64 v[40:41], v[78:79], 2, v[44:45]
	global_store_dword v[40:41], v42, off
.LBB8_292:
	s_or_b64 exec, exec, s[18:19]
	v_add_u32_e32 v44, 48, v126
	v_mad_i64_i32 v[40:41], s[26:27], v44, s29, 0
	v_cmp_gt_i32_e64 s[18:19], s21, v44
	v_lshl_add_u64 v[42:43], v[40:41], 2, s[24:25]
	v_mad_i64_i32 v[40:41], s[26:27], v44, s28, 0
	v_lshl_add_u64 v[40:41], v[40:41], 2, s[22:23]
	s_and_b64 s[34:35], s[2:3], s[18:19]
	s_and_saveexec_b64 s[26:27], s[34:35]
	s_cbranch_execnz .LBB8_300
; %bb.293:
	s_or_b64 exec, exec, s[26:27]
	s_and_b64 s[34:35], s[4:5], s[18:19]
	s_and_saveexec_b64 s[26:27], s[34:35]
	s_cbranch_execnz .LBB8_304
.LBB8_294:
	s_or_b64 exec, exec, s[26:27]
	s_and_b64 s[34:35], s[6:7], s[18:19]
	s_and_saveexec_b64 s[26:27], s[34:35]
	s_cbranch_execnz .LBB8_308
.LBB8_295:
	s_or_b64 exec, exec, s[26:27]
	s_and_b64 s[34:35], s[8:9], s[18:19]
	s_and_saveexec_b64 s[26:27], s[34:35]
	s_cbranch_execnz .LBB8_312
.LBB8_296:
	s_or_b64 exec, exec, s[26:27]
	s_and_b64 s[34:35], s[10:11], s[18:19]
	s_and_saveexec_b64 s[26:27], s[34:35]
	s_cbranch_execnz .LBB8_316
.LBB8_297:
	s_or_b64 exec, exec, s[26:27]
	s_and_b64 s[34:35], s[12:13], s[18:19]
	s_and_saveexec_b64 s[26:27], s[34:35]
	s_cbranch_execnz .LBB8_320
.LBB8_298:
	s_or_b64 exec, exec, s[26:27]
	s_and_b64 s[34:35], s[14:15], s[18:19]
	s_and_saveexec_b64 s[26:27], s[34:35]
	s_cbranch_execnz .LBB8_324
.LBB8_299:
	s_or_b64 exec, exec, s[26:27]
	s_and_b64 s[26:27], s[16:17], s[18:19]
	s_and_saveexec_b64 s[18:19], s[26:27]
	s_cbranch_execnz .LBB8_328
	s_branch .LBB8_332
.LBB8_300:
	s_and_b64 vcc, exec, s[0:1]
	s_cbranch_vccnz .LBB8_302
; %bb.301:
	v_lshl_add_u64 v[44:45], v[64:65], 2, v[42:43]
	flat_load_dword v44, v[44:45]
	s_waitcnt vmcnt(0) lgkmcnt(0)
	v_mul_f32_e32 v44, s30, v44
	s_branch .LBB8_303
.LBB8_302:
	v_mov_b32_e32 v44, 0
.LBB8_303:
	v_pk_add_f32 v[46:47], v[32:33], v[36:37]
	s_nop 0
	v_min3_f32 v45, v46, v47, v99
	v_pk_add_f32 v[46:47], v[34:35], v[38:39]
	s_nop 0
	v_min_f32_e32 v46, v46, v47
	v_min3_f32 v46, v44, v46, v45
	v_lshl_add_u64 v[44:45], v[64:65], 2, v[40:41]
	global_store_dword v[44:45], v46, off
	s_or_b64 exec, exec, s[26:27]
	s_and_b64 s[34:35], s[4:5], s[18:19]
	s_and_saveexec_b64 s[26:27], s[34:35]
	s_cbranch_execz .LBB8_294
.LBB8_304:
	s_and_b64 vcc, exec, s[0:1]
	s_cbranch_vccnz .LBB8_306
; %bb.305:
	v_lshl_add_u64 v[44:45], v[66:67], 2, v[42:43]
	flat_load_dword v44, v[44:45]
	s_waitcnt vmcnt(0) lgkmcnt(0)
	v_mul_f32_e32 v44, s30, v44
	s_branch .LBB8_307
.LBB8_306:
	v_mov_b32_e32 v44, 0
.LBB8_307:
	v_pk_add_f32 v[46:47], v[28:29], v[36:37]
	s_nop 0
	v_min3_f32 v45, v46, v47, v98
	v_pk_add_f32 v[46:47], v[30:31], v[38:39]
	s_nop 0
	v_min_f32_e32 v46, v46, v47
	v_min3_f32 v46, v44, v46, v45
	v_lshl_add_u64 v[44:45], v[66:67], 2, v[40:41]
	global_store_dword v[44:45], v46, off
	s_or_b64 exec, exec, s[26:27]
	s_and_b64 s[34:35], s[6:7], s[18:19]
	s_and_saveexec_b64 s[26:27], s[34:35]
	s_cbranch_execz .LBB8_295
.LBB8_308:
	s_and_b64 vcc, exec, s[0:1]
	s_cbranch_vccnz .LBB8_310
; %bb.309:
	v_lshl_add_u64 v[44:45], v[68:69], 2, v[42:43]
	flat_load_dword v44, v[44:45]
	s_waitcnt vmcnt(0) lgkmcnt(0)
	v_mul_f32_e32 v44, s30, v44
	s_branch .LBB8_311
.LBB8_310:
	v_mov_b32_e32 v44, 0
.LBB8_311:
	v_pk_add_f32 v[46:47], v[24:25], v[36:37]
	s_nop 0
	v_min3_f32 v45, v46, v47, v97
	v_pk_add_f32 v[46:47], v[26:27], v[38:39]
	s_nop 0
	v_min_f32_e32 v46, v46, v47
	v_min3_f32 v46, v44, v46, v45
	v_lshl_add_u64 v[44:45], v[68:69], 2, v[40:41]
	global_store_dword v[44:45], v46, off
	s_or_b64 exec, exec, s[26:27]
	s_and_b64 s[34:35], s[8:9], s[18:19]
	s_and_saveexec_b64 s[26:27], s[34:35]
	s_cbranch_execz .LBB8_296
.LBB8_312:
	s_and_b64 vcc, exec, s[0:1]
	s_cbranch_vccnz .LBB8_314
; %bb.313:
	v_lshl_add_u64 v[44:45], v[70:71], 2, v[42:43]
	flat_load_dword v44, v[44:45]
	s_waitcnt vmcnt(0) lgkmcnt(0)
	v_mul_f32_e32 v44, s30, v44
	s_branch .LBB8_315
.LBB8_314:
	v_mov_b32_e32 v44, 0
.LBB8_315:
	v_pk_add_f32 v[46:47], v[20:21], v[36:37]
	s_nop 0
	v_min3_f32 v45, v46, v47, v96
	v_pk_add_f32 v[46:47], v[22:23], v[38:39]
	s_nop 0
	v_min_f32_e32 v46, v46, v47
	v_min3_f32 v46, v44, v46, v45
	v_lshl_add_u64 v[44:45], v[70:71], 2, v[40:41]
	global_store_dword v[44:45], v46, off
	s_or_b64 exec, exec, s[26:27]
	s_and_b64 s[34:35], s[10:11], s[18:19]
	s_and_saveexec_b64 s[26:27], s[34:35]
	s_cbranch_execz .LBB8_297
.LBB8_316:
	s_and_b64 vcc, exec, s[0:1]
	s_cbranch_vccnz .LBB8_318
; %bb.317:
	v_lshl_add_u64 v[44:45], v[72:73], 2, v[42:43]
	flat_load_dword v44, v[44:45]
	s_waitcnt vmcnt(0) lgkmcnt(0)
	v_mul_f32_e32 v44, s30, v44
	s_branch .LBB8_319
.LBB8_318:
	v_mov_b32_e32 v44, 0
.LBB8_319:
	v_pk_add_f32 v[46:47], v[16:17], v[36:37]
	s_nop 0
	v_min3_f32 v45, v46, v47, v95
	v_pk_add_f32 v[46:47], v[18:19], v[38:39]
	s_nop 0
	v_min_f32_e32 v46, v46, v47
	v_min3_f32 v46, v44, v46, v45
	v_lshl_add_u64 v[44:45], v[72:73], 2, v[40:41]
	global_store_dword v[44:45], v46, off
	s_or_b64 exec, exec, s[26:27]
	s_and_b64 s[34:35], s[12:13], s[18:19]
	s_and_saveexec_b64 s[26:27], s[34:35]
	s_cbranch_execz .LBB8_298
.LBB8_320:
	s_and_b64 vcc, exec, s[0:1]
	s_cbranch_vccnz .LBB8_322
; %bb.321:
	v_lshl_add_u64 v[44:45], v[74:75], 2, v[42:43]
	flat_load_dword v44, v[44:45]
	s_waitcnt vmcnt(0) lgkmcnt(0)
	v_mul_f32_e32 v44, s30, v44
	s_branch .LBB8_323
.LBB8_322:
	v_mov_b32_e32 v44, 0
.LBB8_323:
	v_pk_add_f32 v[46:47], v[12:13], v[36:37]
	s_nop 0
	v_min3_f32 v45, v46, v47, v94
	v_pk_add_f32 v[46:47], v[14:15], v[38:39]
	s_nop 0
	v_min_f32_e32 v46, v46, v47
	v_min3_f32 v46, v44, v46, v45
	v_lshl_add_u64 v[44:45], v[74:75], 2, v[40:41]
	global_store_dword v[44:45], v46, off
	s_or_b64 exec, exec, s[26:27]
	s_and_b64 s[34:35], s[14:15], s[18:19]
	s_and_saveexec_b64 s[26:27], s[34:35]
	s_cbranch_execz .LBB8_299
.LBB8_324:
	s_and_b64 vcc, exec, s[0:1]
	s_cbranch_vccnz .LBB8_326
; %bb.325:
	v_lshl_add_u64 v[44:45], v[76:77], 2, v[42:43]
	flat_load_dword v44, v[44:45]
	s_waitcnt vmcnt(0) lgkmcnt(0)
	v_mul_f32_e32 v44, s30, v44
	s_branch .LBB8_327
.LBB8_326:
	v_mov_b32_e32 v44, 0
.LBB8_327:
	v_pk_add_f32 v[46:47], v[8:9], v[36:37]
	s_nop 0
	v_min3_f32 v45, v46, v47, v93
	v_pk_add_f32 v[46:47], v[10:11], v[38:39]
	s_nop 0
	v_min_f32_e32 v46, v46, v47
	v_min3_f32 v46, v44, v46, v45
	v_lshl_add_u64 v[44:45], v[76:77], 2, v[40:41]
	global_store_dword v[44:45], v46, off
	s_or_b64 exec, exec, s[26:27]
	s_and_b64 s[26:27], s[16:17], s[18:19]
	s_and_saveexec_b64 s[18:19], s[26:27]
	s_cbranch_execz .LBB8_332
.LBB8_328:
	s_and_b64 vcc, exec, s[0:1]
	s_cbranch_vccnz .LBB8_330
; %bb.329:
	v_lshl_add_u64 v[42:43], v[78:79], 2, v[42:43]
	flat_load_dword v42, v[42:43]
	s_waitcnt vmcnt(0) lgkmcnt(0)
	v_mul_f32_e32 v42, s30, v42
	s_branch .LBB8_331
.LBB8_330:
	v_mov_b32_e32 v42, 0
.LBB8_331:
	v_pk_add_f32 v[36:37], v[0:1], v[36:37]
	s_nop 0
	v_min3_f32 v43, v36, v37, v92
	v_pk_add_f32 v[36:37], v[2:3], v[38:39]
	s_nop 0
	v_min_f32_e32 v36, v36, v37
	v_min3_f32 v38, v42, v36, v43
	v_lshl_add_u64 v[36:37], v[78:79], 2, v[40:41]
	global_store_dword v[36:37], v38, off
.LBB8_332:
	s_or_b64 exec, exec, s[18:19]
	v_add_u32_e32 v40, 56, v126
	v_cmp_gt_i32_e64 s[18:19], s21, v40
	v_mad_i64_i32 v[36:37], s[20:21], v40, s29, 0
	v_lshl_add_u64 v[38:39], v[36:37], 2, s[24:25]
	v_mad_i64_i32 v[36:37], s[20:21], v40, s28, 0
	v_lshl_add_u64 v[36:37], v[36:37], 2, s[22:23]
	s_and_b64 s[20:21], s[2:3], s[18:19]
	s_and_saveexec_b64 s[2:3], s[20:21]
	s_cbranch_execnz .LBB8_341
; %bb.333:
	s_or_b64 exec, exec, s[2:3]
	s_and_b64 s[4:5], s[4:5], s[18:19]
	s_and_saveexec_b64 s[2:3], s[4:5]
	s_cbranch_execnz .LBB8_345
.LBB8_334:
	s_or_b64 exec, exec, s[2:3]
	s_and_b64 s[4:5], s[6:7], s[18:19]
	s_and_saveexec_b64 s[2:3], s[4:5]
	s_cbranch_execnz .LBB8_349
.LBB8_335:
	s_or_b64 exec, exec, s[2:3]
	s_and_b64 s[4:5], s[8:9], s[18:19]
	s_and_saveexec_b64 s[2:3], s[4:5]
	s_cbranch_execnz .LBB8_353
.LBB8_336:
	s_or_b64 exec, exec, s[2:3]
	s_and_b64 s[4:5], s[10:11], s[18:19]
	s_and_saveexec_b64 s[2:3], s[4:5]
	s_cbranch_execnz .LBB8_357
.LBB8_337:
	s_or_b64 exec, exec, s[2:3]
	s_and_b64 s[4:5], s[12:13], s[18:19]
	s_and_saveexec_b64 s[2:3], s[4:5]
	s_cbranch_execnz .LBB8_361
.LBB8_338:
	s_or_b64 exec, exec, s[2:3]
	s_and_b64 s[4:5], s[14:15], s[18:19]
	s_and_saveexec_b64 s[2:3], s[4:5]
	s_cbranch_execnz .LBB8_365
.LBB8_339:
	s_or_b64 exec, exec, s[2:3]
	s_and_b64 s[2:3], s[16:17], s[18:19]
	s_and_saveexec_b64 s[4:5], s[2:3]
	s_cbranch_execnz .LBB8_369
.LBB8_340:
	s_endpgm
.LBB8_341:
	s_and_b64 vcc, exec, s[0:1]
	s_cbranch_vccnz .LBB8_343
; %bb.342:
	v_lshl_add_u64 v[40:41], v[64:65], 2, v[38:39]
	flat_load_dword v40, v[40:41]
	s_waitcnt vmcnt(0) lgkmcnt(0)
	v_mul_f32_e32 v40, s30, v40
	s_branch .LBB8_344
.LBB8_343:
	v_mov_b32_e32 v40, 0
.LBB8_344:
	v_pk_add_f32 v[32:33], v[32:33], v[4:5]
	s_nop 0
	v_min3_f32 v41, v32, v33, v91
	v_pk_add_f32 v[32:33], v[34:35], v[6:7]
	s_nop 0
	v_min_f32_e32 v32, v32, v33
	v_min3_f32 v34, v40, v32, v41
	v_lshl_add_u64 v[32:33], v[64:65], 2, v[36:37]
	global_store_dword v[32:33], v34, off
	s_or_b64 exec, exec, s[2:3]
	s_and_b64 s[4:5], s[4:5], s[18:19]
	s_and_saveexec_b64 s[2:3], s[4:5]
	s_cbranch_execz .LBB8_334
.LBB8_345:
	s_and_b64 vcc, exec, s[0:1]
	s_cbranch_vccnz .LBB8_347
; %bb.346:
	v_lshl_add_u64 v[32:33], v[66:67], 2, v[38:39]
	flat_load_dword v32, v[32:33]
	s_waitcnt vmcnt(0) lgkmcnt(0)
	v_mul_f32_e32 v32, s30, v32
	s_branch .LBB8_348
.LBB8_347:
	v_mov_b32_e32 v32, 0
.LBB8_348:
	v_pk_add_f32 v[28:29], v[28:29], v[4:5]
	s_nop 0
	v_min3_f32 v33, v28, v29, v90
	v_pk_add_f32 v[28:29], v[30:31], v[6:7]
	s_nop 0
	v_min_f32_e32 v28, v28, v29
	v_min3_f32 v30, v32, v28, v33
	v_lshl_add_u64 v[28:29], v[66:67], 2, v[36:37]
	global_store_dword v[28:29], v30, off
	s_or_b64 exec, exec, s[2:3]
	s_and_b64 s[4:5], s[6:7], s[18:19]
	s_and_saveexec_b64 s[2:3], s[4:5]
	s_cbranch_execz .LBB8_335
.LBB8_349:
	s_and_b64 vcc, exec, s[0:1]
	s_cbranch_vccnz .LBB8_351
; %bb.350:
	v_lshl_add_u64 v[28:29], v[68:69], 2, v[38:39]
	flat_load_dword v28, v[28:29]
	s_waitcnt vmcnt(0) lgkmcnt(0)
	v_mul_f32_e32 v28, s30, v28
	s_branch .LBB8_352
.LBB8_351:
	v_mov_b32_e32 v28, 0
.LBB8_352:
	v_pk_add_f32 v[24:25], v[24:25], v[4:5]
	s_nop 0
	v_min3_f32 v29, v24, v25, v89
	v_pk_add_f32 v[24:25], v[26:27], v[6:7]
	s_nop 0
	v_min_f32_e32 v24, v24, v25
	v_min3_f32 v26, v28, v24, v29
	v_lshl_add_u64 v[24:25], v[68:69], 2, v[36:37]
	global_store_dword v[24:25], v26, off
	s_or_b64 exec, exec, s[2:3]
	s_and_b64 s[4:5], s[8:9], s[18:19]
	s_and_saveexec_b64 s[2:3], s[4:5]
	s_cbranch_execz .LBB8_336
.LBB8_353:
	s_and_b64 vcc, exec, s[0:1]
	s_cbranch_vccnz .LBB8_355
; %bb.354:
	v_lshl_add_u64 v[24:25], v[70:71], 2, v[38:39]
	flat_load_dword v24, v[24:25]
	s_waitcnt vmcnt(0) lgkmcnt(0)
	v_mul_f32_e32 v24, s30, v24
	s_branch .LBB8_356
.LBB8_355:
	v_mov_b32_e32 v24, 0
.LBB8_356:
	v_pk_add_f32 v[20:21], v[20:21], v[4:5]
	s_nop 0
	v_min3_f32 v25, v20, v21, v87
	v_pk_add_f32 v[20:21], v[22:23], v[6:7]
	s_nop 0
	v_min_f32_e32 v20, v20, v21
	v_min3_f32 v22, v24, v20, v25
	v_lshl_add_u64 v[20:21], v[70:71], 2, v[36:37]
	global_store_dword v[20:21], v22, off
	s_or_b64 exec, exec, s[2:3]
	s_and_b64 s[4:5], s[10:11], s[18:19]
	s_and_saveexec_b64 s[2:3], s[4:5]
	s_cbranch_execz .LBB8_337
.LBB8_357:
	s_and_b64 vcc, exec, s[0:1]
	s_cbranch_vccnz .LBB8_359
; %bb.358:
	v_lshl_add_u64 v[20:21], v[72:73], 2, v[38:39]
	flat_load_dword v20, v[20:21]
	s_waitcnt vmcnt(0) lgkmcnt(0)
	v_mul_f32_e32 v20, s30, v20
	s_branch .LBB8_360
.LBB8_359:
	v_mov_b32_e32 v20, 0
.LBB8_360:
	v_pk_add_f32 v[16:17], v[16:17], v[4:5]
	s_nop 0
	v_min3_f32 v21, v16, v17, v86
	v_pk_add_f32 v[16:17], v[18:19], v[6:7]
	s_nop 0
	v_min_f32_e32 v16, v16, v17
	v_min3_f32 v18, v20, v16, v21
	v_lshl_add_u64 v[16:17], v[72:73], 2, v[36:37]
	global_store_dword v[16:17], v18, off
	s_or_b64 exec, exec, s[2:3]
	s_and_b64 s[4:5], s[12:13], s[18:19]
	s_and_saveexec_b64 s[2:3], s[4:5]
	s_cbranch_execz .LBB8_338
.LBB8_361:
	s_and_b64 vcc, exec, s[0:1]
	s_cbranch_vccnz .LBB8_363
; %bb.362:
	v_lshl_add_u64 v[16:17], v[74:75], 2, v[38:39]
	flat_load_dword v16, v[16:17]
	s_waitcnt vmcnt(0) lgkmcnt(0)
	v_mul_f32_e32 v16, s30, v16
	s_branch .LBB8_364
.LBB8_363:
	v_mov_b32_e32 v16, 0
.LBB8_364:
	v_pk_add_f32 v[12:13], v[12:13], v[4:5]
	s_nop 0
	v_min3_f32 v17, v12, v13, v85
	v_pk_add_f32 v[12:13], v[14:15], v[6:7]
	s_nop 0
	v_min_f32_e32 v12, v12, v13
	v_min3_f32 v14, v16, v12, v17
	v_lshl_add_u64 v[12:13], v[74:75], 2, v[36:37]
	global_store_dword v[12:13], v14, off
	s_or_b64 exec, exec, s[2:3]
	s_and_b64 s[4:5], s[14:15], s[18:19]
	s_and_saveexec_b64 s[2:3], s[4:5]
	s_cbranch_execz .LBB8_339
.LBB8_365:
	s_and_b64 vcc, exec, s[0:1]
	s_cbranch_vccnz .LBB8_367
; %bb.366:
	v_lshl_add_u64 v[12:13], v[76:77], 2, v[38:39]
	flat_load_dword v12, v[12:13]
	s_waitcnt vmcnt(0) lgkmcnt(0)
	v_mul_f32_e32 v12, s30, v12
	s_branch .LBB8_368
.LBB8_367:
	v_mov_b32_e32 v12, 0
.LBB8_368:
	v_pk_add_f32 v[8:9], v[8:9], v[4:5]
	s_nop 0
	v_min3_f32 v13, v8, v9, v84
	v_pk_add_f32 v[8:9], v[10:11], v[6:7]
	s_nop 0
	v_min_f32_e32 v8, v8, v9
	v_min3_f32 v10, v12, v8, v13
	v_lshl_add_u64 v[8:9], v[76:77], 2, v[36:37]
	global_store_dword v[8:9], v10, off
	s_or_b64 exec, exec, s[2:3]
	s_and_b64 s[2:3], s[16:17], s[18:19]
	s_and_saveexec_b64 s[4:5], s[2:3]
	s_cbranch_execz .LBB8_340
.LBB8_369:
	s_and_b64 vcc, exec, s[0:1]
	s_cbranch_vccnz .LBB8_371
; %bb.370:
	v_lshl_add_u64 v[8:9], v[78:79], 2, v[38:39]
	flat_load_dword v8, v[8:9]
	s_waitcnt vmcnt(0) lgkmcnt(0)
	v_mul_f32_e32 v8, s30, v8
	s_branch .LBB8_372
.LBB8_371:
	v_mov_b32_e32 v8, 0
.LBB8_372:
	v_pk_add_f32 v[0:1], v[0:1], v[4:5]
	s_nop 0
	v_min3_f32 v4, v0, v1, v88
	v_pk_add_f32 v[0:1], v[2:3], v[6:7]
	s_nop 0
	v_min_f32_e32 v0, v0, v1
	v_min3_f32 v2, v8, v0, v4
	v_lshl_add_u64 v[0:1], v[78:79], 2, v[36:37]
	global_store_dword v[0:1], v2, off
	s_endpgm
	.section	.rodata,"a",@progbits
	.p2align	6, 0x0
	.amdhsa_kernel _ZN12_GLOBAL__N_120geam_min_plus_kernelIf15HIP_vector_typeIfLj2EEfLi32ELi8ELi256ELi64ELi4ELi64ELi4ELi4ELi64ELc78ELc78ELb0ELb1ELb1EfKPKfKPfEEviiiT16_PT17_ilSA_ilS8_SA_ilPT18_ili26rocblas_geam_ex_operation_
		.amdhsa_group_segment_fixed_size 10240
		.amdhsa_private_segment_fixed_size 0
		.amdhsa_kernarg_size 128
		.amdhsa_user_sgpr_count 2
		.amdhsa_user_sgpr_dispatch_ptr 0
		.amdhsa_user_sgpr_queue_ptr 0
		.amdhsa_user_sgpr_kernarg_segment_ptr 1
		.amdhsa_user_sgpr_dispatch_id 0
		.amdhsa_user_sgpr_kernarg_preload_length 0
		.amdhsa_user_sgpr_kernarg_preload_offset 0
		.amdhsa_user_sgpr_private_segment_size 0
		.amdhsa_uses_dynamic_stack 0
		.amdhsa_enable_private_segment 0
		.amdhsa_system_sgpr_workgroup_id_x 1
		.amdhsa_system_sgpr_workgroup_id_y 0
		.amdhsa_system_sgpr_workgroup_id_z 1
		.amdhsa_system_sgpr_workgroup_info 0
		.amdhsa_system_vgpr_workitem_id 1
		.amdhsa_next_free_vgpr 172
		.amdhsa_next_free_sgpr 40
		.amdhsa_accum_offset 172
		.amdhsa_reserve_vcc 1
		.amdhsa_float_round_mode_32 0
		.amdhsa_float_round_mode_16_64 0
		.amdhsa_float_denorm_mode_32 3
		.amdhsa_float_denorm_mode_16_64 3
		.amdhsa_dx10_clamp 1
		.amdhsa_ieee_mode 1
		.amdhsa_fp16_overflow 0
		.amdhsa_tg_split 0
		.amdhsa_exception_fp_ieee_invalid_op 0
		.amdhsa_exception_fp_denorm_src 0
		.amdhsa_exception_fp_ieee_div_zero 0
		.amdhsa_exception_fp_ieee_overflow 0
		.amdhsa_exception_fp_ieee_underflow 0
		.amdhsa_exception_fp_ieee_inexact 0
		.amdhsa_exception_int_div_zero 0
	.end_amdhsa_kernel
	.section	.text._ZN12_GLOBAL__N_120geam_min_plus_kernelIf15HIP_vector_typeIfLj2EEfLi32ELi8ELi256ELi64ELi4ELi64ELi4ELi4ELi64ELc78ELc78ELb0ELb1ELb1EfKPKfKPfEEviiiT16_PT17_ilSA_ilS8_SA_ilPT18_ili26rocblas_geam_ex_operation_,"axG",@progbits,_ZN12_GLOBAL__N_120geam_min_plus_kernelIf15HIP_vector_typeIfLj2EEfLi32ELi8ELi256ELi64ELi4ELi64ELi4ELi4ELi64ELc78ELc78ELb0ELb1ELb1EfKPKfKPfEEviiiT16_PT17_ilSA_ilS8_SA_ilPT18_ili26rocblas_geam_ex_operation_,comdat
.Lfunc_end8:
	.size	_ZN12_GLOBAL__N_120geam_min_plus_kernelIf15HIP_vector_typeIfLj2EEfLi32ELi8ELi256ELi64ELi4ELi64ELi4ELi4ELi64ELc78ELc78ELb0ELb1ELb1EfKPKfKPfEEviiiT16_PT17_ilSA_ilS8_SA_ilPT18_ili26rocblas_geam_ex_operation_, .Lfunc_end8-_ZN12_GLOBAL__N_120geam_min_plus_kernelIf15HIP_vector_typeIfLj2EEfLi32ELi8ELi256ELi64ELi4ELi64ELi4ELi4ELi64ELc78ELc78ELb0ELb1ELb1EfKPKfKPfEEviiiT16_PT17_ilSA_ilS8_SA_ilPT18_ili26rocblas_geam_ex_operation_
                                        ; -- End function
	.section	.AMDGPU.csdata,"",@progbits
; Kernel info:
; codeLenInByte = 18732
; NumSgprs: 46
; NumVgprs: 172
; NumAgprs: 0
; TotalNumVgprs: 172
; ScratchSize: 0
; MemoryBound: 0
; FloatMode: 240
; IeeeMode: 1
; LDSByteSize: 10240 bytes/workgroup (compile time only)
; SGPRBlocks: 5
; VGPRBlocks: 21
; NumSGPRsForWavesPerEU: 46
; NumVGPRsForWavesPerEU: 172
; AccumOffset: 172
; Occupancy: 2
; WaveLimiterHint : 1
; COMPUTE_PGM_RSRC2:SCRATCH_EN: 0
; COMPUTE_PGM_RSRC2:USER_SGPR: 2
; COMPUTE_PGM_RSRC2:TRAP_HANDLER: 0
; COMPUTE_PGM_RSRC2:TGID_X_EN: 1
; COMPUTE_PGM_RSRC2:TGID_Y_EN: 0
; COMPUTE_PGM_RSRC2:TGID_Z_EN: 1
; COMPUTE_PGM_RSRC2:TIDIG_COMP_CNT: 1
; COMPUTE_PGM_RSRC3_GFX90A:ACCUM_OFFSET: 42
; COMPUTE_PGM_RSRC3_GFX90A:TG_SPLIT: 0
	.section	.text._ZN12_GLOBAL__N_120geam_min_plus_kernelIf15HIP_vector_typeIfLj2EEfLi32ELi8ELi128ELi128ELi4ELi4ELi64ELi4ELi64ELc84ELc78ELb0ELb0ELb1EPKfKS4_KPfEEviiiT16_PT17_ilSA_ilS8_SA_ilPT18_ili26rocblas_geam_ex_operation_,"axG",@progbits,_ZN12_GLOBAL__N_120geam_min_plus_kernelIf15HIP_vector_typeIfLj2EEfLi32ELi8ELi128ELi128ELi4ELi4ELi64ELi4ELi64ELc84ELc78ELb0ELb0ELb1EPKfKS4_KPfEEviiiT16_PT17_ilSA_ilS8_SA_ilPT18_ili26rocblas_geam_ex_operation_,comdat
	.globl	_ZN12_GLOBAL__N_120geam_min_plus_kernelIf15HIP_vector_typeIfLj2EEfLi32ELi8ELi128ELi128ELi4ELi4ELi64ELi4ELi64ELc84ELc78ELb0ELb0ELb1EPKfKS4_KPfEEviiiT16_PT17_ilSA_ilS8_SA_ilPT18_ili26rocblas_geam_ex_operation_ ; -- Begin function _ZN12_GLOBAL__N_120geam_min_plus_kernelIf15HIP_vector_typeIfLj2EEfLi32ELi8ELi128ELi128ELi4ELi4ELi64ELi4ELi64ELc84ELc78ELb0ELb0ELb1EPKfKS4_KPfEEviiiT16_PT17_ilSA_ilS8_SA_ilPT18_ili26rocblas_geam_ex_operation_
	.p2align	8
	.type	_ZN12_GLOBAL__N_120geam_min_plus_kernelIf15HIP_vector_typeIfLj2EEfLi32ELi8ELi128ELi128ELi4ELi4ELi64ELi4ELi64ELc84ELc78ELb0ELb0ELb1EPKfKS4_KPfEEviiiT16_PT17_ilSA_ilS8_SA_ilPT18_ili26rocblas_geam_ex_operation_,@function
_ZN12_GLOBAL__N_120geam_min_plus_kernelIf15HIP_vector_typeIfLj2EEfLi32ELi8ELi128ELi128ELi4ELi4ELi64ELi4ELi64ELc84ELc78ELb0ELb0ELb1EPKfKS4_KPfEEviiiT16_PT17_ilSA_ilS8_SA_ilPT18_ili26rocblas_geam_ex_operation_: ; @_ZN12_GLOBAL__N_120geam_min_plus_kernelIf15HIP_vector_typeIfLj2EEfLi32ELi8ELi128ELi128ELi4ELi4ELi64ELi4ELi64ELc84ELc78ELb0ELb0ELb1EPKfKS4_KPfEEviiiT16_PT17_ilSA_ilS8_SA_ilPT18_ili26rocblas_geam_ex_operation_
; %bb.0:
	s_load_dwordx4 s[12:15], s[0:1], 0x10
	s_load_dwordx4 s[4:7], s[0:1], 0x28
	s_mov_b32 s20, s3
	s_mov_b32 s21, 0
	s_lshl_b64 s[16:17], s[20:21], 2
	s_waitcnt lgkmcnt(0)
	s_add_u32 s18, s12, s16
	s_load_dwordx4 s[8:11], s[0:1], 0x40
	s_addc_u32 s19, s13, s17
	s_load_dword s12, s[18:19], 0x0
	s_load_dwordx2 s[22:23], s[0:1], 0x50
	s_mov_b64 s[18:19], 0
	s_waitcnt lgkmcnt(0)
	s_add_u32 s10, s10, s16
	s_addc_u32 s11, s11, s17
	v_cmp_eq_f32_e64 s[16:17], s12, 0
	v_cmp_neq_f32_e64 s[24:25], s12, 0
	s_and_b64 vcc, exec, s[16:17]
	s_mov_b64 s[16:17], 0
	s_cbranch_vccnz .LBB9_2
; %bb.1:
	s_lshl_b64 s[16:17], s[20:21], 3
	s_add_u32 s14, s14, s16
	s_addc_u32 s15, s15, s17
	s_load_dwordx2 s[14:15], s[14:15], 0x0
	s_lshl_b64 s[4:5], s[4:5], 2
	s_waitcnt lgkmcnt(0)
	s_add_u32 s16, s14, s4
	s_addc_u32 s17, s15, s5
.LBB9_2:
	s_load_dword s14, s[10:11], 0x0
	v_cndmask_b32_e64 v1, 0, 1, s[24:25]
	v_cmp_ne_u32_e64 s[4:5], 1, v1
	s_andn2_b64 vcc, exec, s[24:25]
	s_cbranch_vccnz .LBB9_4
; %bb.3:
	s_lshl_b64 s[10:11], s[20:21], 3
	s_add_u32 s6, s6, s10
	s_addc_u32 s7, s7, s11
	s_load_dwordx2 s[6:7], s[6:7], 0x0
	s_lshl_b64 s[8:9], s[8:9], 2
	s_waitcnt lgkmcnt(0)
	s_add_u32 s18, s6, s8
	s_addc_u32 s19, s7, s9
.LBB9_4:
	s_load_dwordx4 s[8:11], s[0:1], 0x60
	s_waitcnt lgkmcnt(0)
	v_cmp_eq_f32_e64 s[6:7], s14, 0
	s_and_b64 s[6:7], exec, s[6:7]
	s_mov_b64 vcc, s[6:7]
	s_cbranch_vccnz .LBB9_6
; %bb.5:
	s_lshl_b64 s[24:25], s[20:21], 3
	s_add_u32 s22, s22, s24
	s_addc_u32 s23, s23, s25
	s_load_dwordx2 s[22:23], s[22:23], 0x0
	s_lshl_b64 s[8:9], s[8:9], 2
	s_waitcnt lgkmcnt(0)
	s_add_u32 s8, s22, s8
	s_addc_u32 s9, s23, s9
	s_branch .LBB9_7
.LBB9_6:
	s_mov_b64 s[8:9], 0
.LBB9_7:
	s_load_dword s3, s[0:1], 0x0
	s_load_dword s22, s[0:1], 0x20
	s_lshl_b64 s[20:21], s[20:21], 3
	s_add_u32 s10, s10, s20
	s_addc_u32 s11, s11, s21
	s_waitcnt lgkmcnt(0)
	s_add_i32 s3, s3, -1
	s_ashr_i32 s13, s3, 31
	s_lshr_b32 s13, s13, 25
	s_add_i32 s3, s3, s13
	s_ashr_i32 s3, s3, 7
	s_add_i32 s13, s3, 1
	v_cvt_f32_u32_e32 v1, s13
	s_not_b32 s3, s3
	v_and_b32_e32 v129, 0x3ff, v0
	v_bfe_u32 v130, v0, 10, 10
	v_rcp_iflag_f32_e32 v1, v1
	s_load_dwordx2 s[10:11], s[10:11], 0x0
	v_lshl_add_u32 v0, v130, 5, v129
	v_lshrrev_b32_e32 v4, 2, v0
	v_mul_f32_e32 v1, 0x4f7ffffe, v1
	v_cvt_u32_f32_e32 v1, v1
	v_and_b32_e32 v2, 3, v129
	v_lshlrev_b32_e32 v80, 2, v2
	v_readfirstlane_b32 s15, v1
	s_mul_i32 s3, s3, s15
	s_mul_hi_u32 s3, s15, s3
	s_add_i32 s15, s15, s3
	s_mul_hi_u32 s3, s2, s15
	s_mul_i32 s15, s3, s13
	s_sub_i32 s15, s2, s15
	s_add_i32 s20, s3, 1
	s_sub_i32 s21, s15, s13
	s_cmp_ge_u32 s15, s13
	s_cselect_b32 s3, s20, s3
	s_cselect_b32 s15, s21, s15
	s_add_i32 s20, s3, 1
	s_cmp_ge_u32 s15, s13
	s_cselect_b32 s3, s20, s3
	s_mul_i32 s13, s3, s13
	s_sub_i32 s2, s2, s13
	s_lshl_b32 s2, s2, 7
	v_add_u32_e32 v88, s2, v4
	s_and_b64 vcc, exec, s[4:5]
	v_add_u32_e32 v86, 64, v88
	s_cbranch_vccnz .LBB9_9
; %bb.8:
	v_mov_b32_e32 v81, 0
	v_lshl_add_u64 v[0:1], s[16:17], 0, v[80:81]
	v_mad_i64_i32 v[2:3], s[20:21], v88, s22, 0
	v_lshl_add_u64 v[2:3], v[2:3], 2, v[0:1]
	v_mad_i64_i32 v[6:7], s[20:21], v86, s22, 0
	v_lshl_add_u64 v[0:1], v[6:7], 2, v[0:1]
	flat_load_dword v6, v[2:3]
	flat_load_dword v7, v[0:1]
	s_waitcnt vmcnt(0) lgkmcnt(0)
	v_pk_mul_f32 v[0:1], s[12:13], v[6:7] op_sel_hi:[0,1]
	s_branch .LBB9_10
.LBB9_9:
	v_mov_b32_e32 v0, 0
	v_mov_b32_e32 v1, 0
.LBB9_10:
	s_load_dword s20, s[0:1], 0x38
	s_lshl_b32 s3, s3, 7
	v_add_u32_e32 v87, s3, v4
	s_and_b64 vcc, exec, s[4:5]
	v_add_u32_e32 v89, 64, v87
	s_cbranch_vccnz .LBB9_14
; %bb.11:
	v_mov_b32_e32 v81, 0
	v_lshl_add_u64 v[2:3], s[18:19], 0, v[80:81]
	s_waitcnt lgkmcnt(0)
	v_mad_i64_i32 v[6:7], s[24:25], v87, s20, 0
	v_lshl_add_u64 v[6:7], v[6:7], 2, v[2:3]
	v_mad_i64_i32 v[8:9], s[24:25], v89, s20, 0
	v_lshl_add_u64 v[2:3], v[8:9], 2, v[2:3]
	flat_load_dword v8, v[6:7]
	flat_load_dword v9, v[2:3]
	s_waitcnt vmcnt(0) lgkmcnt(0)
	v_pk_mul_f32 v[2:3], s[12:13], v[8:9] op_sel_hi:[0,1]
	s_and_b64 vcc, exec, s[4:5]
	s_cbranch_vccnz .LBB9_15
.LBB9_12:
	v_mov_b32_e32 v81, 0
	v_lshl_add_u64 v[6:7], s[16:17], 0, v[80:81]
	v_mad_i64_i32 v[8:9], s[24:25], v88, s22, 0
	v_lshl_add_u64 v[8:9], v[8:9], 2, v[6:7]
	v_mad_i64_i32 v[10:11], s[24:25], v86, s22, 0
	v_lshl_add_u64 v[6:7], v[10:11], 2, v[6:7]
	flat_load_dword v10, v[8:9] offset:16
	flat_load_dword v11, v[6:7] offset:16
	s_waitcnt vmcnt(0) lgkmcnt(0)
	v_pk_mul_f32 v[82:83], s[12:13], v[10:11] op_sel_hi:[0,1]
	s_and_b64 vcc, exec, s[4:5]
	s_cbranch_vccnz .LBB9_16
.LBB9_13:
	v_mov_b32_e32 v81, 0
	v_lshl_add_u64 v[6:7], s[18:19], 0, v[80:81]
	s_waitcnt lgkmcnt(0)
	v_mad_i64_i32 v[8:9], s[24:25], v87, s20, 0
	v_lshl_add_u64 v[8:9], v[8:9], 2, v[6:7]
	v_mad_i64_i32 v[10:11], s[24:25], v89, s20, 0
	v_lshl_add_u64 v[6:7], v[10:11], 2, v[6:7]
	flat_load_dword v10, v[8:9] offset:16
	flat_load_dword v11, v[6:7] offset:16
	s_waitcnt vmcnt(0) lgkmcnt(0)
	v_pk_mul_f32 v[84:85], s[12:13], v[10:11] op_sel_hi:[0,1]
	s_branch .LBB9_17
.LBB9_14:
	v_mov_b32_e32 v2, 0
	v_mov_b32_e32 v3, 0
	s_and_b64 vcc, exec, s[4:5]
	s_cbranch_vccz .LBB9_12
.LBB9_15:
	v_mov_b32_e32 v82, 0
	v_mov_b32_e32 v83, 0
	s_and_b64 vcc, exec, s[4:5]
	s_cbranch_vccz .LBB9_13
.LBB9_16:
	v_mov_b32_e32 v84, 0
	v_mov_b32_e32 v85, 0
.LBB9_17:
	v_lshl_or_b32 v149, v4, 4, v80
	v_lshlrev_b32_e32 v136, 4, v129
	ds_write2st64_b32 v149, v0, v1 offset1:4
	ds_write2st64_b32 v149, v2, v3 offset0:16 offset1:20
	s_waitcnt lgkmcnt(0)
	s_barrier
	ds_read_b128 v[12:15], v136
	ds_read_b128 v[8:11], v136 offset:512
	ds_read_b128 v[4:7], v136 offset:1024
	;; [unrolled: 1-line block ×3, first 2 shown]
	v_lshlrev_b32_e32 v138, 4, v130
	ds_read_b128 v[76:79], v138 offset:4096
	ds_read_b128 v[72:75], v138 offset:4224
	;; [unrolled: 1-line block ×16, first 2 shown]
	s_waitcnt lgkmcnt(14)
	v_pk_add_f32 v[90:91], v[12:13], v[76:77]
	s_mov_b32 s13, 0x7f7fffff
	v_min3_f32 v81, v90, v91, s13
	v_pk_add_f32 v[90:91], v[8:9], v[76:77]
	s_load_dword s15, s[0:1], 0x8
	v_min3_f32 v92, v90, v91, s13
	v_pk_add_f32 v[90:91], v[4:5], v[76:77]
	v_pk_add_f32 v[76:77], v[0:1], v[76:77]
	v_min3_f32 v90, v90, v91, s13
	v_min3_f32 v91, v76, v77, s13
	v_pk_add_f32 v[76:77], v[12:13], v[72:73]
	s_waitcnt lgkmcnt(0)
	s_cmp_lt_i32 s15, 9
	v_min3_f32 v93, v76, v77, s13
	v_pk_add_f32 v[76:77], v[8:9], v[72:73]
	ds_write2st64_b32 v149, v82, v83 offset0:8 offset1:12
	ds_write2st64_b32 v149, v84, v85 offset0:24 offset1:28
	v_min3_f32 v94, v76, v77, s13
	v_pk_add_f32 v[76:77], v[4:5], v[72:73]
	v_pk_add_f32 v[72:73], v[0:1], v[72:73]
	v_min3_f32 v76, v76, v77, s13
	v_min3_f32 v77, v72, v73, s13
	v_pk_add_f32 v[72:73], v[12:13], v[68:69]
	s_waitcnt lgkmcnt(0)
	v_min3_f32 v95, v72, v73, s13
	v_pk_add_f32 v[72:73], v[8:9], v[68:69]
	s_barrier
	v_min3_f32 v96, v72, v73, s13
	v_pk_add_f32 v[72:73], v[4:5], v[68:69]
	v_pk_add_f32 v[68:69], v[0:1], v[68:69]
	v_min3_f32 v72, v72, v73, s13
	v_min3_f32 v73, v68, v69, s13
	v_pk_add_f32 v[68:69], v[12:13], v[64:65]
	s_nop 0
	v_min3_f32 v97, v68, v69, s13
	v_pk_add_f32 v[68:69], v[8:9], v[64:65]
	s_nop 0
	v_min3_f32 v98, v68, v69, s13
	v_pk_add_f32 v[68:69], v[4:5], v[64:65]
	v_pk_add_f32 v[64:65], v[0:1], v[64:65]
	v_min3_f32 v68, v68, v69, s13
	v_min3_f32 v69, v64, v65, s13
	v_pk_add_f32 v[64:65], v[12:13], v[60:61]
	s_nop 0
	v_min3_f32 v99, v64, v65, s13
	v_pk_add_f32 v[64:65], v[8:9], v[60:61]
	s_nop 0
	;; [unrolled: 10-line block ×11, first 2 shown]
	v_min3_f32 v172, v28, v29, s13
	v_pk_add_f32 v[28:29], v[4:5], v[24:25]
	v_pk_add_f32 v[24:25], v[0:1], v[24:25]
	v_min3_f32 v28, v28, v29, s13
	v_min3_f32 v29, v24, v25, s13
	v_pk_add_f32 v[24:25], v[12:13], v[20:21]
	v_pk_add_f32 v[12:13], v[12:13], v[16:17]
	v_min3_f32 v173, v24, v25, s13
	v_pk_add_f32 v[24:25], v[8:9], v[20:21]
	v_min3_f32 v12, v12, v13, s13
	v_min3_f32 v174, v24, v25, s13
	v_pk_add_f32 v[24:25], v[4:5], v[20:21]
	v_pk_add_f32 v[20:21], v[0:1], v[20:21]
	v_pk_add_f32 v[4:5], v[4:5], v[16:17]
	v_pk_add_f32 v[0:1], v[0:1], v[16:17]
	v_min3_f32 v4, v4, v5, s13
	v_min3_f32 v5, v0, v1, s13
	v_pk_add_f32 v[0:1], v[14:15], v[78:79]
	v_min3_f32 v24, v24, v25, s13
	v_min3_f32 v170, v0, v1, v81
	v_pk_add_f32 v[0:1], v[10:11], v[78:79]
	;; [unrolled: 3-line block ×3, first 2 shown]
	v_pk_add_f32 v[8:9], v[8:9], v[16:17]
	v_min3_f32 v169, v0, v1, v90
	v_pk_add_f32 v[0:1], v[2:3], v[78:79]
	v_min3_f32 v8, v8, v9, s13
	v_min3_f32 v166, v0, v1, v91
	v_pk_add_f32 v[0:1], v[14:15], v[74:75]
	s_nop 0
	v_min3_f32 v167, v0, v1, v93
	v_pk_add_f32 v[0:1], v[10:11], v[74:75]
	s_nop 0
	;; [unrolled: 3-line block ×60, first 2 shown]
	v_min3_f32 v106, v0, v1, v5
	s_cbranch_scc1 .LBB9_31
; %bb.18:
	v_mov_b32_e32 v0, 0x800
	v_lshl_add_u32 v175, v129, 4, v0
	v_mov_b32_e32 v0, 0x1800
	v_lshl_add_u32 v176, v130, 4, v0
	v_mad_i64_i32 v[0:1], s[24:25], s20, v89, 0
	v_lshl_add_u64 v[82:83], v[0:1], 2, s[18:19]
	v_mad_i64_i32 v[0:1], s[20:21], s20, v87, 0
	v_lshl_add_u64 v[84:85], v[0:1], 2, s[18:19]
	;; [unrolled: 2-line block ×3, first 2 shown]
	v_mad_i64_i32 v[0:1], s[18:19], s22, v88, 0
	v_add_u32_e32 v171, 0x1000, v149
	v_add_u32_e32 v172, 0x1000, v138
	;; [unrolled: 1-line block ×4, first 2 shown]
	s_add_i32 s15, s15, -8
	s_mov_b32 s13, s12
	v_mov_b32_e32 v81, 0
	v_lshl_add_u64 v[88:89], v[0:1], 2, s[16:17]
	s_mov_b32 s16, 0
	s_branch .LBB9_21
.LBB9_19:                               ;   in Loop: Header=BB9_21 Depth=1
	flat_load_dword v0, v[92:93] offset:48
	flat_load_dword v1, v[94:95] offset:48
	s_waitcnt vmcnt(0) lgkmcnt(0)
	v_pk_mul_f32 v[24:25], s[12:13], v[0:1]
.LBB9_20:                               ;   in Loop: Header=BB9_21 Depth=1
	ds_read_b128 v[0:3], v136
	ds_read_b128 v[4:7], v136 offset:512
	ds_read_b128 v[8:11], v136 offset:1024
	;; [unrolled: 1-line block ×3, first 2 shown]
	ds_read_b128 v[92:95], v172
	ds_read_b128 v[106:109], v172 offset:128
	ds_read_b128 v[110:113], v172 offset:256
	;; [unrolled: 1-line block ×15, first 2 shown]
	s_waitcnt lgkmcnt(14)
	v_pk_add_f32 v[126:127], v[0:1], v[92:93]
	s_add_i32 s16, s16, 8
	v_min3_f32 v128, v126, v127, v28
	v_pk_add_f32 v[126:127], v[4:5], v[92:93]
	v_lshl_add_u64 v[82:83], v[82:83], 0, 32
	v_min3_f32 v126, v126, v127, v29
	v_pk_add_f32 v[28:29], v[8:9], v[92:93]
	v_lshl_add_u64 v[84:85], v[84:85], 0, 32
	;; [unrolled: 3-line block ×3, first 2 shown]
	v_min3_f32 v33, v28, v29, v33
	v_pk_add_f32 v[28:29], v[0:1], v[106:107]
	s_cmp_ge_i32 s16, s15
	v_min3_f32 v36, v28, v29, v36
	v_pk_add_f32 v[28:29], v[4:5], v[106:107]
	v_lshl_add_u64 v[88:89], v[88:89], 0, 32
	v_min3_f32 v37, v28, v29, v37
	v_pk_add_f32 v[28:29], v[8:9], v[106:107]
	ds_write2st64_b32 v173, v90, v91 offset1:4
	ds_write2st64_b32 v174, v24, v25 offset1:4
	v_min3_f32 v40, v28, v29, v40
	v_pk_add_f32 v[28:29], v[12:13], v[106:107]
	s_waitcnt lgkmcnt(0)
	v_min3_f32 v41, v28, v29, v41
	v_pk_add_f32 v[28:29], v[0:1], v[110:111]
	s_barrier
	v_min3_f32 v44, v28, v29, v44
	v_pk_add_f32 v[28:29], v[4:5], v[110:111]
	s_nop 0
	v_min3_f32 v45, v28, v29, v45
	v_pk_add_f32 v[28:29], v[8:9], v[110:111]
	s_nop 0
	;; [unrolled: 3-line block ×47, first 2 shown]
	v_min3_f32 v97, v28, v29, v26
	v_pk_add_f32 v[28:29], v[0:1], v[20:21]
	v_pk_add_f32 v[0:1], v[0:1], v[16:17]
	v_min3_f32 v28, v28, v29, v27
	v_pk_add_f32 v[26:27], v[4:5], v[20:21]
	s_nop 0
	v_min3_f32 v29, v26, v27, v99
	v_pk_add_f32 v[26:27], v[8:9], v[20:21]
	v_pk_add_f32 v[20:21], v[12:13], v[20:21]
	v_min3_f32 v26, v26, v27, v100
	v_min3_f32 v20, v20, v21, v101
	;; [unrolled: 1-line block ×3, first 2 shown]
	v_pk_add_f32 v[0:1], v[4:5], v[16:17]
	s_nop 0
	v_min3_f32 v4, v0, v1, v103
	v_pk_add_f32 v[0:1], v[8:9], v[16:17]
	s_nop 0
	v_min3_f32 v5, v0, v1, v104
	;; [unrolled: 3-line block ×67, first 2 shown]
	s_cbranch_scc1 .LBB9_31
.LBB9_21:                               ; =>This Inner Loop Header: Depth=1
	s_and_b64 vcc, exec, s[4:5]
	v_lshl_add_u64 v[90:91], v[88:89], 0, v[80:81]
	v_lshl_add_u64 v[96:97], v[86:87], 0, v[80:81]
	s_cbranch_vccnz .LBB9_24
; %bb.22:                               ;   in Loop: Header=BB9_21 Depth=1
	flat_load_dword v0, v[90:91] offset:32
	flat_load_dword v1, v[96:97] offset:32
	s_waitcnt vmcnt(0) lgkmcnt(0)
	v_pk_mul_f32 v[98:99], s[12:13], v[0:1]
	s_and_b64 vcc, exec, s[4:5]
	v_lshl_add_u64 v[92:93], v[84:85], 0, v[80:81]
	v_lshl_add_u64 v[94:95], v[82:83], 0, v[80:81]
	s_cbranch_vccnz .LBB9_25
.LBB9_23:                               ;   in Loop: Header=BB9_21 Depth=1
	flat_load_dword v0, v[92:93] offset:32
	flat_load_dword v1, v[94:95] offset:32
	s_waitcnt vmcnt(0) lgkmcnt(0)
	v_pk_mul_f32 v[100:101], s[12:13], v[0:1]
	s_branch .LBB9_26
.LBB9_24:                               ;   in Loop: Header=BB9_21 Depth=1
	v_mov_b32_e32 v98, 0
	v_mov_b32_e32 v99, 0
	s_and_b64 vcc, exec, s[4:5]
	v_lshl_add_u64 v[92:93], v[84:85], 0, v[80:81]
	v_lshl_add_u64 v[94:95], v[82:83], 0, v[80:81]
	s_cbranch_vccz .LBB9_23
.LBB9_25:                               ;   in Loop: Header=BB9_21 Depth=1
	v_mov_b32_e32 v100, 0
	v_mov_b32_e32 v101, 0
.LBB9_26:                               ;   in Loop: Header=BB9_21 Depth=1
	ds_read_b128 v[12:15], v175
	ds_read_b128 v[8:11], v175 offset:512
	ds_read_b128 v[4:7], v175 offset:1024
	;; [unrolled: 1-line block ×3, first 2 shown]
	ds_read_b128 v[76:79], v176
	ds_read_b128 v[72:75], v176 offset:128
	ds_read_b128 v[68:71], v176 offset:256
	;; [unrolled: 1-line block ×15, first 2 shown]
	s_and_b64 vcc, exec, s[4:5]
	ds_write2st64_b32 v149, v98, v99 offset1:4
	ds_write2st64_b32 v171, v100, v101 offset1:4
	s_waitcnt lgkmcnt(0)
	s_barrier
	s_cbranch_vccnz .LBB9_28
; %bb.27:                               ;   in Loop: Header=BB9_21 Depth=1
	flat_load_dword v90, v[90:91] offset:48
	s_nop 0
	flat_load_dword v91, v[96:97] offset:48
	s_waitcnt vmcnt(0) lgkmcnt(0)
	v_pk_mul_f32 v[90:91], s[12:13], v[90:91]
	s_branch .LBB9_29
.LBB9_28:                               ;   in Loop: Header=BB9_21 Depth=1
	v_mov_b32_e32 v90, 0
	v_mov_b32_e32 v91, 0
.LBB9_29:                               ;   in Loop: Header=BB9_21 Depth=1
	v_pk_add_f32 v[96:97], v[12:13], v[76:77]
	s_and_b64 vcc, exec, s[4:5]
	v_min3_f32 v98, v96, v97, v170
	v_pk_add_f32 v[96:97], v[8:9], v[76:77]
	s_nop 0
	v_min3_f32 v99, v96, v97, v168
	v_pk_add_f32 v[96:97], v[4:5], v[76:77]
	v_pk_add_f32 v[76:77], v[0:1], v[76:77]
	v_min3_f32 v96, v96, v97, v169
	v_min3_f32 v97, v76, v77, v166
	v_pk_add_f32 v[76:77], v[12:13], v[72:73]
	s_nop 0
	v_min3_f32 v100, v76, v77, v167
	v_pk_add_f32 v[76:77], v[8:9], v[72:73]
	s_nop 0
	v_min3_f32 v101, v76, v77, v164
	v_pk_add_f32 v[76:77], v[4:5], v[72:73]
	v_pk_add_f32 v[72:73], v[0:1], v[72:73]
	v_min3_f32 v76, v76, v77, v165
	v_min3_f32 v77, v72, v73, v162
	v_pk_add_f32 v[72:73], v[12:13], v[68:69]
	s_nop 0
	;; [unrolled: 10-line block ×13, first 2 shown]
	v_min3_f32 v114, v28, v29, v114
	v_pk_add_f32 v[28:29], v[8:9], v[24:25]
	s_nop 0
	v_min3_f32 v111, v28, v29, v111
	v_pk_add_f32 v[28:29], v[4:5], v[24:25]
	v_pk_add_f32 v[24:25], v[0:1], v[24:25]
	v_min3_f32 v112, v28, v29, v112
	v_min3_f32 v109, v24, v25, v109
	v_pk_add_f32 v[24:25], v[12:13], v[20:21]
	v_pk_add_f32 v[12:13], v[12:13], v[16:17]
	v_min3_f32 v110, v24, v25, v110
	v_pk_add_f32 v[24:25], v[8:9], v[20:21]
	v_min3_f32 v12, v12, v13, v105
	v_min3_f32 v107, v24, v25, v107
	v_pk_add_f32 v[24:25], v[4:5], v[20:21]
	v_pk_add_f32 v[20:21], v[0:1], v[20:21]
	;; [unrolled: 1-line block ×4, first 2 shown]
	v_min3_f32 v4, v4, v5, v103
	v_min3_f32 v5, v0, v1, v106
	v_pk_add_f32 v[0:1], v[14:15], v[78:79]
	v_min3_f32 v24, v24, v25, v108
	v_min3_f32 v28, v0, v1, v98
	v_pk_add_f32 v[0:1], v[10:11], v[78:79]
	v_min3_f32 v20, v20, v21, v104
	v_min3_f32 v29, v0, v1, v99
	v_pk_add_f32 v[0:1], v[6:7], v[78:79]
	v_pk_add_f32 v[8:9], v[8:9], v[16:17]
	v_min3_f32 v32, v0, v1, v96
	v_pk_add_f32 v[0:1], v[2:3], v[78:79]
	v_min3_f32 v8, v8, v9, v102
	v_min3_f32 v33, v0, v1, v97
	v_pk_add_f32 v[0:1], v[14:15], v[74:75]
	s_nop 0
	v_min3_f32 v36, v0, v1, v100
	v_pk_add_f32 v[0:1], v[10:11], v[74:75]
	s_nop 0
	;; [unrolled: 3-line block ×60, first 2 shown]
	v_min3_f32 v105, v0, v1, v5
	s_cbranch_vccz .LBB9_19
; %bb.30:                               ;   in Loop: Header=BB9_21 Depth=1
	v_mov_b32_e32 v24, 0
	v_mov_b32_e32 v25, 0
	s_branch .LBB9_20
.LBB9_31:
	s_load_dwordx2 s[12:13], s[0:1], 0x78
	ds_read_b128 v[16:19], v136 offset:2048
	ds_read_b128 v[76:79], v138 offset:6144
	s_load_dword s4, s[0:1], 0x58
	s_load_dword s5, s[0:1], 0x70
	v_add_u32_e32 v82, s2, v129
	v_add_u32_e32 v96, s3, v130
	s_waitcnt lgkmcnt(0)
	s_lshl_b64 s[0:1], s[12:13], 2
	v_pk_add_f32 v[0:1], v[16:17], v[76:77]
	s_add_u32 s0, s10, s0
	v_min3_f32 v2, v0, v1, v170
	v_pk_add_f32 v[0:1], v[18:19], v[78:79]
	s_addc_u32 s1, s11, s1
	v_min3_f32 v2, v0, v1, v2
	v_add_u32_e32 v80, 32, v82
	v_mad_i64_i32 v[0:1], s[2:3], v96, s5, 0
	v_ashrrev_i32_e32 v83, 31, v82
	v_ashrrev_i32_e32 v81, 31, v80
	v_lshl_add_u64 v[92:93], v[0:1], 2, s[0:1]
	v_mad_i64_i32 v[0:1], s[2:3], v96, s4, 0
	v_max_f32_e32 v2, v2, v2
	s_mov_b64 vcc, s[6:7]
	s_cbranch_vccz .LBB9_33
; %bb.32:
	v_min_f32_e32 v3, 0, v2
	v_lshl_add_u64 v[4:5], v[82:83], 2, v[92:93]
	s_mov_b32 s10, 0
	global_store_dword v[4:5], v3, off
	s_mov_b64 s[2:3], 0
	s_branch .LBB9_34
.LBB9_33:
	s_mov_b64 s[2:3], -1
                                        ; implicit-def: $sgpr10
.LBB9_34:
	ds_read_b128 v[12:15], v136 offset:2560
	ds_read_b128 v[8:11], v136 offset:3072
	v_lshl_add_u64 v[94:95], v[0:1], 2, s[8:9]
	s_andn2_b64 vcc, exec, s[2:3]
	v_lshlrev_b64 v[86:87], 2, v[82:83]
	s_cbranch_vccnz .LBB9_36
; %bb.35:
	v_lshl_add_u64 v[0:1], v[94:95], 0, v[86:87]
	flat_load_dword v3, v[0:1]
	v_lshl_add_u64 v[0:1], v[92:93], 0, v[86:87]
	s_waitcnt vmcnt(0) lgkmcnt(0)
	v_mul_f32_e32 v3, s14, v3
	v_min_f32_e32 v2, v3, v2
	global_store_dword v[0:1], v2, off
	v_lshl_add_u64 v[0:1], v[80:81], 2, v[94:95]
	flat_load_dword v0, v[0:1]
	s_waitcnt vmcnt(0) lgkmcnt(0)
	v_mul_f32_e32 v90, s14, v0
	s_branch .LBB9_37
.LBB9_36:
	v_mov_b32_e32 v90, s10
.LBB9_37:
	ds_read_b128 v[0:3], v136 offset:3584
	ds_read_b128 v[72:75], v138 offset:6272
	;; [unrolled: 1-line block ×16, first 2 shown]
	s_waitcnt lgkmcnt(14)
	v_pk_add_f32 v[84:85], v[12:13], v[76:77]
	s_mov_b64 vcc, s[6:7]
	v_min3_f32 v91, v84, v85, v168
	v_pk_add_f32 v[84:85], v[8:9], v[76:77]
	s_nop 0
	v_min3_f32 v88, v84, v85, v169
	v_pk_add_f32 v[84:85], v[14:15], v[78:79]
	s_nop 0
	v_min_f32_e32 v97, v84, v85
	v_pk_add_f32 v[84:85], v[10:11], v[78:79]
	v_min3_f32 v97, v90, v97, v91
	v_min3_f32 v98, v84, v85, v88
	v_add_u32_e32 v88, 64, v82
	v_add_u32_e32 v84, 0x60, v82
	v_lshl_add_u64 v[90:91], v[80:81], 2, v[92:93]
	v_ashrrev_i32_e32 v89, 31, v88
	v_ashrrev_i32_e32 v85, 31, v84
	global_store_dword v[90:91], v97, off
	v_max_f32_e32 v97, v98, v98
	s_cbranch_vccz .LBB9_40
; %bb.38:
	v_min_f32_e32 v98, 0, v97
	v_lshl_add_u64 v[90:91], v[88:89], 2, v[92:93]
	s_mov_b32 s10, 0
	global_store_dword v[90:91], v98, off
	v_lshlrev_b64 v[90:91], 2, v[88:89]
	s_cbranch_execz .LBB9_41
; %bb.39:
	v_mov_b32_e32 v94, s10
	s_branch .LBB9_42
.LBB9_40:
                                        ; implicit-def: $sgpr10
	v_lshlrev_b64 v[90:91], 2, v[88:89]
.LBB9_41:
	v_lshl_add_u64 v[98:99], v[94:95], 0, v[90:91]
	flat_load_dword v100, v[98:99]
	v_lshl_add_u64 v[98:99], v[92:93], 0, v[90:91]
	v_lshl_add_u64 v[94:95], v[84:85], 2, v[94:95]
	s_waitcnt vmcnt(0) lgkmcnt(0)
	v_mul_f32_e32 v100, s14, v100
	v_min_f32_e32 v97, v100, v97
	global_store_dword v[98:99], v97, off
	flat_load_dword v94, v[94:95]
	s_waitcnt vmcnt(0) lgkmcnt(0)
	v_mul_f32_e32 v94, s14, v94
.LBB9_42:
	v_pk_add_f32 v[76:77], v[0:1], v[76:77]
	s_mov_b64 vcc, s[6:7]
	v_min3_f32 v95, v76, v77, v166
	v_pk_add_f32 v[76:77], v[16:17], v[72:73]
	s_nop 0
	v_min3_f32 v97, v76, v77, v167
	v_pk_add_f32 v[76:77], v[2:3], v[78:79]
	s_nop 0
	v_min_f32_e32 v78, v76, v77
	v_pk_add_f32 v[76:77], v[18:19], v[74:75]
	v_min3_f32 v78, v94, v78, v95
	v_min3_f32 v97, v76, v77, v97
	v_lshl_add_u64 v[76:77], v[84:85], 2, v[92:93]
	global_store_dword v[76:77], v78, off
	v_add_u32_e32 v78, 8, v96
	v_mad_i64_i32 v[76:77], s[2:3], v78, s5, 0
	v_lshl_add_u64 v[76:77], v[76:77], 2, s[0:1]
	v_mad_i64_i32 v[78:79], s[2:3], v78, s4, 0
	v_max_f32_e32 v92, v97, v97
	s_cbranch_vccz .LBB9_45
; %bb.43:
	v_min_f32_e32 v93, 0, v92
	v_lshl_add_u64 v[94:95], v[82:83], 2, v[76:77]
	s_mov_b32 s10, 0
	global_store_dword v[94:95], v93, off
	v_lshl_add_u64 v[78:79], v[78:79], 2, s[8:9]
	s_cbranch_execz .LBB9_46
; %bb.44:
	v_mov_b32_e32 v92, s10
	s_branch .LBB9_47
.LBB9_45:
                                        ; implicit-def: $sgpr10
	v_lshl_add_u64 v[78:79], v[78:79], 2, s[8:9]
.LBB9_46:
	v_lshl_add_u64 v[94:95], v[78:79], 0, v[86:87]
	flat_load_dword v93, v[94:95]
	v_lshl_add_u64 v[94:95], v[76:77], 0, v[86:87]
	s_waitcnt vmcnt(0) lgkmcnt(0)
	v_mul_f32_e32 v93, s14, v93
	v_min_f32_e32 v92, v93, v92
	global_store_dword v[94:95], v92, off
	v_lshl_add_u64 v[92:93], v[80:81], 2, v[78:79]
	flat_load_dword v92, v[92:93]
	s_waitcnt vmcnt(0) lgkmcnt(0)
	v_mul_f32_e32 v92, s14, v92
.LBB9_47:
	v_pk_add_f32 v[94:95], v[12:13], v[72:73]
	s_mov_b64 vcc, s[6:7]
	v_min3_f32 v93, v94, v95, v164
	v_pk_add_f32 v[94:95], v[8:9], v[72:73]
	s_nop 0
	v_min3_f32 v97, v94, v95, v165
	v_pk_add_f32 v[94:95], v[14:15], v[74:75]
	s_nop 0
	v_min_f32_e32 v98, v94, v95
	v_pk_add_f32 v[94:95], v[10:11], v[74:75]
	s_nop 0
	v_min3_f32 v94, v94, v95, v97
	v_min3_f32 v95, v92, v98, v93
	v_lshl_add_u64 v[92:93], v[80:81], 2, v[76:77]
	global_store_dword v[92:93], v95, off
	v_max_f32_e32 v92, v94, v94
	s_cbranch_vccz .LBB9_50
; %bb.48:
	v_min_f32_e32 v93, 0, v92
	v_lshl_add_u64 v[94:95], v[88:89], 2, v[76:77]
	s_mov_b32 s10, 0
	global_store_dword v[94:95], v93, off
	s_cbranch_execz .LBB9_51
; %bb.49:
	v_mov_b32_e32 v78, s10
	s_branch .LBB9_52
.LBB9_50:
                                        ; implicit-def: $sgpr10
.LBB9_51:
	v_lshl_add_u64 v[94:95], v[78:79], 0, v[90:91]
	flat_load_dword v93, v[94:95]
	v_lshl_add_u64 v[94:95], v[76:77], 0, v[90:91]
	v_lshl_add_u64 v[78:79], v[84:85], 2, v[78:79]
	s_waitcnt vmcnt(0) lgkmcnt(0)
	v_mul_f32_e32 v93, s14, v93
	v_min_f32_e32 v92, v93, v92
	global_store_dword v[94:95], v92, off
	flat_load_dword v78, v[78:79]
	s_waitcnt vmcnt(0) lgkmcnt(0)
	v_mul_f32_e32 v78, s14, v78
.LBB9_52:
	v_pk_add_f32 v[72:73], v[0:1], v[72:73]
	s_mov_b64 vcc, s[6:7]
	v_min3_f32 v79, v72, v73, v162
	s_waitcnt lgkmcnt(13)
	v_pk_add_f32 v[72:73], v[16:17], v[68:69]
	s_nop 0
	v_min3_f32 v92, v72, v73, v163
	v_pk_add_f32 v[72:73], v[2:3], v[74:75]
	s_nop 0
	v_min_f32_e32 v74, v72, v73
	v_pk_add_f32 v[72:73], v[18:19], v[70:71]
	v_min3_f32 v74, v78, v74, v79
	v_min3_f32 v92, v72, v73, v92
	v_lshl_add_u64 v[72:73], v[84:85], 2, v[76:77]
	global_store_dword v[72:73], v74, off
	v_add_u32_e32 v74, 16, v96
	v_mad_i64_i32 v[72:73], s[2:3], v74, s5, 0
	v_lshl_add_u64 v[72:73], v[72:73], 2, s[0:1]
	v_mad_i64_i32 v[74:75], s[2:3], v74, s4, 0
	v_max_f32_e32 v76, v92, v92
	s_cbranch_vccz .LBB9_55
; %bb.53:
	v_min_f32_e32 v77, 0, v76
	v_lshl_add_u64 v[78:79], v[82:83], 2, v[72:73]
	s_mov_b32 s10, 0
	global_store_dword v[78:79], v77, off
	v_lshl_add_u64 v[74:75], v[74:75], 2, s[8:9]
	s_cbranch_execz .LBB9_56
; %bb.54:
	v_mov_b32_e32 v76, s10
	s_branch .LBB9_57
.LBB9_55:
                                        ; implicit-def: $sgpr10
	v_lshl_add_u64 v[74:75], v[74:75], 2, s[8:9]
.LBB9_56:
	v_lshl_add_u64 v[78:79], v[74:75], 0, v[86:87]
	flat_load_dword v77, v[78:79]
	v_lshl_add_u64 v[78:79], v[72:73], 0, v[86:87]
	s_waitcnt vmcnt(0) lgkmcnt(0)
	v_mul_f32_e32 v77, s14, v77
	v_min_f32_e32 v76, v77, v76
	global_store_dword v[78:79], v76, off
	v_lshl_add_u64 v[76:77], v[80:81], 2, v[74:75]
	flat_load_dword v76, v[76:77]
	s_waitcnt vmcnt(0) lgkmcnt(0)
	v_mul_f32_e32 v76, s14, v76
.LBB9_57:
	v_pk_add_f32 v[78:79], v[12:13], v[68:69]
	s_mov_b64 vcc, s[6:7]
	v_min3_f32 v77, v78, v79, v160
	v_pk_add_f32 v[78:79], v[8:9], v[68:69]
	s_nop 0
	v_min3_f32 v92, v78, v79, v161
	v_pk_add_f32 v[78:79], v[14:15], v[70:71]
	s_nop 0
	v_min_f32_e32 v93, v78, v79
	v_pk_add_f32 v[78:79], v[10:11], v[70:71]
	s_nop 0
	v_min3_f32 v78, v78, v79, v92
	v_min3_f32 v79, v76, v93, v77
	v_lshl_add_u64 v[76:77], v[80:81], 2, v[72:73]
	global_store_dword v[76:77], v79, off
	v_max_f32_e32 v76, v78, v78
	s_cbranch_vccz .LBB9_60
; %bb.58:
	v_min_f32_e32 v77, 0, v76
	v_lshl_add_u64 v[78:79], v[88:89], 2, v[72:73]
	s_mov_b32 s10, 0
	global_store_dword v[78:79], v77, off
	s_cbranch_execz .LBB9_61
; %bb.59:
	v_mov_b32_e32 v74, s10
	s_branch .LBB9_62
.LBB9_60:
                                        ; implicit-def: $sgpr10
.LBB9_61:
	v_lshl_add_u64 v[78:79], v[74:75], 0, v[90:91]
	flat_load_dword v77, v[78:79]
	v_lshl_add_u64 v[78:79], v[72:73], 0, v[90:91]
	v_lshl_add_u64 v[74:75], v[84:85], 2, v[74:75]
	s_waitcnt vmcnt(0) lgkmcnt(0)
	v_mul_f32_e32 v77, s14, v77
	v_min_f32_e32 v76, v77, v76
	global_store_dword v[78:79], v76, off
	flat_load_dword v74, v[74:75]
	s_waitcnt vmcnt(0) lgkmcnt(0)
	v_mul_f32_e32 v74, s14, v74
.LBB9_62:
	v_pk_add_f32 v[68:69], v[0:1], v[68:69]
	s_mov_b64 vcc, s[6:7]
	v_min3_f32 v75, v68, v69, v158
	s_waitcnt lgkmcnt(12)
	v_pk_add_f32 v[68:69], v[16:17], v[64:65]
	s_nop 0
	v_min3_f32 v76, v68, v69, v159
	v_pk_add_f32 v[68:69], v[2:3], v[70:71]
	s_nop 0
	v_min_f32_e32 v70, v68, v69
	v_pk_add_f32 v[68:69], v[18:19], v[66:67]
	v_min3_f32 v70, v74, v70, v75
	v_min3_f32 v76, v68, v69, v76
	v_lshl_add_u64 v[68:69], v[84:85], 2, v[72:73]
	global_store_dword v[68:69], v70, off
	v_add_u32_e32 v70, 24, v96
	v_mad_i64_i32 v[68:69], s[2:3], v70, s5, 0
	v_lshl_add_u64 v[68:69], v[68:69], 2, s[0:1]
	v_mad_i64_i32 v[70:71], s[2:3], v70, s4, 0
	v_max_f32_e32 v72, v76, v76
	s_cbranch_vccz .LBB9_65
; %bb.63:
	v_min_f32_e32 v73, 0, v72
	v_lshl_add_u64 v[74:75], v[82:83], 2, v[68:69]
	s_mov_b32 s10, 0
	global_store_dword v[74:75], v73, off
	v_lshl_add_u64 v[70:71], v[70:71], 2, s[8:9]
	s_cbranch_execz .LBB9_66
; %bb.64:
	v_mov_b32_e32 v72, s10
	s_branch .LBB9_67
.LBB9_65:
                                        ; implicit-def: $sgpr10
	v_lshl_add_u64 v[70:71], v[70:71], 2, s[8:9]
.LBB9_66:
	v_lshl_add_u64 v[74:75], v[70:71], 0, v[86:87]
	flat_load_dword v73, v[74:75]
	v_lshl_add_u64 v[74:75], v[68:69], 0, v[86:87]
	s_waitcnt vmcnt(0) lgkmcnt(0)
	v_mul_f32_e32 v73, s14, v73
	v_min_f32_e32 v72, v73, v72
	global_store_dword v[74:75], v72, off
	v_lshl_add_u64 v[72:73], v[80:81], 2, v[70:71]
	flat_load_dword v72, v[72:73]
	s_waitcnt vmcnt(0) lgkmcnt(0)
	v_mul_f32_e32 v72, s14, v72
.LBB9_67:
	v_pk_add_f32 v[74:75], v[12:13], v[64:65]
	s_mov_b64 vcc, s[6:7]
	v_min3_f32 v73, v74, v75, v156
	v_pk_add_f32 v[74:75], v[8:9], v[64:65]
	s_nop 0
	v_min3_f32 v76, v74, v75, v157
	v_pk_add_f32 v[74:75], v[14:15], v[66:67]
	s_nop 0
	v_min_f32_e32 v77, v74, v75
	v_pk_add_f32 v[74:75], v[10:11], v[66:67]
	s_nop 0
	v_min3_f32 v74, v74, v75, v76
	v_min3_f32 v75, v72, v77, v73
	v_lshl_add_u64 v[72:73], v[80:81], 2, v[68:69]
	global_store_dword v[72:73], v75, off
	v_max_f32_e32 v72, v74, v74
	s_cbranch_vccz .LBB9_70
; %bb.68:
	v_min_f32_e32 v73, 0, v72
	v_lshl_add_u64 v[74:75], v[88:89], 2, v[68:69]
	s_mov_b32 s10, 0
	global_store_dword v[74:75], v73, off
	s_cbranch_execz .LBB9_71
; %bb.69:
	v_mov_b32_e32 v70, s10
	s_branch .LBB9_72
.LBB9_70:
                                        ; implicit-def: $sgpr10
.LBB9_71:
	v_lshl_add_u64 v[74:75], v[70:71], 0, v[90:91]
	flat_load_dword v73, v[74:75]
	v_lshl_add_u64 v[74:75], v[68:69], 0, v[90:91]
	v_lshl_add_u64 v[70:71], v[84:85], 2, v[70:71]
	s_waitcnt vmcnt(0) lgkmcnt(0)
	v_mul_f32_e32 v73, s14, v73
	v_min_f32_e32 v72, v73, v72
	global_store_dword v[74:75], v72, off
	flat_load_dword v70, v[70:71]
	s_waitcnt vmcnt(0) lgkmcnt(0)
	v_mul_f32_e32 v70, s14, v70
.LBB9_72:
	v_pk_add_f32 v[64:65], v[0:1], v[64:65]
	s_mov_b64 vcc, s[6:7]
	v_min3_f32 v71, v64, v65, v154
	s_waitcnt lgkmcnt(11)
	v_pk_add_f32 v[64:65], v[16:17], v[60:61]
	s_nop 0
	v_min3_f32 v72, v64, v65, v155
	v_pk_add_f32 v[64:65], v[2:3], v[66:67]
	s_nop 0
	v_min_f32_e32 v66, v64, v65
	v_pk_add_f32 v[64:65], v[18:19], v[62:63]
	v_min3_f32 v66, v70, v66, v71
	v_min3_f32 v72, v64, v65, v72
	v_lshl_add_u64 v[64:65], v[84:85], 2, v[68:69]
	global_store_dword v[64:65], v66, off
	v_add_u32_e32 v66, 32, v96
	v_mad_i64_i32 v[64:65], s[2:3], v66, s5, 0
	v_lshl_add_u64 v[64:65], v[64:65], 2, s[0:1]
	v_mad_i64_i32 v[66:67], s[2:3], v66, s4, 0
	v_max_f32_e32 v68, v72, v72
	s_cbranch_vccz .LBB9_75
; %bb.73:
	v_min_f32_e32 v69, 0, v68
	v_lshl_add_u64 v[70:71], v[82:83], 2, v[64:65]
	s_mov_b32 s10, 0
	global_store_dword v[70:71], v69, off
	v_lshl_add_u64 v[66:67], v[66:67], 2, s[8:9]
	s_cbranch_execz .LBB9_76
; %bb.74:
	v_mov_b32_e32 v68, s10
	s_branch .LBB9_77
.LBB9_75:
                                        ; implicit-def: $sgpr10
	v_lshl_add_u64 v[66:67], v[66:67], 2, s[8:9]
.LBB9_76:
	v_lshl_add_u64 v[70:71], v[66:67], 0, v[86:87]
	flat_load_dword v69, v[70:71]
	v_lshl_add_u64 v[70:71], v[64:65], 0, v[86:87]
	s_waitcnt vmcnt(0) lgkmcnt(0)
	v_mul_f32_e32 v69, s14, v69
	v_min_f32_e32 v68, v69, v68
	global_store_dword v[70:71], v68, off
	v_lshl_add_u64 v[68:69], v[80:81], 2, v[66:67]
	flat_load_dword v68, v[68:69]
	s_waitcnt vmcnt(0) lgkmcnt(0)
	v_mul_f32_e32 v68, s14, v68
.LBB9_77:
	v_pk_add_f32 v[70:71], v[12:13], v[60:61]
	s_mov_b64 vcc, s[6:7]
	v_min3_f32 v69, v70, v71, v152
	v_pk_add_f32 v[70:71], v[8:9], v[60:61]
	s_nop 0
	v_min3_f32 v72, v70, v71, v153
	v_pk_add_f32 v[70:71], v[14:15], v[62:63]
	s_nop 0
	v_min_f32_e32 v73, v70, v71
	v_pk_add_f32 v[70:71], v[10:11], v[62:63]
	s_nop 0
	v_min3_f32 v70, v70, v71, v72
	v_min3_f32 v71, v68, v73, v69
	v_lshl_add_u64 v[68:69], v[80:81], 2, v[64:65]
	global_store_dword v[68:69], v71, off
	v_max_f32_e32 v68, v70, v70
	s_cbranch_vccz .LBB9_80
; %bb.78:
	v_min_f32_e32 v69, 0, v68
	v_lshl_add_u64 v[70:71], v[88:89], 2, v[64:65]
	s_mov_b32 s10, 0
	global_store_dword v[70:71], v69, off
	s_cbranch_execz .LBB9_81
; %bb.79:
	v_mov_b32_e32 v66, s10
	s_branch .LBB9_82
.LBB9_80:
                                        ; implicit-def: $sgpr10
.LBB9_81:
	v_lshl_add_u64 v[70:71], v[66:67], 0, v[90:91]
	flat_load_dword v69, v[70:71]
	v_lshl_add_u64 v[70:71], v[64:65], 0, v[90:91]
	v_lshl_add_u64 v[66:67], v[84:85], 2, v[66:67]
	s_waitcnt vmcnt(0) lgkmcnt(0)
	v_mul_f32_e32 v69, s14, v69
	v_min_f32_e32 v68, v69, v68
	global_store_dword v[70:71], v68, off
	flat_load_dword v66, v[66:67]
	s_waitcnt vmcnt(0) lgkmcnt(0)
	v_mul_f32_e32 v66, s14, v66
.LBB9_82:
	v_pk_add_f32 v[60:61], v[0:1], v[60:61]
	s_mov_b64 vcc, s[6:7]
	v_min3_f32 v67, v60, v61, v150
	s_waitcnt lgkmcnt(10)
	v_pk_add_f32 v[60:61], v[16:17], v[56:57]
	s_nop 0
	v_min3_f32 v68, v60, v61, v151
	v_pk_add_f32 v[60:61], v[2:3], v[62:63]
	s_nop 0
	v_min_f32_e32 v62, v60, v61
	v_pk_add_f32 v[60:61], v[18:19], v[58:59]
	v_min3_f32 v62, v66, v62, v67
	v_min3_f32 v68, v60, v61, v68
	v_lshl_add_u64 v[60:61], v[84:85], 2, v[64:65]
	global_store_dword v[60:61], v62, off
	v_add_u32_e32 v62, 40, v96
	v_mad_i64_i32 v[60:61], s[2:3], v62, s5, 0
	v_lshl_add_u64 v[60:61], v[60:61], 2, s[0:1]
	v_mad_i64_i32 v[62:63], s[2:3], v62, s4, 0
	v_max_f32_e32 v64, v68, v68
	s_cbranch_vccz .LBB9_85
; %bb.83:
	v_min_f32_e32 v65, 0, v64
	v_lshl_add_u64 v[66:67], v[82:83], 2, v[60:61]
	s_mov_b32 s10, 0
	global_store_dword v[66:67], v65, off
	v_lshl_add_u64 v[62:63], v[62:63], 2, s[8:9]
	s_cbranch_execz .LBB9_86
; %bb.84:
	v_mov_b32_e32 v64, s10
	s_branch .LBB9_87
.LBB9_85:
                                        ; implicit-def: $sgpr10
	v_lshl_add_u64 v[62:63], v[62:63], 2, s[8:9]
.LBB9_86:
	v_lshl_add_u64 v[66:67], v[62:63], 0, v[86:87]
	flat_load_dword v65, v[66:67]
	v_lshl_add_u64 v[66:67], v[60:61], 0, v[86:87]
	s_waitcnt vmcnt(0) lgkmcnt(0)
	v_mul_f32_e32 v65, s14, v65
	v_min_f32_e32 v64, v65, v64
	global_store_dword v[66:67], v64, off
	v_lshl_add_u64 v[64:65], v[80:81], 2, v[62:63]
	flat_load_dword v64, v[64:65]
	s_waitcnt vmcnt(0) lgkmcnt(0)
	v_mul_f32_e32 v64, s14, v64
.LBB9_87:
	v_pk_add_f32 v[66:67], v[12:13], v[56:57]
	s_mov_b64 vcc, s[6:7]
	v_min3_f32 v65, v66, v67, v147
	v_pk_add_f32 v[66:67], v[8:9], v[56:57]
	s_nop 0
	v_min3_f32 v68, v66, v67, v148
	v_pk_add_f32 v[66:67], v[14:15], v[58:59]
	s_nop 0
	v_min_f32_e32 v69, v66, v67
	v_pk_add_f32 v[66:67], v[10:11], v[58:59]
	s_nop 0
	v_min3_f32 v66, v66, v67, v68
	v_min3_f32 v67, v64, v69, v65
	v_lshl_add_u64 v[64:65], v[80:81], 2, v[60:61]
	global_store_dword v[64:65], v67, off
	v_max_f32_e32 v64, v66, v66
	s_cbranch_vccz .LBB9_90
; %bb.88:
	v_min_f32_e32 v65, 0, v64
	v_lshl_add_u64 v[66:67], v[88:89], 2, v[60:61]
	s_mov_b32 s10, 0
	global_store_dword v[66:67], v65, off
	s_cbranch_execz .LBB9_91
; %bb.89:
	v_mov_b32_e32 v62, s10
	s_branch .LBB9_92
.LBB9_90:
                                        ; implicit-def: $sgpr10
.LBB9_91:
	v_lshl_add_u64 v[66:67], v[62:63], 0, v[90:91]
	flat_load_dword v65, v[66:67]
	v_lshl_add_u64 v[66:67], v[60:61], 0, v[90:91]
	v_lshl_add_u64 v[62:63], v[84:85], 2, v[62:63]
	s_waitcnt vmcnt(0) lgkmcnt(0)
	v_mul_f32_e32 v65, s14, v65
	v_min_f32_e32 v64, v65, v64
	global_store_dword v[66:67], v64, off
	flat_load_dword v62, v[62:63]
	s_waitcnt vmcnt(0) lgkmcnt(0)
	v_mul_f32_e32 v62, s14, v62
.LBB9_92:
	v_pk_add_f32 v[56:57], v[0:1], v[56:57]
	s_mov_b64 vcc, s[6:7]
	v_min3_f32 v63, v56, v57, v145
	s_waitcnt lgkmcnt(9)
	v_pk_add_f32 v[56:57], v[16:17], v[52:53]
	s_nop 0
	v_min3_f32 v64, v56, v57, v146
	v_pk_add_f32 v[56:57], v[2:3], v[58:59]
	s_nop 0
	v_min_f32_e32 v58, v56, v57
	v_pk_add_f32 v[56:57], v[18:19], v[54:55]
	v_min3_f32 v58, v62, v58, v63
	v_min3_f32 v64, v56, v57, v64
	v_lshl_add_u64 v[56:57], v[84:85], 2, v[60:61]
	global_store_dword v[56:57], v58, off
	v_add_u32_e32 v58, 48, v96
	v_mad_i64_i32 v[56:57], s[2:3], v58, s5, 0
	v_lshl_add_u64 v[56:57], v[56:57], 2, s[0:1]
	v_mad_i64_i32 v[58:59], s[2:3], v58, s4, 0
	v_max_f32_e32 v60, v64, v64
	s_cbranch_vccz .LBB9_95
; %bb.93:
	v_min_f32_e32 v61, 0, v60
	v_lshl_add_u64 v[62:63], v[82:83], 2, v[56:57]
	s_mov_b32 s10, 0
	global_store_dword v[62:63], v61, off
	v_lshl_add_u64 v[58:59], v[58:59], 2, s[8:9]
	s_cbranch_execz .LBB9_96
; %bb.94:
	v_mov_b32_e32 v60, s10
	s_branch .LBB9_97
.LBB9_95:
                                        ; implicit-def: $sgpr10
	v_lshl_add_u64 v[58:59], v[58:59], 2, s[8:9]
.LBB9_96:
	v_lshl_add_u64 v[62:63], v[58:59], 0, v[86:87]
	flat_load_dword v61, v[62:63]
	v_lshl_add_u64 v[62:63], v[56:57], 0, v[86:87]
	s_waitcnt vmcnt(0) lgkmcnt(0)
	v_mul_f32_e32 v61, s14, v61
	v_min_f32_e32 v60, v61, v60
	global_store_dword v[62:63], v60, off
	v_lshl_add_u64 v[60:61], v[80:81], 2, v[58:59]
	flat_load_dword v60, v[60:61]
	s_waitcnt vmcnt(0) lgkmcnt(0)
	v_mul_f32_e32 v60, s14, v60
.LBB9_97:
	v_pk_add_f32 v[62:63], v[12:13], v[52:53]
	s_mov_b64 vcc, s[6:7]
	v_min3_f32 v61, v62, v63, v143
	v_pk_add_f32 v[62:63], v[8:9], v[52:53]
	s_nop 0
	v_min3_f32 v64, v62, v63, v144
	v_pk_add_f32 v[62:63], v[14:15], v[54:55]
	s_nop 0
	v_min_f32_e32 v65, v62, v63
	v_pk_add_f32 v[62:63], v[10:11], v[54:55]
	s_nop 0
	v_min3_f32 v62, v62, v63, v64
	v_min3_f32 v63, v60, v65, v61
	v_lshl_add_u64 v[60:61], v[80:81], 2, v[56:57]
	global_store_dword v[60:61], v63, off
	v_max_f32_e32 v60, v62, v62
	s_cbranch_vccz .LBB9_100
; %bb.98:
	v_min_f32_e32 v61, 0, v60
	v_lshl_add_u64 v[62:63], v[88:89], 2, v[56:57]
	s_mov_b32 s10, 0
	global_store_dword v[62:63], v61, off
	s_cbranch_execz .LBB9_101
; %bb.99:
	v_mov_b32_e32 v58, s10
	s_branch .LBB9_102
.LBB9_100:
                                        ; implicit-def: $sgpr10
.LBB9_101:
	v_lshl_add_u64 v[62:63], v[58:59], 0, v[90:91]
	flat_load_dword v61, v[62:63]
	v_lshl_add_u64 v[62:63], v[56:57], 0, v[90:91]
	v_lshl_add_u64 v[58:59], v[84:85], 2, v[58:59]
	s_waitcnt vmcnt(0) lgkmcnt(0)
	v_mul_f32_e32 v61, s14, v61
	v_min_f32_e32 v60, v61, v60
	global_store_dword v[62:63], v60, off
	flat_load_dword v58, v[58:59]
	s_waitcnt vmcnt(0) lgkmcnt(0)
	v_mul_f32_e32 v58, s14, v58
.LBB9_102:
	v_pk_add_f32 v[52:53], v[0:1], v[52:53]
	s_mov_b64 vcc, s[6:7]
	v_min3_f32 v59, v52, v53, v141
	s_waitcnt lgkmcnt(8)
	v_pk_add_f32 v[52:53], v[16:17], v[48:49]
	s_nop 0
	v_min3_f32 v60, v52, v53, v142
	v_pk_add_f32 v[52:53], v[2:3], v[54:55]
	s_nop 0
	v_min_f32_e32 v54, v52, v53
	v_pk_add_f32 v[52:53], v[18:19], v[50:51]
	v_min3_f32 v54, v58, v54, v59
	v_min3_f32 v60, v52, v53, v60
	v_lshl_add_u64 v[52:53], v[84:85], 2, v[56:57]
	global_store_dword v[52:53], v54, off
	v_add_u32_e32 v54, 56, v96
	v_mad_i64_i32 v[52:53], s[2:3], v54, s5, 0
	v_lshl_add_u64 v[52:53], v[52:53], 2, s[0:1]
	v_mad_i64_i32 v[54:55], s[2:3], v54, s4, 0
	v_max_f32_e32 v56, v60, v60
	s_cbranch_vccz .LBB9_105
; %bb.103:
	v_min_f32_e32 v57, 0, v56
	v_lshl_add_u64 v[58:59], v[82:83], 2, v[52:53]
	s_mov_b32 s10, 0
	global_store_dword v[58:59], v57, off
	v_lshl_add_u64 v[54:55], v[54:55], 2, s[8:9]
	s_cbranch_execz .LBB9_106
; %bb.104:
	v_mov_b32_e32 v56, s10
	s_branch .LBB9_107
.LBB9_105:
                                        ; implicit-def: $sgpr10
	v_lshl_add_u64 v[54:55], v[54:55], 2, s[8:9]
.LBB9_106:
	v_lshl_add_u64 v[58:59], v[54:55], 0, v[86:87]
	flat_load_dword v57, v[58:59]
	v_lshl_add_u64 v[58:59], v[52:53], 0, v[86:87]
	s_waitcnt vmcnt(0) lgkmcnt(0)
	v_mul_f32_e32 v57, s14, v57
	v_min_f32_e32 v56, v57, v56
	global_store_dword v[58:59], v56, off
	v_lshl_add_u64 v[56:57], v[80:81], 2, v[54:55]
	flat_load_dword v56, v[56:57]
	s_waitcnt vmcnt(0) lgkmcnt(0)
	v_mul_f32_e32 v56, s14, v56
.LBB9_107:
	v_pk_add_f32 v[58:59], v[12:13], v[48:49]
	s_mov_b64 vcc, s[6:7]
	v_min3_f32 v57, v58, v59, v139
	v_pk_add_f32 v[58:59], v[8:9], v[48:49]
	s_nop 0
	v_min3_f32 v60, v58, v59, v140
	v_pk_add_f32 v[58:59], v[14:15], v[50:51]
	s_nop 0
	v_min_f32_e32 v61, v58, v59
	v_pk_add_f32 v[58:59], v[10:11], v[50:51]
	s_nop 0
	v_min3_f32 v58, v58, v59, v60
	v_min3_f32 v59, v56, v61, v57
	v_lshl_add_u64 v[56:57], v[80:81], 2, v[52:53]
	global_store_dword v[56:57], v59, off
	v_max_f32_e32 v56, v58, v58
	s_cbranch_vccz .LBB9_110
; %bb.108:
	v_min_f32_e32 v57, 0, v56
	v_lshl_add_u64 v[58:59], v[88:89], 2, v[52:53]
	s_mov_b32 s10, 0
	global_store_dword v[58:59], v57, off
	s_cbranch_execz .LBB9_111
; %bb.109:
	v_mov_b32_e32 v54, s10
	s_branch .LBB9_112
.LBB9_110:
                                        ; implicit-def: $sgpr10
.LBB9_111:
	v_lshl_add_u64 v[58:59], v[54:55], 0, v[90:91]
	flat_load_dword v57, v[58:59]
	v_lshl_add_u64 v[58:59], v[52:53], 0, v[90:91]
	v_lshl_add_u64 v[54:55], v[84:85], 2, v[54:55]
	s_waitcnt vmcnt(0) lgkmcnt(0)
	v_mul_f32_e32 v57, s14, v57
	v_min_f32_e32 v56, v57, v56
	global_store_dword v[58:59], v56, off
	flat_load_dword v54, v[54:55]
	s_waitcnt vmcnt(0) lgkmcnt(0)
	v_mul_f32_e32 v54, s14, v54
.LBB9_112:
	v_pk_add_f32 v[48:49], v[0:1], v[48:49]
	s_mov_b64 vcc, s[6:7]
	v_min3_f32 v55, v48, v49, v135
	s_waitcnt lgkmcnt(7)
	v_pk_add_f32 v[48:49], v[16:17], v[44:45]
	s_nop 0
	v_min3_f32 v56, v48, v49, v137
	v_pk_add_f32 v[48:49], v[2:3], v[50:51]
	s_nop 0
	v_min_f32_e32 v50, v48, v49
	v_pk_add_f32 v[48:49], v[18:19], v[46:47]
	v_min3_f32 v50, v54, v50, v55
	v_min3_f32 v56, v48, v49, v56
	v_lshl_add_u64 v[48:49], v[84:85], 2, v[52:53]
	global_store_dword v[48:49], v50, off
	v_add_u32_e32 v50, 64, v96
	v_mad_i64_i32 v[48:49], s[2:3], v50, s5, 0
	v_lshl_add_u64 v[48:49], v[48:49], 2, s[0:1]
	v_mad_i64_i32 v[50:51], s[2:3], v50, s4, 0
	v_max_f32_e32 v52, v56, v56
	s_cbranch_vccz .LBB9_115
; %bb.113:
	v_min_f32_e32 v53, 0, v52
	v_lshl_add_u64 v[54:55], v[82:83], 2, v[48:49]
	s_mov_b32 s10, 0
	global_store_dword v[54:55], v53, off
	v_lshl_add_u64 v[50:51], v[50:51], 2, s[8:9]
	s_cbranch_execz .LBB9_116
; %bb.114:
	v_mov_b32_e32 v52, s10
	s_branch .LBB9_117
.LBB9_115:
                                        ; implicit-def: $sgpr10
	v_lshl_add_u64 v[50:51], v[50:51], 2, s[8:9]
.LBB9_116:
	v_lshl_add_u64 v[54:55], v[50:51], 0, v[86:87]
	flat_load_dword v53, v[54:55]
	v_lshl_add_u64 v[54:55], v[48:49], 0, v[86:87]
	s_waitcnt vmcnt(0) lgkmcnt(0)
	v_mul_f32_e32 v53, s14, v53
	v_min_f32_e32 v52, v53, v52
	global_store_dword v[54:55], v52, off
	v_lshl_add_u64 v[52:53], v[80:81], 2, v[50:51]
	flat_load_dword v52, v[52:53]
	s_waitcnt vmcnt(0) lgkmcnt(0)
	v_mul_f32_e32 v52, s14, v52
.LBB9_117:
	v_pk_add_f32 v[54:55], v[12:13], v[44:45]
	s_mov_b64 vcc, s[6:7]
	v_min3_f32 v53, v54, v55, v133
	v_pk_add_f32 v[54:55], v[8:9], v[44:45]
	s_nop 0
	v_min3_f32 v56, v54, v55, v134
	v_pk_add_f32 v[54:55], v[14:15], v[46:47]
	s_nop 0
	v_min_f32_e32 v57, v54, v55
	v_pk_add_f32 v[54:55], v[10:11], v[46:47]
	s_nop 0
	v_min3_f32 v54, v54, v55, v56
	v_min3_f32 v55, v52, v57, v53
	v_lshl_add_u64 v[52:53], v[80:81], 2, v[48:49]
	global_store_dword v[52:53], v55, off
	v_max_f32_e32 v52, v54, v54
	s_cbranch_vccz .LBB9_120
; %bb.118:
	v_min_f32_e32 v53, 0, v52
	v_lshl_add_u64 v[54:55], v[88:89], 2, v[48:49]
	s_mov_b32 s10, 0
	global_store_dword v[54:55], v53, off
	s_cbranch_execz .LBB9_121
; %bb.119:
	v_mov_b32_e32 v50, s10
	s_branch .LBB9_122
.LBB9_120:
                                        ; implicit-def: $sgpr10
.LBB9_121:
	v_lshl_add_u64 v[54:55], v[50:51], 0, v[90:91]
	flat_load_dword v53, v[54:55]
	v_lshl_add_u64 v[54:55], v[48:49], 0, v[90:91]
	v_lshl_add_u64 v[50:51], v[84:85], 2, v[50:51]
	s_waitcnt vmcnt(0) lgkmcnt(0)
	v_mul_f32_e32 v53, s14, v53
	v_min_f32_e32 v52, v53, v52
	global_store_dword v[54:55], v52, off
	flat_load_dword v50, v[50:51]
	s_waitcnt vmcnt(0) lgkmcnt(0)
	v_mul_f32_e32 v50, s14, v50
.LBB9_122:
	v_pk_add_f32 v[44:45], v[0:1], v[44:45]
	s_mov_b64 vcc, s[6:7]
	v_min3_f32 v51, v44, v45, v131
	s_waitcnt lgkmcnt(6)
	v_pk_add_f32 v[44:45], v[16:17], v[40:41]
	s_nop 0
	v_min3_f32 v52, v44, v45, v132
	v_pk_add_f32 v[44:45], v[2:3], v[46:47]
	s_nop 0
	v_min_f32_e32 v46, v44, v45
	v_pk_add_f32 v[44:45], v[18:19], v[42:43]
	v_min3_f32 v46, v50, v46, v51
	v_min3_f32 v52, v44, v45, v52
	v_lshl_add_u64 v[44:45], v[84:85], 2, v[48:49]
	global_store_dword v[44:45], v46, off
	v_add_u32_e32 v46, 0x48, v96
	v_mad_i64_i32 v[44:45], s[2:3], v46, s5, 0
	v_lshl_add_u64 v[44:45], v[44:45], 2, s[0:1]
	v_mad_i64_i32 v[46:47], s[2:3], v46, s4, 0
	v_max_f32_e32 v48, v52, v52
	s_cbranch_vccz .LBB9_125
; %bb.123:
	v_min_f32_e32 v49, 0, v48
	v_lshl_add_u64 v[50:51], v[82:83], 2, v[44:45]
	s_mov_b32 s10, 0
	global_store_dword v[50:51], v49, off
	v_lshl_add_u64 v[46:47], v[46:47], 2, s[8:9]
	s_cbranch_execz .LBB9_126
; %bb.124:
	v_mov_b32_e32 v48, s10
	s_branch .LBB9_127
.LBB9_125:
                                        ; implicit-def: $sgpr10
	v_lshl_add_u64 v[46:47], v[46:47], 2, s[8:9]
.LBB9_126:
	v_lshl_add_u64 v[50:51], v[46:47], 0, v[86:87]
	flat_load_dword v49, v[50:51]
	v_lshl_add_u64 v[50:51], v[44:45], 0, v[86:87]
	s_waitcnt vmcnt(0) lgkmcnt(0)
	v_mul_f32_e32 v49, s14, v49
	v_min_f32_e32 v48, v49, v48
	global_store_dword v[50:51], v48, off
	v_lshl_add_u64 v[48:49], v[80:81], 2, v[46:47]
	flat_load_dword v48, v[48:49]
	s_waitcnt vmcnt(0) lgkmcnt(0)
	v_mul_f32_e32 v48, s14, v48
.LBB9_127:
	v_pk_add_f32 v[50:51], v[12:13], v[40:41]
	s_mov_b64 vcc, s[6:7]
	v_min3_f32 v49, v50, v51, v127
	v_pk_add_f32 v[50:51], v[8:9], v[40:41]
	s_nop 0
	v_min3_f32 v52, v50, v51, v128
	v_pk_add_f32 v[50:51], v[14:15], v[42:43]
	s_nop 0
	v_min_f32_e32 v53, v50, v51
	v_pk_add_f32 v[50:51], v[10:11], v[42:43]
	s_nop 0
	v_min3_f32 v50, v50, v51, v52
	v_min3_f32 v51, v48, v53, v49
	v_lshl_add_u64 v[48:49], v[80:81], 2, v[44:45]
	global_store_dword v[48:49], v51, off
	v_max_f32_e32 v48, v50, v50
	s_cbranch_vccz .LBB9_130
; %bb.128:
	v_min_f32_e32 v49, 0, v48
	v_lshl_add_u64 v[50:51], v[88:89], 2, v[44:45]
	s_mov_b32 s10, 0
	global_store_dword v[50:51], v49, off
	s_cbranch_execz .LBB9_131
; %bb.129:
	v_mov_b32_e32 v46, s10
	s_branch .LBB9_132
.LBB9_130:
                                        ; implicit-def: $sgpr10
.LBB9_131:
	v_lshl_add_u64 v[50:51], v[46:47], 0, v[90:91]
	flat_load_dword v49, v[50:51]
	v_lshl_add_u64 v[50:51], v[44:45], 0, v[90:91]
	v_lshl_add_u64 v[46:47], v[84:85], 2, v[46:47]
	s_waitcnt vmcnt(0) lgkmcnt(0)
	v_mul_f32_e32 v49, s14, v49
	v_min_f32_e32 v48, v49, v48
	global_store_dword v[50:51], v48, off
	flat_load_dword v46, v[46:47]
	s_waitcnt vmcnt(0) lgkmcnt(0)
	v_mul_f32_e32 v46, s14, v46
.LBB9_132:
	v_pk_add_f32 v[40:41], v[0:1], v[40:41]
	s_mov_b64 vcc, s[6:7]
	v_min3_f32 v47, v40, v41, v125
	s_waitcnt lgkmcnt(5)
	v_pk_add_f32 v[40:41], v[16:17], v[36:37]
	s_nop 0
	v_min3_f32 v48, v40, v41, v126
	v_pk_add_f32 v[40:41], v[2:3], v[42:43]
	s_nop 0
	v_min_f32_e32 v42, v40, v41
	v_pk_add_f32 v[40:41], v[18:19], v[38:39]
	v_min3_f32 v42, v46, v42, v47
	v_min3_f32 v48, v40, v41, v48
	v_lshl_add_u64 v[40:41], v[84:85], 2, v[44:45]
	global_store_dword v[40:41], v42, off
	v_add_u32_e32 v42, 0x50, v96
	v_mad_i64_i32 v[40:41], s[2:3], v42, s5, 0
	v_lshl_add_u64 v[40:41], v[40:41], 2, s[0:1]
	v_mad_i64_i32 v[42:43], s[2:3], v42, s4, 0
	v_max_f32_e32 v44, v48, v48
	s_cbranch_vccz .LBB9_135
; %bb.133:
	v_min_f32_e32 v45, 0, v44
	v_lshl_add_u64 v[46:47], v[82:83], 2, v[40:41]
	s_mov_b32 s10, 0
	global_store_dword v[46:47], v45, off
	v_lshl_add_u64 v[42:43], v[42:43], 2, s[8:9]
	s_cbranch_execz .LBB9_136
; %bb.134:
	v_mov_b32_e32 v44, s10
	s_branch .LBB9_137
.LBB9_135:
                                        ; implicit-def: $sgpr10
	v_lshl_add_u64 v[42:43], v[42:43], 2, s[8:9]
.LBB9_136:
	v_lshl_add_u64 v[46:47], v[42:43], 0, v[86:87]
	flat_load_dword v45, v[46:47]
	v_lshl_add_u64 v[46:47], v[40:41], 0, v[86:87]
	s_waitcnt vmcnt(0) lgkmcnt(0)
	v_mul_f32_e32 v45, s14, v45
	v_min_f32_e32 v44, v45, v44
	global_store_dword v[46:47], v44, off
	v_lshl_add_u64 v[44:45], v[80:81], 2, v[42:43]
	flat_load_dword v44, v[44:45]
	s_waitcnt vmcnt(0) lgkmcnt(0)
	v_mul_f32_e32 v44, s14, v44
.LBB9_137:
	v_pk_add_f32 v[46:47], v[12:13], v[36:37]
	s_mov_b64 vcc, s[6:7]
	v_min3_f32 v45, v46, v47, v123
	v_pk_add_f32 v[46:47], v[8:9], v[36:37]
	s_nop 0
	v_min3_f32 v48, v46, v47, v124
	v_pk_add_f32 v[46:47], v[14:15], v[38:39]
	s_nop 0
	v_min_f32_e32 v49, v46, v47
	v_pk_add_f32 v[46:47], v[10:11], v[38:39]
	s_nop 0
	v_min3_f32 v46, v46, v47, v48
	v_min3_f32 v47, v44, v49, v45
	v_lshl_add_u64 v[44:45], v[80:81], 2, v[40:41]
	global_store_dword v[44:45], v47, off
	v_max_f32_e32 v44, v46, v46
	s_cbranch_vccz .LBB9_140
; %bb.138:
	v_min_f32_e32 v45, 0, v44
	v_lshl_add_u64 v[46:47], v[88:89], 2, v[40:41]
	s_mov_b32 s10, 0
	global_store_dword v[46:47], v45, off
	s_cbranch_execz .LBB9_141
; %bb.139:
	v_mov_b32_e32 v42, s10
	s_branch .LBB9_142
.LBB9_140:
                                        ; implicit-def: $sgpr10
.LBB9_141:
	v_lshl_add_u64 v[46:47], v[42:43], 0, v[90:91]
	flat_load_dword v45, v[46:47]
	v_lshl_add_u64 v[46:47], v[40:41], 0, v[90:91]
	v_lshl_add_u64 v[42:43], v[84:85], 2, v[42:43]
	s_waitcnt vmcnt(0) lgkmcnt(0)
	v_mul_f32_e32 v45, s14, v45
	v_min_f32_e32 v44, v45, v44
	global_store_dword v[46:47], v44, off
	flat_load_dword v42, v[42:43]
	s_waitcnt vmcnt(0) lgkmcnt(0)
	v_mul_f32_e32 v42, s14, v42
.LBB9_142:
	v_pk_add_f32 v[36:37], v[0:1], v[36:37]
	s_mov_b64 vcc, s[6:7]
	v_min3_f32 v43, v36, v37, v121
	s_waitcnt lgkmcnt(4)
	v_pk_add_f32 v[36:37], v[16:17], v[32:33]
	s_nop 0
	v_min3_f32 v44, v36, v37, v122
	v_pk_add_f32 v[36:37], v[2:3], v[38:39]
	s_nop 0
	v_min_f32_e32 v38, v36, v37
	v_pk_add_f32 v[36:37], v[18:19], v[34:35]
	v_min3_f32 v38, v42, v38, v43
	v_min3_f32 v44, v36, v37, v44
	v_lshl_add_u64 v[36:37], v[84:85], 2, v[40:41]
	global_store_dword v[36:37], v38, off
	v_add_u32_e32 v38, 0x58, v96
	v_mad_i64_i32 v[36:37], s[2:3], v38, s5, 0
	v_lshl_add_u64 v[36:37], v[36:37], 2, s[0:1]
	v_mad_i64_i32 v[38:39], s[2:3], v38, s4, 0
	v_max_f32_e32 v40, v44, v44
	s_cbranch_vccz .LBB9_145
; %bb.143:
	v_min_f32_e32 v41, 0, v40
	v_lshl_add_u64 v[42:43], v[82:83], 2, v[36:37]
	s_mov_b32 s10, 0
	global_store_dword v[42:43], v41, off
	v_lshl_add_u64 v[38:39], v[38:39], 2, s[8:9]
	s_cbranch_execz .LBB9_146
; %bb.144:
	v_mov_b32_e32 v40, s10
	s_branch .LBB9_147
.LBB9_145:
                                        ; implicit-def: $sgpr10
	v_lshl_add_u64 v[38:39], v[38:39], 2, s[8:9]
.LBB9_146:
	v_lshl_add_u64 v[42:43], v[38:39], 0, v[86:87]
	flat_load_dword v41, v[42:43]
	v_lshl_add_u64 v[42:43], v[36:37], 0, v[86:87]
	s_waitcnt vmcnt(0) lgkmcnt(0)
	v_mul_f32_e32 v41, s14, v41
	v_min_f32_e32 v40, v41, v40
	global_store_dword v[42:43], v40, off
	v_lshl_add_u64 v[40:41], v[80:81], 2, v[38:39]
	flat_load_dword v40, v[40:41]
	s_waitcnt vmcnt(0) lgkmcnt(0)
	v_mul_f32_e32 v40, s14, v40
.LBB9_147:
	v_pk_add_f32 v[42:43], v[12:13], v[32:33]
	s_mov_b64 vcc, s[6:7]
	v_min3_f32 v41, v42, v43, v119
	v_pk_add_f32 v[42:43], v[8:9], v[32:33]
	s_nop 0
	v_min3_f32 v44, v42, v43, v120
	v_pk_add_f32 v[42:43], v[14:15], v[34:35]
	s_nop 0
	v_min_f32_e32 v45, v42, v43
	v_pk_add_f32 v[42:43], v[10:11], v[34:35]
	s_nop 0
	v_min3_f32 v42, v42, v43, v44
	v_min3_f32 v43, v40, v45, v41
	v_lshl_add_u64 v[40:41], v[80:81], 2, v[36:37]
	global_store_dword v[40:41], v43, off
	v_max_f32_e32 v40, v42, v42
	s_cbranch_vccz .LBB9_150
; %bb.148:
	v_min_f32_e32 v41, 0, v40
	v_lshl_add_u64 v[42:43], v[88:89], 2, v[36:37]
	s_mov_b32 s10, 0
	global_store_dword v[42:43], v41, off
	s_cbranch_execz .LBB9_151
; %bb.149:
	v_mov_b32_e32 v38, s10
	s_branch .LBB9_152
.LBB9_150:
                                        ; implicit-def: $sgpr10
.LBB9_151:
	v_lshl_add_u64 v[42:43], v[38:39], 0, v[90:91]
	flat_load_dword v41, v[42:43]
	v_lshl_add_u64 v[42:43], v[36:37], 0, v[90:91]
	v_lshl_add_u64 v[38:39], v[84:85], 2, v[38:39]
	s_waitcnt vmcnt(0) lgkmcnt(0)
	v_mul_f32_e32 v41, s14, v41
	v_min_f32_e32 v40, v41, v40
	global_store_dword v[42:43], v40, off
	flat_load_dword v38, v[38:39]
	s_waitcnt vmcnt(0) lgkmcnt(0)
	v_mul_f32_e32 v38, s14, v38
.LBB9_152:
	v_pk_add_f32 v[32:33], v[0:1], v[32:33]
	s_mov_b64 vcc, s[6:7]
	v_min3_f32 v39, v32, v33, v117
	s_waitcnt lgkmcnt(3)
	v_pk_add_f32 v[32:33], v[16:17], v[28:29]
	s_nop 0
	v_min3_f32 v40, v32, v33, v118
	v_pk_add_f32 v[32:33], v[2:3], v[34:35]
	s_nop 0
	v_min_f32_e32 v34, v32, v33
	v_pk_add_f32 v[32:33], v[18:19], v[30:31]
	v_min3_f32 v34, v38, v34, v39
	v_min3_f32 v40, v32, v33, v40
	v_lshl_add_u64 v[32:33], v[84:85], 2, v[36:37]
	global_store_dword v[32:33], v34, off
	v_add_u32_e32 v34, 0x60, v96
	v_mad_i64_i32 v[32:33], s[2:3], v34, s5, 0
	v_lshl_add_u64 v[32:33], v[32:33], 2, s[0:1]
	v_mad_i64_i32 v[34:35], s[2:3], v34, s4, 0
	v_max_f32_e32 v36, v40, v40
	s_cbranch_vccz .LBB9_155
; %bb.153:
	v_min_f32_e32 v37, 0, v36
	v_lshl_add_u64 v[38:39], v[82:83], 2, v[32:33]
	s_mov_b32 s10, 0
	global_store_dword v[38:39], v37, off
	v_lshl_add_u64 v[34:35], v[34:35], 2, s[8:9]
	s_cbranch_execz .LBB9_156
; %bb.154:
	v_mov_b32_e32 v36, s10
	s_branch .LBB9_157
.LBB9_155:
                                        ; implicit-def: $sgpr10
	v_lshl_add_u64 v[34:35], v[34:35], 2, s[8:9]
.LBB9_156:
	v_lshl_add_u64 v[38:39], v[34:35], 0, v[86:87]
	flat_load_dword v37, v[38:39]
	v_lshl_add_u64 v[38:39], v[32:33], 0, v[86:87]
	s_waitcnt vmcnt(0) lgkmcnt(0)
	v_mul_f32_e32 v37, s14, v37
	v_min_f32_e32 v36, v37, v36
	global_store_dword v[38:39], v36, off
	v_lshl_add_u64 v[36:37], v[80:81], 2, v[34:35]
	flat_load_dword v36, v[36:37]
	s_waitcnt vmcnt(0) lgkmcnt(0)
	v_mul_f32_e32 v36, s14, v36
.LBB9_157:
	v_pk_add_f32 v[38:39], v[12:13], v[28:29]
	s_mov_b64 vcc, s[6:7]
	v_min3_f32 v37, v38, v39, v115
	v_pk_add_f32 v[38:39], v[8:9], v[28:29]
	s_nop 0
	v_min3_f32 v40, v38, v39, v116
	v_pk_add_f32 v[38:39], v[14:15], v[30:31]
	s_nop 0
	v_min_f32_e32 v41, v38, v39
	v_pk_add_f32 v[38:39], v[10:11], v[30:31]
	s_nop 0
	v_min3_f32 v38, v38, v39, v40
	v_min3_f32 v39, v36, v41, v37
	v_lshl_add_u64 v[36:37], v[80:81], 2, v[32:33]
	global_store_dword v[36:37], v39, off
	v_max_f32_e32 v36, v38, v38
	s_cbranch_vccz .LBB9_160
; %bb.158:
	v_min_f32_e32 v37, 0, v36
	v_lshl_add_u64 v[38:39], v[88:89], 2, v[32:33]
	s_mov_b32 s10, 0
	global_store_dword v[38:39], v37, off
	s_cbranch_execz .LBB9_161
; %bb.159:
	v_mov_b32_e32 v34, s10
	s_branch .LBB9_162
.LBB9_160:
                                        ; implicit-def: $sgpr10
.LBB9_161:
	v_lshl_add_u64 v[38:39], v[34:35], 0, v[90:91]
	flat_load_dword v37, v[38:39]
	v_lshl_add_u64 v[38:39], v[32:33], 0, v[90:91]
	v_lshl_add_u64 v[34:35], v[84:85], 2, v[34:35]
	s_waitcnt vmcnt(0) lgkmcnt(0)
	v_mul_f32_e32 v37, s14, v37
	v_min_f32_e32 v36, v37, v36
	global_store_dword v[38:39], v36, off
	flat_load_dword v34, v[34:35]
	s_waitcnt vmcnt(0) lgkmcnt(0)
	v_mul_f32_e32 v34, s14, v34
.LBB9_162:
	v_pk_add_f32 v[28:29], v[0:1], v[28:29]
	s_mov_b64 vcc, s[6:7]
	v_min3_f32 v35, v28, v29, v113
	s_waitcnt lgkmcnt(2)
	v_pk_add_f32 v[28:29], v[16:17], v[24:25]
	s_nop 0
	v_min3_f32 v36, v28, v29, v114
	v_pk_add_f32 v[28:29], v[2:3], v[30:31]
	s_nop 0
	v_min_f32_e32 v30, v28, v29
	v_pk_add_f32 v[28:29], v[18:19], v[26:27]
	v_min3_f32 v30, v34, v30, v35
	v_min3_f32 v36, v28, v29, v36
	v_lshl_add_u64 v[28:29], v[84:85], 2, v[32:33]
	global_store_dword v[28:29], v30, off
	v_add_u32_e32 v30, 0x68, v96
	v_mad_i64_i32 v[28:29], s[2:3], v30, s5, 0
	v_lshl_add_u64 v[28:29], v[28:29], 2, s[0:1]
	v_mad_i64_i32 v[30:31], s[2:3], v30, s4, 0
	v_max_f32_e32 v32, v36, v36
	s_cbranch_vccz .LBB9_165
; %bb.163:
	v_min_f32_e32 v33, 0, v32
	v_lshl_add_u64 v[34:35], v[82:83], 2, v[28:29]
	s_mov_b32 s10, 0
	global_store_dword v[34:35], v33, off
	v_lshl_add_u64 v[30:31], v[30:31], 2, s[8:9]
	s_cbranch_execz .LBB9_166
; %bb.164:
	v_mov_b32_e32 v32, s10
	s_branch .LBB9_167
.LBB9_165:
                                        ; implicit-def: $sgpr10
	v_lshl_add_u64 v[30:31], v[30:31], 2, s[8:9]
.LBB9_166:
	v_lshl_add_u64 v[34:35], v[30:31], 0, v[86:87]
	flat_load_dword v33, v[34:35]
	v_lshl_add_u64 v[34:35], v[28:29], 0, v[86:87]
	s_waitcnt vmcnt(0) lgkmcnt(0)
	v_mul_f32_e32 v33, s14, v33
	v_min_f32_e32 v32, v33, v32
	global_store_dword v[34:35], v32, off
	v_lshl_add_u64 v[32:33], v[80:81], 2, v[30:31]
	flat_load_dword v32, v[32:33]
	s_waitcnt vmcnt(0) lgkmcnt(0)
	v_mul_f32_e32 v32, s14, v32
.LBB9_167:
	v_pk_add_f32 v[34:35], v[12:13], v[24:25]
	s_mov_b64 vcc, s[6:7]
	v_min3_f32 v33, v34, v35, v111
	v_pk_add_f32 v[34:35], v[8:9], v[24:25]
	s_nop 0
	v_min3_f32 v36, v34, v35, v112
	v_pk_add_f32 v[34:35], v[14:15], v[26:27]
	s_nop 0
	v_min_f32_e32 v37, v34, v35
	v_pk_add_f32 v[34:35], v[10:11], v[26:27]
	s_nop 0
	v_min3_f32 v34, v34, v35, v36
	v_min3_f32 v35, v32, v37, v33
	v_lshl_add_u64 v[32:33], v[80:81], 2, v[28:29]
	global_store_dword v[32:33], v35, off
	v_max_f32_e32 v32, v34, v34
	s_cbranch_vccz .LBB9_170
; %bb.168:
	v_min_f32_e32 v33, 0, v32
	v_lshl_add_u64 v[34:35], v[88:89], 2, v[28:29]
	s_mov_b32 s10, 0
	global_store_dword v[34:35], v33, off
	s_cbranch_execz .LBB9_171
; %bb.169:
	v_mov_b32_e32 v30, s10
	s_branch .LBB9_172
.LBB9_170:
                                        ; implicit-def: $sgpr10
.LBB9_171:
	v_lshl_add_u64 v[34:35], v[30:31], 0, v[90:91]
	flat_load_dword v33, v[34:35]
	v_lshl_add_u64 v[34:35], v[28:29], 0, v[90:91]
	v_lshl_add_u64 v[30:31], v[84:85], 2, v[30:31]
	s_waitcnt vmcnt(0) lgkmcnt(0)
	v_mul_f32_e32 v33, s14, v33
	v_min_f32_e32 v32, v33, v32
	global_store_dword v[34:35], v32, off
	flat_load_dword v30, v[30:31]
	s_waitcnt vmcnt(0) lgkmcnt(0)
	v_mul_f32_e32 v30, s14, v30
.LBB9_172:
	v_pk_add_f32 v[24:25], v[0:1], v[24:25]
	s_mov_b64 vcc, s[6:7]
	v_min3_f32 v31, v24, v25, v109
	s_waitcnt lgkmcnt(1)
	v_pk_add_f32 v[24:25], v[16:17], v[20:21]
	s_nop 0
	v_min3_f32 v32, v24, v25, v110
	v_pk_add_f32 v[24:25], v[2:3], v[26:27]
	s_nop 0
	v_min_f32_e32 v26, v24, v25
	v_pk_add_f32 v[24:25], v[18:19], v[22:23]
	v_min3_f32 v26, v30, v26, v31
	v_min3_f32 v32, v24, v25, v32
	v_lshl_add_u64 v[24:25], v[84:85], 2, v[28:29]
	global_store_dword v[24:25], v26, off
	v_add_u32_e32 v26, 0x70, v96
	v_mad_i64_i32 v[24:25], s[2:3], v26, s5, 0
	v_lshl_add_u64 v[24:25], v[24:25], 2, s[0:1]
	v_mad_i64_i32 v[26:27], s[2:3], v26, s4, 0
	v_max_f32_e32 v28, v32, v32
	s_cbranch_vccz .LBB9_175
; %bb.173:
	v_min_f32_e32 v29, 0, v28
	v_lshl_add_u64 v[30:31], v[82:83], 2, v[24:25]
	s_mov_b32 s10, 0
	global_store_dword v[30:31], v29, off
	v_lshl_add_u64 v[26:27], v[26:27], 2, s[8:9]
	s_cbranch_execz .LBB9_176
; %bb.174:
	v_mov_b32_e32 v28, s10
	s_branch .LBB9_177
.LBB9_175:
                                        ; implicit-def: $sgpr10
	v_lshl_add_u64 v[26:27], v[26:27], 2, s[8:9]
.LBB9_176:
	v_lshl_add_u64 v[30:31], v[26:27], 0, v[86:87]
	flat_load_dword v29, v[30:31]
	v_lshl_add_u64 v[30:31], v[24:25], 0, v[86:87]
	s_waitcnt vmcnt(0) lgkmcnt(0)
	v_mul_f32_e32 v29, s14, v29
	v_min_f32_e32 v28, v29, v28
	global_store_dword v[30:31], v28, off
	v_lshl_add_u64 v[28:29], v[80:81], 2, v[26:27]
	flat_load_dword v28, v[28:29]
	s_waitcnt vmcnt(0) lgkmcnt(0)
	v_mul_f32_e32 v28, s14, v28
.LBB9_177:
	v_pk_add_f32 v[30:31], v[12:13], v[20:21]
	s_mov_b64 vcc, s[6:7]
	v_min3_f32 v29, v30, v31, v107
	v_pk_add_f32 v[30:31], v[8:9], v[20:21]
	s_nop 0
	v_min3_f32 v32, v30, v31, v108
	v_pk_add_f32 v[30:31], v[14:15], v[22:23]
	s_nop 0
	v_min_f32_e32 v33, v30, v31
	v_pk_add_f32 v[30:31], v[10:11], v[22:23]
	s_nop 0
	v_min3_f32 v30, v30, v31, v32
	v_min3_f32 v31, v28, v33, v29
	v_lshl_add_u64 v[28:29], v[80:81], 2, v[24:25]
	global_store_dword v[28:29], v31, off
	v_max_f32_e32 v28, v30, v30
	s_cbranch_vccz .LBB9_180
; %bb.178:
	v_min_f32_e32 v29, 0, v28
	v_lshl_add_u64 v[30:31], v[88:89], 2, v[24:25]
	s_mov_b32 s10, 0
	global_store_dword v[30:31], v29, off
	s_cbranch_execz .LBB9_181
; %bb.179:
	v_mov_b32_e32 v26, s10
	s_branch .LBB9_182
.LBB9_180:
                                        ; implicit-def: $sgpr10
.LBB9_181:
	v_lshl_add_u64 v[30:31], v[26:27], 0, v[90:91]
	flat_load_dword v29, v[30:31]
	v_lshl_add_u64 v[30:31], v[24:25], 0, v[90:91]
	v_lshl_add_u64 v[26:27], v[84:85], 2, v[26:27]
	s_waitcnt vmcnt(0) lgkmcnt(0)
	v_mul_f32_e32 v29, s14, v29
	v_min_f32_e32 v28, v29, v28
	global_store_dword v[30:31], v28, off
	flat_load_dword v26, v[26:27]
	s_waitcnt vmcnt(0) lgkmcnt(0)
	v_mul_f32_e32 v26, s14, v26
.LBB9_182:
	v_pk_add_f32 v[20:21], v[0:1], v[20:21]
	s_waitcnt lgkmcnt(0)
	v_pk_add_f32 v[16:17], v[16:17], v[4:5]
	v_min3_f32 v20, v20, v21, v104
	v_min3_f32 v21, v16, v17, v105
	v_pk_add_f32 v[16:17], v[2:3], v[22:23]
	s_mov_b64 vcc, s[6:7]
	v_min_f32_e32 v22, v16, v17
	v_pk_add_f32 v[16:17], v[18:19], v[6:7]
	v_min3_f32 v18, v26, v22, v20
	v_min3_f32 v21, v16, v17, v21
	v_lshl_add_u64 v[16:17], v[84:85], 2, v[24:25]
	global_store_dword v[16:17], v18, off
	v_add_u32_e32 v18, 0x78, v96
	v_mad_i64_i32 v[16:17], s[2:3], v18, s5, 0
	v_lshl_add_u64 v[16:17], v[16:17], 2, s[0:1]
	v_mad_i64_i32 v[18:19], s[0:1], v18, s4, 0
	v_max_f32_e32 v20, v21, v21
	s_cbranch_vccz .LBB9_185
; %bb.183:
	v_min_f32_e32 v21, 0, v20
	v_lshl_add_u64 v[22:23], v[82:83], 2, v[16:17]
	s_mov_b32 s2, 0
	global_store_dword v[22:23], v21, off
	v_lshl_add_u64 v[18:19], v[18:19], 2, s[8:9]
	s_cbranch_execz .LBB9_186
; %bb.184:
	v_mov_b32_e32 v20, s2
	s_branch .LBB9_187
.LBB9_185:
                                        ; implicit-def: $sgpr2
	v_lshl_add_u64 v[18:19], v[18:19], 2, s[8:9]
.LBB9_186:
	v_lshl_add_u64 v[22:23], v[18:19], 0, v[86:87]
	flat_load_dword v21, v[22:23]
	v_lshl_add_u64 v[22:23], v[16:17], 0, v[86:87]
	s_waitcnt vmcnt(0) lgkmcnt(0)
	v_mul_f32_e32 v21, s14, v21
	v_min_f32_e32 v20, v21, v20
	global_store_dword v[22:23], v20, off
	v_lshl_add_u64 v[20:21], v[80:81], 2, v[18:19]
	flat_load_dword v20, v[20:21]
	s_waitcnt vmcnt(0) lgkmcnt(0)
	v_mul_f32_e32 v20, s14, v20
.LBB9_187:
	v_pk_add_f32 v[12:13], v[12:13], v[4:5]
	v_pk_add_f32 v[8:9], v[8:9], v[4:5]
	v_min3_f32 v12, v12, v13, v102
	v_min3_f32 v13, v8, v9, v103
	v_pk_add_f32 v[8:9], v[14:15], v[6:7]
	s_mov_b64 vcc, s[6:7]
	v_min_f32_e32 v14, v8, v9
	v_pk_add_f32 v[8:9], v[10:11], v[6:7]
	v_min3_f32 v11, v20, v14, v12
	v_min3_f32 v10, v8, v9, v13
	v_lshl_add_u64 v[8:9], v[80:81], 2, v[16:17]
	global_store_dword v[8:9], v11, off
	v_max_f32_e32 v8, v10, v10
	s_cbranch_vccz .LBB9_190
; %bb.188:
	v_min_f32_e32 v9, 0, v8
	v_lshl_add_u64 v[10:11], v[88:89], 2, v[16:17]
	s_mov_b32 s2, 0
	global_store_dword v[10:11], v9, off
	s_cbranch_execz .LBB9_191
; %bb.189:
	v_mov_b32_e32 v8, s2
	s_branch .LBB9_192
.LBB9_190:
                                        ; implicit-def: $sgpr2
.LBB9_191:
	v_lshl_add_u64 v[10:11], v[18:19], 0, v[90:91]
	flat_load_dword v9, v[10:11]
	v_lshl_add_u64 v[10:11], v[16:17], 0, v[90:91]
	s_waitcnt vmcnt(0) lgkmcnt(0)
	v_mul_f32_e32 v9, s14, v9
	v_min_f32_e32 v8, v9, v8
	global_store_dword v[10:11], v8, off
	v_lshl_add_u64 v[8:9], v[84:85], 2, v[18:19]
	flat_load_dword v8, v[8:9]
	s_waitcnt vmcnt(0) lgkmcnt(0)
	v_mul_f32_e32 v8, s14, v8
.LBB9_192:
	v_pk_add_f32 v[2:3], v[2:3], v[6:7]
	v_pk_add_f32 v[0:1], v[0:1], v[4:5]
	v_min_f32_e32 v2, v2, v3
	v_min3_f32 v0, v0, v1, v106
	v_min3_f32 v2, v8, v2, v0
	v_lshl_add_u64 v[0:1], v[84:85], 2, v[16:17]
	global_store_dword v[0:1], v2, off
	s_endpgm
	.section	.rodata,"a",@progbits
	.p2align	6, 0x0
	.amdhsa_kernel _ZN12_GLOBAL__N_120geam_min_plus_kernelIf15HIP_vector_typeIfLj2EEfLi32ELi8ELi128ELi128ELi4ELi4ELi64ELi4ELi64ELc84ELc78ELb0ELb0ELb1EPKfKS4_KPfEEviiiT16_PT17_ilSA_ilS8_SA_ilPT18_ili26rocblas_geam_ex_operation_
		.amdhsa_group_segment_fixed_size 8192
		.amdhsa_private_segment_fixed_size 0
		.amdhsa_kernarg_size 136
		.amdhsa_user_sgpr_count 2
		.amdhsa_user_sgpr_dispatch_ptr 0
		.amdhsa_user_sgpr_queue_ptr 0
		.amdhsa_user_sgpr_kernarg_segment_ptr 1
		.amdhsa_user_sgpr_dispatch_id 0
		.amdhsa_user_sgpr_kernarg_preload_length 0
		.amdhsa_user_sgpr_kernarg_preload_offset 0
		.amdhsa_user_sgpr_private_segment_size 0
		.amdhsa_uses_dynamic_stack 0
		.amdhsa_enable_private_segment 0
		.amdhsa_system_sgpr_workgroup_id_x 1
		.amdhsa_system_sgpr_workgroup_id_y 0
		.amdhsa_system_sgpr_workgroup_id_z 1
		.amdhsa_system_sgpr_workgroup_info 0
		.amdhsa_system_vgpr_workitem_id 1
		.amdhsa_next_free_vgpr 206
		.amdhsa_next_free_sgpr 26
		.amdhsa_accum_offset 208
		.amdhsa_reserve_vcc 1
		.amdhsa_float_round_mode_32 0
		.amdhsa_float_round_mode_16_64 0
		.amdhsa_float_denorm_mode_32 3
		.amdhsa_float_denorm_mode_16_64 3
		.amdhsa_dx10_clamp 1
		.amdhsa_ieee_mode 1
		.amdhsa_fp16_overflow 0
		.amdhsa_tg_split 0
		.amdhsa_exception_fp_ieee_invalid_op 0
		.amdhsa_exception_fp_denorm_src 0
		.amdhsa_exception_fp_ieee_div_zero 0
		.amdhsa_exception_fp_ieee_overflow 0
		.amdhsa_exception_fp_ieee_underflow 0
		.amdhsa_exception_fp_ieee_inexact 0
		.amdhsa_exception_int_div_zero 0
	.end_amdhsa_kernel
	.section	.text._ZN12_GLOBAL__N_120geam_min_plus_kernelIf15HIP_vector_typeIfLj2EEfLi32ELi8ELi128ELi128ELi4ELi4ELi64ELi4ELi64ELc84ELc78ELb0ELb0ELb1EPKfKS4_KPfEEviiiT16_PT17_ilSA_ilS8_SA_ilPT18_ili26rocblas_geam_ex_operation_,"axG",@progbits,_ZN12_GLOBAL__N_120geam_min_plus_kernelIf15HIP_vector_typeIfLj2EEfLi32ELi8ELi128ELi128ELi4ELi4ELi64ELi4ELi64ELc84ELc78ELb0ELb0ELb1EPKfKS4_KPfEEviiiT16_PT17_ilSA_ilS8_SA_ilPT18_ili26rocblas_geam_ex_operation_,comdat
.Lfunc_end9:
	.size	_ZN12_GLOBAL__N_120geam_min_plus_kernelIf15HIP_vector_typeIfLj2EEfLi32ELi8ELi128ELi128ELi4ELi4ELi64ELi4ELi64ELc84ELc78ELb0ELb0ELb1EPKfKS4_KPfEEviiiT16_PT17_ilSA_ilS8_SA_ilPT18_ili26rocblas_geam_ex_operation_, .Lfunc_end9-_ZN12_GLOBAL__N_120geam_min_plus_kernelIf15HIP_vector_typeIfLj2EEfLi32ELi8ELi128ELi128ELi4ELi4ELi64ELi4ELi64ELc84ELc78ELb0ELb0ELb1EPKfKS4_KPfEEviiiT16_PT17_ilSA_ilS8_SA_ilPT18_ili26rocblas_geam_ex_operation_
                                        ; -- End function
	.section	.AMDGPU.csdata,"",@progbits
; Kernel info:
; codeLenInByte = 16996
; NumSgprs: 32
; NumVgprs: 206
; NumAgprs: 0
; TotalNumVgprs: 206
; ScratchSize: 0
; MemoryBound: 0
; FloatMode: 240
; IeeeMode: 1
; LDSByteSize: 8192 bytes/workgroup (compile time only)
; SGPRBlocks: 3
; VGPRBlocks: 25
; NumSGPRsForWavesPerEU: 32
; NumVGPRsForWavesPerEU: 206
; AccumOffset: 208
; Occupancy: 2
; WaveLimiterHint : 1
; COMPUTE_PGM_RSRC2:SCRATCH_EN: 0
; COMPUTE_PGM_RSRC2:USER_SGPR: 2
; COMPUTE_PGM_RSRC2:TRAP_HANDLER: 0
; COMPUTE_PGM_RSRC2:TGID_X_EN: 1
; COMPUTE_PGM_RSRC2:TGID_Y_EN: 0
; COMPUTE_PGM_RSRC2:TGID_Z_EN: 1
; COMPUTE_PGM_RSRC2:TIDIG_COMP_CNT: 1
; COMPUTE_PGM_RSRC3_GFX90A:ACCUM_OFFSET: 51
; COMPUTE_PGM_RSRC3_GFX90A:TG_SPLIT: 0
	.section	.text._ZN12_GLOBAL__N_120geam_min_plus_kernelIf15HIP_vector_typeIfLj2EEfLi32ELi8ELi128ELi128ELi4ELi4ELi64ELi4ELi64ELc84ELc78ELb1ELb0ELb1EfKPKfKPfEEviiiT16_PT17_ilSA_ilS8_SA_ilPT18_ili26rocblas_geam_ex_operation_,"axG",@progbits,_ZN12_GLOBAL__N_120geam_min_plus_kernelIf15HIP_vector_typeIfLj2EEfLi32ELi8ELi128ELi128ELi4ELi4ELi64ELi4ELi64ELc84ELc78ELb1ELb0ELb1EfKPKfKPfEEviiiT16_PT17_ilSA_ilS8_SA_ilPT18_ili26rocblas_geam_ex_operation_,comdat
	.globl	_ZN12_GLOBAL__N_120geam_min_plus_kernelIf15HIP_vector_typeIfLj2EEfLi32ELi8ELi128ELi128ELi4ELi4ELi64ELi4ELi64ELc84ELc78ELb1ELb0ELb1EfKPKfKPfEEviiiT16_PT17_ilSA_ilS8_SA_ilPT18_ili26rocblas_geam_ex_operation_ ; -- Begin function _ZN12_GLOBAL__N_120geam_min_plus_kernelIf15HIP_vector_typeIfLj2EEfLi32ELi8ELi128ELi128ELi4ELi4ELi64ELi4ELi64ELc84ELc78ELb1ELb0ELb1EfKPKfKPfEEviiiT16_PT17_ilSA_ilS8_SA_ilPT18_ili26rocblas_geam_ex_operation_
	.p2align	8
	.type	_ZN12_GLOBAL__N_120geam_min_plus_kernelIf15HIP_vector_typeIfLj2EEfLi32ELi8ELi128ELi128ELi4ELi4ELi64ELi4ELi64ELc84ELc78ELb1ELb0ELb1EfKPKfKPfEEviiiT16_PT17_ilSA_ilS8_SA_ilPT18_ili26rocblas_geam_ex_operation_,@function
_ZN12_GLOBAL__N_120geam_min_plus_kernelIf15HIP_vector_typeIfLj2EEfLi32ELi8ELi128ELi128ELi4ELi4ELi64ELi4ELi64ELc84ELc78ELb1ELb0ELb1EfKPKfKPfEEviiiT16_PT17_ilSA_ilS8_SA_ilPT18_ili26rocblas_geam_ex_operation_: ; @_ZN12_GLOBAL__N_120geam_min_plus_kernelIf15HIP_vector_typeIfLj2EEfLi32ELi8ELi128ELi128ELi4ELi4ELi64ELi4ELi64ELc84ELc78ELb1ELb0ELb1EfKPKfKPfEEviiiT16_PT17_ilSA_ilS8_SA_ilPT18_ili26rocblas_geam_ex_operation_
; %bb.0:
	s_load_dwordx2 s[12:13], s[0:1], 0x8
	s_load_dwordx4 s[4:7], s[0:1], 0x20
	s_mov_b32 s18, s3
	s_mov_b32 s19, 0
	s_waitcnt lgkmcnt(0)
	v_cmp_eq_f32_e64 s[8:9], s13, 0
	s_and_b64 vcc, exec, s[8:9]
	s_cbranch_vccnz .LBB10_3
; %bb.1:
	s_load_dwordx2 s[10:11], s[0:1], 0x10
	s_lshl_b64 s[14:15], s[18:19], 3
	s_waitcnt lgkmcnt(0)
	s_add_u32 s10, s10, s14
	s_addc_u32 s11, s11, s15
	s_load_dwordx2 s[10:11], s[10:11], 0x0
	s_lshl_b64 s[4:5], s[4:5], 2
	s_waitcnt lgkmcnt(0)
	s_add_u32 s14, s10, s4
	s_addc_u32 s15, s11, s5
	s_andn2_b64 vcc, exec, s[8:9]
	s_cbranch_vccnz .LBB10_4
.LBB10_2:
	s_mov_b64 s[16:17], 0
	s_cbranch_execz .LBB10_5
	s_branch .LBB10_6
.LBB10_3:
	s_mov_b64 s[14:15], 0
	s_andn2_b64 vcc, exec, s[8:9]
	s_cbranch_vccz .LBB10_2
.LBB10_4:
                                        ; implicit-def: $sgpr16_sgpr17
.LBB10_5:
	s_lshl_b64 s[8:9], s[18:19], 3
	s_add_u32 s6, s6, s8
	s_load_dwordx2 s[4:5], s[0:1], 0x38
	s_addc_u32 s7, s7, s9
	s_load_dwordx2 s[6:7], s[6:7], 0x0
	s_waitcnt lgkmcnt(0)
	s_lshl_b64 s[4:5], s[4:5], 2
	s_add_u32 s16, s6, s4
	s_addc_u32 s17, s7, s5
.LBB10_6:
	s_load_dword s13, s[0:1], 0x40
	s_load_dwordx4 s[8:11], s[0:1], 0x58
	s_waitcnt lgkmcnt(0)
	v_cmp_eq_f32_e64 s[4:5], s13, 0
	s_and_b64 s[4:5], exec, s[4:5]
	s_mov_b64 vcc, s[4:5]
	s_cbranch_vccnz .LBB10_8
; %bb.7:
	s_load_dwordx2 s[6:7], s[0:1], 0x48
	s_lshl_b64 s[20:21], s[18:19], 3
	s_waitcnt lgkmcnt(0)
	s_add_u32 s6, s6, s20
	s_addc_u32 s7, s7, s21
	s_load_dwordx2 s[6:7], s[6:7], 0x0
	s_lshl_b64 s[8:9], s[8:9], 2
	s_waitcnt lgkmcnt(0)
	s_add_u32 s6, s6, s8
	s_addc_u32 s7, s7, s9
	s_branch .LBB10_9
.LBB10_8:
	s_mov_b64 s[6:7], 0
.LBB10_9:
	s_load_dword s3, s[0:1], 0x0
	s_lshl_b64 s[8:9], s[18:19], 3
	s_add_u32 s8, s10, s8
	s_addc_u32 s9, s11, s9
	s_load_dword s18, s[0:1], 0x18
	s_load_dword s19, s[0:1], 0x30
	s_waitcnt lgkmcnt(0)
	s_add_i32 s3, s3, -1
	s_ashr_i32 s10, s3, 31
	s_lshr_b32 s10, s10, 25
	s_add_i32 s3, s3, s10
	s_ashr_i32 s3, s3, 7
	s_add_i32 s10, s3, 1
	v_cvt_f32_u32_e32 v1, s10
	s_not_b32 s3, s3
	v_and_b32_e32 v98, 0x3ff, v0
	v_bfe_u32 v99, v0, 10, 10
	v_rcp_iflag_f32_e32 v1, v1
	v_lshl_add_u32 v0, v99, 5, v98
	v_lshrrev_b32_e32 v8, 2, v0
	v_and_b32_e32 v2, 3, v98
	v_mul_f32_e32 v1, 0x4f7ffffe, v1
	v_cvt_u32_f32_e32 v1, v1
	v_lshlrev_b32_e32 v80, 2, v2
	v_mov_b32_e32 v81, 0
	v_lshlrev_b32_e32 v101, 4, v98
	v_readfirstlane_b32 s11, v1
	s_mul_i32 s3, s3, s11
	s_mul_hi_u32 s3, s11, s3
	s_add_i32 s11, s11, s3
	s_mul_hi_u32 s3, s2, s11
	s_mul_i32 s11, s3, s10
	s_sub_i32 s11, s2, s11
	s_add_i32 s20, s3, 1
	s_sub_i32 s21, s11, s10
	s_cmp_ge_u32 s11, s10
	s_cselect_b32 s3, s20, s3
	s_cselect_b32 s11, s21, s11
	s_add_i32 s20, s3, 1
	s_cmp_ge_u32 s11, s10
	s_cselect_b32 s3, s20, s3
	s_mul_i32 s10, s3, s10
	s_sub_i32 s2, s2, s10
	s_lshl_b32 s10, s2, 7
	s_lshl_b32 s11, s3, 7
	v_add_u32_e32 v4, s10, v8
	v_add_u32_e32 v10, s11, v8
	v_mad_i64_i32 v[78:79], s[2:3], v4, s18, 0
	v_add_u32_e32 v4, 64, v4
	v_mad_i64_i32 v[84:85], s[2:3], v10, s19, 0
	v_add_u32_e32 v10, 64, v10
	v_lshl_add_u64 v[0:1], s[14:15], 0, v[80:81]
	v_mad_i64_i32 v[86:87], s[2:3], v4, s18, 0
	v_lshl_add_u64 v[4:5], s[16:17], 0, v[80:81]
	v_mad_i64_i32 v[82:83], s[2:3], v10, s19, 0
	v_lshl_add_u64 v[2:3], v[78:79], 2, v[0:1]
	v_lshl_add_u64 v[6:7], v[84:85], 2, v[4:5]
	v_lshl_add_u64 v[4:5], v[82:83], 2, v[4:5]
	flat_load_dword v9, v[2:3]
	v_lshl_add_u64 v[0:1], v[86:87], 2, v[0:1]
	flat_load_dword v11, v[6:7]
	flat_load_dword v10, v[4:5]
	flat_load_dword v12, v[0:1]
	v_lshl_or_b32 v102, v8, 4, v80
	s_mov_b32 s18, 0x7f7fffff
	v_lshlrev_b32_e32 v100, 4, v99
	s_load_dwordx2 s[2:3], s[8:9], 0x0
	flat_load_dword v88, v[4:5] offset:16
	flat_load_dword v89, v[6:7] offset:16
	;; [unrolled: 1-line block ×4, first 2 shown]
	s_cmp_lt_i32 s12, 9
	s_waitcnt vmcnt(0) lgkmcnt(0)
	ds_write2st64_b32 v102, v11, v10 offset0:16 offset1:20
	ds_write2st64_b32 v102, v9, v12 offset1:4
	s_waitcnt lgkmcnt(0)
	s_barrier
	ds_read_b128 v[12:15], v101
	ds_read_b128 v[8:11], v101 offset:512
	ds_read_b128 v[4:7], v101 offset:1024
	;; [unrolled: 1-line block ×17, first 2 shown]
	s_waitcnt lgkmcnt(13)
	v_pk_add_f32 v[48:49], v[12:13], v[70:71]
	s_waitcnt lgkmcnt(12)
	v_pk_add_f32 v[92:93], v[12:13], v[66:67]
	v_pk_add_f32 v[94:95], v[8:9], v[66:67]
	;; [unrolled: 1-line block ×4, first 2 shown]
	s_waitcnt lgkmcnt(11)
	v_pk_add_f32 v[104:105], v[12:13], v[62:63]
	v_min3_f32 v103, v48, v49, s18
	s_waitcnt lgkmcnt(9)
	v_pk_add_f32 v[48:49], v[8:9], v[54:55]
	v_min3_f32 v66, v66, v67, s18
	v_min3_f32 v67, v104, v105, s18
	;; [unrolled: 1-line block ×3, first 2 shown]
	v_pk_add_f32 v[48:49], v[4:5], v[54:55]
	v_pk_add_f32 v[116:117], v[12:13], v[54:55]
	v_min3_f32 v105, v48, v49, s18
	v_pk_add_f32 v[48:49], v[0:1], v[54:55]
	v_pk_add_f32 v[74:75], v[8:9], v[70:71]
	v_min3_f32 v54, v48, v49, s18
	s_waitcnt lgkmcnt(8)
	v_pk_add_f32 v[48:49], v[12:13], v[50:51]
	v_pk_add_f32 v[76:77], v[4:5], v[70:71]
	;; [unrolled: 1-line block ×4, first 2 shown]
	v_min3_f32 v55, v48, v49, s18
	v_pk_add_f32 v[48:49], v[8:9], v[50:51]
	v_min3_f32 v70, v70, v71, s18
	v_min3_f32 v71, v92, v93, s18
	;; [unrolled: 1-line block ×5, first 2 shown]
	v_pk_add_f32 v[48:49], v[4:5], v[50:51]
	v_pk_add_f32 v[108:109], v[4:5], v[62:63]
	v_min3_f32 v107, v48, v49, s18
	v_pk_add_f32 v[48:49], v[0:1], v[50:51]
	v_min3_f32 v95, v108, v109, s18
	v_min3_f32 v108, v48, v49, s18
	s_waitcnt lgkmcnt(7)
	v_pk_add_f32 v[48:49], v[12:13], v[44:45]
	v_pk_add_f32 v[62:63], v[0:1], v[62:63]
	;; [unrolled: 1-line block ×3, first 2 shown]
	v_min3_f32 v109, v48, v49, s18
	v_pk_add_f32 v[48:49], v[8:9], v[44:45]
	v_pk_add_f32 v[112:113], v[8:9], v[58:59]
	v_min3_f32 v62, v62, v63, s18
	v_min3_f32 v63, v110, v111, s18
	;; [unrolled: 1-line block ×3, first 2 shown]
	v_pk_add_f32 v[48:49], v[4:5], v[44:45]
	v_pk_add_f32 v[44:45], v[0:1], v[44:45]
	v_min3_f32 v93, v96, v97, s18
	v_min3_f32 v96, v112, v113, s18
	;; [unrolled: 1-line block ×3, first 2 shown]
	s_waitcnt lgkmcnt(6)
	v_pk_add_f32 v[44:45], v[12:13], v[40:41]
	v_pk_add_f32 v[114:115], v[4:5], v[58:59]
	v_min3_f32 v113, v44, v45, s18
	v_pk_add_f32 v[44:45], v[8:9], v[40:41]
	v_min3_f32 v97, v114, v115, s18
	v_min3_f32 v114, v44, v45, s18
	v_pk_add_f32 v[44:45], v[4:5], v[40:41]
	v_pk_add_f32 v[40:41], v[0:1], v[40:41]
	v_min3_f32 v44, v44, v45, s18
	v_min3_f32 v45, v40, v41, s18
	s_waitcnt lgkmcnt(5)
	v_pk_add_f32 v[40:41], v[12:13], v[36:37]
	v_pk_add_f32 v[58:59], v[0:1], v[58:59]
	v_min3_f32 v115, v40, v41, s18
	v_pk_add_f32 v[40:41], v[8:9], v[36:37]
	v_min3_f32 v58, v58, v59, s18
	v_min3_f32 v59, v116, v117, s18
	;; [unrolled: 1-line block ×3, first 2 shown]
	v_pk_add_f32 v[40:41], v[4:5], v[36:37]
	v_pk_add_f32 v[36:37], v[0:1], v[36:37]
	v_min3_f32 v40, v40, v41, s18
	v_min3_f32 v41, v36, v37, s18
	s_waitcnt lgkmcnt(4)
	v_pk_add_f32 v[36:37], v[12:13], v[32:33]
	v_min3_f32 v111, v48, v49, s18
	v_min3_f32 v117, v36, v37, s18
	v_pk_add_f32 v[36:37], v[8:9], v[32:33]
	ds_read_b128 v[48:51], v100 offset:5888
	v_min3_f32 v120, v36, v37, s18
	v_pk_add_f32 v[36:37], v[4:5], v[32:33]
	v_pk_add_f32 v[32:33], v[0:1], v[32:33]
	v_min3_f32 v36, v36, v37, s18
	v_min3_f32 v37, v32, v33, s18
	s_waitcnt lgkmcnt(4)
	v_pk_add_f32 v[32:33], v[12:13], v[28:29]
	v_min3_f32 v118, v74, v75, s18
	v_min3_f32 v121, v32, v33, s18
	v_pk_add_f32 v[32:33], v[8:9], v[28:29]
	v_min3_f32 v119, v76, v77, s18
	ds_read_b128 v[74:77], v100 offset:6016
	v_min3_f32 v122, v32, v33, s18
	v_pk_add_f32 v[32:33], v[4:5], v[28:29]
	v_pk_add_f32 v[28:29], v[0:1], v[28:29]
	v_min3_f32 v32, v32, v33, s18
	v_min3_f32 v33, v28, v29, s18
	s_waitcnt lgkmcnt(4)
	v_pk_add_f32 v[28:29], v[12:13], v[24:25]
	ds_write2st64_b32 v102, v91, v90 offset0:8 offset1:12
	ds_write2st64_b32 v102, v89, v88 offset0:24 offset1:28
	v_min3_f32 v123, v28, v29, s18
	v_pk_add_f32 v[28:29], v[8:9], v[24:25]
	s_waitcnt lgkmcnt(0)
	v_min3_f32 v126, v28, v29, s18
	v_pk_add_f32 v[28:29], v[4:5], v[24:25]
	v_pk_add_f32 v[24:25], v[0:1], v[24:25]
	v_min3_f32 v28, v28, v29, s18
	v_min3_f32 v29, v24, v25, s18
	v_pk_add_f32 v[24:25], v[12:13], v[20:21]
	s_barrier
	v_min3_f32 v127, v24, v25, s18
	v_pk_add_f32 v[24:25], v[8:9], v[20:21]
	s_nop 0
	v_min3_f32 v128, v24, v25, s18
	v_pk_add_f32 v[24:25], v[4:5], v[20:21]
	v_pk_add_f32 v[20:21], v[0:1], v[20:21]
	v_min3_f32 v24, v24, v25, s18
	v_min3_f32 v25, v20, v21, s18
	v_pk_add_f32 v[20:21], v[12:13], v[16:17]
	s_nop 0
	v_min3_f32 v129, v20, v21, s18
	v_pk_add_f32 v[20:21], v[8:9], v[16:17]
	s_nop 0
	v_min3_f32 v130, v20, v21, s18
	v_pk_add_f32 v[20:21], v[4:5], v[16:17]
	v_pk_add_f32 v[16:17], v[0:1], v[16:17]
	v_min3_f32 v20, v20, v21, s18
	v_min3_f32 v21, v16, v17, s18
	v_pk_add_f32 v[16:17], v[12:13], v[48:49]
	v_pk_add_f32 v[12:13], v[12:13], v[74:75]
	v_min3_f32 v131, v16, v17, s18
	v_pk_add_f32 v[16:17], v[8:9], v[48:49]
	v_min3_f32 v12, v12, v13, s18
	v_min3_f32 v173, v16, v17, s18
	v_pk_add_f32 v[16:17], v[4:5], v[48:49]
	v_pk_add_f32 v[4:5], v[4:5], v[74:75]
	v_min3_f32 v174, v16, v17, s18
	v_pk_add_f32 v[16:17], v[0:1], v[48:49]
	v_pk_add_f32 v[0:1], v[0:1], v[74:75]
	v_min3_f32 v4, v4, v5, s18
	v_min3_f32 v5, v0, v1, s18
	v_pk_add_f32 v[0:1], v[14:15], v[64:65]
	v_min3_f32 v48, v16, v17, s18
	v_min3_f32 v165, v0, v1, v67
	v_pk_add_f32 v[0:1], v[10:11], v[64:65]
	v_pk_add_f32 v[16:17], v[14:15], v[72:73]
	v_min3_f32 v162, v0, v1, v94
	v_pk_add_f32 v[0:1], v[6:7], v[64:65]
	v_min3_f32 v172, v16, v17, v103
	v_min3_f32 v163, v0, v1, v95
	v_pk_add_f32 v[0:1], v[2:3], v[64:65]
	v_pk_add_f32 v[16:17], v[10:11], v[72:73]
	v_min3_f32 v160, v0, v1, v62
	v_pk_add_f32 v[0:1], v[14:15], v[60:61]
	v_min3_f32 v171, v16, v17, v118
	v_min3_f32 v161, v0, v1, v63
	v_pk_add_f32 v[0:1], v[10:11], v[60:61]
	v_pk_add_f32 v[16:17], v[6:7], v[72:73]
	v_min3_f32 v158, v0, v1, v96
	v_pk_add_f32 v[0:1], v[6:7], v[60:61]
	v_min3_f32 v170, v16, v17, v119
	v_min3_f32 v159, v0, v1, v97
	v_pk_add_f32 v[0:1], v[2:3], v[60:61]
	v_pk_add_f32 v[16:17], v[2:3], v[72:73]
	v_min3_f32 v156, v0, v1, v58
	v_pk_add_f32 v[0:1], v[14:15], v[56:57]
	v_pk_add_f32 v[8:9], v[8:9], v[74:75]
	v_min3_f32 v157, v0, v1, v59
	v_pk_add_f32 v[0:1], v[10:11], v[56:57]
	v_min3_f32 v168, v16, v17, v70
	v_min3_f32 v154, v0, v1, v104
	v_pk_add_f32 v[0:1], v[6:7], v[56:57]
	v_pk_add_f32 v[16:17], v[14:15], v[68:69]
	v_min3_f32 v155, v0, v1, v105
	v_pk_add_f32 v[0:1], v[2:3], v[56:57]
	v_min3_f32 v13, v8, v9, s18
	v_min3_f32 v152, v0, v1, v54
	v_pk_add_f32 v[0:1], v[14:15], v[52:53]
	v_min3_f32 v169, v16, v17, v71
	v_min3_f32 v153, v0, v1, v55
	v_pk_add_f32 v[0:1], v[10:11], v[52:53]
	v_pk_add_f32 v[16:17], v[10:11], v[68:69]
	v_min3_f32 v150, v0, v1, v106
	v_pk_add_f32 v[0:1], v[6:7], v[52:53]
	v_min3_f32 v166, v16, v17, v92
	v_min3_f32 v151, v0, v1, v107
	v_pk_add_f32 v[0:1], v[2:3], v[52:53]
	v_pk_add_f32 v[16:17], v[6:7], v[68:69]
	v_min3_f32 v148, v0, v1, v108
	v_pk_add_f32 v[0:1], v[14:15], v[46:47]
	v_pk_add_f32 v[8:9], v[2:3], v[68:69]
	v_min3_f32 v149, v0, v1, v109
	v_pk_add_f32 v[0:1], v[10:11], v[46:47]
	v_min3_f32 v167, v16, v17, v93
	v_min3_f32 v146, v0, v1, v110
	v_pk_add_f32 v[0:1], v[6:7], v[46:47]
	v_min3_f32 v164, v8, v9, v66
	v_min3_f32 v147, v0, v1, v111
	v_pk_add_f32 v[0:1], v[2:3], v[46:47]
	s_nop 0
	v_min3_f32 v144, v0, v1, v112
	v_pk_add_f32 v[0:1], v[14:15], v[42:43]
	s_nop 0
	;; [unrolled: 3-line block ×37, first 2 shown]
	v_min3_f32 v107, v0, v1, v5
	s_cbranch_scc1 .LBB10_12
; %bb.10:
	v_mov_b32_e32 v0, 0x800
	v_lshl_add_u32 v130, v98, 4, v0
	v_mov_b32_e32 v0, 0x1800
	v_add_u32_e32 v126, 0x1000, v102
	v_add_u32_e32 v127, 0x1000, v100
	;; [unrolled: 1-line block ×4, first 2 shown]
	s_add_i32 s8, s12, -8
	v_lshl_add_u32 v131, v99, 4, v0
	v_lshl_add_u64 v[82:83], v[82:83], 2, s[16:17]
	v_lshl_add_u64 v[84:85], v[84:85], 2, s[16:17]
	;; [unrolled: 1-line block ×4, first 2 shown]
	s_mov_b32 s9, 0
.LBB10_11:                              ; =>This Inner Loop Header: Depth=1
	v_lshl_add_u64 v[94:95], v[88:89], 0, v[80:81]
	v_lshl_add_u64 v[90:91], v[86:87], 0, v[80:81]
	;; [unrolled: 1-line block ×4, first 2 shown]
	flat_load_dword v173, v[94:95] offset:32
	flat_load_dword v174, v[90:91] offset:32
	;; [unrolled: 1-line block ×4, first 2 shown]
	ds_read_b128 v[12:15], v130
	ds_read_b128 v[8:11], v130 offset:512
	ds_read_b128 v[4:7], v130 offset:1024
	;; [unrolled: 1-line block ×3, first 2 shown]
	ds_read_b128 v[76:79], v131
	ds_read_b128 v[72:75], v131 offset:128
	ds_read_b128 v[68:71], v131 offset:256
	;; [unrolled: 1-line block ×15, first 2 shown]
	s_waitcnt lgkmcnt(0)
	v_pk_add_f32 v[178:179], v[12:13], v[76:77]
	s_add_i32 s9, s9, 8
	v_min3_f32 v172, v178, v179, v172
	v_pk_add_f32 v[178:179], v[8:9], v[76:77]
	v_lshl_add_u64 v[82:83], v[82:83], 0, 32
	v_min3_f32 v171, v178, v179, v171
	v_pk_add_f32 v[178:179], v[4:5], v[76:77]
	v_pk_add_f32 v[76:77], v[0:1], v[76:77]
	v_min3_f32 v170, v178, v179, v170
	v_min3_f32 v168, v76, v77, v168
	v_pk_add_f32 v[76:77], v[12:13], v[72:73]
	v_lshl_add_u64 v[84:85], v[84:85], 0, 32
	v_min3_f32 v169, v76, v77, v169
	v_pk_add_f32 v[76:77], v[8:9], v[72:73]
	v_lshl_add_u64 v[86:87], v[86:87], 0, 32
	v_min3_f32 v166, v76, v77, v166
	v_pk_add_f32 v[76:77], v[4:5], v[72:73]
	v_pk_add_f32 v[72:73], v[0:1], v[72:73]
	v_min3_f32 v167, v76, v77, v167
	v_min3_f32 v164, v72, v73, v164
	v_pk_add_f32 v[72:73], v[12:13], v[68:69]
	v_lshl_add_u64 v[88:89], v[88:89], 0, 32
	v_min3_f32 v165, v72, v73, v165
	v_pk_add_f32 v[72:73], v[8:9], v[68:69]
	s_cmp_ge_i32 s9, s8
	v_min3_f32 v162, v72, v73, v162
	v_pk_add_f32 v[72:73], v[4:5], v[68:69]
	v_pk_add_f32 v[68:69], v[0:1], v[68:69]
	v_min3_f32 v163, v72, v73, v163
	v_min3_f32 v160, v68, v69, v160
	v_pk_add_f32 v[68:69], v[12:13], v[64:65]
	s_waitcnt vmcnt(0)
	ds_write2st64_b32 v102, v173, v174 offset1:4
	ds_write2st64_b32 v126, v175, v176 offset1:4
	v_min3_f32 v161, v68, v69, v161
	v_pk_add_f32 v[68:69], v[8:9], v[64:65]
	s_waitcnt lgkmcnt(0)
	v_min3_f32 v158, v68, v69, v158
	v_pk_add_f32 v[68:69], v[4:5], v[64:65]
	v_pk_add_f32 v[64:65], v[0:1], v[64:65]
	v_min3_f32 v159, v68, v69, v159
	v_min3_f32 v156, v64, v65, v156
	v_pk_add_f32 v[64:65], v[12:13], v[60:61]
	s_barrier
	v_min3_f32 v157, v64, v65, v157
	v_pk_add_f32 v[64:65], v[8:9], v[60:61]
	s_nop 0
	v_min3_f32 v154, v64, v65, v154
	v_pk_add_f32 v[64:65], v[4:5], v[60:61]
	v_pk_add_f32 v[60:61], v[0:1], v[60:61]
	v_min3_f32 v155, v64, v65, v155
	v_min3_f32 v152, v60, v61, v152
	v_pk_add_f32 v[60:61], v[12:13], v[56:57]
	flat_load_dword v94, v[94:95] offset:48
	s_nop 0
	flat_load_dword v95, v[90:91] offset:48
	flat_load_dword v173, v[92:93] offset:48
	;; [unrolled: 1-line block ×3, first 2 shown]
	v_min3_f32 v153, v60, v61, v153
	v_pk_add_f32 v[60:61], v[8:9], v[56:57]
	s_nop 0
	v_min3_f32 v150, v60, v61, v150
	v_pk_add_f32 v[60:61], v[4:5], v[56:57]
	v_pk_add_f32 v[56:57], v[0:1], v[56:57]
	v_min3_f32 v151, v60, v61, v151
	v_min3_f32 v148, v56, v57, v148
	v_pk_add_f32 v[56:57], v[12:13], v[52:53]
	s_nop 0
	v_min3_f32 v149, v56, v57, v149
	v_pk_add_f32 v[56:57], v[8:9], v[52:53]
	s_nop 0
	v_min3_f32 v146, v56, v57, v146
	v_pk_add_f32 v[56:57], v[4:5], v[52:53]
	v_pk_add_f32 v[52:53], v[0:1], v[52:53]
	v_min3_f32 v147, v56, v57, v147
	v_min3_f32 v177, v52, v53, v144
	v_pk_add_f32 v[52:53], v[12:13], v[48:49]
	s_nop 0
	;; [unrolled: 10-line block ×8, first 2 shown]
	v_min3_f32 v36, v28, v29, v115
	v_pk_add_f32 v[28:29], v[8:9], v[24:25]
	s_nop 0
	v_min3_f32 v33, v28, v29, v112
	v_pk_add_f32 v[28:29], v[4:5], v[24:25]
	v_pk_add_f32 v[24:25], v[0:1], v[24:25]
	v_min3_f32 v32, v28, v29, v113
	v_min3_f32 v29, v24, v25, v110
	v_pk_add_f32 v[24:25], v[12:13], v[20:21]
	v_pk_add_f32 v[12:13], v[12:13], v[16:17]
	v_min3_f32 v28, v24, v25, v111
	v_pk_add_f32 v[24:25], v[8:9], v[20:21]
	v_pk_add_f32 v[110:111], v[4:5], v[20:21]
	;; [unrolled: 1-line block ×7, first 2 shown]
	v_min3_f32 v25, v24, v25, v108
	v_min3_f32 v108, v16, v17, v172
	v_pk_add_f32 v[16:17], v[10:11], v[78:79]
	v_min3_f32 v12, v12, v13, v106
	v_min3_f32 v106, v16, v17, v171
	v_pk_add_f32 v[16:17], v[6:7], v[78:79]
	;; [unrolled: 3-line block ×7, first 2 shown]
	s_nop 0
	v_min3_f32 v110, v16, v17, v164
	v_pk_add_f32 v[16:17], v[14:15], v[70:71]
	s_nop 0
	v_min3_f32 v111, v16, v17, v165
	v_pk_add_f32 v[16:17], v[10:11], v[70:71]
	;; [unrolled: 3-line block ×49, first 2 shown]
	v_pk_add_f32 v[14:15], v[14:15], v[18:19]
	v_min3_f32 v177, v16, v17, v28
	v_pk_add_f32 v[16:17], v[10:11], v[22:23]
	v_pk_add_f32 v[10:11], v[10:11], v[18:19]
	v_min3_f32 v178, v16, v17, v25
	v_pk_add_f32 v[16:17], v[6:7], v[22:23]
	;; [unrolled: 3-line block ×3, first 2 shown]
	v_pk_add_f32 v[2:3], v[2:3], v[18:19]
	v_min3_f32 v180, v16, v17, v20
	v_min3_f32 v181, v14, v15, v12
	;; [unrolled: 1-line block ×5, first 2 shown]
	ds_read_b128 v[12:15], v101
	ds_read_b128 v[8:11], v101 offset:512
	ds_read_b128 v[4:7], v101 offset:1024
	;; [unrolled: 1-line block ×3, first 2 shown]
	ds_read_b128 v[76:79], v127
	ds_read_b128 v[72:75], v127 offset:128
	ds_read_b128 v[68:71], v127 offset:256
	;; [unrolled: 1-line block ×15, first 2 shown]
	s_waitcnt lgkmcnt(0)
	v_pk_add_f32 v[90:91], v[12:13], v[76:77]
	s_waitcnt vmcnt(0)
	ds_write2st64_b32 v128, v94, v95 offset1:4
	ds_write2st64_b32 v129, v173, v174 offset1:4
	v_min3_f32 v175, v90, v91, v108
	v_pk_add_f32 v[90:91], v[8:9], v[76:77]
	s_waitcnt lgkmcnt(0)
	v_min3_f32 v176, v90, v91, v106
	v_pk_add_f32 v[90:91], v[4:5], v[76:77]
	v_pk_add_f32 v[76:77], v[0:1], v[76:77]
	v_min3_f32 v185, v90, v91, v104
	v_min3_f32 v186, v76, v77, v103
	v_pk_add_f32 v[76:77], v[12:13], v[72:73]
	s_barrier
	v_min3_f32 v155, v76, v77, v105
	v_pk_add_f32 v[76:77], v[8:9], v[72:73]
	s_nop 0
	v_min3_f32 v153, v76, v77, v107
	v_pk_add_f32 v[76:77], v[4:5], v[72:73]
	v_pk_add_f32 v[72:73], v[0:1], v[72:73]
	v_min3_f32 v151, v76, v77, v109
	v_min3_f32 v149, v72, v73, v110
	v_pk_add_f32 v[72:73], v[12:13], v[68:69]
	s_nop 0
	v_min3_f32 v145, v72, v73, v111
	v_pk_add_f32 v[72:73], v[8:9], v[68:69]
	s_nop 0
	v_min3_f32 v143, v72, v73, v112
	v_pk_add_f32 v[72:73], v[4:5], v[68:69]
	v_pk_add_f32 v[68:69], v[0:1], v[68:69]
	v_min3_f32 v142, v72, v73, v113
	v_min3_f32 v141, v68, v69, v114
	v_pk_add_f32 v[68:69], v[12:13], v[64:65]
	s_nop 0
	v_min3_f32 v115, v68, v69, v115
	v_pk_add_f32 v[68:69], v[8:9], v[64:65]
	s_nop 0
	v_min3_f32 v114, v68, v69, v116
	v_pk_add_f32 v[68:69], v[4:5], v[64:65]
	v_pk_add_f32 v[64:65], v[0:1], v[64:65]
	v_min3_f32 v113, v68, v69, v117
	v_min3_f32 v112, v64, v65, v118
	v_pk_add_f32 v[64:65], v[12:13], v[60:61]
	v_pk_add_f32 v[116:117], v[4:5], v[20:21]
	v_min3_f32 v111, v64, v65, v119
	v_pk_add_f32 v[64:65], v[8:9], v[60:61]
	s_nop 0
	v_min3_f32 v110, v64, v65, v120
	v_pk_add_f32 v[64:65], v[4:5], v[60:61]
	v_pk_add_f32 v[60:61], v[0:1], v[60:61]
	v_min3_f32 v109, v64, v65, v121
	v_min3_f32 v108, v60, v61, v122
	v_pk_add_f32 v[60:61], v[12:13], v[56:57]
	s_nop 0
	v_min3_f32 v107, v60, v61, v123
	v_pk_add_f32 v[60:61], v[8:9], v[56:57]
	s_nop 0
	v_min3_f32 v106, v60, v61, v124
	v_pk_add_f32 v[60:61], v[4:5], v[56:57]
	v_pk_add_f32 v[56:57], v[0:1], v[56:57]
	v_min3_f32 v105, v60, v61, v125
	v_min3_f32 v104, v56, v57, v132
	v_pk_add_f32 v[56:57], v[12:13], v[52:53]
	s_nop 0
	;; [unrolled: 10-line block ×9, first 2 shown]
	v_min3_f32 v36, v28, v29, v169
	v_pk_add_f32 v[28:29], v[8:9], v[24:25]
	s_nop 0
	v_min3_f32 v33, v28, v29, v170
	v_pk_add_f32 v[28:29], v[4:5], v[24:25]
	v_pk_add_f32 v[24:25], v[0:1], v[24:25]
	v_min3_f32 v32, v28, v29, v171
	v_min3_f32 v29, v24, v25, v172
	v_pk_add_f32 v[24:25], v[12:13], v[20:21]
	v_pk_add_f32 v[12:13], v[12:13], v[16:17]
	v_min3_f32 v28, v24, v25, v177
	v_pk_add_f32 v[24:25], v[8:9], v[20:21]
	v_pk_add_f32 v[20:21], v[0:1], v[20:21]
	;; [unrolled: 1-line block ×6, first 2 shown]
	v_min3_f32 v25, v24, v25, v178
	v_min3_f32 v172, v16, v17, v175
	v_pk_add_f32 v[16:17], v[10:11], v[78:79]
	v_min3_f32 v24, v116, v117, v179
	v_min3_f32 v171, v16, v17, v176
	v_pk_add_f32 v[16:17], v[6:7], v[78:79]
	;; [unrolled: 3-line block ×7, first 2 shown]
	s_nop 0
	v_min3_f32 v164, v16, v17, v149
	v_pk_add_f32 v[16:17], v[14:15], v[70:71]
	s_nop 0
	v_min3_f32 v165, v16, v17, v145
	v_pk_add_f32 v[16:17], v[10:11], v[70:71]
	;; [unrolled: 3-line block ×49, first 2 shown]
	v_pk_add_f32 v[14:15], v[14:15], v[18:19]
	v_min3_f32 v111, v16, v17, v28
	v_pk_add_f32 v[16:17], v[10:11], v[22:23]
	v_pk_add_f32 v[10:11], v[10:11], v[18:19]
	v_min3_f32 v108, v16, v17, v25
	v_pk_add_f32 v[16:17], v[6:7], v[22:23]
	;; [unrolled: 3-line block ×3, first 2 shown]
	v_pk_add_f32 v[2:3], v[2:3], v[18:19]
	v_min3_f32 v105, v16, v17, v20
	v_min3_f32 v106, v14, v15, v12
	;; [unrolled: 1-line block ×5, first 2 shown]
	s_cbranch_scc0 .LBB10_11
.LBB10_12:
	s_load_dwordx2 s[14:15], s[0:1], 0x70
	ds_read_b128 v[16:19], v101 offset:2048
	ds_read_b128 v[76:79], v100 offset:6144
	s_load_dword s8, s[0:1], 0x50
	s_load_dword s9, s[0:1], 0x68
	v_add_u32_e32 v82, s10, v98
	v_add_u32_e32 v96, s11, v99
	s_waitcnt lgkmcnt(0)
	s_lshl_b64 s[0:1], s[14:15], 2
	v_pk_add_f32 v[0:1], v[16:17], v[76:77]
	s_add_u32 s0, s2, s0
	v_min3_f32 v2, v0, v1, v172
	v_pk_add_f32 v[0:1], v[18:19], v[78:79]
	s_addc_u32 s1, s3, s1
	v_min3_f32 v2, v0, v1, v2
	v_add_u32_e32 v80, 32, v82
	v_mad_i64_i32 v[0:1], s[2:3], v96, s9, 0
	v_ashrrev_i32_e32 v83, 31, v82
	v_ashrrev_i32_e32 v81, 31, v80
	v_lshl_add_u64 v[92:93], v[0:1], 2, s[0:1]
	v_mad_i64_i32 v[0:1], s[2:3], v96, s8, 0
	v_max_f32_e32 v2, v2, v2
	s_mov_b64 vcc, s[4:5]
	s_cbranch_vccz .LBB10_14
; %bb.13:
	v_min_f32_e32 v3, 0, v2
	v_lshl_add_u64 v[4:5], v[82:83], 2, v[92:93]
	s_mov_b32 s10, 0
	global_store_dword v[4:5], v3, off
	s_mov_b64 s[2:3], 0
	s_branch .LBB10_15
.LBB10_14:
	s_mov_b64 s[2:3], -1
                                        ; implicit-def: $sgpr10
.LBB10_15:
	ds_read_b128 v[12:15], v101 offset:2560
	ds_read_b128 v[8:11], v101 offset:3072
	v_lshl_add_u64 v[94:95], v[0:1], 2, s[6:7]
	s_andn2_b64 vcc, exec, s[2:3]
	v_lshlrev_b64 v[86:87], 2, v[82:83]
	s_cbranch_vccnz .LBB10_17
; %bb.16:
	v_lshl_add_u64 v[0:1], v[94:95], 0, v[86:87]
	flat_load_dword v3, v[0:1]
	v_lshl_add_u64 v[0:1], v[92:93], 0, v[86:87]
	s_waitcnt vmcnt(0) lgkmcnt(0)
	v_mul_f32_e32 v3, s13, v3
	v_min_f32_e32 v2, v3, v2
	global_store_dword v[0:1], v2, off
	v_lshl_add_u64 v[0:1], v[80:81], 2, v[94:95]
	flat_load_dword v0, v[0:1]
	s_waitcnt vmcnt(0) lgkmcnt(0)
	v_mul_f32_e32 v90, s13, v0
	s_branch .LBB10_18
.LBB10_17:
	v_mov_b32_e32 v90, s10
.LBB10_18:
	ds_read_b128 v[0:3], v101 offset:3584
	ds_read_b128 v[72:75], v100 offset:6272
	;; [unrolled: 1-line block ×16, first 2 shown]
	s_waitcnt lgkmcnt(14)
	v_pk_add_f32 v[84:85], v[12:13], v[76:77]
	s_mov_b64 vcc, s[4:5]
	v_min3_f32 v91, v84, v85, v171
	v_pk_add_f32 v[84:85], v[8:9], v[76:77]
	s_nop 0
	v_min3_f32 v88, v84, v85, v170
	v_pk_add_f32 v[84:85], v[14:15], v[78:79]
	s_nop 0
	v_min_f32_e32 v97, v84, v85
	v_pk_add_f32 v[84:85], v[10:11], v[78:79]
	v_min3_f32 v97, v90, v97, v91
	v_min3_f32 v98, v84, v85, v88
	v_add_u32_e32 v88, 64, v82
	v_add_u32_e32 v84, 0x60, v82
	v_lshl_add_u64 v[90:91], v[80:81], 2, v[92:93]
	v_ashrrev_i32_e32 v89, 31, v88
	v_ashrrev_i32_e32 v85, 31, v84
	global_store_dword v[90:91], v97, off
	v_max_f32_e32 v97, v98, v98
	s_cbranch_vccz .LBB10_21
; %bb.19:
	v_min_f32_e32 v98, 0, v97
	v_lshl_add_u64 v[90:91], v[88:89], 2, v[92:93]
	s_mov_b32 s10, 0
	global_store_dword v[90:91], v98, off
	v_lshlrev_b64 v[90:91], 2, v[88:89]
	s_cbranch_execz .LBB10_22
; %bb.20:
	v_mov_b32_e32 v94, s10
	s_branch .LBB10_23
.LBB10_21:
                                        ; implicit-def: $sgpr10
	v_lshlrev_b64 v[90:91], 2, v[88:89]
.LBB10_22:
	v_lshl_add_u64 v[98:99], v[94:95], 0, v[90:91]
	flat_load_dword v100, v[98:99]
	v_lshl_add_u64 v[98:99], v[92:93], 0, v[90:91]
	v_lshl_add_u64 v[94:95], v[84:85], 2, v[94:95]
	s_waitcnt vmcnt(0) lgkmcnt(0)
	v_mul_f32_e32 v100, s13, v100
	v_min_f32_e32 v97, v100, v97
	global_store_dword v[98:99], v97, off
	flat_load_dword v94, v[94:95]
	s_waitcnt vmcnt(0) lgkmcnt(0)
	v_mul_f32_e32 v94, s13, v94
.LBB10_23:
	v_pk_add_f32 v[76:77], v[0:1], v[76:77]
	s_mov_b64 vcc, s[4:5]
	v_min3_f32 v95, v76, v77, v168
	v_pk_add_f32 v[76:77], v[16:17], v[72:73]
	s_nop 0
	v_min3_f32 v97, v76, v77, v169
	v_pk_add_f32 v[76:77], v[2:3], v[78:79]
	s_nop 0
	v_min_f32_e32 v78, v76, v77
	v_pk_add_f32 v[76:77], v[18:19], v[74:75]
	v_min3_f32 v78, v94, v78, v95
	v_min3_f32 v97, v76, v77, v97
	v_lshl_add_u64 v[76:77], v[84:85], 2, v[92:93]
	global_store_dword v[76:77], v78, off
	v_add_u32_e32 v78, 8, v96
	v_mad_i64_i32 v[76:77], s[2:3], v78, s9, 0
	v_lshl_add_u64 v[76:77], v[76:77], 2, s[0:1]
	v_mad_i64_i32 v[78:79], s[2:3], v78, s8, 0
	v_max_f32_e32 v92, v97, v97
	s_cbranch_vccz .LBB10_26
; %bb.24:
	v_min_f32_e32 v93, 0, v92
	v_lshl_add_u64 v[94:95], v[82:83], 2, v[76:77]
	s_mov_b32 s10, 0
	global_store_dword v[94:95], v93, off
	v_lshl_add_u64 v[78:79], v[78:79], 2, s[6:7]
	s_cbranch_execz .LBB10_27
; %bb.25:
	v_mov_b32_e32 v92, s10
	s_branch .LBB10_28
.LBB10_26:
                                        ; implicit-def: $sgpr10
	v_lshl_add_u64 v[78:79], v[78:79], 2, s[6:7]
.LBB10_27:
	v_lshl_add_u64 v[94:95], v[78:79], 0, v[86:87]
	flat_load_dword v93, v[94:95]
	v_lshl_add_u64 v[94:95], v[76:77], 0, v[86:87]
	s_waitcnt vmcnt(0) lgkmcnt(0)
	v_mul_f32_e32 v93, s13, v93
	v_min_f32_e32 v92, v93, v92
	global_store_dword v[94:95], v92, off
	v_lshl_add_u64 v[92:93], v[80:81], 2, v[78:79]
	flat_load_dword v92, v[92:93]
	s_waitcnt vmcnt(0) lgkmcnt(0)
	v_mul_f32_e32 v92, s13, v92
.LBB10_28:
	v_pk_add_f32 v[94:95], v[12:13], v[72:73]
	s_mov_b64 vcc, s[4:5]
	v_min3_f32 v93, v94, v95, v166
	v_pk_add_f32 v[94:95], v[8:9], v[72:73]
	s_nop 0
	v_min3_f32 v97, v94, v95, v167
	v_pk_add_f32 v[94:95], v[14:15], v[74:75]
	s_nop 0
	v_min_f32_e32 v98, v94, v95
	v_pk_add_f32 v[94:95], v[10:11], v[74:75]
	s_nop 0
	v_min3_f32 v94, v94, v95, v97
	v_min3_f32 v95, v92, v98, v93
	v_lshl_add_u64 v[92:93], v[80:81], 2, v[76:77]
	global_store_dword v[92:93], v95, off
	v_max_f32_e32 v92, v94, v94
	s_cbranch_vccz .LBB10_31
; %bb.29:
	v_min_f32_e32 v93, 0, v92
	v_lshl_add_u64 v[94:95], v[88:89], 2, v[76:77]
	s_mov_b32 s10, 0
	global_store_dword v[94:95], v93, off
	s_cbranch_execz .LBB10_32
; %bb.30:
	v_mov_b32_e32 v78, s10
	s_branch .LBB10_33
.LBB10_31:
                                        ; implicit-def: $sgpr10
.LBB10_32:
	v_lshl_add_u64 v[94:95], v[78:79], 0, v[90:91]
	flat_load_dword v93, v[94:95]
	v_lshl_add_u64 v[94:95], v[76:77], 0, v[90:91]
	v_lshl_add_u64 v[78:79], v[84:85], 2, v[78:79]
	s_waitcnt vmcnt(0) lgkmcnt(0)
	v_mul_f32_e32 v93, s13, v93
	v_min_f32_e32 v92, v93, v92
	global_store_dword v[94:95], v92, off
	flat_load_dword v78, v[78:79]
	s_waitcnt vmcnt(0) lgkmcnt(0)
	v_mul_f32_e32 v78, s13, v78
.LBB10_33:
	v_pk_add_f32 v[72:73], v[0:1], v[72:73]
	s_mov_b64 vcc, s[4:5]
	v_min3_f32 v79, v72, v73, v164
	s_waitcnt lgkmcnt(13)
	v_pk_add_f32 v[72:73], v[16:17], v[68:69]
	s_nop 0
	v_min3_f32 v92, v72, v73, v165
	v_pk_add_f32 v[72:73], v[2:3], v[74:75]
	s_nop 0
	v_min_f32_e32 v74, v72, v73
	v_pk_add_f32 v[72:73], v[18:19], v[70:71]
	v_min3_f32 v74, v78, v74, v79
	v_min3_f32 v92, v72, v73, v92
	v_lshl_add_u64 v[72:73], v[84:85], 2, v[76:77]
	global_store_dword v[72:73], v74, off
	v_add_u32_e32 v74, 16, v96
	v_mad_i64_i32 v[72:73], s[2:3], v74, s9, 0
	v_lshl_add_u64 v[72:73], v[72:73], 2, s[0:1]
	v_mad_i64_i32 v[74:75], s[2:3], v74, s8, 0
	v_max_f32_e32 v76, v92, v92
	s_cbranch_vccz .LBB10_36
; %bb.34:
	v_min_f32_e32 v77, 0, v76
	v_lshl_add_u64 v[78:79], v[82:83], 2, v[72:73]
	s_mov_b32 s10, 0
	global_store_dword v[78:79], v77, off
	v_lshl_add_u64 v[74:75], v[74:75], 2, s[6:7]
	s_cbranch_execz .LBB10_37
; %bb.35:
	v_mov_b32_e32 v76, s10
	s_branch .LBB10_38
.LBB10_36:
                                        ; implicit-def: $sgpr10
	v_lshl_add_u64 v[74:75], v[74:75], 2, s[6:7]
.LBB10_37:
	v_lshl_add_u64 v[78:79], v[74:75], 0, v[86:87]
	flat_load_dword v77, v[78:79]
	v_lshl_add_u64 v[78:79], v[72:73], 0, v[86:87]
	s_waitcnt vmcnt(0) lgkmcnt(0)
	v_mul_f32_e32 v77, s13, v77
	v_min_f32_e32 v76, v77, v76
	global_store_dword v[78:79], v76, off
	v_lshl_add_u64 v[76:77], v[80:81], 2, v[74:75]
	flat_load_dword v76, v[76:77]
	s_waitcnt vmcnt(0) lgkmcnt(0)
	v_mul_f32_e32 v76, s13, v76
.LBB10_38:
	v_pk_add_f32 v[78:79], v[12:13], v[68:69]
	s_mov_b64 vcc, s[4:5]
	v_min3_f32 v77, v78, v79, v162
	v_pk_add_f32 v[78:79], v[8:9], v[68:69]
	s_nop 0
	v_min3_f32 v92, v78, v79, v163
	v_pk_add_f32 v[78:79], v[14:15], v[70:71]
	s_nop 0
	v_min_f32_e32 v93, v78, v79
	v_pk_add_f32 v[78:79], v[10:11], v[70:71]
	s_nop 0
	v_min3_f32 v78, v78, v79, v92
	v_min3_f32 v79, v76, v93, v77
	v_lshl_add_u64 v[76:77], v[80:81], 2, v[72:73]
	global_store_dword v[76:77], v79, off
	v_max_f32_e32 v76, v78, v78
	s_cbranch_vccz .LBB10_41
; %bb.39:
	v_min_f32_e32 v77, 0, v76
	v_lshl_add_u64 v[78:79], v[88:89], 2, v[72:73]
	s_mov_b32 s10, 0
	global_store_dword v[78:79], v77, off
	s_cbranch_execz .LBB10_42
; %bb.40:
	v_mov_b32_e32 v74, s10
	s_branch .LBB10_43
.LBB10_41:
                                        ; implicit-def: $sgpr10
.LBB10_42:
	v_lshl_add_u64 v[78:79], v[74:75], 0, v[90:91]
	flat_load_dword v77, v[78:79]
	v_lshl_add_u64 v[78:79], v[72:73], 0, v[90:91]
	v_lshl_add_u64 v[74:75], v[84:85], 2, v[74:75]
	s_waitcnt vmcnt(0) lgkmcnt(0)
	v_mul_f32_e32 v77, s13, v77
	v_min_f32_e32 v76, v77, v76
	global_store_dword v[78:79], v76, off
	flat_load_dword v74, v[74:75]
	s_waitcnt vmcnt(0) lgkmcnt(0)
	v_mul_f32_e32 v74, s13, v74
.LBB10_43:
	v_pk_add_f32 v[68:69], v[0:1], v[68:69]
	s_mov_b64 vcc, s[4:5]
	v_min3_f32 v75, v68, v69, v160
	s_waitcnt lgkmcnt(12)
	v_pk_add_f32 v[68:69], v[16:17], v[64:65]
	s_nop 0
	v_min3_f32 v76, v68, v69, v161
	v_pk_add_f32 v[68:69], v[2:3], v[70:71]
	s_nop 0
	v_min_f32_e32 v70, v68, v69
	v_pk_add_f32 v[68:69], v[18:19], v[66:67]
	v_min3_f32 v70, v74, v70, v75
	v_min3_f32 v76, v68, v69, v76
	v_lshl_add_u64 v[68:69], v[84:85], 2, v[72:73]
	global_store_dword v[68:69], v70, off
	v_add_u32_e32 v70, 24, v96
	v_mad_i64_i32 v[68:69], s[2:3], v70, s9, 0
	v_lshl_add_u64 v[68:69], v[68:69], 2, s[0:1]
	v_mad_i64_i32 v[70:71], s[2:3], v70, s8, 0
	v_max_f32_e32 v72, v76, v76
	s_cbranch_vccz .LBB10_46
; %bb.44:
	v_min_f32_e32 v73, 0, v72
	v_lshl_add_u64 v[74:75], v[82:83], 2, v[68:69]
	s_mov_b32 s10, 0
	global_store_dword v[74:75], v73, off
	v_lshl_add_u64 v[70:71], v[70:71], 2, s[6:7]
	s_cbranch_execz .LBB10_47
; %bb.45:
	v_mov_b32_e32 v72, s10
	s_branch .LBB10_48
.LBB10_46:
                                        ; implicit-def: $sgpr10
	v_lshl_add_u64 v[70:71], v[70:71], 2, s[6:7]
.LBB10_47:
	v_lshl_add_u64 v[74:75], v[70:71], 0, v[86:87]
	flat_load_dword v73, v[74:75]
	v_lshl_add_u64 v[74:75], v[68:69], 0, v[86:87]
	s_waitcnt vmcnt(0) lgkmcnt(0)
	v_mul_f32_e32 v73, s13, v73
	v_min_f32_e32 v72, v73, v72
	global_store_dword v[74:75], v72, off
	v_lshl_add_u64 v[72:73], v[80:81], 2, v[70:71]
	flat_load_dword v72, v[72:73]
	s_waitcnt vmcnt(0) lgkmcnt(0)
	v_mul_f32_e32 v72, s13, v72
.LBB10_48:
	v_pk_add_f32 v[74:75], v[12:13], v[64:65]
	s_mov_b64 vcc, s[4:5]
	v_min3_f32 v73, v74, v75, v158
	v_pk_add_f32 v[74:75], v[8:9], v[64:65]
	s_nop 0
	v_min3_f32 v76, v74, v75, v159
	v_pk_add_f32 v[74:75], v[14:15], v[66:67]
	s_nop 0
	v_min_f32_e32 v77, v74, v75
	v_pk_add_f32 v[74:75], v[10:11], v[66:67]
	s_nop 0
	v_min3_f32 v74, v74, v75, v76
	v_min3_f32 v75, v72, v77, v73
	v_lshl_add_u64 v[72:73], v[80:81], 2, v[68:69]
	global_store_dword v[72:73], v75, off
	v_max_f32_e32 v72, v74, v74
	s_cbranch_vccz .LBB10_51
; %bb.49:
	v_min_f32_e32 v73, 0, v72
	v_lshl_add_u64 v[74:75], v[88:89], 2, v[68:69]
	s_mov_b32 s10, 0
	global_store_dword v[74:75], v73, off
	s_cbranch_execz .LBB10_52
; %bb.50:
	v_mov_b32_e32 v70, s10
	s_branch .LBB10_53
.LBB10_51:
                                        ; implicit-def: $sgpr10
.LBB10_52:
	v_lshl_add_u64 v[74:75], v[70:71], 0, v[90:91]
	flat_load_dword v73, v[74:75]
	v_lshl_add_u64 v[74:75], v[68:69], 0, v[90:91]
	v_lshl_add_u64 v[70:71], v[84:85], 2, v[70:71]
	s_waitcnt vmcnt(0) lgkmcnt(0)
	v_mul_f32_e32 v73, s13, v73
	v_min_f32_e32 v72, v73, v72
	global_store_dword v[74:75], v72, off
	flat_load_dword v70, v[70:71]
	s_waitcnt vmcnt(0) lgkmcnt(0)
	v_mul_f32_e32 v70, s13, v70
.LBB10_53:
	v_pk_add_f32 v[64:65], v[0:1], v[64:65]
	s_mov_b64 vcc, s[4:5]
	v_min3_f32 v71, v64, v65, v156
	s_waitcnt lgkmcnt(11)
	v_pk_add_f32 v[64:65], v[16:17], v[60:61]
	s_nop 0
	v_min3_f32 v72, v64, v65, v157
	v_pk_add_f32 v[64:65], v[2:3], v[66:67]
	s_nop 0
	v_min_f32_e32 v66, v64, v65
	v_pk_add_f32 v[64:65], v[18:19], v[62:63]
	v_min3_f32 v66, v70, v66, v71
	v_min3_f32 v72, v64, v65, v72
	v_lshl_add_u64 v[64:65], v[84:85], 2, v[68:69]
	global_store_dword v[64:65], v66, off
	v_add_u32_e32 v66, 32, v96
	v_mad_i64_i32 v[64:65], s[2:3], v66, s9, 0
	v_lshl_add_u64 v[64:65], v[64:65], 2, s[0:1]
	v_mad_i64_i32 v[66:67], s[2:3], v66, s8, 0
	v_max_f32_e32 v68, v72, v72
	s_cbranch_vccz .LBB10_56
; %bb.54:
	v_min_f32_e32 v69, 0, v68
	v_lshl_add_u64 v[70:71], v[82:83], 2, v[64:65]
	s_mov_b32 s10, 0
	global_store_dword v[70:71], v69, off
	v_lshl_add_u64 v[66:67], v[66:67], 2, s[6:7]
	s_cbranch_execz .LBB10_57
; %bb.55:
	v_mov_b32_e32 v68, s10
	s_branch .LBB10_58
.LBB10_56:
                                        ; implicit-def: $sgpr10
	v_lshl_add_u64 v[66:67], v[66:67], 2, s[6:7]
.LBB10_57:
	v_lshl_add_u64 v[70:71], v[66:67], 0, v[86:87]
	flat_load_dword v69, v[70:71]
	v_lshl_add_u64 v[70:71], v[64:65], 0, v[86:87]
	s_waitcnt vmcnt(0) lgkmcnt(0)
	v_mul_f32_e32 v69, s13, v69
	v_min_f32_e32 v68, v69, v68
	global_store_dword v[70:71], v68, off
	v_lshl_add_u64 v[68:69], v[80:81], 2, v[66:67]
	flat_load_dword v68, v[68:69]
	s_waitcnt vmcnt(0) lgkmcnt(0)
	v_mul_f32_e32 v68, s13, v68
.LBB10_58:
	v_pk_add_f32 v[70:71], v[12:13], v[60:61]
	s_mov_b64 vcc, s[4:5]
	v_min3_f32 v69, v70, v71, v154
	v_pk_add_f32 v[70:71], v[8:9], v[60:61]
	s_nop 0
	v_min3_f32 v72, v70, v71, v155
	v_pk_add_f32 v[70:71], v[14:15], v[62:63]
	s_nop 0
	v_min_f32_e32 v73, v70, v71
	v_pk_add_f32 v[70:71], v[10:11], v[62:63]
	s_nop 0
	v_min3_f32 v70, v70, v71, v72
	v_min3_f32 v71, v68, v73, v69
	v_lshl_add_u64 v[68:69], v[80:81], 2, v[64:65]
	global_store_dword v[68:69], v71, off
	v_max_f32_e32 v68, v70, v70
	s_cbranch_vccz .LBB10_61
; %bb.59:
	v_min_f32_e32 v69, 0, v68
	v_lshl_add_u64 v[70:71], v[88:89], 2, v[64:65]
	s_mov_b32 s10, 0
	global_store_dword v[70:71], v69, off
	s_cbranch_execz .LBB10_62
; %bb.60:
	v_mov_b32_e32 v66, s10
	s_branch .LBB10_63
.LBB10_61:
                                        ; implicit-def: $sgpr10
.LBB10_62:
	v_lshl_add_u64 v[70:71], v[66:67], 0, v[90:91]
	flat_load_dword v69, v[70:71]
	v_lshl_add_u64 v[70:71], v[64:65], 0, v[90:91]
	v_lshl_add_u64 v[66:67], v[84:85], 2, v[66:67]
	s_waitcnt vmcnt(0) lgkmcnt(0)
	v_mul_f32_e32 v69, s13, v69
	v_min_f32_e32 v68, v69, v68
	global_store_dword v[70:71], v68, off
	flat_load_dword v66, v[66:67]
	s_waitcnt vmcnt(0) lgkmcnt(0)
	v_mul_f32_e32 v66, s13, v66
.LBB10_63:
	v_pk_add_f32 v[60:61], v[0:1], v[60:61]
	s_mov_b64 vcc, s[4:5]
	v_min3_f32 v67, v60, v61, v152
	s_waitcnt lgkmcnt(10)
	v_pk_add_f32 v[60:61], v[16:17], v[56:57]
	s_nop 0
	v_min3_f32 v68, v60, v61, v153
	v_pk_add_f32 v[60:61], v[2:3], v[62:63]
	s_nop 0
	v_min_f32_e32 v62, v60, v61
	v_pk_add_f32 v[60:61], v[18:19], v[58:59]
	v_min3_f32 v62, v66, v62, v67
	v_min3_f32 v68, v60, v61, v68
	v_lshl_add_u64 v[60:61], v[84:85], 2, v[64:65]
	global_store_dword v[60:61], v62, off
	v_add_u32_e32 v62, 40, v96
	v_mad_i64_i32 v[60:61], s[2:3], v62, s9, 0
	v_lshl_add_u64 v[60:61], v[60:61], 2, s[0:1]
	v_mad_i64_i32 v[62:63], s[2:3], v62, s8, 0
	v_max_f32_e32 v64, v68, v68
	s_cbranch_vccz .LBB10_66
; %bb.64:
	v_min_f32_e32 v65, 0, v64
	v_lshl_add_u64 v[66:67], v[82:83], 2, v[60:61]
	s_mov_b32 s10, 0
	global_store_dword v[66:67], v65, off
	v_lshl_add_u64 v[62:63], v[62:63], 2, s[6:7]
	s_cbranch_execz .LBB10_67
; %bb.65:
	v_mov_b32_e32 v64, s10
	s_branch .LBB10_68
.LBB10_66:
                                        ; implicit-def: $sgpr10
	v_lshl_add_u64 v[62:63], v[62:63], 2, s[6:7]
.LBB10_67:
	v_lshl_add_u64 v[66:67], v[62:63], 0, v[86:87]
	flat_load_dword v65, v[66:67]
	v_lshl_add_u64 v[66:67], v[60:61], 0, v[86:87]
	s_waitcnt vmcnt(0) lgkmcnt(0)
	v_mul_f32_e32 v65, s13, v65
	v_min_f32_e32 v64, v65, v64
	global_store_dword v[66:67], v64, off
	v_lshl_add_u64 v[64:65], v[80:81], 2, v[62:63]
	flat_load_dword v64, v[64:65]
	s_waitcnt vmcnt(0) lgkmcnt(0)
	v_mul_f32_e32 v64, s13, v64
.LBB10_68:
	v_pk_add_f32 v[66:67], v[12:13], v[56:57]
	s_mov_b64 vcc, s[4:5]
	v_min3_f32 v65, v66, v67, v150
	v_pk_add_f32 v[66:67], v[8:9], v[56:57]
	s_nop 0
	v_min3_f32 v68, v66, v67, v151
	v_pk_add_f32 v[66:67], v[14:15], v[58:59]
	s_nop 0
	v_min_f32_e32 v69, v66, v67
	v_pk_add_f32 v[66:67], v[10:11], v[58:59]
	s_nop 0
	v_min3_f32 v66, v66, v67, v68
	v_min3_f32 v67, v64, v69, v65
	v_lshl_add_u64 v[64:65], v[80:81], 2, v[60:61]
	global_store_dword v[64:65], v67, off
	v_max_f32_e32 v64, v66, v66
	s_cbranch_vccz .LBB10_71
; %bb.69:
	v_min_f32_e32 v65, 0, v64
	v_lshl_add_u64 v[66:67], v[88:89], 2, v[60:61]
	s_mov_b32 s10, 0
	global_store_dword v[66:67], v65, off
	s_cbranch_execz .LBB10_72
; %bb.70:
	v_mov_b32_e32 v62, s10
	s_branch .LBB10_73
.LBB10_71:
                                        ; implicit-def: $sgpr10
.LBB10_72:
	v_lshl_add_u64 v[66:67], v[62:63], 0, v[90:91]
	flat_load_dword v65, v[66:67]
	v_lshl_add_u64 v[66:67], v[60:61], 0, v[90:91]
	v_lshl_add_u64 v[62:63], v[84:85], 2, v[62:63]
	s_waitcnt vmcnt(0) lgkmcnt(0)
	v_mul_f32_e32 v65, s13, v65
	v_min_f32_e32 v64, v65, v64
	global_store_dword v[66:67], v64, off
	flat_load_dword v62, v[62:63]
	s_waitcnt vmcnt(0) lgkmcnt(0)
	v_mul_f32_e32 v62, s13, v62
.LBB10_73:
	v_pk_add_f32 v[56:57], v[0:1], v[56:57]
	s_mov_b64 vcc, s[4:5]
	v_min3_f32 v63, v56, v57, v148
	s_waitcnt lgkmcnt(9)
	v_pk_add_f32 v[56:57], v[16:17], v[52:53]
	s_nop 0
	v_min3_f32 v64, v56, v57, v149
	v_pk_add_f32 v[56:57], v[2:3], v[58:59]
	s_nop 0
	v_min_f32_e32 v58, v56, v57
	v_pk_add_f32 v[56:57], v[18:19], v[54:55]
	v_min3_f32 v58, v62, v58, v63
	v_min3_f32 v64, v56, v57, v64
	v_lshl_add_u64 v[56:57], v[84:85], 2, v[60:61]
	global_store_dword v[56:57], v58, off
	v_add_u32_e32 v58, 48, v96
	v_mad_i64_i32 v[56:57], s[2:3], v58, s9, 0
	v_lshl_add_u64 v[56:57], v[56:57], 2, s[0:1]
	v_mad_i64_i32 v[58:59], s[2:3], v58, s8, 0
	v_max_f32_e32 v60, v64, v64
	s_cbranch_vccz .LBB10_76
; %bb.74:
	v_min_f32_e32 v61, 0, v60
	v_lshl_add_u64 v[62:63], v[82:83], 2, v[56:57]
	s_mov_b32 s10, 0
	global_store_dword v[62:63], v61, off
	v_lshl_add_u64 v[58:59], v[58:59], 2, s[6:7]
	s_cbranch_execz .LBB10_77
; %bb.75:
	v_mov_b32_e32 v60, s10
	s_branch .LBB10_78
.LBB10_76:
                                        ; implicit-def: $sgpr10
	v_lshl_add_u64 v[58:59], v[58:59], 2, s[6:7]
.LBB10_77:
	v_lshl_add_u64 v[62:63], v[58:59], 0, v[86:87]
	flat_load_dword v61, v[62:63]
	v_lshl_add_u64 v[62:63], v[56:57], 0, v[86:87]
	s_waitcnt vmcnt(0) lgkmcnt(0)
	v_mul_f32_e32 v61, s13, v61
	v_min_f32_e32 v60, v61, v60
	global_store_dword v[62:63], v60, off
	v_lshl_add_u64 v[60:61], v[80:81], 2, v[58:59]
	flat_load_dword v60, v[60:61]
	s_waitcnt vmcnt(0) lgkmcnt(0)
	v_mul_f32_e32 v60, s13, v60
.LBB10_78:
	v_pk_add_f32 v[62:63], v[12:13], v[52:53]
	s_mov_b64 vcc, s[4:5]
	v_min3_f32 v61, v62, v63, v146
	v_pk_add_f32 v[62:63], v[8:9], v[52:53]
	s_nop 0
	v_min3_f32 v64, v62, v63, v147
	v_pk_add_f32 v[62:63], v[14:15], v[54:55]
	s_nop 0
	v_min_f32_e32 v65, v62, v63
	v_pk_add_f32 v[62:63], v[10:11], v[54:55]
	s_nop 0
	v_min3_f32 v62, v62, v63, v64
	v_min3_f32 v63, v60, v65, v61
	v_lshl_add_u64 v[60:61], v[80:81], 2, v[56:57]
	global_store_dword v[60:61], v63, off
	v_max_f32_e32 v60, v62, v62
	s_cbranch_vccz .LBB10_81
; %bb.79:
	v_min_f32_e32 v61, 0, v60
	v_lshl_add_u64 v[62:63], v[88:89], 2, v[56:57]
	s_mov_b32 s10, 0
	global_store_dword v[62:63], v61, off
	s_cbranch_execz .LBB10_82
; %bb.80:
	v_mov_b32_e32 v58, s10
	s_branch .LBB10_83
.LBB10_81:
                                        ; implicit-def: $sgpr10
.LBB10_82:
	v_lshl_add_u64 v[62:63], v[58:59], 0, v[90:91]
	flat_load_dword v61, v[62:63]
	v_lshl_add_u64 v[62:63], v[56:57], 0, v[90:91]
	v_lshl_add_u64 v[58:59], v[84:85], 2, v[58:59]
	s_waitcnt vmcnt(0) lgkmcnt(0)
	v_mul_f32_e32 v61, s13, v61
	v_min_f32_e32 v60, v61, v60
	global_store_dword v[62:63], v60, off
	flat_load_dword v58, v[58:59]
	s_waitcnt vmcnt(0) lgkmcnt(0)
	v_mul_f32_e32 v58, s13, v58
.LBB10_83:
	v_pk_add_f32 v[52:53], v[0:1], v[52:53]
	s_mov_b64 vcc, s[4:5]
	v_min3_f32 v59, v52, v53, v144
	s_waitcnt lgkmcnt(8)
	v_pk_add_f32 v[52:53], v[16:17], v[48:49]
	s_nop 0
	v_min3_f32 v60, v52, v53, v145
	v_pk_add_f32 v[52:53], v[2:3], v[54:55]
	s_nop 0
	v_min_f32_e32 v54, v52, v53
	v_pk_add_f32 v[52:53], v[18:19], v[50:51]
	v_min3_f32 v54, v58, v54, v59
	v_min3_f32 v60, v52, v53, v60
	v_lshl_add_u64 v[52:53], v[84:85], 2, v[56:57]
	global_store_dword v[52:53], v54, off
	v_add_u32_e32 v54, 56, v96
	v_mad_i64_i32 v[52:53], s[2:3], v54, s9, 0
	v_lshl_add_u64 v[52:53], v[52:53], 2, s[0:1]
	v_mad_i64_i32 v[54:55], s[2:3], v54, s8, 0
	v_max_f32_e32 v56, v60, v60
	s_cbranch_vccz .LBB10_86
; %bb.84:
	v_min_f32_e32 v57, 0, v56
	v_lshl_add_u64 v[58:59], v[82:83], 2, v[52:53]
	s_mov_b32 s10, 0
	global_store_dword v[58:59], v57, off
	v_lshl_add_u64 v[54:55], v[54:55], 2, s[6:7]
	s_cbranch_execz .LBB10_87
; %bb.85:
	v_mov_b32_e32 v56, s10
	s_branch .LBB10_88
.LBB10_86:
                                        ; implicit-def: $sgpr10
	v_lshl_add_u64 v[54:55], v[54:55], 2, s[6:7]
.LBB10_87:
	v_lshl_add_u64 v[58:59], v[54:55], 0, v[86:87]
	flat_load_dword v57, v[58:59]
	v_lshl_add_u64 v[58:59], v[52:53], 0, v[86:87]
	s_waitcnt vmcnt(0) lgkmcnt(0)
	v_mul_f32_e32 v57, s13, v57
	v_min_f32_e32 v56, v57, v56
	global_store_dword v[58:59], v56, off
	v_lshl_add_u64 v[56:57], v[80:81], 2, v[54:55]
	flat_load_dword v56, v[56:57]
	s_waitcnt vmcnt(0) lgkmcnt(0)
	v_mul_f32_e32 v56, s13, v56
.LBB10_88:
	v_pk_add_f32 v[58:59], v[12:13], v[48:49]
	s_mov_b64 vcc, s[4:5]
	v_min3_f32 v57, v58, v59, v142
	v_pk_add_f32 v[58:59], v[8:9], v[48:49]
	s_nop 0
	v_min3_f32 v60, v58, v59, v143
	v_pk_add_f32 v[58:59], v[14:15], v[50:51]
	s_nop 0
	v_min_f32_e32 v61, v58, v59
	v_pk_add_f32 v[58:59], v[10:11], v[50:51]
	s_nop 0
	v_min3_f32 v58, v58, v59, v60
	v_min3_f32 v59, v56, v61, v57
	v_lshl_add_u64 v[56:57], v[80:81], 2, v[52:53]
	global_store_dword v[56:57], v59, off
	v_max_f32_e32 v56, v58, v58
	s_cbranch_vccz .LBB10_91
; %bb.89:
	v_min_f32_e32 v57, 0, v56
	v_lshl_add_u64 v[58:59], v[88:89], 2, v[52:53]
	s_mov_b32 s10, 0
	global_store_dword v[58:59], v57, off
	s_cbranch_execz .LBB10_92
; %bb.90:
	v_mov_b32_e32 v54, s10
	s_branch .LBB10_93
.LBB10_91:
                                        ; implicit-def: $sgpr10
.LBB10_92:
	v_lshl_add_u64 v[58:59], v[54:55], 0, v[90:91]
	flat_load_dword v57, v[58:59]
	v_lshl_add_u64 v[58:59], v[52:53], 0, v[90:91]
	v_lshl_add_u64 v[54:55], v[84:85], 2, v[54:55]
	s_waitcnt vmcnt(0) lgkmcnt(0)
	v_mul_f32_e32 v57, s13, v57
	v_min_f32_e32 v56, v57, v56
	global_store_dword v[58:59], v56, off
	flat_load_dword v54, v[54:55]
	s_waitcnt vmcnt(0) lgkmcnt(0)
	v_mul_f32_e32 v54, s13, v54
.LBB10_93:
	v_pk_add_f32 v[48:49], v[0:1], v[48:49]
	s_mov_b64 vcc, s[4:5]
	v_min3_f32 v55, v48, v49, v140
	s_waitcnt lgkmcnt(7)
	v_pk_add_f32 v[48:49], v[16:17], v[44:45]
	s_nop 0
	v_min3_f32 v56, v48, v49, v141
	v_pk_add_f32 v[48:49], v[2:3], v[50:51]
	s_nop 0
	v_min_f32_e32 v50, v48, v49
	v_pk_add_f32 v[48:49], v[18:19], v[46:47]
	v_min3_f32 v50, v54, v50, v55
	v_min3_f32 v56, v48, v49, v56
	v_lshl_add_u64 v[48:49], v[84:85], 2, v[52:53]
	global_store_dword v[48:49], v50, off
	v_add_u32_e32 v50, 64, v96
	v_mad_i64_i32 v[48:49], s[2:3], v50, s9, 0
	v_lshl_add_u64 v[48:49], v[48:49], 2, s[0:1]
	v_mad_i64_i32 v[50:51], s[2:3], v50, s8, 0
	v_max_f32_e32 v52, v56, v56
	s_cbranch_vccz .LBB10_96
; %bb.94:
	v_min_f32_e32 v53, 0, v52
	v_lshl_add_u64 v[54:55], v[82:83], 2, v[48:49]
	s_mov_b32 s10, 0
	global_store_dword v[54:55], v53, off
	v_lshl_add_u64 v[50:51], v[50:51], 2, s[6:7]
	s_cbranch_execz .LBB10_97
; %bb.95:
	v_mov_b32_e32 v52, s10
	s_branch .LBB10_98
.LBB10_96:
                                        ; implicit-def: $sgpr10
	v_lshl_add_u64 v[50:51], v[50:51], 2, s[6:7]
.LBB10_97:
	v_lshl_add_u64 v[54:55], v[50:51], 0, v[86:87]
	flat_load_dword v53, v[54:55]
	v_lshl_add_u64 v[54:55], v[48:49], 0, v[86:87]
	s_waitcnt vmcnt(0) lgkmcnt(0)
	v_mul_f32_e32 v53, s13, v53
	v_min_f32_e32 v52, v53, v52
	global_store_dword v[54:55], v52, off
	v_lshl_add_u64 v[52:53], v[80:81], 2, v[50:51]
	flat_load_dword v52, v[52:53]
	s_waitcnt vmcnt(0) lgkmcnt(0)
	v_mul_f32_e32 v52, s13, v52
.LBB10_98:
	v_pk_add_f32 v[54:55], v[12:13], v[44:45]
	s_mov_b64 vcc, s[4:5]
	v_min3_f32 v53, v54, v55, v138
	v_pk_add_f32 v[54:55], v[8:9], v[44:45]
	s_nop 0
	v_min3_f32 v56, v54, v55, v139
	v_pk_add_f32 v[54:55], v[14:15], v[46:47]
	s_nop 0
	v_min_f32_e32 v57, v54, v55
	v_pk_add_f32 v[54:55], v[10:11], v[46:47]
	s_nop 0
	v_min3_f32 v54, v54, v55, v56
	v_min3_f32 v55, v52, v57, v53
	v_lshl_add_u64 v[52:53], v[80:81], 2, v[48:49]
	global_store_dword v[52:53], v55, off
	v_max_f32_e32 v52, v54, v54
	s_cbranch_vccz .LBB10_101
; %bb.99:
	v_min_f32_e32 v53, 0, v52
	v_lshl_add_u64 v[54:55], v[88:89], 2, v[48:49]
	s_mov_b32 s10, 0
	global_store_dword v[54:55], v53, off
	s_cbranch_execz .LBB10_102
; %bb.100:
	v_mov_b32_e32 v50, s10
	s_branch .LBB10_103
.LBB10_101:
                                        ; implicit-def: $sgpr10
.LBB10_102:
	v_lshl_add_u64 v[54:55], v[50:51], 0, v[90:91]
	flat_load_dword v53, v[54:55]
	v_lshl_add_u64 v[54:55], v[48:49], 0, v[90:91]
	v_lshl_add_u64 v[50:51], v[84:85], 2, v[50:51]
	s_waitcnt vmcnt(0) lgkmcnt(0)
	v_mul_f32_e32 v53, s13, v53
	v_min_f32_e32 v52, v53, v52
	global_store_dword v[54:55], v52, off
	flat_load_dword v50, v[50:51]
	s_waitcnt vmcnt(0) lgkmcnt(0)
	v_mul_f32_e32 v50, s13, v50
.LBB10_103:
	v_pk_add_f32 v[44:45], v[0:1], v[44:45]
	s_mov_b64 vcc, s[4:5]
	v_min3_f32 v51, v44, v45, v136
	s_waitcnt lgkmcnt(6)
	v_pk_add_f32 v[44:45], v[16:17], v[40:41]
	s_nop 0
	v_min3_f32 v52, v44, v45, v137
	v_pk_add_f32 v[44:45], v[2:3], v[46:47]
	s_nop 0
	v_min_f32_e32 v46, v44, v45
	v_pk_add_f32 v[44:45], v[18:19], v[42:43]
	v_min3_f32 v46, v50, v46, v51
	v_min3_f32 v52, v44, v45, v52
	v_lshl_add_u64 v[44:45], v[84:85], 2, v[48:49]
	global_store_dword v[44:45], v46, off
	v_add_u32_e32 v46, 0x48, v96
	v_mad_i64_i32 v[44:45], s[2:3], v46, s9, 0
	v_lshl_add_u64 v[44:45], v[44:45], 2, s[0:1]
	v_mad_i64_i32 v[46:47], s[2:3], v46, s8, 0
	v_max_f32_e32 v48, v52, v52
	s_cbranch_vccz .LBB10_106
; %bb.104:
	v_min_f32_e32 v49, 0, v48
	v_lshl_add_u64 v[50:51], v[82:83], 2, v[44:45]
	s_mov_b32 s10, 0
	global_store_dword v[50:51], v49, off
	v_lshl_add_u64 v[46:47], v[46:47], 2, s[6:7]
	s_cbranch_execz .LBB10_107
; %bb.105:
	v_mov_b32_e32 v48, s10
	s_branch .LBB10_108
.LBB10_106:
                                        ; implicit-def: $sgpr10
	v_lshl_add_u64 v[46:47], v[46:47], 2, s[6:7]
.LBB10_107:
	v_lshl_add_u64 v[50:51], v[46:47], 0, v[86:87]
	flat_load_dword v49, v[50:51]
	v_lshl_add_u64 v[50:51], v[44:45], 0, v[86:87]
	s_waitcnt vmcnt(0) lgkmcnt(0)
	v_mul_f32_e32 v49, s13, v49
	v_min_f32_e32 v48, v49, v48
	global_store_dword v[50:51], v48, off
	v_lshl_add_u64 v[48:49], v[80:81], 2, v[46:47]
	flat_load_dword v48, v[48:49]
	s_waitcnt vmcnt(0) lgkmcnt(0)
	v_mul_f32_e32 v48, s13, v48
.LBB10_108:
	v_pk_add_f32 v[50:51], v[12:13], v[40:41]
	s_mov_b64 vcc, s[4:5]
	v_min3_f32 v49, v50, v51, v134
	v_pk_add_f32 v[50:51], v[8:9], v[40:41]
	s_nop 0
	v_min3_f32 v52, v50, v51, v135
	v_pk_add_f32 v[50:51], v[14:15], v[42:43]
	s_nop 0
	v_min_f32_e32 v53, v50, v51
	v_pk_add_f32 v[50:51], v[10:11], v[42:43]
	s_nop 0
	v_min3_f32 v50, v50, v51, v52
	v_min3_f32 v51, v48, v53, v49
	v_lshl_add_u64 v[48:49], v[80:81], 2, v[44:45]
	global_store_dword v[48:49], v51, off
	v_max_f32_e32 v48, v50, v50
	s_cbranch_vccz .LBB10_111
; %bb.109:
	v_min_f32_e32 v49, 0, v48
	v_lshl_add_u64 v[50:51], v[88:89], 2, v[44:45]
	s_mov_b32 s10, 0
	global_store_dword v[50:51], v49, off
	s_cbranch_execz .LBB10_112
; %bb.110:
	v_mov_b32_e32 v46, s10
	s_branch .LBB10_113
.LBB10_111:
                                        ; implicit-def: $sgpr10
.LBB10_112:
	v_lshl_add_u64 v[50:51], v[46:47], 0, v[90:91]
	flat_load_dword v49, v[50:51]
	v_lshl_add_u64 v[50:51], v[44:45], 0, v[90:91]
	v_lshl_add_u64 v[46:47], v[84:85], 2, v[46:47]
	s_waitcnt vmcnt(0) lgkmcnt(0)
	v_mul_f32_e32 v49, s13, v49
	v_min_f32_e32 v48, v49, v48
	global_store_dword v[50:51], v48, off
	flat_load_dword v46, v[46:47]
	s_waitcnt vmcnt(0) lgkmcnt(0)
	v_mul_f32_e32 v46, s13, v46
.LBB10_113:
	v_pk_add_f32 v[40:41], v[0:1], v[40:41]
	s_mov_b64 vcc, s[4:5]
	v_min3_f32 v47, v40, v41, v132
	s_waitcnt lgkmcnt(5)
	v_pk_add_f32 v[40:41], v[16:17], v[36:37]
	s_nop 0
	v_min3_f32 v48, v40, v41, v133
	v_pk_add_f32 v[40:41], v[2:3], v[42:43]
	s_nop 0
	v_min_f32_e32 v42, v40, v41
	v_pk_add_f32 v[40:41], v[18:19], v[38:39]
	v_min3_f32 v42, v46, v42, v47
	v_min3_f32 v48, v40, v41, v48
	v_lshl_add_u64 v[40:41], v[84:85], 2, v[44:45]
	global_store_dword v[40:41], v42, off
	v_add_u32_e32 v42, 0x50, v96
	v_mad_i64_i32 v[40:41], s[2:3], v42, s9, 0
	v_lshl_add_u64 v[40:41], v[40:41], 2, s[0:1]
	v_mad_i64_i32 v[42:43], s[2:3], v42, s8, 0
	v_max_f32_e32 v44, v48, v48
	s_cbranch_vccz .LBB10_116
; %bb.114:
	v_min_f32_e32 v45, 0, v44
	v_lshl_add_u64 v[46:47], v[82:83], 2, v[40:41]
	s_mov_b32 s10, 0
	global_store_dword v[46:47], v45, off
	v_lshl_add_u64 v[42:43], v[42:43], 2, s[6:7]
	s_cbranch_execz .LBB10_117
; %bb.115:
	v_mov_b32_e32 v44, s10
	s_branch .LBB10_118
.LBB10_116:
                                        ; implicit-def: $sgpr10
	v_lshl_add_u64 v[42:43], v[42:43], 2, s[6:7]
.LBB10_117:
	v_lshl_add_u64 v[46:47], v[42:43], 0, v[86:87]
	flat_load_dword v45, v[46:47]
	v_lshl_add_u64 v[46:47], v[40:41], 0, v[86:87]
	s_waitcnt vmcnt(0) lgkmcnt(0)
	v_mul_f32_e32 v45, s13, v45
	v_min_f32_e32 v44, v45, v44
	global_store_dword v[46:47], v44, off
	v_lshl_add_u64 v[44:45], v[80:81], 2, v[42:43]
	flat_load_dword v44, v[44:45]
	s_waitcnt vmcnt(0) lgkmcnt(0)
	v_mul_f32_e32 v44, s13, v44
.LBB10_118:
	v_pk_add_f32 v[46:47], v[12:13], v[36:37]
	s_mov_b64 vcc, s[4:5]
	v_min3_f32 v45, v46, v47, v124
	v_pk_add_f32 v[46:47], v[8:9], v[36:37]
	s_nop 0
	v_min3_f32 v48, v46, v47, v125
	v_pk_add_f32 v[46:47], v[14:15], v[38:39]
	s_nop 0
	v_min_f32_e32 v49, v46, v47
	v_pk_add_f32 v[46:47], v[10:11], v[38:39]
	s_nop 0
	v_min3_f32 v46, v46, v47, v48
	v_min3_f32 v47, v44, v49, v45
	v_lshl_add_u64 v[44:45], v[80:81], 2, v[40:41]
	global_store_dword v[44:45], v47, off
	v_max_f32_e32 v44, v46, v46
	s_cbranch_vccz .LBB10_121
; %bb.119:
	v_min_f32_e32 v45, 0, v44
	v_lshl_add_u64 v[46:47], v[88:89], 2, v[40:41]
	s_mov_b32 s10, 0
	global_store_dword v[46:47], v45, off
	s_cbranch_execz .LBB10_122
; %bb.120:
	v_mov_b32_e32 v42, s10
	s_branch .LBB10_123
.LBB10_121:
                                        ; implicit-def: $sgpr10
.LBB10_122:
	v_lshl_add_u64 v[46:47], v[42:43], 0, v[90:91]
	flat_load_dword v45, v[46:47]
	v_lshl_add_u64 v[46:47], v[40:41], 0, v[90:91]
	v_lshl_add_u64 v[42:43], v[84:85], 2, v[42:43]
	s_waitcnt vmcnt(0) lgkmcnt(0)
	v_mul_f32_e32 v45, s13, v45
	v_min_f32_e32 v44, v45, v44
	global_store_dword v[46:47], v44, off
	flat_load_dword v42, v[42:43]
	s_waitcnt vmcnt(0) lgkmcnt(0)
	v_mul_f32_e32 v42, s13, v42
.LBB10_123:
	v_pk_add_f32 v[36:37], v[0:1], v[36:37]
	s_mov_b64 vcc, s[4:5]
	v_min3_f32 v43, v36, v37, v122
	s_waitcnt lgkmcnt(4)
	v_pk_add_f32 v[36:37], v[16:17], v[32:33]
	s_nop 0
	v_min3_f32 v44, v36, v37, v123
	v_pk_add_f32 v[36:37], v[2:3], v[38:39]
	s_nop 0
	v_min_f32_e32 v38, v36, v37
	v_pk_add_f32 v[36:37], v[18:19], v[34:35]
	v_min3_f32 v38, v42, v38, v43
	v_min3_f32 v44, v36, v37, v44
	v_lshl_add_u64 v[36:37], v[84:85], 2, v[40:41]
	global_store_dword v[36:37], v38, off
	v_add_u32_e32 v38, 0x58, v96
	v_mad_i64_i32 v[36:37], s[2:3], v38, s9, 0
	v_lshl_add_u64 v[36:37], v[36:37], 2, s[0:1]
	v_mad_i64_i32 v[38:39], s[2:3], v38, s8, 0
	v_max_f32_e32 v40, v44, v44
	s_cbranch_vccz .LBB10_126
; %bb.124:
	v_min_f32_e32 v41, 0, v40
	v_lshl_add_u64 v[42:43], v[82:83], 2, v[36:37]
	s_mov_b32 s10, 0
	global_store_dword v[42:43], v41, off
	v_lshl_add_u64 v[38:39], v[38:39], 2, s[6:7]
	s_cbranch_execz .LBB10_127
; %bb.125:
	v_mov_b32_e32 v40, s10
	s_branch .LBB10_128
.LBB10_126:
                                        ; implicit-def: $sgpr10
	v_lshl_add_u64 v[38:39], v[38:39], 2, s[6:7]
.LBB10_127:
	v_lshl_add_u64 v[42:43], v[38:39], 0, v[86:87]
	flat_load_dword v41, v[42:43]
	v_lshl_add_u64 v[42:43], v[36:37], 0, v[86:87]
	s_waitcnt vmcnt(0) lgkmcnt(0)
	v_mul_f32_e32 v41, s13, v41
	v_min_f32_e32 v40, v41, v40
	global_store_dword v[42:43], v40, off
	v_lshl_add_u64 v[40:41], v[80:81], 2, v[38:39]
	flat_load_dword v40, v[40:41]
	s_waitcnt vmcnt(0) lgkmcnt(0)
	v_mul_f32_e32 v40, s13, v40
.LBB10_128:
	v_pk_add_f32 v[42:43], v[12:13], v[32:33]
	s_mov_b64 vcc, s[4:5]
	v_min3_f32 v41, v42, v43, v120
	v_pk_add_f32 v[42:43], v[8:9], v[32:33]
	s_nop 0
	v_min3_f32 v44, v42, v43, v121
	v_pk_add_f32 v[42:43], v[14:15], v[34:35]
	s_nop 0
	v_min_f32_e32 v45, v42, v43
	v_pk_add_f32 v[42:43], v[10:11], v[34:35]
	s_nop 0
	v_min3_f32 v42, v42, v43, v44
	v_min3_f32 v43, v40, v45, v41
	v_lshl_add_u64 v[40:41], v[80:81], 2, v[36:37]
	global_store_dword v[40:41], v43, off
	v_max_f32_e32 v40, v42, v42
	s_cbranch_vccz .LBB10_131
; %bb.129:
	v_min_f32_e32 v41, 0, v40
	v_lshl_add_u64 v[42:43], v[88:89], 2, v[36:37]
	s_mov_b32 s10, 0
	global_store_dword v[42:43], v41, off
	s_cbranch_execz .LBB10_132
; %bb.130:
	v_mov_b32_e32 v38, s10
	s_branch .LBB10_133
.LBB10_131:
                                        ; implicit-def: $sgpr10
.LBB10_132:
	v_lshl_add_u64 v[42:43], v[38:39], 0, v[90:91]
	flat_load_dword v41, v[42:43]
	v_lshl_add_u64 v[42:43], v[36:37], 0, v[90:91]
	v_lshl_add_u64 v[38:39], v[84:85], 2, v[38:39]
	s_waitcnt vmcnt(0) lgkmcnt(0)
	v_mul_f32_e32 v41, s13, v41
	v_min_f32_e32 v40, v41, v40
	global_store_dword v[42:43], v40, off
	flat_load_dword v38, v[38:39]
	s_waitcnt vmcnt(0) lgkmcnt(0)
	v_mul_f32_e32 v38, s13, v38
.LBB10_133:
	v_pk_add_f32 v[32:33], v[0:1], v[32:33]
	s_mov_b64 vcc, s[4:5]
	v_min3_f32 v39, v32, v33, v118
	s_waitcnt lgkmcnt(3)
	v_pk_add_f32 v[32:33], v[16:17], v[28:29]
	s_nop 0
	v_min3_f32 v40, v32, v33, v119
	v_pk_add_f32 v[32:33], v[2:3], v[34:35]
	s_nop 0
	v_min_f32_e32 v34, v32, v33
	v_pk_add_f32 v[32:33], v[18:19], v[30:31]
	v_min3_f32 v34, v38, v34, v39
	v_min3_f32 v40, v32, v33, v40
	v_lshl_add_u64 v[32:33], v[84:85], 2, v[36:37]
	global_store_dword v[32:33], v34, off
	v_add_u32_e32 v34, 0x60, v96
	v_mad_i64_i32 v[32:33], s[2:3], v34, s9, 0
	v_lshl_add_u64 v[32:33], v[32:33], 2, s[0:1]
	v_mad_i64_i32 v[34:35], s[2:3], v34, s8, 0
	v_max_f32_e32 v36, v40, v40
	s_cbranch_vccz .LBB10_136
; %bb.134:
	v_min_f32_e32 v37, 0, v36
	v_lshl_add_u64 v[38:39], v[82:83], 2, v[32:33]
	s_mov_b32 s10, 0
	global_store_dword v[38:39], v37, off
	v_lshl_add_u64 v[34:35], v[34:35], 2, s[6:7]
	s_cbranch_execz .LBB10_137
; %bb.135:
	v_mov_b32_e32 v36, s10
	s_branch .LBB10_138
.LBB10_136:
                                        ; implicit-def: $sgpr10
	v_lshl_add_u64 v[34:35], v[34:35], 2, s[6:7]
.LBB10_137:
	v_lshl_add_u64 v[38:39], v[34:35], 0, v[86:87]
	flat_load_dword v37, v[38:39]
	v_lshl_add_u64 v[38:39], v[32:33], 0, v[86:87]
	s_waitcnt vmcnt(0) lgkmcnt(0)
	v_mul_f32_e32 v37, s13, v37
	v_min_f32_e32 v36, v37, v36
	global_store_dword v[38:39], v36, off
	v_lshl_add_u64 v[36:37], v[80:81], 2, v[34:35]
	flat_load_dword v36, v[36:37]
	s_waitcnt vmcnt(0) lgkmcnt(0)
	v_mul_f32_e32 v36, s13, v36
.LBB10_138:
	v_pk_add_f32 v[38:39], v[12:13], v[28:29]
	s_mov_b64 vcc, s[4:5]
	v_min3_f32 v37, v38, v39, v116
	v_pk_add_f32 v[38:39], v[8:9], v[28:29]
	s_nop 0
	v_min3_f32 v40, v38, v39, v117
	v_pk_add_f32 v[38:39], v[14:15], v[30:31]
	s_nop 0
	v_min_f32_e32 v41, v38, v39
	v_pk_add_f32 v[38:39], v[10:11], v[30:31]
	s_nop 0
	v_min3_f32 v38, v38, v39, v40
	v_min3_f32 v39, v36, v41, v37
	v_lshl_add_u64 v[36:37], v[80:81], 2, v[32:33]
	global_store_dword v[36:37], v39, off
	v_max_f32_e32 v36, v38, v38
	s_cbranch_vccz .LBB10_141
; %bb.139:
	v_min_f32_e32 v37, 0, v36
	v_lshl_add_u64 v[38:39], v[88:89], 2, v[32:33]
	s_mov_b32 s10, 0
	global_store_dword v[38:39], v37, off
	s_cbranch_execz .LBB10_142
; %bb.140:
	v_mov_b32_e32 v34, s10
	s_branch .LBB10_143
.LBB10_141:
                                        ; implicit-def: $sgpr10
.LBB10_142:
	v_lshl_add_u64 v[38:39], v[34:35], 0, v[90:91]
	flat_load_dword v37, v[38:39]
	v_lshl_add_u64 v[38:39], v[32:33], 0, v[90:91]
	v_lshl_add_u64 v[34:35], v[84:85], 2, v[34:35]
	s_waitcnt vmcnt(0) lgkmcnt(0)
	v_mul_f32_e32 v37, s13, v37
	v_min_f32_e32 v36, v37, v36
	global_store_dword v[38:39], v36, off
	flat_load_dword v34, v[34:35]
	s_waitcnt vmcnt(0) lgkmcnt(0)
	v_mul_f32_e32 v34, s13, v34
.LBB10_143:
	v_pk_add_f32 v[28:29], v[0:1], v[28:29]
	s_mov_b64 vcc, s[4:5]
	v_min3_f32 v35, v28, v29, v114
	s_waitcnt lgkmcnt(2)
	v_pk_add_f32 v[28:29], v[16:17], v[24:25]
	s_nop 0
	v_min3_f32 v36, v28, v29, v115
	v_pk_add_f32 v[28:29], v[2:3], v[30:31]
	s_nop 0
	v_min_f32_e32 v30, v28, v29
	v_pk_add_f32 v[28:29], v[18:19], v[26:27]
	v_min3_f32 v30, v34, v30, v35
	v_min3_f32 v36, v28, v29, v36
	v_lshl_add_u64 v[28:29], v[84:85], 2, v[32:33]
	global_store_dword v[28:29], v30, off
	v_add_u32_e32 v30, 0x68, v96
	v_mad_i64_i32 v[28:29], s[2:3], v30, s9, 0
	v_lshl_add_u64 v[28:29], v[28:29], 2, s[0:1]
	v_mad_i64_i32 v[30:31], s[2:3], v30, s8, 0
	v_max_f32_e32 v32, v36, v36
	s_cbranch_vccz .LBB10_146
; %bb.144:
	v_min_f32_e32 v33, 0, v32
	v_lshl_add_u64 v[34:35], v[82:83], 2, v[28:29]
	s_mov_b32 s10, 0
	global_store_dword v[34:35], v33, off
	v_lshl_add_u64 v[30:31], v[30:31], 2, s[6:7]
	s_cbranch_execz .LBB10_147
; %bb.145:
	v_mov_b32_e32 v32, s10
	s_branch .LBB10_148
.LBB10_146:
                                        ; implicit-def: $sgpr10
	v_lshl_add_u64 v[30:31], v[30:31], 2, s[6:7]
.LBB10_147:
	v_lshl_add_u64 v[34:35], v[30:31], 0, v[86:87]
	flat_load_dword v33, v[34:35]
	v_lshl_add_u64 v[34:35], v[28:29], 0, v[86:87]
	s_waitcnt vmcnt(0) lgkmcnt(0)
	v_mul_f32_e32 v33, s13, v33
	v_min_f32_e32 v32, v33, v32
	global_store_dword v[34:35], v32, off
	v_lshl_add_u64 v[32:33], v[80:81], 2, v[30:31]
	flat_load_dword v32, v[32:33]
	s_waitcnt vmcnt(0) lgkmcnt(0)
	v_mul_f32_e32 v32, s13, v32
.LBB10_148:
	v_pk_add_f32 v[34:35], v[12:13], v[24:25]
	s_mov_b64 vcc, s[4:5]
	v_min3_f32 v33, v34, v35, v112
	v_pk_add_f32 v[34:35], v[8:9], v[24:25]
	s_nop 0
	v_min3_f32 v36, v34, v35, v113
	v_pk_add_f32 v[34:35], v[14:15], v[26:27]
	s_nop 0
	v_min_f32_e32 v37, v34, v35
	v_pk_add_f32 v[34:35], v[10:11], v[26:27]
	s_nop 0
	v_min3_f32 v34, v34, v35, v36
	v_min3_f32 v35, v32, v37, v33
	v_lshl_add_u64 v[32:33], v[80:81], 2, v[28:29]
	global_store_dword v[32:33], v35, off
	v_max_f32_e32 v32, v34, v34
	s_cbranch_vccz .LBB10_151
; %bb.149:
	v_min_f32_e32 v33, 0, v32
	v_lshl_add_u64 v[34:35], v[88:89], 2, v[28:29]
	s_mov_b32 s10, 0
	global_store_dword v[34:35], v33, off
	s_cbranch_execz .LBB10_152
; %bb.150:
	v_mov_b32_e32 v30, s10
	s_branch .LBB10_153
.LBB10_151:
                                        ; implicit-def: $sgpr10
.LBB10_152:
	v_lshl_add_u64 v[34:35], v[30:31], 0, v[90:91]
	flat_load_dword v33, v[34:35]
	v_lshl_add_u64 v[34:35], v[28:29], 0, v[90:91]
	v_lshl_add_u64 v[30:31], v[84:85], 2, v[30:31]
	s_waitcnt vmcnt(0) lgkmcnt(0)
	v_mul_f32_e32 v33, s13, v33
	v_min_f32_e32 v32, v33, v32
	global_store_dword v[34:35], v32, off
	flat_load_dword v30, v[30:31]
	s_waitcnt vmcnt(0) lgkmcnt(0)
	v_mul_f32_e32 v30, s13, v30
.LBB10_153:
	v_pk_add_f32 v[24:25], v[0:1], v[24:25]
	s_mov_b64 vcc, s[4:5]
	v_min3_f32 v31, v24, v25, v110
	s_waitcnt lgkmcnt(1)
	v_pk_add_f32 v[24:25], v[16:17], v[20:21]
	s_nop 0
	v_min3_f32 v32, v24, v25, v111
	v_pk_add_f32 v[24:25], v[2:3], v[26:27]
	s_nop 0
	v_min_f32_e32 v26, v24, v25
	v_pk_add_f32 v[24:25], v[18:19], v[22:23]
	v_min3_f32 v26, v30, v26, v31
	v_min3_f32 v32, v24, v25, v32
	v_lshl_add_u64 v[24:25], v[84:85], 2, v[28:29]
	global_store_dword v[24:25], v26, off
	v_add_u32_e32 v26, 0x70, v96
	v_mad_i64_i32 v[24:25], s[2:3], v26, s9, 0
	v_lshl_add_u64 v[24:25], v[24:25], 2, s[0:1]
	v_mad_i64_i32 v[26:27], s[2:3], v26, s8, 0
	v_max_f32_e32 v28, v32, v32
	s_cbranch_vccz .LBB10_156
; %bb.154:
	v_min_f32_e32 v29, 0, v28
	v_lshl_add_u64 v[30:31], v[82:83], 2, v[24:25]
	s_mov_b32 s10, 0
	global_store_dword v[30:31], v29, off
	v_lshl_add_u64 v[26:27], v[26:27], 2, s[6:7]
	s_cbranch_execz .LBB10_157
; %bb.155:
	v_mov_b32_e32 v28, s10
	s_branch .LBB10_158
.LBB10_156:
                                        ; implicit-def: $sgpr10
	v_lshl_add_u64 v[26:27], v[26:27], 2, s[6:7]
.LBB10_157:
	v_lshl_add_u64 v[30:31], v[26:27], 0, v[86:87]
	flat_load_dword v29, v[30:31]
	v_lshl_add_u64 v[30:31], v[24:25], 0, v[86:87]
	s_waitcnt vmcnt(0) lgkmcnt(0)
	v_mul_f32_e32 v29, s13, v29
	v_min_f32_e32 v28, v29, v28
	global_store_dword v[30:31], v28, off
	v_lshl_add_u64 v[28:29], v[80:81], 2, v[26:27]
	flat_load_dword v28, v[28:29]
	s_waitcnt vmcnt(0) lgkmcnt(0)
	v_mul_f32_e32 v28, s13, v28
.LBB10_158:
	v_pk_add_f32 v[30:31], v[12:13], v[20:21]
	s_mov_b64 vcc, s[4:5]
	v_min3_f32 v29, v30, v31, v108
	v_pk_add_f32 v[30:31], v[8:9], v[20:21]
	s_nop 0
	v_min3_f32 v32, v30, v31, v109
	v_pk_add_f32 v[30:31], v[14:15], v[22:23]
	s_nop 0
	v_min_f32_e32 v33, v30, v31
	v_pk_add_f32 v[30:31], v[10:11], v[22:23]
	s_nop 0
	v_min3_f32 v30, v30, v31, v32
	v_min3_f32 v31, v28, v33, v29
	v_lshl_add_u64 v[28:29], v[80:81], 2, v[24:25]
	global_store_dword v[28:29], v31, off
	v_max_f32_e32 v28, v30, v30
	s_cbranch_vccz .LBB10_161
; %bb.159:
	v_min_f32_e32 v29, 0, v28
	v_lshl_add_u64 v[30:31], v[88:89], 2, v[24:25]
	s_mov_b32 s10, 0
	global_store_dword v[30:31], v29, off
	s_cbranch_execz .LBB10_162
; %bb.160:
	v_mov_b32_e32 v26, s10
	s_branch .LBB10_163
.LBB10_161:
                                        ; implicit-def: $sgpr10
.LBB10_162:
	v_lshl_add_u64 v[30:31], v[26:27], 0, v[90:91]
	flat_load_dword v29, v[30:31]
	v_lshl_add_u64 v[30:31], v[24:25], 0, v[90:91]
	v_lshl_add_u64 v[26:27], v[84:85], 2, v[26:27]
	s_waitcnt vmcnt(0) lgkmcnt(0)
	v_mul_f32_e32 v29, s13, v29
	v_min_f32_e32 v28, v29, v28
	global_store_dword v[30:31], v28, off
	flat_load_dword v26, v[26:27]
	s_waitcnt vmcnt(0) lgkmcnt(0)
	v_mul_f32_e32 v26, s13, v26
.LBB10_163:
	v_pk_add_f32 v[20:21], v[0:1], v[20:21]
	s_waitcnt lgkmcnt(0)
	v_pk_add_f32 v[16:17], v[16:17], v[4:5]
	v_min3_f32 v20, v20, v21, v105
	v_min3_f32 v21, v16, v17, v106
	v_pk_add_f32 v[16:17], v[2:3], v[22:23]
	s_mov_b64 vcc, s[4:5]
	v_min_f32_e32 v22, v16, v17
	v_pk_add_f32 v[16:17], v[18:19], v[6:7]
	v_min3_f32 v18, v26, v22, v20
	v_min3_f32 v21, v16, v17, v21
	v_lshl_add_u64 v[16:17], v[84:85], 2, v[24:25]
	global_store_dword v[16:17], v18, off
	v_add_u32_e32 v18, 0x78, v96
	v_mad_i64_i32 v[16:17], s[2:3], v18, s9, 0
	v_lshl_add_u64 v[16:17], v[16:17], 2, s[0:1]
	v_mad_i64_i32 v[18:19], s[0:1], v18, s8, 0
	v_max_f32_e32 v20, v21, v21
	s_cbranch_vccz .LBB10_166
; %bb.164:
	v_min_f32_e32 v21, 0, v20
	v_lshl_add_u64 v[22:23], v[82:83], 2, v[16:17]
	s_mov_b32 s2, 0
	global_store_dword v[22:23], v21, off
	v_lshl_add_u64 v[18:19], v[18:19], 2, s[6:7]
	s_cbranch_execz .LBB10_167
; %bb.165:
	v_mov_b32_e32 v20, s2
	s_branch .LBB10_168
.LBB10_166:
                                        ; implicit-def: $sgpr2
	v_lshl_add_u64 v[18:19], v[18:19], 2, s[6:7]
.LBB10_167:
	v_lshl_add_u64 v[22:23], v[18:19], 0, v[86:87]
	flat_load_dword v21, v[22:23]
	v_lshl_add_u64 v[22:23], v[16:17], 0, v[86:87]
	s_waitcnt vmcnt(0) lgkmcnt(0)
	v_mul_f32_e32 v21, s13, v21
	v_min_f32_e32 v20, v21, v20
	global_store_dword v[22:23], v20, off
	v_lshl_add_u64 v[20:21], v[80:81], 2, v[18:19]
	flat_load_dword v20, v[20:21]
	s_waitcnt vmcnt(0) lgkmcnt(0)
	v_mul_f32_e32 v20, s13, v20
.LBB10_168:
	v_pk_add_f32 v[12:13], v[12:13], v[4:5]
	v_pk_add_f32 v[8:9], v[8:9], v[4:5]
	v_min3_f32 v12, v12, v13, v103
	v_min3_f32 v13, v8, v9, v104
	v_pk_add_f32 v[8:9], v[14:15], v[6:7]
	s_mov_b64 vcc, s[4:5]
	v_min_f32_e32 v14, v8, v9
	v_pk_add_f32 v[8:9], v[10:11], v[6:7]
	v_min3_f32 v11, v20, v14, v12
	v_min3_f32 v10, v8, v9, v13
	v_lshl_add_u64 v[8:9], v[80:81], 2, v[16:17]
	global_store_dword v[8:9], v11, off
	v_max_f32_e32 v8, v10, v10
	s_cbranch_vccz .LBB10_171
; %bb.169:
	v_min_f32_e32 v9, 0, v8
	v_lshl_add_u64 v[10:11], v[88:89], 2, v[16:17]
	s_mov_b32 s2, 0
	global_store_dword v[10:11], v9, off
	s_cbranch_execz .LBB10_172
; %bb.170:
	v_mov_b32_e32 v8, s2
	s_branch .LBB10_173
.LBB10_171:
                                        ; implicit-def: $sgpr2
.LBB10_172:
	v_lshl_add_u64 v[10:11], v[18:19], 0, v[90:91]
	flat_load_dword v9, v[10:11]
	v_lshl_add_u64 v[10:11], v[16:17], 0, v[90:91]
	s_waitcnt vmcnt(0) lgkmcnt(0)
	v_mul_f32_e32 v9, s13, v9
	v_min_f32_e32 v8, v9, v8
	global_store_dword v[10:11], v8, off
	v_lshl_add_u64 v[8:9], v[84:85], 2, v[18:19]
	flat_load_dword v8, v[8:9]
	s_waitcnt vmcnt(0) lgkmcnt(0)
	v_mul_f32_e32 v8, s13, v8
.LBB10_173:
	v_pk_add_f32 v[2:3], v[2:3], v[6:7]
	v_pk_add_f32 v[0:1], v[0:1], v[4:5]
	v_min_f32_e32 v2, v2, v3
	v_min3_f32 v0, v0, v1, v107
	v_min3_f32 v2, v8, v2, v0
	v_lshl_add_u64 v[0:1], v[84:85], 2, v[16:17]
	global_store_dword v[0:1], v2, off
	s_endpgm
	.section	.rodata,"a",@progbits
	.p2align	6, 0x0
	.amdhsa_kernel _ZN12_GLOBAL__N_120geam_min_plus_kernelIf15HIP_vector_typeIfLj2EEfLi32ELi8ELi128ELi128ELi4ELi4ELi64ELi4ELi64ELc84ELc78ELb1ELb0ELb1EfKPKfKPfEEviiiT16_PT17_ilSA_ilS8_SA_ilPT18_ili26rocblas_geam_ex_operation_
		.amdhsa_group_segment_fixed_size 8192
		.amdhsa_private_segment_fixed_size 0
		.amdhsa_kernarg_size 128
		.amdhsa_user_sgpr_count 2
		.amdhsa_user_sgpr_dispatch_ptr 0
		.amdhsa_user_sgpr_queue_ptr 0
		.amdhsa_user_sgpr_kernarg_segment_ptr 1
		.amdhsa_user_sgpr_dispatch_id 0
		.amdhsa_user_sgpr_kernarg_preload_length 0
		.amdhsa_user_sgpr_kernarg_preload_offset 0
		.amdhsa_user_sgpr_private_segment_size 0
		.amdhsa_uses_dynamic_stack 0
		.amdhsa_enable_private_segment 0
		.amdhsa_system_sgpr_workgroup_id_x 1
		.amdhsa_system_sgpr_workgroup_id_y 0
		.amdhsa_system_sgpr_workgroup_id_z 1
		.amdhsa_system_sgpr_workgroup_info 0
		.amdhsa_system_vgpr_workitem_id 1
		.amdhsa_next_free_vgpr 187
		.amdhsa_next_free_sgpr 22
		.amdhsa_accum_offset 188
		.amdhsa_reserve_vcc 1
		.amdhsa_float_round_mode_32 0
		.amdhsa_float_round_mode_16_64 0
		.amdhsa_float_denorm_mode_32 3
		.amdhsa_float_denorm_mode_16_64 3
		.amdhsa_dx10_clamp 1
		.amdhsa_ieee_mode 1
		.amdhsa_fp16_overflow 0
		.amdhsa_tg_split 0
		.amdhsa_exception_fp_ieee_invalid_op 0
		.amdhsa_exception_fp_denorm_src 0
		.amdhsa_exception_fp_ieee_div_zero 0
		.amdhsa_exception_fp_ieee_overflow 0
		.amdhsa_exception_fp_ieee_underflow 0
		.amdhsa_exception_fp_ieee_inexact 0
		.amdhsa_exception_int_div_zero 0
	.end_amdhsa_kernel
	.section	.text._ZN12_GLOBAL__N_120geam_min_plus_kernelIf15HIP_vector_typeIfLj2EEfLi32ELi8ELi128ELi128ELi4ELi4ELi64ELi4ELi64ELc84ELc78ELb1ELb0ELb1EfKPKfKPfEEviiiT16_PT17_ilSA_ilS8_SA_ilPT18_ili26rocblas_geam_ex_operation_,"axG",@progbits,_ZN12_GLOBAL__N_120geam_min_plus_kernelIf15HIP_vector_typeIfLj2EEfLi32ELi8ELi128ELi128ELi4ELi4ELi64ELi4ELi64ELc84ELc78ELb1ELb0ELb1EfKPKfKPfEEviiiT16_PT17_ilSA_ilS8_SA_ilPT18_ili26rocblas_geam_ex_operation_,comdat
.Lfunc_end10:
	.size	_ZN12_GLOBAL__N_120geam_min_plus_kernelIf15HIP_vector_typeIfLj2EEfLi32ELi8ELi128ELi128ELi4ELi4ELi64ELi4ELi64ELc84ELc78ELb1ELb0ELb1EfKPKfKPfEEviiiT16_PT17_ilSA_ilS8_SA_ilPT18_ili26rocblas_geam_ex_operation_, .Lfunc_end10-_ZN12_GLOBAL__N_120geam_min_plus_kernelIf15HIP_vector_typeIfLj2EEfLi32ELi8ELi128ELi128ELi4ELi4ELi64ELi4ELi64ELc84ELc78ELb1ELb0ELb1EfKPKfKPfEEviiiT16_PT17_ilSA_ilS8_SA_ilPT18_ili26rocblas_geam_ex_operation_
                                        ; -- End function
	.section	.AMDGPU.csdata,"",@progbits
; Kernel info:
; codeLenInByte = 16172
; NumSgprs: 28
; NumVgprs: 187
; NumAgprs: 0
; TotalNumVgprs: 187
; ScratchSize: 0
; MemoryBound: 0
; FloatMode: 240
; IeeeMode: 1
; LDSByteSize: 8192 bytes/workgroup (compile time only)
; SGPRBlocks: 3
; VGPRBlocks: 23
; NumSGPRsForWavesPerEU: 28
; NumVGPRsForWavesPerEU: 187
; AccumOffset: 188
; Occupancy: 2
; WaveLimiterHint : 1
; COMPUTE_PGM_RSRC2:SCRATCH_EN: 0
; COMPUTE_PGM_RSRC2:USER_SGPR: 2
; COMPUTE_PGM_RSRC2:TRAP_HANDLER: 0
; COMPUTE_PGM_RSRC2:TGID_X_EN: 1
; COMPUTE_PGM_RSRC2:TGID_Y_EN: 0
; COMPUTE_PGM_RSRC2:TGID_Z_EN: 1
; COMPUTE_PGM_RSRC2:TIDIG_COMP_CNT: 1
; COMPUTE_PGM_RSRC3_GFX90A:ACCUM_OFFSET: 46
; COMPUTE_PGM_RSRC3_GFX90A:TG_SPLIT: 0
	.section	.text._ZN12_GLOBAL__N_120geam_min_plus_kernelIf15HIP_vector_typeIfLj2EEfLi32ELi8ELi128ELi128ELi4ELi4ELi64ELi4ELi64ELc84ELc78ELb0ELb0ELb1EfKPKfKPfEEviiiT16_PT17_ilSA_ilS8_SA_ilPT18_ili26rocblas_geam_ex_operation_,"axG",@progbits,_ZN12_GLOBAL__N_120geam_min_plus_kernelIf15HIP_vector_typeIfLj2EEfLi32ELi8ELi128ELi128ELi4ELi4ELi64ELi4ELi64ELc84ELc78ELb0ELb0ELb1EfKPKfKPfEEviiiT16_PT17_ilSA_ilS8_SA_ilPT18_ili26rocblas_geam_ex_operation_,comdat
	.globl	_ZN12_GLOBAL__N_120geam_min_plus_kernelIf15HIP_vector_typeIfLj2EEfLi32ELi8ELi128ELi128ELi4ELi4ELi64ELi4ELi64ELc84ELc78ELb0ELb0ELb1EfKPKfKPfEEviiiT16_PT17_ilSA_ilS8_SA_ilPT18_ili26rocblas_geam_ex_operation_ ; -- Begin function _ZN12_GLOBAL__N_120geam_min_plus_kernelIf15HIP_vector_typeIfLj2EEfLi32ELi8ELi128ELi128ELi4ELi4ELi64ELi4ELi64ELc84ELc78ELb0ELb0ELb1EfKPKfKPfEEviiiT16_PT17_ilSA_ilS8_SA_ilPT18_ili26rocblas_geam_ex_operation_
	.p2align	8
	.type	_ZN12_GLOBAL__N_120geam_min_plus_kernelIf15HIP_vector_typeIfLj2EEfLi32ELi8ELi128ELi128ELi4ELi4ELi64ELi4ELi64ELc84ELc78ELb0ELb0ELb1EfKPKfKPfEEviiiT16_PT17_ilSA_ilS8_SA_ilPT18_ili26rocblas_geam_ex_operation_,@function
_ZN12_GLOBAL__N_120geam_min_plus_kernelIf15HIP_vector_typeIfLj2EEfLi32ELi8ELi128ELi128ELi4ELi4ELi64ELi4ELi64ELc84ELc78ELb0ELb0ELb1EfKPKfKPfEEviiiT16_PT17_ilSA_ilS8_SA_ilPT18_ili26rocblas_geam_ex_operation_: ; @_ZN12_GLOBAL__N_120geam_min_plus_kernelIf15HIP_vector_typeIfLj2EEfLi32ELi8ELi128ELi128ELi4ELi4ELi64ELi4ELi64ELc84ELc78ELb0ELb0ELb1EfKPKfKPfEEviiiT16_PT17_ilSA_ilS8_SA_ilPT18_ili26rocblas_geam_ex_operation_
; %bb.0:
	s_load_dwordx2 s[12:13], s[0:1], 0x8
	s_load_dwordx4 s[4:7], s[0:1], 0x20
	s_mov_b32 s18, s3
	s_mov_b32 s19, 0
	s_waitcnt lgkmcnt(0)
	v_cmp_eq_f32_e64 s[8:9], s13, 0
	s_and_b64 vcc, exec, s[8:9]
	s_cbranch_vccnz .LBB11_3
; %bb.1:
	s_load_dwordx2 s[10:11], s[0:1], 0x10
	s_lshl_b64 s[14:15], s[18:19], 3
	s_waitcnt lgkmcnt(0)
	s_add_u32 s10, s10, s14
	s_addc_u32 s11, s11, s15
	s_load_dwordx2 s[10:11], s[10:11], 0x0
	s_lshl_b64 s[4:5], s[4:5], 2
	s_waitcnt lgkmcnt(0)
	s_add_u32 s14, s10, s4
	s_addc_u32 s15, s11, s5
	s_andn2_b64 vcc, exec, s[8:9]
	s_cbranch_vccnz .LBB11_4
.LBB11_2:
	s_mov_b64 s[16:17], 0
	s_cbranch_execz .LBB11_5
	s_branch .LBB11_6
.LBB11_3:
	s_mov_b64 s[14:15], 0
	s_andn2_b64 vcc, exec, s[8:9]
	s_cbranch_vccz .LBB11_2
.LBB11_4:
                                        ; implicit-def: $sgpr16_sgpr17
.LBB11_5:
	s_lshl_b64 s[8:9], s[18:19], 3
	s_add_u32 s6, s6, s8
	s_load_dwordx2 s[4:5], s[0:1], 0x38
	s_addc_u32 s7, s7, s9
	s_load_dwordx2 s[6:7], s[6:7], 0x0
	s_waitcnt lgkmcnt(0)
	s_lshl_b64 s[4:5], s[4:5], 2
	s_add_u32 s16, s6, s4
	s_addc_u32 s17, s7, s5
.LBB11_6:
	s_load_dword s22, s[0:1], 0x40
	s_load_dwordx4 s[8:11], s[0:1], 0x58
	v_cmp_neq_f32_e64 s[20:21], s13, 0
	s_waitcnt lgkmcnt(0)
	v_cmp_eq_f32_e64 s[4:5], s22, 0
	s_and_b64 s[6:7], exec, s[4:5]
	s_mov_b64 vcc, s[6:7]
	s_cbranch_vccnz .LBB11_8
; %bb.7:
	s_load_dwordx2 s[4:5], s[0:1], 0x48
	s_lshl_b64 s[24:25], s[18:19], 3
	s_waitcnt lgkmcnt(0)
	s_add_u32 s4, s4, s24
	s_addc_u32 s5, s5, s25
	s_load_dwordx2 s[4:5], s[4:5], 0x0
	s_lshl_b64 s[8:9], s[8:9], 2
	s_waitcnt lgkmcnt(0)
	s_add_u32 s8, s4, s8
	s_addc_u32 s9, s5, s9
	s_branch .LBB11_9
.LBB11_8:
	s_mov_b64 s[8:9], 0
.LBB11_9:
	s_load_dword s3, s[0:1], 0x0
	s_load_dword s23, s[0:1], 0x18
	s_lshl_b64 s[4:5], s[18:19], 3
	s_add_u32 s4, s10, s4
	s_addc_u32 s5, s11, s5
	s_waitcnt lgkmcnt(0)
	s_add_i32 s3, s3, -1
	s_ashr_i32 s10, s3, 31
	s_lshr_b32 s10, s10, 25
	s_add_i32 s3, s3, s10
	s_ashr_i32 s3, s3, 7
	s_add_i32 s18, s3, 1
	v_cvt_f32_u32_e32 v1, s18
	s_load_dwordx2 s[10:11], s[4:5], 0x0
	s_not_b32 s3, s3
	v_and_b32_e32 v129, 0x3ff, v0
	v_rcp_iflag_f32_e32 v1, v1
	v_bfe_u32 v130, v0, 10, 10
	v_lshl_add_u32 v0, v130, 5, v129
	v_lshrrev_b32_e32 v4, 2, v0
	v_mul_f32_e32 v1, 0x4f7ffffe, v1
	v_cvt_u32_f32_e32 v1, v1
	v_and_b32_e32 v2, 3, v129
	v_cndmask_b32_e64 v0, 0, 1, s[20:21]
	v_lshlrev_b32_e32 v80, 2, v2
	v_readfirstlane_b32 s4, v1
	s_mul_i32 s3, s3, s4
	s_mul_hi_u32 s3, s4, s3
	s_add_i32 s4, s4, s3
	s_mul_hi_u32 s3, s2, s4
	s_mul_i32 s4, s3, s18
	s_sub_i32 s4, s2, s4
	s_add_i32 s5, s3, 1
	s_sub_i32 s19, s4, s18
	s_cmp_ge_u32 s4, s18
	s_cselect_b32 s3, s5, s3
	s_cselect_b32 s4, s19, s4
	s_add_i32 s5, s3, 1
	s_cmp_ge_u32 s4, s18
	s_cselect_b32 s3, s5, s3
	s_mul_i32 s4, s3, s18
	s_sub_i32 s2, s2, s4
	s_lshl_b32 s2, s2, 7
	v_add_u32_e32 v88, s2, v4
	v_cmp_ne_u32_e64 s[4:5], 1, v0
	s_andn2_b64 vcc, exec, s[20:21]
	v_add_u32_e32 v86, 64, v88
	s_cbranch_vccnz .LBB11_11
; %bb.10:
	v_mov_b32_e32 v81, 0
	v_lshl_add_u64 v[0:1], s[14:15], 0, v[80:81]
	v_mad_i64_i32 v[2:3], s[18:19], v88, s23, 0
	v_lshl_add_u64 v[2:3], v[2:3], 2, v[0:1]
	v_mad_i64_i32 v[6:7], s[18:19], v86, s23, 0
	v_lshl_add_u64 v[0:1], v[6:7], 2, v[0:1]
	flat_load_dword v6, v[2:3]
	flat_load_dword v7, v[0:1]
	s_mov_b32 s18, s13
	s_waitcnt vmcnt(0) lgkmcnt(0)
	v_pk_mul_f32 v[0:1], v[6:7], s[18:19] op_sel_hi:[1,0]
	s_branch .LBB11_12
.LBB11_11:
	v_mov_b32_e32 v0, 0
	v_mov_b32_e32 v1, 0
.LBB11_12:
	s_load_dword s19, s[0:1], 0x30
	s_lshl_b32 s3, s3, 7
	v_add_u32_e32 v87, s3, v4
	s_and_b64 vcc, exec, s[4:5]
	v_add_u32_e32 v89, 64, v87
	s_cbranch_vccnz .LBB11_16
; %bb.13:
	v_mov_b32_e32 v81, 0
	v_lshl_add_u64 v[2:3], s[16:17], 0, v[80:81]
	s_waitcnt lgkmcnt(0)
	v_mad_i64_i32 v[6:7], s[20:21], v87, s19, 0
	v_lshl_add_u64 v[6:7], v[6:7], 2, v[2:3]
	v_mad_i64_i32 v[8:9], s[20:21], v89, s19, 0
	v_lshl_add_u64 v[2:3], v[8:9], 2, v[2:3]
	flat_load_dword v8, v[6:7]
	flat_load_dword v9, v[2:3]
	s_mov_b32 s18, s13
	s_waitcnt vmcnt(0) lgkmcnt(0)
	v_pk_mul_f32 v[2:3], v[8:9], s[18:19] op_sel_hi:[1,0]
	s_and_b64 vcc, exec, s[4:5]
	s_cbranch_vccnz .LBB11_17
.LBB11_14:
	v_mov_b32_e32 v81, 0
	v_lshl_add_u64 v[6:7], s[14:15], 0, v[80:81]
	v_mad_i64_i32 v[8:9], s[20:21], v88, s23, 0
	v_lshl_add_u64 v[8:9], v[8:9], 2, v[6:7]
	v_mad_i64_i32 v[10:11], s[20:21], v86, s23, 0
	v_lshl_add_u64 v[6:7], v[10:11], 2, v[6:7]
	flat_load_dword v10, v[8:9] offset:16
	flat_load_dword v11, v[6:7] offset:16
	s_mov_b32 s18, s13
	s_waitcnt vmcnt(0) lgkmcnt(0)
	v_pk_mul_f32 v[82:83], v[10:11], s[18:19] op_sel_hi:[1,0]
	s_and_b64 vcc, exec, s[4:5]
	s_cbranch_vccnz .LBB11_18
.LBB11_15:
	v_mov_b32_e32 v81, 0
	v_lshl_add_u64 v[6:7], s[16:17], 0, v[80:81]
	s_waitcnt lgkmcnt(0)
	v_mad_i64_i32 v[8:9], s[20:21], v87, s19, 0
	v_lshl_add_u64 v[8:9], v[8:9], 2, v[6:7]
	v_mad_i64_i32 v[10:11], s[20:21], v89, s19, 0
	v_lshl_add_u64 v[6:7], v[10:11], 2, v[6:7]
	flat_load_dword v10, v[8:9] offset:16
	flat_load_dword v11, v[6:7] offset:16
	s_mov_b32 s18, s13
	s_waitcnt vmcnt(0) lgkmcnt(0)
	v_pk_mul_f32 v[84:85], v[10:11], s[18:19] op_sel_hi:[1,0]
	s_branch .LBB11_19
.LBB11_16:
	v_mov_b32_e32 v2, 0
	v_mov_b32_e32 v3, 0
	s_and_b64 vcc, exec, s[4:5]
	s_cbranch_vccz .LBB11_14
.LBB11_17:
	v_mov_b32_e32 v82, 0
	v_mov_b32_e32 v83, 0
	s_and_b64 vcc, exec, s[4:5]
	s_cbranch_vccz .LBB11_15
.LBB11_18:
	v_mov_b32_e32 v84, 0
	v_mov_b32_e32 v85, 0
.LBB11_19:
	v_lshl_or_b32 v149, v4, 4, v80
	v_lshlrev_b32_e32 v136, 4, v129
	ds_write2st64_b32 v149, v0, v1 offset1:4
	ds_write2st64_b32 v149, v2, v3 offset0:16 offset1:20
	s_waitcnt lgkmcnt(0)
	s_barrier
	ds_read_b128 v[12:15], v136
	ds_read_b128 v[8:11], v136 offset:512
	ds_read_b128 v[4:7], v136 offset:1024
	;; [unrolled: 1-line block ×3, first 2 shown]
	v_lshlrev_b32_e32 v138, 4, v130
	ds_read_b128 v[76:79], v138 offset:4096
	ds_read_b128 v[72:75], v138 offset:4224
	;; [unrolled: 1-line block ×16, first 2 shown]
	s_waitcnt lgkmcnt(14)
	v_pk_add_f32 v[90:91], v[12:13], v[76:77]
	s_mov_b32 s18, 0x7f7fffff
	v_min3_f32 v81, v90, v91, s18
	v_pk_add_f32 v[90:91], v[8:9], v[76:77]
	s_cmp_lt_i32 s12, 9
	v_min3_f32 v92, v90, v91, s18
	v_pk_add_f32 v[90:91], v[4:5], v[76:77]
	v_pk_add_f32 v[76:77], v[0:1], v[76:77]
	v_min3_f32 v90, v90, v91, s18
	v_min3_f32 v91, v76, v77, s18
	v_pk_add_f32 v[76:77], v[12:13], v[72:73]
	ds_write2st64_b32 v149, v82, v83 offset0:8 offset1:12
	ds_write2st64_b32 v149, v84, v85 offset0:24 offset1:28
	v_min3_f32 v93, v76, v77, s18
	v_pk_add_f32 v[76:77], v[8:9], v[72:73]
	s_waitcnt lgkmcnt(0)
	v_min3_f32 v94, v76, v77, s18
	v_pk_add_f32 v[76:77], v[4:5], v[72:73]
	v_pk_add_f32 v[72:73], v[0:1], v[72:73]
	v_min3_f32 v76, v76, v77, s18
	v_min3_f32 v77, v72, v73, s18
	v_pk_add_f32 v[72:73], v[12:13], v[68:69]
	s_barrier
	v_min3_f32 v95, v72, v73, s18
	v_pk_add_f32 v[72:73], v[8:9], v[68:69]
	s_nop 0
	v_min3_f32 v96, v72, v73, s18
	v_pk_add_f32 v[72:73], v[4:5], v[68:69]
	v_pk_add_f32 v[68:69], v[0:1], v[68:69]
	v_min3_f32 v72, v72, v73, s18
	v_min3_f32 v73, v68, v69, s18
	v_pk_add_f32 v[68:69], v[12:13], v[64:65]
	s_nop 0
	v_min3_f32 v97, v68, v69, s18
	v_pk_add_f32 v[68:69], v[8:9], v[64:65]
	s_nop 0
	v_min3_f32 v98, v68, v69, s18
	v_pk_add_f32 v[68:69], v[4:5], v[64:65]
	v_pk_add_f32 v[64:65], v[0:1], v[64:65]
	v_min3_f32 v68, v68, v69, s18
	v_min3_f32 v69, v64, v65, s18
	v_pk_add_f32 v[64:65], v[12:13], v[60:61]
	s_nop 0
	;; [unrolled: 10-line block ×11, first 2 shown]
	v_min3_f32 v171, v28, v29, s18
	v_pk_add_f32 v[28:29], v[8:9], v[24:25]
	s_nop 0
	v_min3_f32 v172, v28, v29, s18
	v_pk_add_f32 v[28:29], v[4:5], v[24:25]
	v_pk_add_f32 v[24:25], v[0:1], v[24:25]
	v_min3_f32 v28, v28, v29, s18
	v_min3_f32 v29, v24, v25, s18
	v_pk_add_f32 v[24:25], v[12:13], v[20:21]
	v_pk_add_f32 v[12:13], v[12:13], v[16:17]
	v_min3_f32 v173, v24, v25, s18
	v_pk_add_f32 v[24:25], v[8:9], v[20:21]
	v_min3_f32 v12, v12, v13, s18
	v_min3_f32 v174, v24, v25, s18
	v_pk_add_f32 v[24:25], v[4:5], v[20:21]
	v_pk_add_f32 v[20:21], v[0:1], v[20:21]
	;; [unrolled: 1-line block ×4, first 2 shown]
	v_min3_f32 v4, v4, v5, s18
	v_min3_f32 v5, v0, v1, s18
	v_pk_add_f32 v[0:1], v[14:15], v[78:79]
	v_min3_f32 v24, v24, v25, s18
	v_min3_f32 v170, v0, v1, v81
	v_pk_add_f32 v[0:1], v[10:11], v[78:79]
	;; [unrolled: 3-line block ×3, first 2 shown]
	v_pk_add_f32 v[8:9], v[8:9], v[16:17]
	v_min3_f32 v169, v0, v1, v90
	v_pk_add_f32 v[0:1], v[2:3], v[78:79]
	v_min3_f32 v8, v8, v9, s18
	v_min3_f32 v166, v0, v1, v91
	v_pk_add_f32 v[0:1], v[14:15], v[74:75]
	s_nop 0
	v_min3_f32 v167, v0, v1, v93
	v_pk_add_f32 v[0:1], v[10:11], v[74:75]
	s_nop 0
	v_min3_f32 v164, v0, v1, v94
	v_pk_add_f32 v[0:1], v[6:7], v[74:75]
	s_nop 0
	v_min3_f32 v165, v0, v1, v76
	v_pk_add_f32 v[0:1], v[2:3], v[74:75]
	s_nop 0
	v_min3_f32 v162, v0, v1, v77
	v_pk_add_f32 v[0:1], v[14:15], v[70:71]
	s_nop 0
	v_min3_f32 v163, v0, v1, v95
	v_pk_add_f32 v[0:1], v[10:11], v[70:71]
	s_nop 0
	v_min3_f32 v160, v0, v1, v96
	v_pk_add_f32 v[0:1], v[6:7], v[70:71]
	s_nop 0
	v_min3_f32 v161, v0, v1, v72
	v_pk_add_f32 v[0:1], v[2:3], v[70:71]
	s_nop 0
	v_min3_f32 v158, v0, v1, v73
	v_pk_add_f32 v[0:1], v[14:15], v[66:67]
	s_nop 0
	v_min3_f32 v159, v0, v1, v97
	v_pk_add_f32 v[0:1], v[10:11], v[66:67]
	s_nop 0
	v_min3_f32 v156, v0, v1, v98
	v_pk_add_f32 v[0:1], v[6:7], v[66:67]
	s_nop 0
	v_min3_f32 v157, v0, v1, v68
	v_pk_add_f32 v[0:1], v[2:3], v[66:67]
	s_nop 0
	v_min3_f32 v154, v0, v1, v69
	v_pk_add_f32 v[0:1], v[14:15], v[62:63]
	s_nop 0
	v_min3_f32 v155, v0, v1, v99
	v_pk_add_f32 v[0:1], v[10:11], v[62:63]
	s_nop 0
	v_min3_f32 v152, v0, v1, v100
	v_pk_add_f32 v[0:1], v[6:7], v[62:63]
	s_nop 0
	v_min3_f32 v153, v0, v1, v64
	v_pk_add_f32 v[0:1], v[2:3], v[62:63]
	s_nop 0
	v_min3_f32 v150, v0, v1, v65
	v_pk_add_f32 v[0:1], v[14:15], v[58:59]
	s_nop 0
	v_min3_f32 v151, v0, v1, v101
	v_pk_add_f32 v[0:1], v[10:11], v[58:59]
	s_nop 0
	v_min3_f32 v147, v0, v1, v102
	v_pk_add_f32 v[0:1], v[6:7], v[58:59]
	s_nop 0
	v_min3_f32 v148, v0, v1, v60
	v_pk_add_f32 v[0:1], v[2:3], v[58:59]
	s_nop 0
	v_min3_f32 v145, v0, v1, v61
	v_pk_add_f32 v[0:1], v[14:15], v[54:55]
	s_nop 0
	v_min3_f32 v146, v0, v1, v103
	v_pk_add_f32 v[0:1], v[10:11], v[54:55]
	s_nop 0
	v_min3_f32 v143, v0, v1, v104
	v_pk_add_f32 v[0:1], v[6:7], v[54:55]
	s_nop 0
	v_min3_f32 v144, v0, v1, v56
	v_pk_add_f32 v[0:1], v[2:3], v[54:55]
	s_nop 0
	v_min3_f32 v141, v0, v1, v57
	v_pk_add_f32 v[0:1], v[14:15], v[50:51]
	s_nop 0
	v_min3_f32 v142, v0, v1, v105
	v_pk_add_f32 v[0:1], v[10:11], v[50:51]
	s_nop 0
	v_min3_f32 v139, v0, v1, v106
	v_pk_add_f32 v[0:1], v[6:7], v[50:51]
	s_nop 0
	v_min3_f32 v140, v0, v1, v52
	v_pk_add_f32 v[0:1], v[2:3], v[50:51]
	s_nop 0
	v_min3_f32 v135, v0, v1, v53
	v_pk_add_f32 v[0:1], v[14:15], v[46:47]
	s_nop 0
	v_min3_f32 v137, v0, v1, v107
	v_pk_add_f32 v[0:1], v[10:11], v[46:47]
	s_nop 0
	v_min3_f32 v133, v0, v1, v108
	v_pk_add_f32 v[0:1], v[6:7], v[46:47]
	s_nop 0
	v_min3_f32 v134, v0, v1, v48
	v_pk_add_f32 v[0:1], v[2:3], v[46:47]
	s_nop 0
	v_min3_f32 v131, v0, v1, v49
	v_pk_add_f32 v[0:1], v[14:15], v[42:43]
	s_nop 0
	v_min3_f32 v132, v0, v1, v109
	v_pk_add_f32 v[0:1], v[10:11], v[42:43]
	s_nop 0
	v_min3_f32 v127, v0, v1, v110
	v_pk_add_f32 v[0:1], v[6:7], v[42:43]
	s_nop 0
	v_min3_f32 v128, v0, v1, v44
	v_pk_add_f32 v[0:1], v[2:3], v[42:43]
	s_nop 0
	v_min3_f32 v125, v0, v1, v45
	v_pk_add_f32 v[0:1], v[14:15], v[38:39]
	s_nop 0
	v_min3_f32 v126, v0, v1, v111
	v_pk_add_f32 v[0:1], v[10:11], v[38:39]
	s_nop 0
	v_min3_f32 v123, v0, v1, v112
	v_pk_add_f32 v[0:1], v[6:7], v[38:39]
	s_nop 0
	v_min3_f32 v124, v0, v1, v40
	v_pk_add_f32 v[0:1], v[2:3], v[38:39]
	s_nop 0
	v_min3_f32 v121, v0, v1, v41
	v_pk_add_f32 v[0:1], v[14:15], v[34:35]
	s_nop 0
	v_min3_f32 v122, v0, v1, v113
	v_pk_add_f32 v[0:1], v[10:11], v[34:35]
	s_nop 0
	v_min3_f32 v119, v0, v1, v114
	v_pk_add_f32 v[0:1], v[6:7], v[34:35]
	s_nop 0
	v_min3_f32 v120, v0, v1, v36
	v_pk_add_f32 v[0:1], v[2:3], v[34:35]
	s_nop 0
	v_min3_f32 v117, v0, v1, v37
	v_pk_add_f32 v[0:1], v[14:15], v[30:31]
	s_nop 0
	v_min3_f32 v118, v0, v1, v115
	v_pk_add_f32 v[0:1], v[10:11], v[30:31]
	s_nop 0
	v_min3_f32 v115, v0, v1, v116
	v_pk_add_f32 v[0:1], v[6:7], v[30:31]
	s_nop 0
	v_min3_f32 v116, v0, v1, v32
	v_pk_add_f32 v[0:1], v[2:3], v[30:31]
	s_nop 0
	v_min3_f32 v113, v0, v1, v33
	v_pk_add_f32 v[0:1], v[14:15], v[26:27]
	s_nop 0
	v_min3_f32 v114, v0, v1, v171
	v_pk_add_f32 v[0:1], v[10:11], v[26:27]
	s_nop 0
	v_min3_f32 v111, v0, v1, v172
	v_pk_add_f32 v[0:1], v[6:7], v[26:27]
	s_nop 0
	v_min3_f32 v112, v0, v1, v28
	v_pk_add_f32 v[0:1], v[2:3], v[26:27]
	s_nop 0
	v_min3_f32 v109, v0, v1, v29
	v_pk_add_f32 v[0:1], v[14:15], v[22:23]
	s_nop 0
	v_min3_f32 v110, v0, v1, v173
	v_pk_add_f32 v[0:1], v[10:11], v[22:23]
	s_nop 0
	v_min3_f32 v107, v0, v1, v174
	v_pk_add_f32 v[0:1], v[6:7], v[22:23]
	s_nop 0
	v_min3_f32 v108, v0, v1, v24
	v_pk_add_f32 v[0:1], v[2:3], v[22:23]
	s_nop 0
	v_min3_f32 v104, v0, v1, v20
	v_pk_add_f32 v[0:1], v[14:15], v[18:19]
	s_nop 0
	v_min3_f32 v105, v0, v1, v12
	v_pk_add_f32 v[0:1], v[10:11], v[18:19]
	s_nop 0
	v_min3_f32 v102, v0, v1, v8
	v_pk_add_f32 v[0:1], v[6:7], v[18:19]
	s_nop 0
	v_min3_f32 v103, v0, v1, v4
	v_pk_add_f32 v[0:1], v[2:3], v[18:19]
	s_nop 0
	v_min3_f32 v106, v0, v1, v5
	s_cbranch_scc1 .LBB11_33
; %bb.20:
	v_mov_b32_e32 v0, 0x800
	v_lshl_add_u32 v175, v129, 4, v0
	v_mov_b32_e32 v0, 0x1800
	v_lshl_add_u32 v176, v130, 4, v0
	v_mad_i64_i32 v[0:1], s[20:21], s19, v89, 0
	v_lshl_add_u64 v[82:83], v[0:1], 2, s[16:17]
	v_mad_i64_i32 v[0:1], s[20:21], s19, v87, 0
	v_lshl_add_u64 v[84:85], v[0:1], 2, s[16:17]
	v_mad_i64_i32 v[0:1], s[16:17], s23, v86, 0
	v_lshl_add_u64 v[86:87], v[0:1], 2, s[14:15]
	v_mad_i64_i32 v[0:1], s[16:17], s23, v88, 0
	v_add_u32_e32 v171, 0x1000, v149
	v_add_u32_e32 v172, 0x1000, v138
	;; [unrolled: 1-line block ×4, first 2 shown]
	s_add_i32 s18, s12, -8
	s_mov_b32 s12, s13
	v_mov_b32_e32 v81, 0
	v_lshl_add_u64 v[88:89], v[0:1], 2, s[14:15]
	s_mov_b32 s14, 0
	s_branch .LBB11_23
.LBB11_21:                              ;   in Loop: Header=BB11_23 Depth=1
	flat_load_dword v0, v[92:93] offset:48
	flat_load_dword v1, v[94:95] offset:48
	s_waitcnt vmcnt(0) lgkmcnt(0)
	v_pk_mul_f32 v[24:25], v[0:1], s[12:13]
.LBB11_22:                              ;   in Loop: Header=BB11_23 Depth=1
	ds_read_b128 v[0:3], v136
	ds_read_b128 v[4:7], v136 offset:512
	ds_read_b128 v[8:11], v136 offset:1024
	;; [unrolled: 1-line block ×3, first 2 shown]
	ds_read_b128 v[92:95], v172
	ds_read_b128 v[106:109], v172 offset:128
	ds_read_b128 v[110:113], v172 offset:256
	ds_read_b128 v[114:117], v172 offset:384
	ds_read_b128 v[118:121], v172 offset:512
	ds_read_b128 v[122:125], v172 offset:640
	ds_read_b128 v[132:135], v172 offset:768
	ds_read_b128 v[178:181], v172 offset:896
	ds_read_b128 v[182:185], v172 offset:1024
	ds_read_b128 v[186:189], v172 offset:1152
	ds_read_b128 v[190:193], v172 offset:1280
	ds_read_b128 v[194:197], v172 offset:1408
	ds_read_b128 v[198:201], v172 offset:1536
	ds_read_b128 v[202:205], v172 offset:1664
	ds_read_b128 v[20:23], v172 offset:1792
	ds_read_b128 v[16:19], v172 offset:1920
	s_waitcnt lgkmcnt(14)
	v_pk_add_f32 v[126:127], v[0:1], v[92:93]
	s_add_i32 s14, s14, 8
	v_min3_f32 v128, v126, v127, v28
	v_pk_add_f32 v[126:127], v[4:5], v[92:93]
	v_lshl_add_u64 v[82:83], v[82:83], 0, 32
	v_min3_f32 v126, v126, v127, v29
	v_pk_add_f32 v[28:29], v[8:9], v[92:93]
	v_lshl_add_u64 v[84:85], v[84:85], 0, 32
	;; [unrolled: 3-line block ×3, first 2 shown]
	v_min3_f32 v33, v28, v29, v33
	v_pk_add_f32 v[28:29], v[0:1], v[106:107]
	s_cmp_ge_i32 s14, s18
	v_min3_f32 v36, v28, v29, v36
	v_pk_add_f32 v[28:29], v[4:5], v[106:107]
	v_lshl_add_u64 v[88:89], v[88:89], 0, 32
	v_min3_f32 v37, v28, v29, v37
	v_pk_add_f32 v[28:29], v[8:9], v[106:107]
	ds_write2st64_b32 v173, v90, v91 offset1:4
	ds_write2st64_b32 v174, v24, v25 offset1:4
	v_min3_f32 v40, v28, v29, v40
	v_pk_add_f32 v[28:29], v[12:13], v[106:107]
	s_waitcnt lgkmcnt(0)
	v_min3_f32 v41, v28, v29, v41
	v_pk_add_f32 v[28:29], v[0:1], v[110:111]
	s_barrier
	v_min3_f32 v44, v28, v29, v44
	v_pk_add_f32 v[28:29], v[4:5], v[110:111]
	s_nop 0
	v_min3_f32 v45, v28, v29, v45
	v_pk_add_f32 v[28:29], v[8:9], v[110:111]
	s_nop 0
	;; [unrolled: 3-line block ×47, first 2 shown]
	v_min3_f32 v97, v28, v29, v26
	v_pk_add_f32 v[28:29], v[0:1], v[20:21]
	v_pk_add_f32 v[0:1], v[0:1], v[16:17]
	v_min3_f32 v28, v28, v29, v27
	v_pk_add_f32 v[26:27], v[4:5], v[20:21]
	s_nop 0
	v_min3_f32 v29, v26, v27, v99
	v_pk_add_f32 v[26:27], v[8:9], v[20:21]
	v_pk_add_f32 v[20:21], v[12:13], v[20:21]
	v_min3_f32 v26, v26, v27, v100
	v_min3_f32 v20, v20, v21, v101
	;; [unrolled: 1-line block ×3, first 2 shown]
	v_pk_add_f32 v[0:1], v[4:5], v[16:17]
	s_nop 0
	v_min3_f32 v4, v0, v1, v103
	v_pk_add_f32 v[0:1], v[8:9], v[16:17]
	s_nop 0
	v_min3_f32 v5, v0, v1, v104
	;; [unrolled: 3-line block ×67, first 2 shown]
	s_cbranch_scc1 .LBB11_33
.LBB11_23:                              ; =>This Inner Loop Header: Depth=1
	s_and_b64 vcc, exec, s[4:5]
	v_lshl_add_u64 v[90:91], v[88:89], 0, v[80:81]
	v_lshl_add_u64 v[96:97], v[86:87], 0, v[80:81]
	s_cbranch_vccnz .LBB11_26
; %bb.24:                               ;   in Loop: Header=BB11_23 Depth=1
	flat_load_dword v0, v[90:91] offset:32
	flat_load_dword v1, v[96:97] offset:32
	s_waitcnt vmcnt(0) lgkmcnt(0)
	v_pk_mul_f32 v[98:99], v[0:1], s[12:13]
	s_and_b64 vcc, exec, s[4:5]
	v_lshl_add_u64 v[92:93], v[84:85], 0, v[80:81]
	v_lshl_add_u64 v[94:95], v[82:83], 0, v[80:81]
	s_cbranch_vccnz .LBB11_27
.LBB11_25:                              ;   in Loop: Header=BB11_23 Depth=1
	flat_load_dword v0, v[92:93] offset:32
	flat_load_dword v1, v[94:95] offset:32
	s_waitcnt vmcnt(0) lgkmcnt(0)
	v_pk_mul_f32 v[100:101], v[0:1], s[12:13]
	s_branch .LBB11_28
.LBB11_26:                              ;   in Loop: Header=BB11_23 Depth=1
	v_mov_b32_e32 v98, 0
	v_mov_b32_e32 v99, 0
	s_and_b64 vcc, exec, s[4:5]
	v_lshl_add_u64 v[92:93], v[84:85], 0, v[80:81]
	v_lshl_add_u64 v[94:95], v[82:83], 0, v[80:81]
	s_cbranch_vccz .LBB11_25
.LBB11_27:                              ;   in Loop: Header=BB11_23 Depth=1
	v_mov_b32_e32 v100, 0
	v_mov_b32_e32 v101, 0
.LBB11_28:                              ;   in Loop: Header=BB11_23 Depth=1
	ds_read_b128 v[12:15], v175
	ds_read_b128 v[8:11], v175 offset:512
	ds_read_b128 v[4:7], v175 offset:1024
	;; [unrolled: 1-line block ×3, first 2 shown]
	ds_read_b128 v[76:79], v176
	ds_read_b128 v[72:75], v176 offset:128
	ds_read_b128 v[68:71], v176 offset:256
	;; [unrolled: 1-line block ×15, first 2 shown]
	s_and_b64 vcc, exec, s[4:5]
	ds_write2st64_b32 v149, v98, v99 offset1:4
	ds_write2st64_b32 v171, v100, v101 offset1:4
	s_waitcnt lgkmcnt(0)
	s_barrier
	s_cbranch_vccnz .LBB11_30
; %bb.29:                               ;   in Loop: Header=BB11_23 Depth=1
	flat_load_dword v90, v[90:91] offset:48
	s_nop 0
	flat_load_dword v91, v[96:97] offset:48
	s_waitcnt vmcnt(0) lgkmcnt(0)
	v_pk_mul_f32 v[90:91], v[90:91], s[12:13]
	s_branch .LBB11_31
.LBB11_30:                              ;   in Loop: Header=BB11_23 Depth=1
	v_mov_b32_e32 v90, 0
	v_mov_b32_e32 v91, 0
.LBB11_31:                              ;   in Loop: Header=BB11_23 Depth=1
	v_pk_add_f32 v[96:97], v[12:13], v[76:77]
	s_and_b64 vcc, exec, s[4:5]
	v_min3_f32 v98, v96, v97, v170
	v_pk_add_f32 v[96:97], v[8:9], v[76:77]
	s_nop 0
	v_min3_f32 v99, v96, v97, v168
	v_pk_add_f32 v[96:97], v[4:5], v[76:77]
	v_pk_add_f32 v[76:77], v[0:1], v[76:77]
	v_min3_f32 v96, v96, v97, v169
	v_min3_f32 v97, v76, v77, v166
	v_pk_add_f32 v[76:77], v[12:13], v[72:73]
	s_nop 0
	v_min3_f32 v100, v76, v77, v167
	v_pk_add_f32 v[76:77], v[8:9], v[72:73]
	s_nop 0
	v_min3_f32 v101, v76, v77, v164
	v_pk_add_f32 v[76:77], v[4:5], v[72:73]
	v_pk_add_f32 v[72:73], v[0:1], v[72:73]
	v_min3_f32 v76, v76, v77, v165
	v_min3_f32 v77, v72, v73, v162
	v_pk_add_f32 v[72:73], v[12:13], v[68:69]
	s_nop 0
	;; [unrolled: 10-line block ×13, first 2 shown]
	v_min3_f32 v114, v28, v29, v114
	v_pk_add_f32 v[28:29], v[8:9], v[24:25]
	s_nop 0
	v_min3_f32 v111, v28, v29, v111
	v_pk_add_f32 v[28:29], v[4:5], v[24:25]
	v_pk_add_f32 v[24:25], v[0:1], v[24:25]
	v_min3_f32 v112, v28, v29, v112
	v_min3_f32 v109, v24, v25, v109
	v_pk_add_f32 v[24:25], v[12:13], v[20:21]
	v_pk_add_f32 v[12:13], v[12:13], v[16:17]
	v_min3_f32 v110, v24, v25, v110
	v_pk_add_f32 v[24:25], v[8:9], v[20:21]
	v_min3_f32 v12, v12, v13, v105
	v_min3_f32 v107, v24, v25, v107
	v_pk_add_f32 v[24:25], v[4:5], v[20:21]
	v_pk_add_f32 v[20:21], v[0:1], v[20:21]
	;; [unrolled: 1-line block ×4, first 2 shown]
	v_min3_f32 v4, v4, v5, v103
	v_min3_f32 v5, v0, v1, v106
	v_pk_add_f32 v[0:1], v[14:15], v[78:79]
	v_min3_f32 v24, v24, v25, v108
	v_min3_f32 v28, v0, v1, v98
	v_pk_add_f32 v[0:1], v[10:11], v[78:79]
	v_min3_f32 v20, v20, v21, v104
	v_min3_f32 v29, v0, v1, v99
	v_pk_add_f32 v[0:1], v[6:7], v[78:79]
	v_pk_add_f32 v[8:9], v[8:9], v[16:17]
	v_min3_f32 v32, v0, v1, v96
	v_pk_add_f32 v[0:1], v[2:3], v[78:79]
	v_min3_f32 v8, v8, v9, v102
	v_min3_f32 v33, v0, v1, v97
	v_pk_add_f32 v[0:1], v[14:15], v[74:75]
	s_nop 0
	v_min3_f32 v36, v0, v1, v100
	v_pk_add_f32 v[0:1], v[10:11], v[74:75]
	s_nop 0
	;; [unrolled: 3-line block ×60, first 2 shown]
	v_min3_f32 v105, v0, v1, v5
	s_cbranch_vccz .LBB11_21
; %bb.32:                               ;   in Loop: Header=BB11_23 Depth=1
	v_mov_b32_e32 v24, 0
	v_mov_b32_e32 v25, 0
	s_branch .LBB11_22
.LBB11_33:
	s_load_dwordx2 s[12:13], s[0:1], 0x70
	ds_read_b128 v[16:19], v136 offset:2048
	ds_read_b128 v[76:79], v138 offset:6144
	s_load_dword s4, s[0:1], 0x50
	s_load_dword s5, s[0:1], 0x68
	v_add_u32_e32 v82, s2, v129
	v_add_u32_e32 v96, s3, v130
	s_waitcnt lgkmcnt(0)
	s_lshl_b64 s[0:1], s[12:13], 2
	v_pk_add_f32 v[0:1], v[16:17], v[76:77]
	s_add_u32 s0, s10, s0
	v_min3_f32 v2, v0, v1, v170
	v_pk_add_f32 v[0:1], v[18:19], v[78:79]
	s_addc_u32 s1, s11, s1
	v_min3_f32 v2, v0, v1, v2
	v_add_u32_e32 v80, 32, v82
	v_mad_i64_i32 v[0:1], s[2:3], v96, s5, 0
	v_ashrrev_i32_e32 v83, 31, v82
	v_ashrrev_i32_e32 v81, 31, v80
	v_lshl_add_u64 v[92:93], v[0:1], 2, s[0:1]
	v_mad_i64_i32 v[0:1], s[2:3], v96, s4, 0
	v_max_f32_e32 v2, v2, v2
	s_mov_b64 vcc, s[6:7]
	s_cbranch_vccz .LBB11_35
; %bb.34:
	v_min_f32_e32 v3, 0, v2
	v_lshl_add_u64 v[4:5], v[82:83], 2, v[92:93]
	s_mov_b32 s10, 0
	global_store_dword v[4:5], v3, off
	s_mov_b64 s[2:3], 0
	s_branch .LBB11_36
.LBB11_35:
	s_mov_b64 s[2:3], -1
                                        ; implicit-def: $sgpr10
.LBB11_36:
	ds_read_b128 v[12:15], v136 offset:2560
	ds_read_b128 v[8:11], v136 offset:3072
	v_lshl_add_u64 v[94:95], v[0:1], 2, s[8:9]
	s_andn2_b64 vcc, exec, s[2:3]
	v_lshlrev_b64 v[86:87], 2, v[82:83]
	s_cbranch_vccnz .LBB11_38
; %bb.37:
	v_lshl_add_u64 v[0:1], v[94:95], 0, v[86:87]
	flat_load_dword v3, v[0:1]
	v_lshl_add_u64 v[0:1], v[92:93], 0, v[86:87]
	s_waitcnt vmcnt(0) lgkmcnt(0)
	v_mul_f32_e32 v3, s22, v3
	v_min_f32_e32 v2, v3, v2
	global_store_dword v[0:1], v2, off
	v_lshl_add_u64 v[0:1], v[80:81], 2, v[94:95]
	flat_load_dword v0, v[0:1]
	s_waitcnt vmcnt(0) lgkmcnt(0)
	v_mul_f32_e32 v90, s22, v0
	s_branch .LBB11_39
.LBB11_38:
	v_mov_b32_e32 v90, s10
.LBB11_39:
	ds_read_b128 v[0:3], v136 offset:3584
	ds_read_b128 v[72:75], v138 offset:6272
	;; [unrolled: 1-line block ×16, first 2 shown]
	s_waitcnt lgkmcnt(14)
	v_pk_add_f32 v[84:85], v[12:13], v[76:77]
	s_mov_b64 vcc, s[6:7]
	v_min3_f32 v91, v84, v85, v168
	v_pk_add_f32 v[84:85], v[8:9], v[76:77]
	s_nop 0
	v_min3_f32 v88, v84, v85, v169
	v_pk_add_f32 v[84:85], v[14:15], v[78:79]
	s_nop 0
	v_min_f32_e32 v97, v84, v85
	v_pk_add_f32 v[84:85], v[10:11], v[78:79]
	v_min3_f32 v97, v90, v97, v91
	v_min3_f32 v98, v84, v85, v88
	v_add_u32_e32 v88, 64, v82
	v_add_u32_e32 v84, 0x60, v82
	v_lshl_add_u64 v[90:91], v[80:81], 2, v[92:93]
	v_ashrrev_i32_e32 v89, 31, v88
	v_ashrrev_i32_e32 v85, 31, v84
	global_store_dword v[90:91], v97, off
	v_max_f32_e32 v97, v98, v98
	s_cbranch_vccz .LBB11_42
; %bb.40:
	v_min_f32_e32 v98, 0, v97
	v_lshl_add_u64 v[90:91], v[88:89], 2, v[92:93]
	s_mov_b32 s10, 0
	global_store_dword v[90:91], v98, off
	v_lshlrev_b64 v[90:91], 2, v[88:89]
	s_cbranch_execz .LBB11_43
; %bb.41:
	v_mov_b32_e32 v94, s10
	s_branch .LBB11_44
.LBB11_42:
                                        ; implicit-def: $sgpr10
	v_lshlrev_b64 v[90:91], 2, v[88:89]
.LBB11_43:
	v_lshl_add_u64 v[98:99], v[94:95], 0, v[90:91]
	flat_load_dword v100, v[98:99]
	v_lshl_add_u64 v[98:99], v[92:93], 0, v[90:91]
	v_lshl_add_u64 v[94:95], v[84:85], 2, v[94:95]
	s_waitcnt vmcnt(0) lgkmcnt(0)
	v_mul_f32_e32 v100, s22, v100
	v_min_f32_e32 v97, v100, v97
	global_store_dword v[98:99], v97, off
	flat_load_dword v94, v[94:95]
	s_waitcnt vmcnt(0) lgkmcnt(0)
	v_mul_f32_e32 v94, s22, v94
.LBB11_44:
	v_pk_add_f32 v[76:77], v[0:1], v[76:77]
	s_mov_b64 vcc, s[6:7]
	v_min3_f32 v95, v76, v77, v166
	v_pk_add_f32 v[76:77], v[16:17], v[72:73]
	s_nop 0
	v_min3_f32 v97, v76, v77, v167
	v_pk_add_f32 v[76:77], v[2:3], v[78:79]
	s_nop 0
	v_min_f32_e32 v78, v76, v77
	v_pk_add_f32 v[76:77], v[18:19], v[74:75]
	v_min3_f32 v78, v94, v78, v95
	v_min3_f32 v97, v76, v77, v97
	v_lshl_add_u64 v[76:77], v[84:85], 2, v[92:93]
	global_store_dword v[76:77], v78, off
	v_add_u32_e32 v78, 8, v96
	v_mad_i64_i32 v[76:77], s[2:3], v78, s5, 0
	v_lshl_add_u64 v[76:77], v[76:77], 2, s[0:1]
	v_mad_i64_i32 v[78:79], s[2:3], v78, s4, 0
	v_max_f32_e32 v92, v97, v97
	s_cbranch_vccz .LBB11_47
; %bb.45:
	v_min_f32_e32 v93, 0, v92
	v_lshl_add_u64 v[94:95], v[82:83], 2, v[76:77]
	s_mov_b32 s10, 0
	global_store_dword v[94:95], v93, off
	v_lshl_add_u64 v[78:79], v[78:79], 2, s[8:9]
	s_cbranch_execz .LBB11_48
; %bb.46:
	v_mov_b32_e32 v92, s10
	s_branch .LBB11_49
.LBB11_47:
                                        ; implicit-def: $sgpr10
	v_lshl_add_u64 v[78:79], v[78:79], 2, s[8:9]
.LBB11_48:
	v_lshl_add_u64 v[94:95], v[78:79], 0, v[86:87]
	flat_load_dword v93, v[94:95]
	v_lshl_add_u64 v[94:95], v[76:77], 0, v[86:87]
	s_waitcnt vmcnt(0) lgkmcnt(0)
	v_mul_f32_e32 v93, s22, v93
	v_min_f32_e32 v92, v93, v92
	global_store_dword v[94:95], v92, off
	v_lshl_add_u64 v[92:93], v[80:81], 2, v[78:79]
	flat_load_dword v92, v[92:93]
	s_waitcnt vmcnt(0) lgkmcnt(0)
	v_mul_f32_e32 v92, s22, v92
.LBB11_49:
	v_pk_add_f32 v[94:95], v[12:13], v[72:73]
	s_mov_b64 vcc, s[6:7]
	v_min3_f32 v93, v94, v95, v164
	v_pk_add_f32 v[94:95], v[8:9], v[72:73]
	s_nop 0
	v_min3_f32 v97, v94, v95, v165
	v_pk_add_f32 v[94:95], v[14:15], v[74:75]
	s_nop 0
	v_min_f32_e32 v98, v94, v95
	v_pk_add_f32 v[94:95], v[10:11], v[74:75]
	s_nop 0
	v_min3_f32 v94, v94, v95, v97
	v_min3_f32 v95, v92, v98, v93
	v_lshl_add_u64 v[92:93], v[80:81], 2, v[76:77]
	global_store_dword v[92:93], v95, off
	v_max_f32_e32 v92, v94, v94
	s_cbranch_vccz .LBB11_52
; %bb.50:
	v_min_f32_e32 v93, 0, v92
	v_lshl_add_u64 v[94:95], v[88:89], 2, v[76:77]
	s_mov_b32 s10, 0
	global_store_dword v[94:95], v93, off
	s_cbranch_execz .LBB11_53
; %bb.51:
	v_mov_b32_e32 v78, s10
	s_branch .LBB11_54
.LBB11_52:
                                        ; implicit-def: $sgpr10
.LBB11_53:
	v_lshl_add_u64 v[94:95], v[78:79], 0, v[90:91]
	flat_load_dword v93, v[94:95]
	v_lshl_add_u64 v[94:95], v[76:77], 0, v[90:91]
	v_lshl_add_u64 v[78:79], v[84:85], 2, v[78:79]
	s_waitcnt vmcnt(0) lgkmcnt(0)
	v_mul_f32_e32 v93, s22, v93
	v_min_f32_e32 v92, v93, v92
	global_store_dword v[94:95], v92, off
	flat_load_dword v78, v[78:79]
	s_waitcnt vmcnt(0) lgkmcnt(0)
	v_mul_f32_e32 v78, s22, v78
.LBB11_54:
	v_pk_add_f32 v[72:73], v[0:1], v[72:73]
	s_mov_b64 vcc, s[6:7]
	v_min3_f32 v79, v72, v73, v162
	s_waitcnt lgkmcnt(13)
	v_pk_add_f32 v[72:73], v[16:17], v[68:69]
	s_nop 0
	v_min3_f32 v92, v72, v73, v163
	v_pk_add_f32 v[72:73], v[2:3], v[74:75]
	s_nop 0
	v_min_f32_e32 v74, v72, v73
	v_pk_add_f32 v[72:73], v[18:19], v[70:71]
	v_min3_f32 v74, v78, v74, v79
	v_min3_f32 v92, v72, v73, v92
	v_lshl_add_u64 v[72:73], v[84:85], 2, v[76:77]
	global_store_dword v[72:73], v74, off
	v_add_u32_e32 v74, 16, v96
	v_mad_i64_i32 v[72:73], s[2:3], v74, s5, 0
	v_lshl_add_u64 v[72:73], v[72:73], 2, s[0:1]
	v_mad_i64_i32 v[74:75], s[2:3], v74, s4, 0
	v_max_f32_e32 v76, v92, v92
	s_cbranch_vccz .LBB11_57
; %bb.55:
	v_min_f32_e32 v77, 0, v76
	v_lshl_add_u64 v[78:79], v[82:83], 2, v[72:73]
	s_mov_b32 s10, 0
	global_store_dword v[78:79], v77, off
	v_lshl_add_u64 v[74:75], v[74:75], 2, s[8:9]
	s_cbranch_execz .LBB11_58
; %bb.56:
	v_mov_b32_e32 v76, s10
	s_branch .LBB11_59
.LBB11_57:
                                        ; implicit-def: $sgpr10
	v_lshl_add_u64 v[74:75], v[74:75], 2, s[8:9]
.LBB11_58:
	v_lshl_add_u64 v[78:79], v[74:75], 0, v[86:87]
	flat_load_dword v77, v[78:79]
	v_lshl_add_u64 v[78:79], v[72:73], 0, v[86:87]
	s_waitcnt vmcnt(0) lgkmcnt(0)
	v_mul_f32_e32 v77, s22, v77
	v_min_f32_e32 v76, v77, v76
	global_store_dword v[78:79], v76, off
	v_lshl_add_u64 v[76:77], v[80:81], 2, v[74:75]
	flat_load_dword v76, v[76:77]
	s_waitcnt vmcnt(0) lgkmcnt(0)
	v_mul_f32_e32 v76, s22, v76
.LBB11_59:
	v_pk_add_f32 v[78:79], v[12:13], v[68:69]
	s_mov_b64 vcc, s[6:7]
	v_min3_f32 v77, v78, v79, v160
	v_pk_add_f32 v[78:79], v[8:9], v[68:69]
	s_nop 0
	v_min3_f32 v92, v78, v79, v161
	v_pk_add_f32 v[78:79], v[14:15], v[70:71]
	s_nop 0
	v_min_f32_e32 v93, v78, v79
	v_pk_add_f32 v[78:79], v[10:11], v[70:71]
	s_nop 0
	v_min3_f32 v78, v78, v79, v92
	v_min3_f32 v79, v76, v93, v77
	v_lshl_add_u64 v[76:77], v[80:81], 2, v[72:73]
	global_store_dword v[76:77], v79, off
	v_max_f32_e32 v76, v78, v78
	s_cbranch_vccz .LBB11_62
; %bb.60:
	v_min_f32_e32 v77, 0, v76
	v_lshl_add_u64 v[78:79], v[88:89], 2, v[72:73]
	s_mov_b32 s10, 0
	global_store_dword v[78:79], v77, off
	s_cbranch_execz .LBB11_63
; %bb.61:
	v_mov_b32_e32 v74, s10
	s_branch .LBB11_64
.LBB11_62:
                                        ; implicit-def: $sgpr10
.LBB11_63:
	v_lshl_add_u64 v[78:79], v[74:75], 0, v[90:91]
	flat_load_dword v77, v[78:79]
	v_lshl_add_u64 v[78:79], v[72:73], 0, v[90:91]
	v_lshl_add_u64 v[74:75], v[84:85], 2, v[74:75]
	s_waitcnt vmcnt(0) lgkmcnt(0)
	v_mul_f32_e32 v77, s22, v77
	v_min_f32_e32 v76, v77, v76
	global_store_dword v[78:79], v76, off
	flat_load_dword v74, v[74:75]
	s_waitcnt vmcnt(0) lgkmcnt(0)
	v_mul_f32_e32 v74, s22, v74
.LBB11_64:
	v_pk_add_f32 v[68:69], v[0:1], v[68:69]
	s_mov_b64 vcc, s[6:7]
	v_min3_f32 v75, v68, v69, v158
	s_waitcnt lgkmcnt(12)
	v_pk_add_f32 v[68:69], v[16:17], v[64:65]
	s_nop 0
	v_min3_f32 v76, v68, v69, v159
	v_pk_add_f32 v[68:69], v[2:3], v[70:71]
	s_nop 0
	v_min_f32_e32 v70, v68, v69
	v_pk_add_f32 v[68:69], v[18:19], v[66:67]
	v_min3_f32 v70, v74, v70, v75
	v_min3_f32 v76, v68, v69, v76
	v_lshl_add_u64 v[68:69], v[84:85], 2, v[72:73]
	global_store_dword v[68:69], v70, off
	v_add_u32_e32 v70, 24, v96
	v_mad_i64_i32 v[68:69], s[2:3], v70, s5, 0
	v_lshl_add_u64 v[68:69], v[68:69], 2, s[0:1]
	v_mad_i64_i32 v[70:71], s[2:3], v70, s4, 0
	v_max_f32_e32 v72, v76, v76
	s_cbranch_vccz .LBB11_67
; %bb.65:
	v_min_f32_e32 v73, 0, v72
	v_lshl_add_u64 v[74:75], v[82:83], 2, v[68:69]
	s_mov_b32 s10, 0
	global_store_dword v[74:75], v73, off
	v_lshl_add_u64 v[70:71], v[70:71], 2, s[8:9]
	s_cbranch_execz .LBB11_68
; %bb.66:
	v_mov_b32_e32 v72, s10
	s_branch .LBB11_69
.LBB11_67:
                                        ; implicit-def: $sgpr10
	v_lshl_add_u64 v[70:71], v[70:71], 2, s[8:9]
.LBB11_68:
	v_lshl_add_u64 v[74:75], v[70:71], 0, v[86:87]
	flat_load_dword v73, v[74:75]
	v_lshl_add_u64 v[74:75], v[68:69], 0, v[86:87]
	s_waitcnt vmcnt(0) lgkmcnt(0)
	v_mul_f32_e32 v73, s22, v73
	v_min_f32_e32 v72, v73, v72
	global_store_dword v[74:75], v72, off
	v_lshl_add_u64 v[72:73], v[80:81], 2, v[70:71]
	flat_load_dword v72, v[72:73]
	s_waitcnt vmcnt(0) lgkmcnt(0)
	v_mul_f32_e32 v72, s22, v72
.LBB11_69:
	v_pk_add_f32 v[74:75], v[12:13], v[64:65]
	s_mov_b64 vcc, s[6:7]
	v_min3_f32 v73, v74, v75, v156
	v_pk_add_f32 v[74:75], v[8:9], v[64:65]
	s_nop 0
	v_min3_f32 v76, v74, v75, v157
	v_pk_add_f32 v[74:75], v[14:15], v[66:67]
	s_nop 0
	v_min_f32_e32 v77, v74, v75
	v_pk_add_f32 v[74:75], v[10:11], v[66:67]
	s_nop 0
	v_min3_f32 v74, v74, v75, v76
	v_min3_f32 v75, v72, v77, v73
	v_lshl_add_u64 v[72:73], v[80:81], 2, v[68:69]
	global_store_dword v[72:73], v75, off
	v_max_f32_e32 v72, v74, v74
	s_cbranch_vccz .LBB11_72
; %bb.70:
	v_min_f32_e32 v73, 0, v72
	v_lshl_add_u64 v[74:75], v[88:89], 2, v[68:69]
	s_mov_b32 s10, 0
	global_store_dword v[74:75], v73, off
	s_cbranch_execz .LBB11_73
; %bb.71:
	v_mov_b32_e32 v70, s10
	s_branch .LBB11_74
.LBB11_72:
                                        ; implicit-def: $sgpr10
.LBB11_73:
	v_lshl_add_u64 v[74:75], v[70:71], 0, v[90:91]
	flat_load_dword v73, v[74:75]
	v_lshl_add_u64 v[74:75], v[68:69], 0, v[90:91]
	v_lshl_add_u64 v[70:71], v[84:85], 2, v[70:71]
	s_waitcnt vmcnt(0) lgkmcnt(0)
	v_mul_f32_e32 v73, s22, v73
	v_min_f32_e32 v72, v73, v72
	global_store_dword v[74:75], v72, off
	flat_load_dword v70, v[70:71]
	s_waitcnt vmcnt(0) lgkmcnt(0)
	v_mul_f32_e32 v70, s22, v70
.LBB11_74:
	v_pk_add_f32 v[64:65], v[0:1], v[64:65]
	s_mov_b64 vcc, s[6:7]
	v_min3_f32 v71, v64, v65, v154
	s_waitcnt lgkmcnt(11)
	v_pk_add_f32 v[64:65], v[16:17], v[60:61]
	s_nop 0
	v_min3_f32 v72, v64, v65, v155
	v_pk_add_f32 v[64:65], v[2:3], v[66:67]
	s_nop 0
	v_min_f32_e32 v66, v64, v65
	v_pk_add_f32 v[64:65], v[18:19], v[62:63]
	v_min3_f32 v66, v70, v66, v71
	v_min3_f32 v72, v64, v65, v72
	v_lshl_add_u64 v[64:65], v[84:85], 2, v[68:69]
	global_store_dword v[64:65], v66, off
	v_add_u32_e32 v66, 32, v96
	v_mad_i64_i32 v[64:65], s[2:3], v66, s5, 0
	v_lshl_add_u64 v[64:65], v[64:65], 2, s[0:1]
	v_mad_i64_i32 v[66:67], s[2:3], v66, s4, 0
	v_max_f32_e32 v68, v72, v72
	s_cbranch_vccz .LBB11_77
; %bb.75:
	v_min_f32_e32 v69, 0, v68
	v_lshl_add_u64 v[70:71], v[82:83], 2, v[64:65]
	s_mov_b32 s10, 0
	global_store_dword v[70:71], v69, off
	v_lshl_add_u64 v[66:67], v[66:67], 2, s[8:9]
	s_cbranch_execz .LBB11_78
; %bb.76:
	v_mov_b32_e32 v68, s10
	s_branch .LBB11_79
.LBB11_77:
                                        ; implicit-def: $sgpr10
	v_lshl_add_u64 v[66:67], v[66:67], 2, s[8:9]
.LBB11_78:
	v_lshl_add_u64 v[70:71], v[66:67], 0, v[86:87]
	flat_load_dword v69, v[70:71]
	v_lshl_add_u64 v[70:71], v[64:65], 0, v[86:87]
	s_waitcnt vmcnt(0) lgkmcnt(0)
	v_mul_f32_e32 v69, s22, v69
	v_min_f32_e32 v68, v69, v68
	global_store_dword v[70:71], v68, off
	v_lshl_add_u64 v[68:69], v[80:81], 2, v[66:67]
	flat_load_dword v68, v[68:69]
	s_waitcnt vmcnt(0) lgkmcnt(0)
	v_mul_f32_e32 v68, s22, v68
.LBB11_79:
	v_pk_add_f32 v[70:71], v[12:13], v[60:61]
	s_mov_b64 vcc, s[6:7]
	v_min3_f32 v69, v70, v71, v152
	v_pk_add_f32 v[70:71], v[8:9], v[60:61]
	s_nop 0
	v_min3_f32 v72, v70, v71, v153
	v_pk_add_f32 v[70:71], v[14:15], v[62:63]
	s_nop 0
	v_min_f32_e32 v73, v70, v71
	v_pk_add_f32 v[70:71], v[10:11], v[62:63]
	s_nop 0
	v_min3_f32 v70, v70, v71, v72
	v_min3_f32 v71, v68, v73, v69
	v_lshl_add_u64 v[68:69], v[80:81], 2, v[64:65]
	global_store_dword v[68:69], v71, off
	v_max_f32_e32 v68, v70, v70
	s_cbranch_vccz .LBB11_82
; %bb.80:
	v_min_f32_e32 v69, 0, v68
	v_lshl_add_u64 v[70:71], v[88:89], 2, v[64:65]
	s_mov_b32 s10, 0
	global_store_dword v[70:71], v69, off
	s_cbranch_execz .LBB11_83
; %bb.81:
	v_mov_b32_e32 v66, s10
	s_branch .LBB11_84
.LBB11_82:
                                        ; implicit-def: $sgpr10
.LBB11_83:
	v_lshl_add_u64 v[70:71], v[66:67], 0, v[90:91]
	flat_load_dword v69, v[70:71]
	v_lshl_add_u64 v[70:71], v[64:65], 0, v[90:91]
	v_lshl_add_u64 v[66:67], v[84:85], 2, v[66:67]
	s_waitcnt vmcnt(0) lgkmcnt(0)
	v_mul_f32_e32 v69, s22, v69
	v_min_f32_e32 v68, v69, v68
	global_store_dword v[70:71], v68, off
	flat_load_dword v66, v[66:67]
	s_waitcnt vmcnt(0) lgkmcnt(0)
	v_mul_f32_e32 v66, s22, v66
.LBB11_84:
	v_pk_add_f32 v[60:61], v[0:1], v[60:61]
	s_mov_b64 vcc, s[6:7]
	v_min3_f32 v67, v60, v61, v150
	s_waitcnt lgkmcnt(10)
	v_pk_add_f32 v[60:61], v[16:17], v[56:57]
	s_nop 0
	v_min3_f32 v68, v60, v61, v151
	v_pk_add_f32 v[60:61], v[2:3], v[62:63]
	s_nop 0
	v_min_f32_e32 v62, v60, v61
	v_pk_add_f32 v[60:61], v[18:19], v[58:59]
	v_min3_f32 v62, v66, v62, v67
	v_min3_f32 v68, v60, v61, v68
	v_lshl_add_u64 v[60:61], v[84:85], 2, v[64:65]
	global_store_dword v[60:61], v62, off
	v_add_u32_e32 v62, 40, v96
	v_mad_i64_i32 v[60:61], s[2:3], v62, s5, 0
	v_lshl_add_u64 v[60:61], v[60:61], 2, s[0:1]
	v_mad_i64_i32 v[62:63], s[2:3], v62, s4, 0
	v_max_f32_e32 v64, v68, v68
	s_cbranch_vccz .LBB11_87
; %bb.85:
	v_min_f32_e32 v65, 0, v64
	v_lshl_add_u64 v[66:67], v[82:83], 2, v[60:61]
	s_mov_b32 s10, 0
	global_store_dword v[66:67], v65, off
	v_lshl_add_u64 v[62:63], v[62:63], 2, s[8:9]
	s_cbranch_execz .LBB11_88
; %bb.86:
	v_mov_b32_e32 v64, s10
	s_branch .LBB11_89
.LBB11_87:
                                        ; implicit-def: $sgpr10
	v_lshl_add_u64 v[62:63], v[62:63], 2, s[8:9]
.LBB11_88:
	v_lshl_add_u64 v[66:67], v[62:63], 0, v[86:87]
	flat_load_dword v65, v[66:67]
	v_lshl_add_u64 v[66:67], v[60:61], 0, v[86:87]
	s_waitcnt vmcnt(0) lgkmcnt(0)
	v_mul_f32_e32 v65, s22, v65
	v_min_f32_e32 v64, v65, v64
	global_store_dword v[66:67], v64, off
	v_lshl_add_u64 v[64:65], v[80:81], 2, v[62:63]
	flat_load_dword v64, v[64:65]
	s_waitcnt vmcnt(0) lgkmcnt(0)
	v_mul_f32_e32 v64, s22, v64
.LBB11_89:
	v_pk_add_f32 v[66:67], v[12:13], v[56:57]
	s_mov_b64 vcc, s[6:7]
	v_min3_f32 v65, v66, v67, v147
	v_pk_add_f32 v[66:67], v[8:9], v[56:57]
	s_nop 0
	v_min3_f32 v68, v66, v67, v148
	v_pk_add_f32 v[66:67], v[14:15], v[58:59]
	s_nop 0
	v_min_f32_e32 v69, v66, v67
	v_pk_add_f32 v[66:67], v[10:11], v[58:59]
	s_nop 0
	v_min3_f32 v66, v66, v67, v68
	v_min3_f32 v67, v64, v69, v65
	v_lshl_add_u64 v[64:65], v[80:81], 2, v[60:61]
	global_store_dword v[64:65], v67, off
	v_max_f32_e32 v64, v66, v66
	s_cbranch_vccz .LBB11_92
; %bb.90:
	v_min_f32_e32 v65, 0, v64
	v_lshl_add_u64 v[66:67], v[88:89], 2, v[60:61]
	s_mov_b32 s10, 0
	global_store_dword v[66:67], v65, off
	s_cbranch_execz .LBB11_93
; %bb.91:
	v_mov_b32_e32 v62, s10
	s_branch .LBB11_94
.LBB11_92:
                                        ; implicit-def: $sgpr10
.LBB11_93:
	v_lshl_add_u64 v[66:67], v[62:63], 0, v[90:91]
	flat_load_dword v65, v[66:67]
	v_lshl_add_u64 v[66:67], v[60:61], 0, v[90:91]
	v_lshl_add_u64 v[62:63], v[84:85], 2, v[62:63]
	s_waitcnt vmcnt(0) lgkmcnt(0)
	v_mul_f32_e32 v65, s22, v65
	v_min_f32_e32 v64, v65, v64
	global_store_dword v[66:67], v64, off
	flat_load_dword v62, v[62:63]
	s_waitcnt vmcnt(0) lgkmcnt(0)
	v_mul_f32_e32 v62, s22, v62
.LBB11_94:
	v_pk_add_f32 v[56:57], v[0:1], v[56:57]
	s_mov_b64 vcc, s[6:7]
	v_min3_f32 v63, v56, v57, v145
	s_waitcnt lgkmcnt(9)
	v_pk_add_f32 v[56:57], v[16:17], v[52:53]
	s_nop 0
	v_min3_f32 v64, v56, v57, v146
	v_pk_add_f32 v[56:57], v[2:3], v[58:59]
	s_nop 0
	v_min_f32_e32 v58, v56, v57
	v_pk_add_f32 v[56:57], v[18:19], v[54:55]
	v_min3_f32 v58, v62, v58, v63
	v_min3_f32 v64, v56, v57, v64
	v_lshl_add_u64 v[56:57], v[84:85], 2, v[60:61]
	global_store_dword v[56:57], v58, off
	v_add_u32_e32 v58, 48, v96
	v_mad_i64_i32 v[56:57], s[2:3], v58, s5, 0
	v_lshl_add_u64 v[56:57], v[56:57], 2, s[0:1]
	v_mad_i64_i32 v[58:59], s[2:3], v58, s4, 0
	v_max_f32_e32 v60, v64, v64
	s_cbranch_vccz .LBB11_97
; %bb.95:
	v_min_f32_e32 v61, 0, v60
	v_lshl_add_u64 v[62:63], v[82:83], 2, v[56:57]
	s_mov_b32 s10, 0
	global_store_dword v[62:63], v61, off
	v_lshl_add_u64 v[58:59], v[58:59], 2, s[8:9]
	s_cbranch_execz .LBB11_98
; %bb.96:
	v_mov_b32_e32 v60, s10
	s_branch .LBB11_99
.LBB11_97:
                                        ; implicit-def: $sgpr10
	v_lshl_add_u64 v[58:59], v[58:59], 2, s[8:9]
.LBB11_98:
	v_lshl_add_u64 v[62:63], v[58:59], 0, v[86:87]
	flat_load_dword v61, v[62:63]
	v_lshl_add_u64 v[62:63], v[56:57], 0, v[86:87]
	s_waitcnt vmcnt(0) lgkmcnt(0)
	v_mul_f32_e32 v61, s22, v61
	v_min_f32_e32 v60, v61, v60
	global_store_dword v[62:63], v60, off
	v_lshl_add_u64 v[60:61], v[80:81], 2, v[58:59]
	flat_load_dword v60, v[60:61]
	s_waitcnt vmcnt(0) lgkmcnt(0)
	v_mul_f32_e32 v60, s22, v60
.LBB11_99:
	v_pk_add_f32 v[62:63], v[12:13], v[52:53]
	s_mov_b64 vcc, s[6:7]
	v_min3_f32 v61, v62, v63, v143
	v_pk_add_f32 v[62:63], v[8:9], v[52:53]
	s_nop 0
	v_min3_f32 v64, v62, v63, v144
	v_pk_add_f32 v[62:63], v[14:15], v[54:55]
	s_nop 0
	v_min_f32_e32 v65, v62, v63
	v_pk_add_f32 v[62:63], v[10:11], v[54:55]
	s_nop 0
	v_min3_f32 v62, v62, v63, v64
	v_min3_f32 v63, v60, v65, v61
	v_lshl_add_u64 v[60:61], v[80:81], 2, v[56:57]
	global_store_dword v[60:61], v63, off
	v_max_f32_e32 v60, v62, v62
	s_cbranch_vccz .LBB11_102
; %bb.100:
	v_min_f32_e32 v61, 0, v60
	v_lshl_add_u64 v[62:63], v[88:89], 2, v[56:57]
	s_mov_b32 s10, 0
	global_store_dword v[62:63], v61, off
	s_cbranch_execz .LBB11_103
; %bb.101:
	v_mov_b32_e32 v58, s10
	s_branch .LBB11_104
.LBB11_102:
                                        ; implicit-def: $sgpr10
.LBB11_103:
	v_lshl_add_u64 v[62:63], v[58:59], 0, v[90:91]
	flat_load_dword v61, v[62:63]
	v_lshl_add_u64 v[62:63], v[56:57], 0, v[90:91]
	v_lshl_add_u64 v[58:59], v[84:85], 2, v[58:59]
	s_waitcnt vmcnt(0) lgkmcnt(0)
	v_mul_f32_e32 v61, s22, v61
	v_min_f32_e32 v60, v61, v60
	global_store_dword v[62:63], v60, off
	flat_load_dword v58, v[58:59]
	s_waitcnt vmcnt(0) lgkmcnt(0)
	v_mul_f32_e32 v58, s22, v58
.LBB11_104:
	v_pk_add_f32 v[52:53], v[0:1], v[52:53]
	s_mov_b64 vcc, s[6:7]
	v_min3_f32 v59, v52, v53, v141
	s_waitcnt lgkmcnt(8)
	v_pk_add_f32 v[52:53], v[16:17], v[48:49]
	s_nop 0
	v_min3_f32 v60, v52, v53, v142
	v_pk_add_f32 v[52:53], v[2:3], v[54:55]
	s_nop 0
	v_min_f32_e32 v54, v52, v53
	v_pk_add_f32 v[52:53], v[18:19], v[50:51]
	v_min3_f32 v54, v58, v54, v59
	v_min3_f32 v60, v52, v53, v60
	v_lshl_add_u64 v[52:53], v[84:85], 2, v[56:57]
	global_store_dword v[52:53], v54, off
	v_add_u32_e32 v54, 56, v96
	v_mad_i64_i32 v[52:53], s[2:3], v54, s5, 0
	v_lshl_add_u64 v[52:53], v[52:53], 2, s[0:1]
	v_mad_i64_i32 v[54:55], s[2:3], v54, s4, 0
	v_max_f32_e32 v56, v60, v60
	s_cbranch_vccz .LBB11_107
; %bb.105:
	v_min_f32_e32 v57, 0, v56
	v_lshl_add_u64 v[58:59], v[82:83], 2, v[52:53]
	s_mov_b32 s10, 0
	global_store_dword v[58:59], v57, off
	v_lshl_add_u64 v[54:55], v[54:55], 2, s[8:9]
	s_cbranch_execz .LBB11_108
; %bb.106:
	v_mov_b32_e32 v56, s10
	s_branch .LBB11_109
.LBB11_107:
                                        ; implicit-def: $sgpr10
	v_lshl_add_u64 v[54:55], v[54:55], 2, s[8:9]
.LBB11_108:
	v_lshl_add_u64 v[58:59], v[54:55], 0, v[86:87]
	flat_load_dword v57, v[58:59]
	v_lshl_add_u64 v[58:59], v[52:53], 0, v[86:87]
	s_waitcnt vmcnt(0) lgkmcnt(0)
	v_mul_f32_e32 v57, s22, v57
	v_min_f32_e32 v56, v57, v56
	global_store_dword v[58:59], v56, off
	v_lshl_add_u64 v[56:57], v[80:81], 2, v[54:55]
	flat_load_dword v56, v[56:57]
	s_waitcnt vmcnt(0) lgkmcnt(0)
	v_mul_f32_e32 v56, s22, v56
.LBB11_109:
	v_pk_add_f32 v[58:59], v[12:13], v[48:49]
	s_mov_b64 vcc, s[6:7]
	v_min3_f32 v57, v58, v59, v139
	v_pk_add_f32 v[58:59], v[8:9], v[48:49]
	s_nop 0
	v_min3_f32 v60, v58, v59, v140
	v_pk_add_f32 v[58:59], v[14:15], v[50:51]
	s_nop 0
	v_min_f32_e32 v61, v58, v59
	v_pk_add_f32 v[58:59], v[10:11], v[50:51]
	s_nop 0
	v_min3_f32 v58, v58, v59, v60
	v_min3_f32 v59, v56, v61, v57
	v_lshl_add_u64 v[56:57], v[80:81], 2, v[52:53]
	global_store_dword v[56:57], v59, off
	v_max_f32_e32 v56, v58, v58
	s_cbranch_vccz .LBB11_112
; %bb.110:
	v_min_f32_e32 v57, 0, v56
	v_lshl_add_u64 v[58:59], v[88:89], 2, v[52:53]
	s_mov_b32 s10, 0
	global_store_dword v[58:59], v57, off
	s_cbranch_execz .LBB11_113
; %bb.111:
	v_mov_b32_e32 v54, s10
	s_branch .LBB11_114
.LBB11_112:
                                        ; implicit-def: $sgpr10
.LBB11_113:
	v_lshl_add_u64 v[58:59], v[54:55], 0, v[90:91]
	flat_load_dword v57, v[58:59]
	v_lshl_add_u64 v[58:59], v[52:53], 0, v[90:91]
	v_lshl_add_u64 v[54:55], v[84:85], 2, v[54:55]
	s_waitcnt vmcnt(0) lgkmcnt(0)
	v_mul_f32_e32 v57, s22, v57
	v_min_f32_e32 v56, v57, v56
	global_store_dword v[58:59], v56, off
	flat_load_dword v54, v[54:55]
	s_waitcnt vmcnt(0) lgkmcnt(0)
	v_mul_f32_e32 v54, s22, v54
.LBB11_114:
	v_pk_add_f32 v[48:49], v[0:1], v[48:49]
	s_mov_b64 vcc, s[6:7]
	v_min3_f32 v55, v48, v49, v135
	s_waitcnt lgkmcnt(7)
	v_pk_add_f32 v[48:49], v[16:17], v[44:45]
	s_nop 0
	v_min3_f32 v56, v48, v49, v137
	v_pk_add_f32 v[48:49], v[2:3], v[50:51]
	s_nop 0
	v_min_f32_e32 v50, v48, v49
	v_pk_add_f32 v[48:49], v[18:19], v[46:47]
	v_min3_f32 v50, v54, v50, v55
	v_min3_f32 v56, v48, v49, v56
	v_lshl_add_u64 v[48:49], v[84:85], 2, v[52:53]
	global_store_dword v[48:49], v50, off
	v_add_u32_e32 v50, 64, v96
	v_mad_i64_i32 v[48:49], s[2:3], v50, s5, 0
	v_lshl_add_u64 v[48:49], v[48:49], 2, s[0:1]
	v_mad_i64_i32 v[50:51], s[2:3], v50, s4, 0
	v_max_f32_e32 v52, v56, v56
	s_cbranch_vccz .LBB11_117
; %bb.115:
	v_min_f32_e32 v53, 0, v52
	v_lshl_add_u64 v[54:55], v[82:83], 2, v[48:49]
	s_mov_b32 s10, 0
	global_store_dword v[54:55], v53, off
	v_lshl_add_u64 v[50:51], v[50:51], 2, s[8:9]
	s_cbranch_execz .LBB11_118
; %bb.116:
	v_mov_b32_e32 v52, s10
	s_branch .LBB11_119
.LBB11_117:
                                        ; implicit-def: $sgpr10
	v_lshl_add_u64 v[50:51], v[50:51], 2, s[8:9]
.LBB11_118:
	v_lshl_add_u64 v[54:55], v[50:51], 0, v[86:87]
	flat_load_dword v53, v[54:55]
	v_lshl_add_u64 v[54:55], v[48:49], 0, v[86:87]
	s_waitcnt vmcnt(0) lgkmcnt(0)
	v_mul_f32_e32 v53, s22, v53
	v_min_f32_e32 v52, v53, v52
	global_store_dword v[54:55], v52, off
	v_lshl_add_u64 v[52:53], v[80:81], 2, v[50:51]
	flat_load_dword v52, v[52:53]
	s_waitcnt vmcnt(0) lgkmcnt(0)
	v_mul_f32_e32 v52, s22, v52
.LBB11_119:
	v_pk_add_f32 v[54:55], v[12:13], v[44:45]
	s_mov_b64 vcc, s[6:7]
	v_min3_f32 v53, v54, v55, v133
	v_pk_add_f32 v[54:55], v[8:9], v[44:45]
	s_nop 0
	v_min3_f32 v56, v54, v55, v134
	v_pk_add_f32 v[54:55], v[14:15], v[46:47]
	s_nop 0
	v_min_f32_e32 v57, v54, v55
	v_pk_add_f32 v[54:55], v[10:11], v[46:47]
	s_nop 0
	v_min3_f32 v54, v54, v55, v56
	v_min3_f32 v55, v52, v57, v53
	v_lshl_add_u64 v[52:53], v[80:81], 2, v[48:49]
	global_store_dword v[52:53], v55, off
	v_max_f32_e32 v52, v54, v54
	s_cbranch_vccz .LBB11_122
; %bb.120:
	v_min_f32_e32 v53, 0, v52
	v_lshl_add_u64 v[54:55], v[88:89], 2, v[48:49]
	s_mov_b32 s10, 0
	global_store_dword v[54:55], v53, off
	s_cbranch_execz .LBB11_123
; %bb.121:
	v_mov_b32_e32 v50, s10
	s_branch .LBB11_124
.LBB11_122:
                                        ; implicit-def: $sgpr10
.LBB11_123:
	v_lshl_add_u64 v[54:55], v[50:51], 0, v[90:91]
	flat_load_dword v53, v[54:55]
	v_lshl_add_u64 v[54:55], v[48:49], 0, v[90:91]
	v_lshl_add_u64 v[50:51], v[84:85], 2, v[50:51]
	s_waitcnt vmcnt(0) lgkmcnt(0)
	v_mul_f32_e32 v53, s22, v53
	v_min_f32_e32 v52, v53, v52
	global_store_dword v[54:55], v52, off
	flat_load_dword v50, v[50:51]
	s_waitcnt vmcnt(0) lgkmcnt(0)
	v_mul_f32_e32 v50, s22, v50
.LBB11_124:
	v_pk_add_f32 v[44:45], v[0:1], v[44:45]
	s_mov_b64 vcc, s[6:7]
	v_min3_f32 v51, v44, v45, v131
	s_waitcnt lgkmcnt(6)
	v_pk_add_f32 v[44:45], v[16:17], v[40:41]
	s_nop 0
	v_min3_f32 v52, v44, v45, v132
	v_pk_add_f32 v[44:45], v[2:3], v[46:47]
	s_nop 0
	v_min_f32_e32 v46, v44, v45
	v_pk_add_f32 v[44:45], v[18:19], v[42:43]
	v_min3_f32 v46, v50, v46, v51
	v_min3_f32 v52, v44, v45, v52
	v_lshl_add_u64 v[44:45], v[84:85], 2, v[48:49]
	global_store_dword v[44:45], v46, off
	v_add_u32_e32 v46, 0x48, v96
	v_mad_i64_i32 v[44:45], s[2:3], v46, s5, 0
	v_lshl_add_u64 v[44:45], v[44:45], 2, s[0:1]
	v_mad_i64_i32 v[46:47], s[2:3], v46, s4, 0
	v_max_f32_e32 v48, v52, v52
	s_cbranch_vccz .LBB11_127
; %bb.125:
	v_min_f32_e32 v49, 0, v48
	v_lshl_add_u64 v[50:51], v[82:83], 2, v[44:45]
	s_mov_b32 s10, 0
	global_store_dword v[50:51], v49, off
	v_lshl_add_u64 v[46:47], v[46:47], 2, s[8:9]
	s_cbranch_execz .LBB11_128
; %bb.126:
	v_mov_b32_e32 v48, s10
	s_branch .LBB11_129
.LBB11_127:
                                        ; implicit-def: $sgpr10
	v_lshl_add_u64 v[46:47], v[46:47], 2, s[8:9]
.LBB11_128:
	v_lshl_add_u64 v[50:51], v[46:47], 0, v[86:87]
	flat_load_dword v49, v[50:51]
	v_lshl_add_u64 v[50:51], v[44:45], 0, v[86:87]
	s_waitcnt vmcnt(0) lgkmcnt(0)
	v_mul_f32_e32 v49, s22, v49
	v_min_f32_e32 v48, v49, v48
	global_store_dword v[50:51], v48, off
	v_lshl_add_u64 v[48:49], v[80:81], 2, v[46:47]
	flat_load_dword v48, v[48:49]
	s_waitcnt vmcnt(0) lgkmcnt(0)
	v_mul_f32_e32 v48, s22, v48
.LBB11_129:
	v_pk_add_f32 v[50:51], v[12:13], v[40:41]
	s_mov_b64 vcc, s[6:7]
	v_min3_f32 v49, v50, v51, v127
	v_pk_add_f32 v[50:51], v[8:9], v[40:41]
	s_nop 0
	v_min3_f32 v52, v50, v51, v128
	v_pk_add_f32 v[50:51], v[14:15], v[42:43]
	s_nop 0
	v_min_f32_e32 v53, v50, v51
	v_pk_add_f32 v[50:51], v[10:11], v[42:43]
	s_nop 0
	v_min3_f32 v50, v50, v51, v52
	v_min3_f32 v51, v48, v53, v49
	v_lshl_add_u64 v[48:49], v[80:81], 2, v[44:45]
	global_store_dword v[48:49], v51, off
	v_max_f32_e32 v48, v50, v50
	s_cbranch_vccz .LBB11_132
; %bb.130:
	v_min_f32_e32 v49, 0, v48
	v_lshl_add_u64 v[50:51], v[88:89], 2, v[44:45]
	s_mov_b32 s10, 0
	global_store_dword v[50:51], v49, off
	s_cbranch_execz .LBB11_133
; %bb.131:
	v_mov_b32_e32 v46, s10
	s_branch .LBB11_134
.LBB11_132:
                                        ; implicit-def: $sgpr10
.LBB11_133:
	v_lshl_add_u64 v[50:51], v[46:47], 0, v[90:91]
	flat_load_dword v49, v[50:51]
	v_lshl_add_u64 v[50:51], v[44:45], 0, v[90:91]
	v_lshl_add_u64 v[46:47], v[84:85], 2, v[46:47]
	s_waitcnt vmcnt(0) lgkmcnt(0)
	v_mul_f32_e32 v49, s22, v49
	v_min_f32_e32 v48, v49, v48
	global_store_dword v[50:51], v48, off
	flat_load_dword v46, v[46:47]
	s_waitcnt vmcnt(0) lgkmcnt(0)
	v_mul_f32_e32 v46, s22, v46
.LBB11_134:
	v_pk_add_f32 v[40:41], v[0:1], v[40:41]
	s_mov_b64 vcc, s[6:7]
	v_min3_f32 v47, v40, v41, v125
	s_waitcnt lgkmcnt(5)
	v_pk_add_f32 v[40:41], v[16:17], v[36:37]
	s_nop 0
	v_min3_f32 v48, v40, v41, v126
	v_pk_add_f32 v[40:41], v[2:3], v[42:43]
	s_nop 0
	v_min_f32_e32 v42, v40, v41
	v_pk_add_f32 v[40:41], v[18:19], v[38:39]
	v_min3_f32 v42, v46, v42, v47
	v_min3_f32 v48, v40, v41, v48
	v_lshl_add_u64 v[40:41], v[84:85], 2, v[44:45]
	global_store_dword v[40:41], v42, off
	v_add_u32_e32 v42, 0x50, v96
	v_mad_i64_i32 v[40:41], s[2:3], v42, s5, 0
	v_lshl_add_u64 v[40:41], v[40:41], 2, s[0:1]
	v_mad_i64_i32 v[42:43], s[2:3], v42, s4, 0
	v_max_f32_e32 v44, v48, v48
	s_cbranch_vccz .LBB11_137
; %bb.135:
	v_min_f32_e32 v45, 0, v44
	v_lshl_add_u64 v[46:47], v[82:83], 2, v[40:41]
	s_mov_b32 s10, 0
	global_store_dword v[46:47], v45, off
	v_lshl_add_u64 v[42:43], v[42:43], 2, s[8:9]
	s_cbranch_execz .LBB11_138
; %bb.136:
	v_mov_b32_e32 v44, s10
	s_branch .LBB11_139
.LBB11_137:
                                        ; implicit-def: $sgpr10
	v_lshl_add_u64 v[42:43], v[42:43], 2, s[8:9]
.LBB11_138:
	v_lshl_add_u64 v[46:47], v[42:43], 0, v[86:87]
	flat_load_dword v45, v[46:47]
	v_lshl_add_u64 v[46:47], v[40:41], 0, v[86:87]
	s_waitcnt vmcnt(0) lgkmcnt(0)
	v_mul_f32_e32 v45, s22, v45
	v_min_f32_e32 v44, v45, v44
	global_store_dword v[46:47], v44, off
	v_lshl_add_u64 v[44:45], v[80:81], 2, v[42:43]
	flat_load_dword v44, v[44:45]
	s_waitcnt vmcnt(0) lgkmcnt(0)
	v_mul_f32_e32 v44, s22, v44
.LBB11_139:
	v_pk_add_f32 v[46:47], v[12:13], v[36:37]
	s_mov_b64 vcc, s[6:7]
	v_min3_f32 v45, v46, v47, v123
	v_pk_add_f32 v[46:47], v[8:9], v[36:37]
	s_nop 0
	v_min3_f32 v48, v46, v47, v124
	v_pk_add_f32 v[46:47], v[14:15], v[38:39]
	s_nop 0
	v_min_f32_e32 v49, v46, v47
	v_pk_add_f32 v[46:47], v[10:11], v[38:39]
	s_nop 0
	v_min3_f32 v46, v46, v47, v48
	v_min3_f32 v47, v44, v49, v45
	v_lshl_add_u64 v[44:45], v[80:81], 2, v[40:41]
	global_store_dword v[44:45], v47, off
	v_max_f32_e32 v44, v46, v46
	s_cbranch_vccz .LBB11_142
; %bb.140:
	v_min_f32_e32 v45, 0, v44
	v_lshl_add_u64 v[46:47], v[88:89], 2, v[40:41]
	s_mov_b32 s10, 0
	global_store_dword v[46:47], v45, off
	s_cbranch_execz .LBB11_143
; %bb.141:
	v_mov_b32_e32 v42, s10
	s_branch .LBB11_144
.LBB11_142:
                                        ; implicit-def: $sgpr10
.LBB11_143:
	v_lshl_add_u64 v[46:47], v[42:43], 0, v[90:91]
	flat_load_dword v45, v[46:47]
	v_lshl_add_u64 v[46:47], v[40:41], 0, v[90:91]
	v_lshl_add_u64 v[42:43], v[84:85], 2, v[42:43]
	s_waitcnt vmcnt(0) lgkmcnt(0)
	v_mul_f32_e32 v45, s22, v45
	v_min_f32_e32 v44, v45, v44
	global_store_dword v[46:47], v44, off
	flat_load_dword v42, v[42:43]
	s_waitcnt vmcnt(0) lgkmcnt(0)
	v_mul_f32_e32 v42, s22, v42
.LBB11_144:
	v_pk_add_f32 v[36:37], v[0:1], v[36:37]
	s_mov_b64 vcc, s[6:7]
	v_min3_f32 v43, v36, v37, v121
	s_waitcnt lgkmcnt(4)
	v_pk_add_f32 v[36:37], v[16:17], v[32:33]
	s_nop 0
	v_min3_f32 v44, v36, v37, v122
	v_pk_add_f32 v[36:37], v[2:3], v[38:39]
	s_nop 0
	v_min_f32_e32 v38, v36, v37
	v_pk_add_f32 v[36:37], v[18:19], v[34:35]
	v_min3_f32 v38, v42, v38, v43
	v_min3_f32 v44, v36, v37, v44
	v_lshl_add_u64 v[36:37], v[84:85], 2, v[40:41]
	global_store_dword v[36:37], v38, off
	v_add_u32_e32 v38, 0x58, v96
	v_mad_i64_i32 v[36:37], s[2:3], v38, s5, 0
	v_lshl_add_u64 v[36:37], v[36:37], 2, s[0:1]
	v_mad_i64_i32 v[38:39], s[2:3], v38, s4, 0
	v_max_f32_e32 v40, v44, v44
	s_cbranch_vccz .LBB11_147
; %bb.145:
	v_min_f32_e32 v41, 0, v40
	v_lshl_add_u64 v[42:43], v[82:83], 2, v[36:37]
	s_mov_b32 s10, 0
	global_store_dword v[42:43], v41, off
	v_lshl_add_u64 v[38:39], v[38:39], 2, s[8:9]
	s_cbranch_execz .LBB11_148
; %bb.146:
	v_mov_b32_e32 v40, s10
	s_branch .LBB11_149
.LBB11_147:
                                        ; implicit-def: $sgpr10
	v_lshl_add_u64 v[38:39], v[38:39], 2, s[8:9]
.LBB11_148:
	v_lshl_add_u64 v[42:43], v[38:39], 0, v[86:87]
	flat_load_dword v41, v[42:43]
	v_lshl_add_u64 v[42:43], v[36:37], 0, v[86:87]
	s_waitcnt vmcnt(0) lgkmcnt(0)
	v_mul_f32_e32 v41, s22, v41
	v_min_f32_e32 v40, v41, v40
	global_store_dword v[42:43], v40, off
	v_lshl_add_u64 v[40:41], v[80:81], 2, v[38:39]
	flat_load_dword v40, v[40:41]
	s_waitcnt vmcnt(0) lgkmcnt(0)
	v_mul_f32_e32 v40, s22, v40
.LBB11_149:
	v_pk_add_f32 v[42:43], v[12:13], v[32:33]
	s_mov_b64 vcc, s[6:7]
	v_min3_f32 v41, v42, v43, v119
	v_pk_add_f32 v[42:43], v[8:9], v[32:33]
	s_nop 0
	v_min3_f32 v44, v42, v43, v120
	v_pk_add_f32 v[42:43], v[14:15], v[34:35]
	s_nop 0
	v_min_f32_e32 v45, v42, v43
	v_pk_add_f32 v[42:43], v[10:11], v[34:35]
	s_nop 0
	v_min3_f32 v42, v42, v43, v44
	v_min3_f32 v43, v40, v45, v41
	v_lshl_add_u64 v[40:41], v[80:81], 2, v[36:37]
	global_store_dword v[40:41], v43, off
	v_max_f32_e32 v40, v42, v42
	s_cbranch_vccz .LBB11_152
; %bb.150:
	v_min_f32_e32 v41, 0, v40
	v_lshl_add_u64 v[42:43], v[88:89], 2, v[36:37]
	s_mov_b32 s10, 0
	global_store_dword v[42:43], v41, off
	s_cbranch_execz .LBB11_153
; %bb.151:
	v_mov_b32_e32 v38, s10
	s_branch .LBB11_154
.LBB11_152:
                                        ; implicit-def: $sgpr10
.LBB11_153:
	v_lshl_add_u64 v[42:43], v[38:39], 0, v[90:91]
	flat_load_dword v41, v[42:43]
	v_lshl_add_u64 v[42:43], v[36:37], 0, v[90:91]
	v_lshl_add_u64 v[38:39], v[84:85], 2, v[38:39]
	s_waitcnt vmcnt(0) lgkmcnt(0)
	v_mul_f32_e32 v41, s22, v41
	v_min_f32_e32 v40, v41, v40
	global_store_dword v[42:43], v40, off
	flat_load_dword v38, v[38:39]
	s_waitcnt vmcnt(0) lgkmcnt(0)
	v_mul_f32_e32 v38, s22, v38
.LBB11_154:
	v_pk_add_f32 v[32:33], v[0:1], v[32:33]
	s_mov_b64 vcc, s[6:7]
	v_min3_f32 v39, v32, v33, v117
	s_waitcnt lgkmcnt(3)
	v_pk_add_f32 v[32:33], v[16:17], v[28:29]
	s_nop 0
	v_min3_f32 v40, v32, v33, v118
	v_pk_add_f32 v[32:33], v[2:3], v[34:35]
	s_nop 0
	v_min_f32_e32 v34, v32, v33
	v_pk_add_f32 v[32:33], v[18:19], v[30:31]
	v_min3_f32 v34, v38, v34, v39
	v_min3_f32 v40, v32, v33, v40
	v_lshl_add_u64 v[32:33], v[84:85], 2, v[36:37]
	global_store_dword v[32:33], v34, off
	v_add_u32_e32 v34, 0x60, v96
	v_mad_i64_i32 v[32:33], s[2:3], v34, s5, 0
	v_lshl_add_u64 v[32:33], v[32:33], 2, s[0:1]
	v_mad_i64_i32 v[34:35], s[2:3], v34, s4, 0
	v_max_f32_e32 v36, v40, v40
	s_cbranch_vccz .LBB11_157
; %bb.155:
	v_min_f32_e32 v37, 0, v36
	v_lshl_add_u64 v[38:39], v[82:83], 2, v[32:33]
	s_mov_b32 s10, 0
	global_store_dword v[38:39], v37, off
	v_lshl_add_u64 v[34:35], v[34:35], 2, s[8:9]
	s_cbranch_execz .LBB11_158
; %bb.156:
	v_mov_b32_e32 v36, s10
	s_branch .LBB11_159
.LBB11_157:
                                        ; implicit-def: $sgpr10
	v_lshl_add_u64 v[34:35], v[34:35], 2, s[8:9]
.LBB11_158:
	v_lshl_add_u64 v[38:39], v[34:35], 0, v[86:87]
	flat_load_dword v37, v[38:39]
	v_lshl_add_u64 v[38:39], v[32:33], 0, v[86:87]
	s_waitcnt vmcnt(0) lgkmcnt(0)
	v_mul_f32_e32 v37, s22, v37
	v_min_f32_e32 v36, v37, v36
	global_store_dword v[38:39], v36, off
	v_lshl_add_u64 v[36:37], v[80:81], 2, v[34:35]
	flat_load_dword v36, v[36:37]
	s_waitcnt vmcnt(0) lgkmcnt(0)
	v_mul_f32_e32 v36, s22, v36
.LBB11_159:
	v_pk_add_f32 v[38:39], v[12:13], v[28:29]
	s_mov_b64 vcc, s[6:7]
	v_min3_f32 v37, v38, v39, v115
	v_pk_add_f32 v[38:39], v[8:9], v[28:29]
	s_nop 0
	v_min3_f32 v40, v38, v39, v116
	v_pk_add_f32 v[38:39], v[14:15], v[30:31]
	s_nop 0
	v_min_f32_e32 v41, v38, v39
	v_pk_add_f32 v[38:39], v[10:11], v[30:31]
	s_nop 0
	v_min3_f32 v38, v38, v39, v40
	v_min3_f32 v39, v36, v41, v37
	v_lshl_add_u64 v[36:37], v[80:81], 2, v[32:33]
	global_store_dword v[36:37], v39, off
	v_max_f32_e32 v36, v38, v38
	s_cbranch_vccz .LBB11_162
; %bb.160:
	v_min_f32_e32 v37, 0, v36
	v_lshl_add_u64 v[38:39], v[88:89], 2, v[32:33]
	s_mov_b32 s10, 0
	global_store_dword v[38:39], v37, off
	s_cbranch_execz .LBB11_163
; %bb.161:
	v_mov_b32_e32 v34, s10
	s_branch .LBB11_164
.LBB11_162:
                                        ; implicit-def: $sgpr10
.LBB11_163:
	v_lshl_add_u64 v[38:39], v[34:35], 0, v[90:91]
	flat_load_dword v37, v[38:39]
	v_lshl_add_u64 v[38:39], v[32:33], 0, v[90:91]
	v_lshl_add_u64 v[34:35], v[84:85], 2, v[34:35]
	s_waitcnt vmcnt(0) lgkmcnt(0)
	v_mul_f32_e32 v37, s22, v37
	v_min_f32_e32 v36, v37, v36
	global_store_dword v[38:39], v36, off
	flat_load_dword v34, v[34:35]
	s_waitcnt vmcnt(0) lgkmcnt(0)
	v_mul_f32_e32 v34, s22, v34
.LBB11_164:
	v_pk_add_f32 v[28:29], v[0:1], v[28:29]
	s_mov_b64 vcc, s[6:7]
	v_min3_f32 v35, v28, v29, v113
	s_waitcnt lgkmcnt(2)
	v_pk_add_f32 v[28:29], v[16:17], v[24:25]
	s_nop 0
	v_min3_f32 v36, v28, v29, v114
	v_pk_add_f32 v[28:29], v[2:3], v[30:31]
	s_nop 0
	v_min_f32_e32 v30, v28, v29
	v_pk_add_f32 v[28:29], v[18:19], v[26:27]
	v_min3_f32 v30, v34, v30, v35
	v_min3_f32 v36, v28, v29, v36
	v_lshl_add_u64 v[28:29], v[84:85], 2, v[32:33]
	global_store_dword v[28:29], v30, off
	v_add_u32_e32 v30, 0x68, v96
	v_mad_i64_i32 v[28:29], s[2:3], v30, s5, 0
	v_lshl_add_u64 v[28:29], v[28:29], 2, s[0:1]
	v_mad_i64_i32 v[30:31], s[2:3], v30, s4, 0
	v_max_f32_e32 v32, v36, v36
	s_cbranch_vccz .LBB11_167
; %bb.165:
	v_min_f32_e32 v33, 0, v32
	v_lshl_add_u64 v[34:35], v[82:83], 2, v[28:29]
	s_mov_b32 s10, 0
	global_store_dword v[34:35], v33, off
	v_lshl_add_u64 v[30:31], v[30:31], 2, s[8:9]
	s_cbranch_execz .LBB11_168
; %bb.166:
	v_mov_b32_e32 v32, s10
	s_branch .LBB11_169
.LBB11_167:
                                        ; implicit-def: $sgpr10
	v_lshl_add_u64 v[30:31], v[30:31], 2, s[8:9]
.LBB11_168:
	v_lshl_add_u64 v[34:35], v[30:31], 0, v[86:87]
	flat_load_dword v33, v[34:35]
	v_lshl_add_u64 v[34:35], v[28:29], 0, v[86:87]
	s_waitcnt vmcnt(0) lgkmcnt(0)
	v_mul_f32_e32 v33, s22, v33
	v_min_f32_e32 v32, v33, v32
	global_store_dword v[34:35], v32, off
	v_lshl_add_u64 v[32:33], v[80:81], 2, v[30:31]
	flat_load_dword v32, v[32:33]
	s_waitcnt vmcnt(0) lgkmcnt(0)
	v_mul_f32_e32 v32, s22, v32
.LBB11_169:
	v_pk_add_f32 v[34:35], v[12:13], v[24:25]
	s_mov_b64 vcc, s[6:7]
	v_min3_f32 v33, v34, v35, v111
	v_pk_add_f32 v[34:35], v[8:9], v[24:25]
	s_nop 0
	v_min3_f32 v36, v34, v35, v112
	v_pk_add_f32 v[34:35], v[14:15], v[26:27]
	s_nop 0
	v_min_f32_e32 v37, v34, v35
	v_pk_add_f32 v[34:35], v[10:11], v[26:27]
	s_nop 0
	v_min3_f32 v34, v34, v35, v36
	v_min3_f32 v35, v32, v37, v33
	v_lshl_add_u64 v[32:33], v[80:81], 2, v[28:29]
	global_store_dword v[32:33], v35, off
	v_max_f32_e32 v32, v34, v34
	s_cbranch_vccz .LBB11_172
; %bb.170:
	v_min_f32_e32 v33, 0, v32
	v_lshl_add_u64 v[34:35], v[88:89], 2, v[28:29]
	s_mov_b32 s10, 0
	global_store_dword v[34:35], v33, off
	s_cbranch_execz .LBB11_173
; %bb.171:
	v_mov_b32_e32 v30, s10
	s_branch .LBB11_174
.LBB11_172:
                                        ; implicit-def: $sgpr10
.LBB11_173:
	v_lshl_add_u64 v[34:35], v[30:31], 0, v[90:91]
	flat_load_dword v33, v[34:35]
	v_lshl_add_u64 v[34:35], v[28:29], 0, v[90:91]
	v_lshl_add_u64 v[30:31], v[84:85], 2, v[30:31]
	s_waitcnt vmcnt(0) lgkmcnt(0)
	v_mul_f32_e32 v33, s22, v33
	v_min_f32_e32 v32, v33, v32
	global_store_dword v[34:35], v32, off
	flat_load_dword v30, v[30:31]
	s_waitcnt vmcnt(0) lgkmcnt(0)
	v_mul_f32_e32 v30, s22, v30
.LBB11_174:
	v_pk_add_f32 v[24:25], v[0:1], v[24:25]
	s_mov_b64 vcc, s[6:7]
	v_min3_f32 v31, v24, v25, v109
	s_waitcnt lgkmcnt(1)
	v_pk_add_f32 v[24:25], v[16:17], v[20:21]
	s_nop 0
	v_min3_f32 v32, v24, v25, v110
	v_pk_add_f32 v[24:25], v[2:3], v[26:27]
	s_nop 0
	v_min_f32_e32 v26, v24, v25
	v_pk_add_f32 v[24:25], v[18:19], v[22:23]
	v_min3_f32 v26, v30, v26, v31
	v_min3_f32 v32, v24, v25, v32
	v_lshl_add_u64 v[24:25], v[84:85], 2, v[28:29]
	global_store_dword v[24:25], v26, off
	v_add_u32_e32 v26, 0x70, v96
	v_mad_i64_i32 v[24:25], s[2:3], v26, s5, 0
	v_lshl_add_u64 v[24:25], v[24:25], 2, s[0:1]
	v_mad_i64_i32 v[26:27], s[2:3], v26, s4, 0
	v_max_f32_e32 v28, v32, v32
	s_cbranch_vccz .LBB11_177
; %bb.175:
	v_min_f32_e32 v29, 0, v28
	v_lshl_add_u64 v[30:31], v[82:83], 2, v[24:25]
	s_mov_b32 s10, 0
	global_store_dword v[30:31], v29, off
	v_lshl_add_u64 v[26:27], v[26:27], 2, s[8:9]
	s_cbranch_execz .LBB11_178
; %bb.176:
	v_mov_b32_e32 v28, s10
	s_branch .LBB11_179
.LBB11_177:
                                        ; implicit-def: $sgpr10
	v_lshl_add_u64 v[26:27], v[26:27], 2, s[8:9]
.LBB11_178:
	v_lshl_add_u64 v[30:31], v[26:27], 0, v[86:87]
	flat_load_dword v29, v[30:31]
	v_lshl_add_u64 v[30:31], v[24:25], 0, v[86:87]
	s_waitcnt vmcnt(0) lgkmcnt(0)
	v_mul_f32_e32 v29, s22, v29
	v_min_f32_e32 v28, v29, v28
	global_store_dword v[30:31], v28, off
	v_lshl_add_u64 v[28:29], v[80:81], 2, v[26:27]
	flat_load_dword v28, v[28:29]
	s_waitcnt vmcnt(0) lgkmcnt(0)
	v_mul_f32_e32 v28, s22, v28
.LBB11_179:
	v_pk_add_f32 v[30:31], v[12:13], v[20:21]
	s_mov_b64 vcc, s[6:7]
	v_min3_f32 v29, v30, v31, v107
	v_pk_add_f32 v[30:31], v[8:9], v[20:21]
	s_nop 0
	v_min3_f32 v32, v30, v31, v108
	v_pk_add_f32 v[30:31], v[14:15], v[22:23]
	s_nop 0
	v_min_f32_e32 v33, v30, v31
	v_pk_add_f32 v[30:31], v[10:11], v[22:23]
	s_nop 0
	v_min3_f32 v30, v30, v31, v32
	v_min3_f32 v31, v28, v33, v29
	v_lshl_add_u64 v[28:29], v[80:81], 2, v[24:25]
	global_store_dword v[28:29], v31, off
	v_max_f32_e32 v28, v30, v30
	s_cbranch_vccz .LBB11_182
; %bb.180:
	v_min_f32_e32 v29, 0, v28
	v_lshl_add_u64 v[30:31], v[88:89], 2, v[24:25]
	s_mov_b32 s10, 0
	global_store_dword v[30:31], v29, off
	s_cbranch_execz .LBB11_183
; %bb.181:
	v_mov_b32_e32 v26, s10
	s_branch .LBB11_184
.LBB11_182:
                                        ; implicit-def: $sgpr10
.LBB11_183:
	v_lshl_add_u64 v[30:31], v[26:27], 0, v[90:91]
	flat_load_dword v29, v[30:31]
	v_lshl_add_u64 v[30:31], v[24:25], 0, v[90:91]
	v_lshl_add_u64 v[26:27], v[84:85], 2, v[26:27]
	s_waitcnt vmcnt(0) lgkmcnt(0)
	v_mul_f32_e32 v29, s22, v29
	v_min_f32_e32 v28, v29, v28
	global_store_dword v[30:31], v28, off
	flat_load_dword v26, v[26:27]
	s_waitcnt vmcnt(0) lgkmcnt(0)
	v_mul_f32_e32 v26, s22, v26
.LBB11_184:
	v_pk_add_f32 v[20:21], v[0:1], v[20:21]
	s_waitcnt lgkmcnt(0)
	v_pk_add_f32 v[16:17], v[16:17], v[4:5]
	v_min3_f32 v20, v20, v21, v104
	v_min3_f32 v21, v16, v17, v105
	v_pk_add_f32 v[16:17], v[2:3], v[22:23]
	s_mov_b64 vcc, s[6:7]
	v_min_f32_e32 v22, v16, v17
	v_pk_add_f32 v[16:17], v[18:19], v[6:7]
	v_min3_f32 v18, v26, v22, v20
	v_min3_f32 v21, v16, v17, v21
	v_lshl_add_u64 v[16:17], v[84:85], 2, v[24:25]
	global_store_dword v[16:17], v18, off
	v_add_u32_e32 v18, 0x78, v96
	v_mad_i64_i32 v[16:17], s[2:3], v18, s5, 0
	v_lshl_add_u64 v[16:17], v[16:17], 2, s[0:1]
	v_mad_i64_i32 v[18:19], s[0:1], v18, s4, 0
	v_max_f32_e32 v20, v21, v21
	s_cbranch_vccz .LBB11_187
; %bb.185:
	v_min_f32_e32 v21, 0, v20
	v_lshl_add_u64 v[22:23], v[82:83], 2, v[16:17]
	s_mov_b32 s2, 0
	global_store_dword v[22:23], v21, off
	v_lshl_add_u64 v[18:19], v[18:19], 2, s[8:9]
	s_cbranch_execz .LBB11_188
; %bb.186:
	v_mov_b32_e32 v20, s2
	s_branch .LBB11_189
.LBB11_187:
                                        ; implicit-def: $sgpr2
	v_lshl_add_u64 v[18:19], v[18:19], 2, s[8:9]
.LBB11_188:
	v_lshl_add_u64 v[22:23], v[18:19], 0, v[86:87]
	flat_load_dword v21, v[22:23]
	v_lshl_add_u64 v[22:23], v[16:17], 0, v[86:87]
	s_waitcnt vmcnt(0) lgkmcnt(0)
	v_mul_f32_e32 v21, s22, v21
	v_min_f32_e32 v20, v21, v20
	global_store_dword v[22:23], v20, off
	v_lshl_add_u64 v[20:21], v[80:81], 2, v[18:19]
	flat_load_dword v20, v[20:21]
	s_waitcnt vmcnt(0) lgkmcnt(0)
	v_mul_f32_e32 v20, s22, v20
.LBB11_189:
	v_pk_add_f32 v[12:13], v[12:13], v[4:5]
	v_pk_add_f32 v[8:9], v[8:9], v[4:5]
	v_min3_f32 v12, v12, v13, v102
	v_min3_f32 v13, v8, v9, v103
	v_pk_add_f32 v[8:9], v[14:15], v[6:7]
	s_mov_b64 vcc, s[6:7]
	v_min_f32_e32 v14, v8, v9
	v_pk_add_f32 v[8:9], v[10:11], v[6:7]
	v_min3_f32 v11, v20, v14, v12
	v_min3_f32 v10, v8, v9, v13
	v_lshl_add_u64 v[8:9], v[80:81], 2, v[16:17]
	global_store_dword v[8:9], v11, off
	v_max_f32_e32 v8, v10, v10
	s_cbranch_vccz .LBB11_192
; %bb.190:
	v_min_f32_e32 v9, 0, v8
	v_lshl_add_u64 v[10:11], v[88:89], 2, v[16:17]
	s_mov_b32 s2, 0
	global_store_dword v[10:11], v9, off
	s_cbranch_execz .LBB11_193
; %bb.191:
	v_mov_b32_e32 v8, s2
	s_branch .LBB11_194
.LBB11_192:
                                        ; implicit-def: $sgpr2
.LBB11_193:
	v_lshl_add_u64 v[10:11], v[18:19], 0, v[90:91]
	flat_load_dword v9, v[10:11]
	v_lshl_add_u64 v[10:11], v[16:17], 0, v[90:91]
	s_waitcnt vmcnt(0) lgkmcnt(0)
	v_mul_f32_e32 v9, s22, v9
	v_min_f32_e32 v8, v9, v8
	global_store_dword v[10:11], v8, off
	v_lshl_add_u64 v[8:9], v[84:85], 2, v[18:19]
	flat_load_dword v8, v[8:9]
	s_waitcnt vmcnt(0) lgkmcnt(0)
	v_mul_f32_e32 v8, s22, v8
.LBB11_194:
	v_pk_add_f32 v[2:3], v[2:3], v[6:7]
	v_pk_add_f32 v[0:1], v[0:1], v[4:5]
	v_min_f32_e32 v2, v2, v3
	v_min3_f32 v0, v0, v1, v106
	v_min3_f32 v2, v8, v2, v0
	v_lshl_add_u64 v[0:1], v[84:85], 2, v[16:17]
	global_store_dword v[0:1], v2, off
	s_endpgm
	.section	.rodata,"a",@progbits
	.p2align	6, 0x0
	.amdhsa_kernel _ZN12_GLOBAL__N_120geam_min_plus_kernelIf15HIP_vector_typeIfLj2EEfLi32ELi8ELi128ELi128ELi4ELi4ELi64ELi4ELi64ELc84ELc78ELb0ELb0ELb1EfKPKfKPfEEviiiT16_PT17_ilSA_ilS8_SA_ilPT18_ili26rocblas_geam_ex_operation_
		.amdhsa_group_segment_fixed_size 8192
		.amdhsa_private_segment_fixed_size 0
		.amdhsa_kernarg_size 128
		.amdhsa_user_sgpr_count 2
		.amdhsa_user_sgpr_dispatch_ptr 0
		.amdhsa_user_sgpr_queue_ptr 0
		.amdhsa_user_sgpr_kernarg_segment_ptr 1
		.amdhsa_user_sgpr_dispatch_id 0
		.amdhsa_user_sgpr_kernarg_preload_length 0
		.amdhsa_user_sgpr_kernarg_preload_offset 0
		.amdhsa_user_sgpr_private_segment_size 0
		.amdhsa_uses_dynamic_stack 0
		.amdhsa_enable_private_segment 0
		.amdhsa_system_sgpr_workgroup_id_x 1
		.amdhsa_system_sgpr_workgroup_id_y 0
		.amdhsa_system_sgpr_workgroup_id_z 1
		.amdhsa_system_sgpr_workgroup_info 0
		.amdhsa_system_vgpr_workitem_id 1
		.amdhsa_next_free_vgpr 206
		.amdhsa_next_free_sgpr 26
		.amdhsa_accum_offset 208
		.amdhsa_reserve_vcc 1
		.amdhsa_float_round_mode_32 0
		.amdhsa_float_round_mode_16_64 0
		.amdhsa_float_denorm_mode_32 3
		.amdhsa_float_denorm_mode_16_64 3
		.amdhsa_dx10_clamp 1
		.amdhsa_ieee_mode 1
		.amdhsa_fp16_overflow 0
		.amdhsa_tg_split 0
		.amdhsa_exception_fp_ieee_invalid_op 0
		.amdhsa_exception_fp_denorm_src 0
		.amdhsa_exception_fp_ieee_div_zero 0
		.amdhsa_exception_fp_ieee_overflow 0
		.amdhsa_exception_fp_ieee_underflow 0
		.amdhsa_exception_fp_ieee_inexact 0
		.amdhsa_exception_int_div_zero 0
	.end_amdhsa_kernel
	.section	.text._ZN12_GLOBAL__N_120geam_min_plus_kernelIf15HIP_vector_typeIfLj2EEfLi32ELi8ELi128ELi128ELi4ELi4ELi64ELi4ELi64ELc84ELc78ELb0ELb0ELb1EfKPKfKPfEEviiiT16_PT17_ilSA_ilS8_SA_ilPT18_ili26rocblas_geam_ex_operation_,"axG",@progbits,_ZN12_GLOBAL__N_120geam_min_plus_kernelIf15HIP_vector_typeIfLj2EEfLi32ELi8ELi128ELi128ELi4ELi4ELi64ELi4ELi64ELc84ELc78ELb0ELb0ELb1EfKPKfKPfEEviiiT16_PT17_ilSA_ilS8_SA_ilPT18_ili26rocblas_geam_ex_operation_,comdat
.Lfunc_end11:
	.size	_ZN12_GLOBAL__N_120geam_min_plus_kernelIf15HIP_vector_typeIfLj2EEfLi32ELi8ELi128ELi128ELi4ELi4ELi64ELi4ELi64ELc84ELc78ELb0ELb0ELb1EfKPKfKPfEEviiiT16_PT17_ilSA_ilS8_SA_ilPT18_ili26rocblas_geam_ex_operation_, .Lfunc_end11-_ZN12_GLOBAL__N_120geam_min_plus_kernelIf15HIP_vector_typeIfLj2EEfLi32ELi8ELi128ELi128ELi4ELi4ELi64ELi4ELi64ELc84ELc78ELb0ELb0ELb1EfKPKfKPfEEviiiT16_PT17_ilSA_ilS8_SA_ilPT18_ili26rocblas_geam_ex_operation_
                                        ; -- End function
	.section	.AMDGPU.csdata,"",@progbits
; Kernel info:
; codeLenInByte = 17004
; NumSgprs: 32
; NumVgprs: 206
; NumAgprs: 0
; TotalNumVgprs: 206
; ScratchSize: 0
; MemoryBound: 0
; FloatMode: 240
; IeeeMode: 1
; LDSByteSize: 8192 bytes/workgroup (compile time only)
; SGPRBlocks: 3
; VGPRBlocks: 25
; NumSGPRsForWavesPerEU: 32
; NumVGPRsForWavesPerEU: 206
; AccumOffset: 208
; Occupancy: 2
; WaveLimiterHint : 1
; COMPUTE_PGM_RSRC2:SCRATCH_EN: 0
; COMPUTE_PGM_RSRC2:USER_SGPR: 2
; COMPUTE_PGM_RSRC2:TRAP_HANDLER: 0
; COMPUTE_PGM_RSRC2:TGID_X_EN: 1
; COMPUTE_PGM_RSRC2:TGID_Y_EN: 0
; COMPUTE_PGM_RSRC2:TGID_Z_EN: 1
; COMPUTE_PGM_RSRC2:TIDIG_COMP_CNT: 1
; COMPUTE_PGM_RSRC3_GFX90A:ACCUM_OFFSET: 51
; COMPUTE_PGM_RSRC3_GFX90A:TG_SPLIT: 0
	.section	.text._ZN12_GLOBAL__N_120geam_min_plus_kernelIf15HIP_vector_typeIfLj2EEfLi32ELi8ELi128ELi128ELi4ELi4ELi64ELi4ELi64ELc84ELc78ELb0ELb1ELb1EPKfKS4_KPfEEviiiT16_PT17_ilSA_ilS8_SA_ilPT18_ili26rocblas_geam_ex_operation_,"axG",@progbits,_ZN12_GLOBAL__N_120geam_min_plus_kernelIf15HIP_vector_typeIfLj2EEfLi32ELi8ELi128ELi128ELi4ELi4ELi64ELi4ELi64ELc84ELc78ELb0ELb1ELb1EPKfKS4_KPfEEviiiT16_PT17_ilSA_ilS8_SA_ilPT18_ili26rocblas_geam_ex_operation_,comdat
	.globl	_ZN12_GLOBAL__N_120geam_min_plus_kernelIf15HIP_vector_typeIfLj2EEfLi32ELi8ELi128ELi128ELi4ELi4ELi64ELi4ELi64ELc84ELc78ELb0ELb1ELb1EPKfKS4_KPfEEviiiT16_PT17_ilSA_ilS8_SA_ilPT18_ili26rocblas_geam_ex_operation_ ; -- Begin function _ZN12_GLOBAL__N_120geam_min_plus_kernelIf15HIP_vector_typeIfLj2EEfLi32ELi8ELi128ELi128ELi4ELi4ELi64ELi4ELi64ELc84ELc78ELb0ELb1ELb1EPKfKS4_KPfEEviiiT16_PT17_ilSA_ilS8_SA_ilPT18_ili26rocblas_geam_ex_operation_
	.p2align	8
	.type	_ZN12_GLOBAL__N_120geam_min_plus_kernelIf15HIP_vector_typeIfLj2EEfLi32ELi8ELi128ELi128ELi4ELi4ELi64ELi4ELi64ELc84ELc78ELb0ELb1ELb1EPKfKS4_KPfEEviiiT16_PT17_ilSA_ilS8_SA_ilPT18_ili26rocblas_geam_ex_operation_,@function
_ZN12_GLOBAL__N_120geam_min_plus_kernelIf15HIP_vector_typeIfLj2EEfLi32ELi8ELi128ELi128ELi4ELi4ELi64ELi4ELi64ELc84ELc78ELb0ELb1ELb1EPKfKS4_KPfEEviiiT16_PT17_ilSA_ilS8_SA_ilPT18_ili26rocblas_geam_ex_operation_: ; @_ZN12_GLOBAL__N_120geam_min_plus_kernelIf15HIP_vector_typeIfLj2EEfLi32ELi8ELi128ELi128ELi4ELi4ELi64ELi4ELi64ELc84ELc78ELb0ELb1ELb1EPKfKS4_KPfEEviiiT16_PT17_ilSA_ilS8_SA_ilPT18_ili26rocblas_geam_ex_operation_
; %bb.0:
	s_load_dwordx4 s[12:15], s[0:1], 0x10
	s_load_dwordx4 s[4:7], s[0:1], 0x28
	s_mov_b32 s20, s3
	s_mov_b32 s21, 0
	s_lshl_b64 s[16:17], s[20:21], 2
	s_waitcnt lgkmcnt(0)
	s_add_u32 s18, s12, s16
	s_load_dwordx4 s[8:11], s[0:1], 0x40
	s_addc_u32 s19, s13, s17
	s_load_dword s31, s[18:19], 0x0
	s_load_dwordx2 s[12:13], s[0:1], 0x50
	s_mov_b64 s[22:23], 0
	s_mov_b64 s[24:25], 0
	s_waitcnt lgkmcnt(0)
	s_add_u32 s10, s10, s16
	v_cmp_eq_f32_e64 s[18:19], s31, 0
	s_addc_u32 s11, s11, s17
	v_cmp_neq_f32_e64 s[16:17], s31, 0
	s_and_b64 vcc, exec, s[18:19]
	s_cbranch_vccnz .LBB12_2
; %bb.1:
	s_lshl_b64 s[18:19], s[20:21], 3
	s_add_u32 s14, s14, s18
	s_addc_u32 s15, s15, s19
	s_load_dwordx2 s[14:15], s[14:15], 0x0
	s_lshl_b64 s[4:5], s[4:5], 2
	s_waitcnt lgkmcnt(0)
	s_add_u32 s24, s14, s4
	s_addc_u32 s25, s15, s5
.LBB12_2:
	s_load_dword s28, s[10:11], 0x0
	s_andn2_b64 vcc, exec, s[16:17]
	s_cbranch_vccnz .LBB12_4
; %bb.3:
	s_lshl_b64 s[4:5], s[20:21], 3
	s_add_u32 s4, s6, s4
	s_addc_u32 s5, s7, s5
	s_load_dwordx2 s[4:5], s[4:5], 0x0
	s_lshl_b64 s[6:7], s[8:9], 2
	s_waitcnt lgkmcnt(0)
	s_add_u32 s22, s4, s6
	s_addc_u32 s23, s5, s7
.LBB12_4:
	s_load_dwordx4 s[4:7], s[0:1], 0x60
	s_waitcnt lgkmcnt(0)
	v_cmp_eq_f32_e64 s[8:9], s28, 0
	v_cmp_neq_f32_e64 s[18:19], s28, 0
	s_and_b64 vcc, exec, s[8:9]
	s_cbranch_vccnz .LBB12_6
; %bb.5:
	s_lshl_b64 s[8:9], s[20:21], 3
	s_add_u32 s8, s12, s8
	s_addc_u32 s9, s13, s9
	s_load_dwordx2 s[8:9], s[8:9], 0x0
	s_lshl_b64 s[4:5], s[4:5], 2
	s_waitcnt lgkmcnt(0)
	s_add_u32 s16, s8, s4
	s_addc_u32 s17, s9, s5
	s_branch .LBB12_7
.LBB12_6:
	s_mov_b64 s[16:17], 0
.LBB12_7:
	s_load_dwordx4 s[12:15], s[0:1], 0x0
	s_load_dword s34, s[0:1], 0x20
	s_lshl_b64 s[4:5], s[20:21], 3
	s_add_u32 s4, s6, s4
	s_addc_u32 s5, s7, s5
	s_waitcnt lgkmcnt(0)
	s_add_i32 s3, s12, -1
	s_ashr_i32 s6, s3, 31
	s_lshr_b32 s6, s6, 25
	s_add_i32 s3, s3, s6
	s_ashr_i32 s3, s3, 7
	s_add_i32 s7, s3, 1
	v_cvt_f32_u32_e32 v1, s7
	s_load_dwordx2 s[20:21], s[4:5], 0x0
	s_not_b32 s3, s3
	v_and_b32_e32 v124, 0x3ff, v0
	v_rcp_iflag_f32_e32 v1, v1
	v_bfe_u32 v125, v0, 10, 10
	v_lshl_add_u32 v0, v125, 5, v124
	v_lshrrev_b32_e32 v4, 2, v0
	v_mul_f32_e32 v1, 0x4f7ffffe, v1
	v_cvt_u32_f32_e32 v1, v1
	v_and_b32_e32 v134, 3, v124
	v_cmp_le_i32_e64 s[8:9], s14, v134
	v_cmp_eq_f32_e64 s[26:27], s31, 0
	v_readfirstlane_b32 s4, v1
	s_mul_i32 s3, s3, s4
	s_mul_hi_u32 s3, s4, s3
	s_add_i32 s4, s4, s3
	s_mul_hi_u32 s3, s2, s4
	s_mul_i32 s4, s3, s7
	s_sub_i32 s4, s2, s4
	s_add_i32 s5, s3, 1
	s_sub_i32 s6, s4, s7
	s_cmp_ge_u32 s4, s7
	s_cselect_b32 s3, s5, s3
	s_cselect_b32 s4, s6, s4
	s_add_i32 s5, s3, 1
	s_cmp_ge_u32 s4, s7
	s_cselect_b32 s6, s5, s3
	s_mul_i32 s3, s6, s7
	s_sub_i32 s2, s2, s3
	s_lshl_b32 s29, s2, 7
	v_add_u32_e32 v80, s29, v4
	s_add_i32 s15, s14, -1
	v_cmp_le_i32_e32 vcc, s12, v80
	v_min_i32_e32 v0, s15, v134
	v_mov_b32_e32 v6, 0x7f7fffff
	s_or_b64 s[2:3], s[8:9], vcc
	v_ashrrev_i32_e32 v1, 31, v0
	v_cndmask_b32_e64 v5, 0, v6, s[2:3]
	s_or_b64 s[2:3], s[26:27], s[2:3]
	v_lshl_add_u64 v[2:3], v[0:1], 2, s[24:25]
	s_xor_b64 s[4:5], s[2:3], -1
	s_and_saveexec_b64 s[2:3], s[4:5]
	s_cbranch_execz .LBB12_9
; %bb.8:
	v_mad_i64_i32 v[8:9], s[4:5], v80, s34, 0
	v_lshl_add_u64 v[8:9], v[8:9], 2, v[2:3]
	flat_load_dword v5, v[8:9]
	s_waitcnt vmcnt(0) lgkmcnt(0)
	v_mul_f32_e32 v5, s31, v5
.LBB12_9:
	s_or_b64 exec, exec, s[2:3]
	v_add_u32_e32 v82, 64, v80
	v_cmp_le_i32_e64 s[2:3], s12, v82
	s_or_b64 s[4:5], s[8:9], s[2:3]
	v_cndmask_b32_e64 v6, 0, v6, s[4:5]
	s_or_b64 s[4:5], s[26:27], s[4:5]
	s_xor_b64 s[10:11], s[4:5], -1
	s_and_saveexec_b64 s[4:5], s[10:11]
	s_cbranch_execz .LBB12_11
; %bb.10:
	v_mad_i64_i32 v[6:7], s[10:11], v82, s34, 0
	v_lshl_add_u64 v[2:3], v[6:7], 2, v[2:3]
	flat_load_dword v2, v[2:3]
	s_waitcnt vmcnt(0) lgkmcnt(0)
	v_mul_f32_e32 v6, s31, v2
.LBB12_11:
	s_or_b64 exec, exec, s[4:5]
	s_lshl_b32 s30, s6, 7
	s_load_dword s35, s[0:1], 0x38
	v_add_u32_e32 v84, s30, v4
	v_cmp_le_i32_e64 s[4:5], s13, v84
	v_mov_b32_e32 v2, 0x7f7fffff
	s_or_b64 s[6:7], s[8:9], s[4:5]
	v_cndmask_b32_e64 v7, 0, v2, s[6:7]
	s_or_b64 s[6:7], s[26:27], s[6:7]
	v_lshl_add_u64 v[0:1], v[0:1], 2, s[22:23]
	s_xor_b64 s[10:11], s[6:7], -1
	s_and_saveexec_b64 s[6:7], s[10:11]
	s_cbranch_execz .LBB12_13
; %bb.12:
	s_waitcnt lgkmcnt(0)
	v_mad_i64_i32 v[8:9], s[10:11], v84, s35, 0
	v_lshl_add_u64 v[8:9], v[8:9], 2, v[0:1]
	flat_load_dword v3, v[8:9]
	s_waitcnt vmcnt(0) lgkmcnt(0)
	v_mul_f32_e32 v7, s31, v3
.LBB12_13:
	s_or_b64 exec, exec, s[6:7]
	v_add_u32_e32 v86, 64, v84
	v_cmp_le_i32_e64 s[6:7], s13, v86
	s_or_b64 s[8:9], s[8:9], s[6:7]
	v_cndmask_b32_e64 v8, 0, v2, s[8:9]
	s_or_b64 s[8:9], s[26:27], s[8:9]
	s_xor_b64 s[10:11], s[8:9], -1
	s_and_saveexec_b64 s[8:9], s[10:11]
	s_cbranch_execz .LBB12_15
; %bb.14:
	s_waitcnt lgkmcnt(0)
	v_mad_i64_i32 v[2:3], s[10:11], v86, s35, 0
	v_lshl_add_u64 v[0:1], v[2:3], 2, v[0:1]
	flat_load_dword v0, v[0:1]
	s_waitcnt vmcnt(0) lgkmcnt(0)
	v_mul_f32_e32 v8, s31, v0
.LBB12_15:
	s_or_b64 exec, exec, s[8:9]
	v_or_b32_e32 v0, 4, v134
	v_cmp_le_i32_e64 s[8:9], s14, v0
	v_min_i32_e32 v0, s15, v0
	v_mov_b32_e32 v9, 0x7f7fffff
	s_or_b64 s[10:11], s[8:9], vcc
	v_ashrrev_i32_e32 v1, 31, v0
	v_cndmask_b32_e64 v81, 0, v9, s[10:11]
	s_or_b64 s[10:11], s[26:27], s[10:11]
	v_lshl_add_u64 v[2:3], v[0:1], 2, s[24:25]
	s_xor_b64 s[36:37], s[10:11], -1
	s_and_saveexec_b64 s[10:11], s[36:37]
	s_cbranch_execz .LBB12_17
; %bb.16:
	v_mad_i64_i32 v[10:11], s[36:37], v80, s34, 0
	v_lshl_add_u64 v[10:11], v[10:11], 2, v[2:3]
	flat_load_dword v10, v[10:11]
	s_waitcnt vmcnt(0) lgkmcnt(0)
	v_mul_f32_e32 v81, s31, v10
.LBB12_17:
	s_or_b64 exec, exec, s[10:11]
	s_or_b64 s[10:11], s[8:9], s[2:3]
	v_cndmask_b32_e64 v83, 0, v9, s[10:11]
	s_or_b64 s[10:11], s[26:27], s[10:11]
	s_xor_b64 s[36:37], s[10:11], -1
	s_and_saveexec_b64 s[10:11], s[36:37]
	s_cbranch_execz .LBB12_19
; %bb.18:
	v_mad_i64_i32 v[10:11], s[36:37], v82, s34, 0
	v_lshl_add_u64 v[2:3], v[10:11], 2, v[2:3]
	flat_load_dword v2, v[2:3]
	s_waitcnt vmcnt(0) lgkmcnt(0)
	v_mul_f32_e32 v83, s31, v2
.LBB12_19:
	s_or_b64 exec, exec, s[10:11]
	v_mov_b32_e32 v2, 0x7f7fffff
	s_or_b64 s[10:11], s[8:9], s[4:5]
	v_cndmask_b32_e64 v85, 0, v2, s[10:11]
	s_or_b64 s[10:11], s[26:27], s[10:11]
	v_lshl_add_u64 v[0:1], v[0:1], 2, s[22:23]
	s_xor_b64 s[36:37], s[10:11], -1
	s_and_saveexec_b64 s[10:11], s[36:37]
	s_cbranch_execz .LBB12_21
; %bb.20:
	s_waitcnt lgkmcnt(0)
	v_mad_i64_i32 v[10:11], s[36:37], v84, s35, 0
	v_lshl_add_u64 v[10:11], v[10:11], 2, v[0:1]
	flat_load_dword v3, v[10:11]
	s_waitcnt vmcnt(0) lgkmcnt(0)
	v_mul_f32_e32 v85, s31, v3
.LBB12_21:
	s_or_b64 exec, exec, s[10:11]
	s_or_b64 s[8:9], s[8:9], s[6:7]
	v_cndmask_b32_e64 v87, 0, v2, s[8:9]
	s_or_b64 s[8:9], s[26:27], s[8:9]
	s_xor_b64 s[36:37], s[8:9], -1
	s_mov_b32 s10, 0x7f7fffff
	s_and_saveexec_b64 s[8:9], s[36:37]
	s_cbranch_execz .LBB12_23
; %bb.22:
	s_waitcnt lgkmcnt(0)
	v_mad_i64_i32 v[2:3], s[36:37], v86, s35, 0
	v_lshl_add_u64 v[0:1], v[2:3], 2, v[0:1]
	flat_load_dword v0, v[0:1]
	s_waitcnt vmcnt(0) lgkmcnt(0)
	v_mul_f32_e32 v87, s31, v0
.LBB12_23:
	s_or_b64 exec, exec, s[8:9]
	v_lshlrev_b32_e32 v0, 2, v134
	v_lshl_or_b32 v144, v4, 4, v0
	v_lshlrev_b32_e32 v135, 4, v124
	ds_write2st64_b32 v144, v5, v6 offset1:4
	ds_write2st64_b32 v144, v7, v8 offset0:16 offset1:20
	s_waitcnt lgkmcnt(0)
	s_barrier
	ds_read_b128 v[12:15], v135
	ds_read_b128 v[8:11], v135 offset:512
	ds_read_b128 v[4:7], v135 offset:1024
	;; [unrolled: 1-line block ×3, first 2 shown]
	v_lshlrev_b32_e32 v136, 4, v125
	ds_read_b128 v[76:79], v136 offset:4096
	ds_read_b128 v[72:75], v136 offset:4224
	;; [unrolled: 1-line block ×16, first 2 shown]
	s_waitcnt lgkmcnt(14)
	v_pk_add_f32 v[88:89], v[12:13], v[76:77]
	s_cmp_lt_i32 s14, 9
	v_min3_f32 v90, v88, v89, s10
	v_pk_add_f32 v[88:89], v[8:9], v[76:77]
	ds_write2st64_b32 v144, v81, v83 offset0:8 offset1:12
	ds_write2st64_b32 v144, v85, v87 offset0:24 offset1:28
	v_min3_f32 v91, v88, v89, s10
	v_pk_add_f32 v[88:89], v[4:5], v[76:77]
	v_pk_add_f32 v[76:77], v[0:1], v[76:77]
	v_min3_f32 v88, v88, v89, s10
	v_min3_f32 v89, v76, v77, s10
	v_pk_add_f32 v[76:77], v[12:13], v[72:73]
	s_waitcnt lgkmcnt(0)
	v_min3_f32 v92, v76, v77, s10
	v_pk_add_f32 v[76:77], v[8:9], v[72:73]
	s_barrier
	v_min3_f32 v93, v76, v77, s10
	v_pk_add_f32 v[76:77], v[4:5], v[72:73]
	v_pk_add_f32 v[72:73], v[0:1], v[72:73]
	v_min3_f32 v76, v76, v77, s10
	v_min3_f32 v77, v72, v73, s10
	v_pk_add_f32 v[72:73], v[12:13], v[68:69]
	s_nop 0
	v_min3_f32 v94, v72, v73, s10
	v_pk_add_f32 v[72:73], v[8:9], v[68:69]
	s_nop 0
	v_min3_f32 v95, v72, v73, s10
	v_pk_add_f32 v[72:73], v[4:5], v[68:69]
	v_pk_add_f32 v[68:69], v[0:1], v[68:69]
	v_min3_f32 v72, v72, v73, s10
	v_min3_f32 v73, v68, v69, s10
	v_pk_add_f32 v[68:69], v[12:13], v[64:65]
	s_nop 0
	v_min3_f32 v96, v68, v69, s10
	v_pk_add_f32 v[68:69], v[8:9], v[64:65]
	s_nop 0
	v_min3_f32 v97, v68, v69, s10
	v_pk_add_f32 v[68:69], v[4:5], v[64:65]
	v_pk_add_f32 v[64:65], v[0:1], v[64:65]
	v_min3_f32 v68, v68, v69, s10
	v_min3_f32 v69, v64, v65, s10
	v_pk_add_f32 v[64:65], v[12:13], v[60:61]
	s_nop 0
	v_min3_f32 v98, v64, v65, s10
	v_pk_add_f32 v[64:65], v[8:9], v[60:61]
	s_nop 0
	v_min3_f32 v99, v64, v65, s10
	v_pk_add_f32 v[64:65], v[4:5], v[60:61]
	v_pk_add_f32 v[60:61], v[0:1], v[60:61]
	v_min3_f32 v64, v64, v65, s10
	v_min3_f32 v65, v60, v61, s10
	v_pk_add_f32 v[60:61], v[12:13], v[56:57]
	s_nop 0
	v_min3_f32 v100, v60, v61, s10
	v_pk_add_f32 v[60:61], v[8:9], v[56:57]
	s_nop 0
	v_min3_f32 v101, v60, v61, s10
	v_pk_add_f32 v[60:61], v[4:5], v[56:57]
	v_pk_add_f32 v[56:57], v[0:1], v[56:57]
	v_min3_f32 v60, v60, v61, s10
	v_min3_f32 v61, v56, v57, s10
	v_pk_add_f32 v[56:57], v[12:13], v[52:53]
	s_nop 0
	v_min3_f32 v102, v56, v57, s10
	v_pk_add_f32 v[56:57], v[8:9], v[52:53]
	s_nop 0
	v_min3_f32 v103, v56, v57, s10
	v_pk_add_f32 v[56:57], v[4:5], v[52:53]
	v_pk_add_f32 v[52:53], v[0:1], v[52:53]
	v_min3_f32 v56, v56, v57, s10
	v_min3_f32 v57, v52, v53, s10
	v_pk_add_f32 v[52:53], v[12:13], v[48:49]
	s_nop 0
	v_min3_f32 v104, v52, v53, s10
	v_pk_add_f32 v[52:53], v[8:9], v[48:49]
	s_nop 0
	v_min3_f32 v105, v52, v53, s10
	v_pk_add_f32 v[52:53], v[4:5], v[48:49]
	v_pk_add_f32 v[48:49], v[0:1], v[48:49]
	v_min3_f32 v52, v52, v53, s10
	v_min3_f32 v53, v48, v49, s10
	v_pk_add_f32 v[48:49], v[12:13], v[44:45]
	s_nop 0
	v_min3_f32 v106, v48, v49, s10
	v_pk_add_f32 v[48:49], v[8:9], v[44:45]
	s_nop 0
	v_min3_f32 v107, v48, v49, s10
	v_pk_add_f32 v[48:49], v[4:5], v[44:45]
	v_pk_add_f32 v[44:45], v[0:1], v[44:45]
	v_min3_f32 v48, v48, v49, s10
	v_min3_f32 v49, v44, v45, s10
	v_pk_add_f32 v[44:45], v[12:13], v[40:41]
	s_nop 0
	v_min3_f32 v108, v44, v45, s10
	v_pk_add_f32 v[44:45], v[8:9], v[40:41]
	s_nop 0
	v_min3_f32 v109, v44, v45, s10
	v_pk_add_f32 v[44:45], v[4:5], v[40:41]
	v_pk_add_f32 v[40:41], v[0:1], v[40:41]
	v_min3_f32 v44, v44, v45, s10
	v_min3_f32 v45, v40, v41, s10
	v_pk_add_f32 v[40:41], v[12:13], v[36:37]
	s_nop 0
	v_min3_f32 v110, v40, v41, s10
	v_pk_add_f32 v[40:41], v[8:9], v[36:37]
	s_nop 0
	v_min3_f32 v111, v40, v41, s10
	v_pk_add_f32 v[40:41], v[4:5], v[36:37]
	v_pk_add_f32 v[36:37], v[0:1], v[36:37]
	v_min3_f32 v40, v40, v41, s10
	v_min3_f32 v41, v36, v37, s10
	v_pk_add_f32 v[36:37], v[12:13], v[32:33]
	s_nop 0
	v_min3_f32 v162, v36, v37, s10
	v_pk_add_f32 v[36:37], v[8:9], v[32:33]
	s_nop 0
	v_min3_f32 v163, v36, v37, s10
	v_pk_add_f32 v[36:37], v[4:5], v[32:33]
	v_pk_add_f32 v[32:33], v[0:1], v[32:33]
	v_min3_f32 v36, v36, v37, s10
	v_min3_f32 v37, v32, v33, s10
	v_pk_add_f32 v[32:33], v[12:13], v[28:29]
	s_nop 0
	v_min3_f32 v164, v32, v33, s10
	v_pk_add_f32 v[32:33], v[8:9], v[28:29]
	s_nop 0
	v_min3_f32 v165, v32, v33, s10
	v_pk_add_f32 v[32:33], v[4:5], v[28:29]
	v_pk_add_f32 v[28:29], v[0:1], v[28:29]
	v_min3_f32 v32, v32, v33, s10
	v_min3_f32 v33, v28, v29, s10
	v_pk_add_f32 v[28:29], v[12:13], v[24:25]
	s_nop 0
	v_min3_f32 v166, v28, v29, s10
	v_pk_add_f32 v[28:29], v[8:9], v[24:25]
	s_nop 0
	v_min3_f32 v167, v28, v29, s10
	v_pk_add_f32 v[28:29], v[4:5], v[24:25]
	v_pk_add_f32 v[24:25], v[0:1], v[24:25]
	v_min3_f32 v28, v28, v29, s10
	v_min3_f32 v29, v24, v25, s10
	v_pk_add_f32 v[24:25], v[12:13], v[20:21]
	v_pk_add_f32 v[12:13], v[12:13], v[16:17]
	v_min3_f32 v168, v24, v25, s10
	v_pk_add_f32 v[24:25], v[8:9], v[20:21]
	v_min3_f32 v12, v12, v13, s10
	v_min3_f32 v169, v24, v25, s10
	v_pk_add_f32 v[24:25], v[4:5], v[20:21]
	v_pk_add_f32 v[20:21], v[0:1], v[20:21]
	;; [unrolled: 1-line block ×4, first 2 shown]
	v_min3_f32 v4, v4, v5, s10
	v_min3_f32 v5, v0, v1, s10
	v_pk_add_f32 v[0:1], v[14:15], v[78:79]
	v_min3_f32 v24, v24, v25, s10
	v_min3_f32 v161, v0, v1, v90
	v_pk_add_f32 v[0:1], v[10:11], v[78:79]
	;; [unrolled: 3-line block ×3, first 2 shown]
	v_pk_add_f32 v[8:9], v[8:9], v[16:17]
	v_min3_f32 v159, v0, v1, v88
	v_pk_add_f32 v[0:1], v[2:3], v[78:79]
	v_min3_f32 v8, v8, v9, s10
	v_min3_f32 v158, v0, v1, v89
	v_pk_add_f32 v[0:1], v[14:15], v[74:75]
	s_nop 0
	v_min3_f32 v157, v0, v1, v92
	v_pk_add_f32 v[0:1], v[10:11], v[74:75]
	s_nop 0
	;; [unrolled: 3-line block ×60, first 2 shown]
	v_min3_f32 v95, v0, v1, v5
	s_cbranch_scc1 .LBB12_42
; %bb.24:
	v_mov_b32_e32 v0, 0x800
	v_lshl_add_u32 v166, v124, 4, v0
	v_mov_b32_e32 v0, 0x1800
	v_add_u32_e32 v162, 0x1000, v144
	v_add_u32_e32 v163, 0x1000, v136
	;; [unrolled: 1-line block ×4, first 2 shown]
	s_add_i32 s33, s14, -8
	v_mad_i64_i32 v[80:81], s[8:9], v80, s34, 0
	v_mad_i64_i32 v[82:83], s[8:9], v82, s34, 0
	;; [unrolled: 1-line block ×4, first 2 shown]
	v_lshl_add_u32 v167, v125, 4, v0
	s_mov_b32 s34, 0
	v_mov_b32_e32 v168, 0x7f7fffff
	s_branch .LBB12_26
.LBB12_25:                              ;   in Loop: Header=BB12_26 Depth=1
	s_or_b64 exec, exec, s[8:9]
	ds_read_b128 v[0:3], v135
	ds_read_b128 v[4:7], v135 offset:512
	ds_read_b128 v[8:11], v135 offset:1024
	;; [unrolled: 1-line block ×3, first 2 shown]
	ds_read_b128 v[100:103], v163
	ds_read_b128 v[104:107], v163 offset:128
	ds_read_b128 v[108:111], v163 offset:256
	;; [unrolled: 1-line block ×15, first 2 shown]
	s_waitcnt lgkmcnt(14)
	v_pk_add_f32 v[88:89], v[0:1], v[100:101]
	s_add_i32 s34, s34, 8
	v_min3_f32 v25, v88, v89, v25
	v_pk_add_f32 v[88:89], v[4:5], v[100:101]
	s_cmp_ge_i32 s34, s33
	v_min3_f32 v130, v88, v89, v28
	v_pk_add_f32 v[88:89], v[8:9], v[100:101]
	ds_write2st64_b32 v164, v169, v170 offset1:4
	ds_write2st64_b32 v165, v90, v24 offset1:4
	v_min3_f32 v88, v88, v89, v29
	v_pk_add_f32 v[28:29], v[12:13], v[100:101]
	s_waitcnt lgkmcnt(0)
	v_min3_f32 v32, v28, v29, v32
	v_pk_add_f32 v[28:29], v[0:1], v[104:105]
	s_barrier
	v_min3_f32 v33, v28, v29, v33
	v_pk_add_f32 v[28:29], v[4:5], v[104:105]
	s_nop 0
	v_min3_f32 v36, v28, v29, v36
	v_pk_add_f32 v[28:29], v[8:9], v[104:105]
	s_nop 0
	;; [unrolled: 3-line block ×51, first 2 shown]
	v_min3_f32 v92, v28, v29, v26
	v_pk_add_f32 v[28:29], v[0:1], v[20:21]
	v_pk_add_f32 v[0:1], v[0:1], v[16:17]
	v_min3_f32 v28, v28, v29, v27
	v_pk_add_f32 v[26:27], v[4:5], v[20:21]
	s_nop 0
	v_min3_f32 v29, v26, v27, v93
	v_pk_add_f32 v[26:27], v[8:9], v[20:21]
	v_pk_add_f32 v[20:21], v[12:13], v[20:21]
	v_min3_f32 v26, v26, v27, v94
	v_min3_f32 v20, v20, v21, v95
	;; [unrolled: 1-line block ×3, first 2 shown]
	v_pk_add_f32 v[0:1], v[4:5], v[16:17]
	s_nop 0
	v_min3_f32 v4, v0, v1, v97
	v_pk_add_f32 v[0:1], v[8:9], v[16:17]
	s_nop 0
	v_min3_f32 v5, v0, v1, v98
	;; [unrolled: 3-line block ×67, first 2 shown]
	s_cbranch_scc1 .LBB12_42
.LBB12_26:                              ; =>This Inner Loop Header: Depth=1
	v_add_u32_e32 v88, s34, v134
	v_add_u32_e32 v0, 8, v88
	v_cmp_le_i32_e64 s[8:9], s14, v0
	v_min_i32_e32 v0, s15, v0
	s_or_b64 s[10:11], vcc, s[8:9]
	v_ashrrev_i32_e32 v1, 31, v0
	v_cndmask_b32_e64 v89, 0, v168, s[10:11]
	s_or_b64 s[10:11], s[26:27], s[10:11]
	v_lshl_add_u64 v[2:3], v[0:1], 2, s[24:25]
	s_xor_b64 s[36:37], s[10:11], -1
	s_and_saveexec_b64 s[10:11], s[36:37]
	s_cbranch_execz .LBB12_28
; %bb.27:                               ;   in Loop: Header=BB12_26 Depth=1
	v_lshl_add_u64 v[4:5], v[80:81], 2, v[2:3]
	flat_load_dword v4, v[4:5]
	s_waitcnt vmcnt(0) lgkmcnt(0)
	v_mul_f32_e32 v89, s31, v4
.LBB12_28:                              ;   in Loop: Header=BB12_26 Depth=1
	s_or_b64 exec, exec, s[10:11]
	s_or_b64 s[10:11], s[2:3], s[8:9]
	v_cndmask_b32_e64 v90, 0, v168, s[10:11]
	s_or_b64 s[10:11], s[26:27], s[10:11]
	s_xor_b64 s[36:37], s[10:11], -1
	s_and_saveexec_b64 s[10:11], s[36:37]
	s_cbranch_execz .LBB12_30
; %bb.29:                               ;   in Loop: Header=BB12_26 Depth=1
	v_lshl_add_u64 v[2:3], v[82:83], 2, v[2:3]
	flat_load_dword v2, v[2:3]
	s_waitcnt vmcnt(0) lgkmcnt(0)
	v_mul_f32_e32 v90, s31, v2
.LBB12_30:                              ;   in Loop: Header=BB12_26 Depth=1
	s_or_b64 exec, exec, s[10:11]
	s_or_b64 s[10:11], s[4:5], s[8:9]
	v_cndmask_b32_e64 v91, 0, v168, s[10:11]
	s_or_b64 s[10:11], s[26:27], s[10:11]
	v_lshl_add_u64 v[0:1], v[0:1], 2, s[22:23]
	s_xor_b64 s[36:37], s[10:11], -1
	s_and_saveexec_b64 s[10:11], s[36:37]
	s_cbranch_execz .LBB12_32
; %bb.31:                               ;   in Loop: Header=BB12_26 Depth=1
	v_lshl_add_u64 v[2:3], v[84:85], 2, v[0:1]
	flat_load_dword v2, v[2:3]
	s_waitcnt vmcnt(0) lgkmcnt(0)
	v_mul_f32_e32 v91, s31, v2
.LBB12_32:                              ;   in Loop: Header=BB12_26 Depth=1
	s_or_b64 exec, exec, s[10:11]
	s_or_b64 s[8:9], s[6:7], s[8:9]
	v_cndmask_b32_e64 v169, 0, v168, s[8:9]
	s_or_b64 s[8:9], s[26:27], s[8:9]
	s_xor_b64 s[10:11], s[8:9], -1
	s_and_saveexec_b64 s[8:9], s[10:11]
	s_cbranch_execz .LBB12_34
; %bb.33:                               ;   in Loop: Header=BB12_26 Depth=1
	v_lshl_add_u64 v[0:1], v[86:87], 2, v[0:1]
	flat_load_dword v0, v[0:1]
	s_waitcnt vmcnt(0) lgkmcnt(0)
	v_mul_f32_e32 v169, s31, v0
.LBB12_34:                              ;   in Loop: Header=BB12_26 Depth=1
	s_or_b64 exec, exec, s[8:9]
	ds_read_b128 v[12:15], v166
	ds_read_b128 v[8:11], v166 offset:512
	ds_read_b128 v[4:7], v166 offset:1024
	ds_read_b128 v[0:3], v166 offset:1536
	ds_read_b128 v[76:79], v167
	ds_read_b128 v[72:75], v167 offset:128
	ds_read_b128 v[68:71], v167 offset:256
	;; [unrolled: 1-line block ×15, first 2 shown]
	v_add_u32_e32 v88, 12, v88
	v_cmp_le_i32_e64 s[8:9], s14, v88
	v_min_i32_e32 v88, s15, v88
	s_or_b64 s[10:11], vcc, s[8:9]
	ds_write2st64_b32 v144, v89, v90 offset1:4
	ds_write2st64_b32 v162, v91, v169 offset1:4
	v_ashrrev_i32_e32 v89, 31, v88
	v_cndmask_b32_e64 v169, 0, v168, s[10:11]
	s_or_b64 s[10:11], s[26:27], s[10:11]
	v_lshl_add_u64 v[90:91], v[88:89], 2, s[24:25]
	s_xor_b64 s[36:37], s[10:11], -1
	s_waitcnt lgkmcnt(0)
	s_barrier
	s_and_saveexec_b64 s[10:11], s[36:37]
	s_cbranch_execz .LBB12_36
; %bb.35:                               ;   in Loop: Header=BB12_26 Depth=1
	v_lshl_add_u64 v[170:171], v[80:81], 2, v[90:91]
	flat_load_dword v169, v[170:171]
	s_waitcnt vmcnt(0) lgkmcnt(0)
	v_mul_f32_e32 v169, s31, v169
.LBB12_36:                              ;   in Loop: Header=BB12_26 Depth=1
	s_or_b64 exec, exec, s[10:11]
	s_or_b64 s[10:11], s[2:3], s[8:9]
	v_cndmask_b32_e64 v170, 0, v168, s[10:11]
	s_or_b64 s[10:11], s[26:27], s[10:11]
	s_xor_b64 s[36:37], s[10:11], -1
	s_and_saveexec_b64 s[10:11], s[36:37]
	s_cbranch_execz .LBB12_38
; %bb.37:                               ;   in Loop: Header=BB12_26 Depth=1
	v_lshl_add_u64 v[90:91], v[82:83], 2, v[90:91]
	flat_load_dword v90, v[90:91]
	s_waitcnt vmcnt(0) lgkmcnt(0)
	v_mul_f32_e32 v170, s31, v90
.LBB12_38:                              ;   in Loop: Header=BB12_26 Depth=1
	s_or_b64 exec, exec, s[10:11]
	s_or_b64 s[10:11], s[4:5], s[8:9]
	v_cndmask_b32_e64 v90, 0, v168, s[10:11]
	s_or_b64 s[10:11], s[26:27], s[10:11]
	v_lshl_add_u64 v[88:89], v[88:89], 2, s[22:23]
	s_xor_b64 s[36:37], s[10:11], -1
	s_and_saveexec_b64 s[10:11], s[36:37]
	s_cbranch_execz .LBB12_40
; %bb.39:                               ;   in Loop: Header=BB12_26 Depth=1
	v_lshl_add_u64 v[90:91], v[84:85], 2, v[88:89]
	flat_load_dword v90, v[90:91]
	s_waitcnt vmcnt(0) lgkmcnt(0)
	v_mul_f32_e32 v90, s31, v90
.LBB12_40:                              ;   in Loop: Header=BB12_26 Depth=1
	s_or_b64 exec, exec, s[10:11]
	v_pk_add_f32 v[172:173], v[12:13], v[76:77]
	s_or_b64 s[8:9], s[6:7], s[8:9]
	v_min3_f32 v91, v172, v173, v161
	v_pk_add_f32 v[172:173], v[8:9], v[76:77]
	s_nop 0
	v_min3_f32 v171, v172, v173, v160
	v_pk_add_f32 v[160:161], v[4:5], v[76:77]
	v_pk_add_f32 v[76:77], v[0:1], v[76:77]
	v_min3_f32 v159, v160, v161, v159
	v_min3_f32 v158, v76, v77, v158
	v_pk_add_f32 v[76:77], v[12:13], v[72:73]
	s_nop 0
	v_min3_f32 v157, v76, v77, v157
	v_pk_add_f32 v[76:77], v[8:9], v[72:73]
	s_nop 0
	v_min3_f32 v156, v76, v77, v156
	v_pk_add_f32 v[76:77], v[4:5], v[72:73]
	v_pk_add_f32 v[72:73], v[0:1], v[72:73]
	v_min3_f32 v76, v76, v77, v155
	v_min3_f32 v77, v72, v73, v154
	v_pk_add_f32 v[72:73], v[12:13], v[68:69]
	s_nop 0
	;; [unrolled: 10-line block ×13, first 2 shown]
	v_min3_f32 v103, v28, v29, v103
	v_pk_add_f32 v[28:29], v[8:9], v[24:25]
	s_nop 0
	v_min3_f32 v102, v28, v29, v102
	v_pk_add_f32 v[28:29], v[4:5], v[24:25]
	v_pk_add_f32 v[24:25], v[0:1], v[24:25]
	v_min3_f32 v101, v28, v29, v101
	v_min3_f32 v100, v24, v25, v100
	v_pk_add_f32 v[24:25], v[12:13], v[20:21]
	v_pk_add_f32 v[12:13], v[12:13], v[16:17]
	v_min3_f32 v99, v24, v25, v99
	v_pk_add_f32 v[24:25], v[8:9], v[20:21]
	v_pk_add_f32 v[8:9], v[8:9], v[16:17]
	;; [unrolled: 3-line block ×3, first 2 shown]
	v_pk_add_f32 v[4:5], v[4:5], v[16:17]
	v_pk_add_f32 v[0:1], v[0:1], v[16:17]
	v_min3_f32 v4, v4, v5, v92
	v_min3_f32 v5, v0, v1, v95
	v_pk_add_f32 v[0:1], v[14:15], v[78:79]
	v_min3_f32 v24, v24, v25, v97
	v_min3_f32 v25, v0, v1, v91
	;; [unrolled: 3-line block ×5, first 2 shown]
	v_pk_add_f32 v[0:1], v[14:15], v[74:75]
	s_nop 0
	v_min3_f32 v33, v0, v1, v157
	v_pk_add_f32 v[0:1], v[10:11], v[74:75]
	s_nop 0
	v_min3_f32 v36, v0, v1, v156
	;; [unrolled: 3-line block ×55, first 2 shown]
	v_pk_add_f32 v[0:1], v[2:3], v[22:23]
	v_cndmask_b32_e64 v24, 0, v168, s[8:9]
	v_min3_f32 v95, v0, v1, v20
	v_pk_add_f32 v[0:1], v[14:15], v[18:19]
	s_or_b64 s[8:9], s[26:27], s[8:9]
	v_min3_f32 v96, v0, v1, v12
	v_pk_add_f32 v[0:1], v[10:11], v[18:19]
	s_xor_b64 s[10:11], s[8:9], -1
	v_min3_f32 v97, v0, v1, v8
	v_pk_add_f32 v[0:1], v[6:7], v[18:19]
	s_nop 0
	v_min3_f32 v98, v0, v1, v4
	v_pk_add_f32 v[0:1], v[2:3], v[18:19]
	s_nop 0
	v_min3_f32 v99, v0, v1, v5
	s_and_saveexec_b64 s[8:9], s[10:11]
	s_cbranch_execz .LBB12_25
; %bb.41:                               ;   in Loop: Header=BB12_26 Depth=1
	v_lshl_add_u64 v[0:1], v[86:87], 2, v[88:89]
	flat_load_dword v0, v[0:1]
	s_waitcnt vmcnt(0) lgkmcnt(0)
	v_mul_f32_e32 v24, s31, v0
	s_branch .LBB12_25
.LBB12_42:
	s_load_dwordx2 s[2:3], s[0:1], 0x78
	s_load_dword s23, s[0:1], 0x58
	s_load_dword s22, s[0:1], 0x70
	ds_read_b128 v[16:19], v135 offset:2048
	ds_read_b128 v[12:15], v135 offset:2560
	;; [unrolled: 1-line block ×20, first 2 shown]
	s_waitcnt lgkmcnt(0)
	s_lshl_b64 s[0:1], s[2:3], 2
	s_add_u32 s14, s20, s0
	v_add_u32_e32 v80, s29, v124
	v_add_u32_e32 v124, s30, v125
	s_addc_u32 s15, s21, s1
	v_mad_i64_i32 v[82:83], s[0:1], v124, s23, 0
	v_lshl_add_u64 v[90:91], v[82:83], 2, s[16:17]
	v_mad_i64_i32 v[82:83], s[0:1], v124, s22, 0
	v_cmp_gt_i32_e64 s[2:3], s12, v80
	v_cmp_gt_i32_e64 s[10:11], s13, v124
	v_lshl_add_u64 v[88:89], v[82:83], 2, s[14:15]
	v_cndmask_b32_e64 v82, 0, 1, s[18:19]
	v_ashrrev_i32_e32 v81, 31, v80
	s_and_b64 s[6:7], s[2:3], s[10:11]
	v_cmp_ne_u32_e64 s[0:1], 1, v82
	s_and_saveexec_b64 s[4:5], s[6:7]
	s_cbranch_execz .LBB12_47
; %bb.43:
	s_and_b64 vcc, exec, s[0:1]
	s_cbranch_vccnz .LBB12_45
; %bb.44:
	v_lshl_add_u64 v[82:83], v[80:81], 2, v[90:91]
	flat_load_dword v82, v[82:83]
	s_waitcnt vmcnt(0) lgkmcnt(0)
	v_mul_f32_e32 v82, s28, v82
	s_branch .LBB12_46
.LBB12_45:
	v_mov_b32_e32 v82, 0
.LBB12_46:
	v_pk_add_f32 v[84:85], v[16:17], v[76:77]
	s_nop 0
	v_min3_f32 v83, v84, v85, v161
	v_pk_add_f32 v[84:85], v[18:19], v[78:79]
	s_nop 0
	v_min_f32_e32 v84, v84, v85
	v_min3_f32 v84, v82, v84, v83
	v_lshl_add_u64 v[82:83], v[80:81], 2, v[88:89]
	global_store_dword v[82:83], v84, off
.LBB12_47:
	s_or_b64 exec, exec, s[4:5]
	v_add_u32_e32 v82, 32, v80
	v_cmp_gt_i32_e64 s[4:5], s12, v82
	v_ashrrev_i32_e32 v83, 31, v82
	s_and_b64 s[8:9], s[4:5], s[10:11]
	s_and_saveexec_b64 s[6:7], s[8:9]
	s_cbranch_execz .LBB12_52
; %bb.48:
	s_and_b64 vcc, exec, s[0:1]
	s_cbranch_vccnz .LBB12_50
; %bb.49:
	v_lshl_add_u64 v[84:85], v[82:83], 2, v[90:91]
	flat_load_dword v84, v[84:85]
	s_waitcnt vmcnt(0) lgkmcnt(0)
	v_mul_f32_e32 v84, s28, v84
	s_branch .LBB12_51
.LBB12_50:
	v_mov_b32_e32 v84, 0
.LBB12_51:
	v_pk_add_f32 v[86:87], v[12:13], v[76:77]
	s_nop 0
	v_min3_f32 v85, v86, v87, v160
	v_pk_add_f32 v[86:87], v[14:15], v[78:79]
	s_nop 0
	v_min_f32_e32 v86, v86, v87
	v_min3_f32 v86, v84, v86, v85
	v_lshl_add_u64 v[84:85], v[82:83], 2, v[88:89]
	global_store_dword v[84:85], v86, off
.LBB12_52:
	s_or_b64 exec, exec, s[6:7]
	v_add_u32_e32 v84, 64, v80
	v_cmp_gt_i32_e64 s[6:7], s12, v84
	v_ashrrev_i32_e32 v85, 31, v84
	s_and_b64 s[18:19], s[6:7], s[10:11]
	;; [unrolled: 29-line block ×3, first 2 shown]
	s_and_saveexec_b64 s[10:11], s[18:19]
	s_cbranch_execz .LBB12_62
; %bb.58:
	s_and_b64 vcc, exec, s[0:1]
	s_cbranch_vccnz .LBB12_60
; %bb.59:
	v_lshl_add_u64 v[90:91], v[86:87], 2, v[90:91]
	flat_load_dword v90, v[90:91]
	s_waitcnt vmcnt(0) lgkmcnt(0)
	v_mul_f32_e32 v90, s28, v90
	s_branch .LBB12_61
.LBB12_60:
	v_mov_b32_e32 v90, 0
.LBB12_61:
	v_pk_add_f32 v[76:77], v[0:1], v[76:77]
	s_nop 0
	v_min3_f32 v91, v76, v77, v158
	v_pk_add_f32 v[76:77], v[2:3], v[78:79]
	s_nop 0
	v_min_f32_e32 v76, v76, v77
	v_min3_f32 v78, v90, v76, v91
	v_lshl_add_u64 v[76:77], v[86:87], 2, v[88:89]
	global_store_dword v[76:77], v78, off
.LBB12_62:
	s_or_b64 exec, exec, s[10:11]
	v_add_u32_e32 v88, 8, v124
	v_mad_i64_i32 v[76:77], s[18:19], v88, s23, 0
	v_cmp_gt_i32_e64 s[10:11], s13, v88
	v_lshl_add_u64 v[78:79], v[76:77], 2, s[16:17]
	v_mad_i64_i32 v[76:77], s[18:19], v88, s22, 0
	v_lshl_add_u64 v[76:77], v[76:77], 2, s[14:15]
	s_and_b64 s[20:21], s[2:3], s[10:11]
	s_and_saveexec_b64 s[18:19], s[20:21]
	s_cbranch_execnz .LBB12_66
; %bb.63:
	s_or_b64 exec, exec, s[18:19]
	s_and_b64 s[20:21], s[4:5], s[10:11]
	s_and_saveexec_b64 s[18:19], s[20:21]
	s_cbranch_execnz .LBB12_70
.LBB12_64:
	s_or_b64 exec, exec, s[18:19]
	s_and_b64 s[20:21], s[6:7], s[10:11]
	s_and_saveexec_b64 s[18:19], s[20:21]
	s_cbranch_execnz .LBB12_74
.LBB12_65:
	s_or_b64 exec, exec, s[18:19]
	s_and_b64 s[18:19], s[8:9], s[10:11]
	s_and_saveexec_b64 s[10:11], s[18:19]
	s_cbranch_execnz .LBB12_78
	s_branch .LBB12_82
.LBB12_66:
	s_and_b64 vcc, exec, s[0:1]
	s_cbranch_vccnz .LBB12_68
; %bb.67:
	v_lshl_add_u64 v[88:89], v[80:81], 2, v[78:79]
	flat_load_dword v88, v[88:89]
	s_waitcnt vmcnt(0) lgkmcnt(0)
	v_mul_f32_e32 v88, s28, v88
	s_branch .LBB12_69
.LBB12_68:
	v_mov_b32_e32 v88, 0
.LBB12_69:
	v_pk_add_f32 v[90:91], v[16:17], v[72:73]
	s_nop 0
	v_min3_f32 v89, v90, v91, v157
	v_pk_add_f32 v[90:91], v[18:19], v[74:75]
	s_nop 0
	v_min_f32_e32 v90, v90, v91
	v_min3_f32 v90, v88, v90, v89
	v_lshl_add_u64 v[88:89], v[80:81], 2, v[76:77]
	global_store_dword v[88:89], v90, off
	s_or_b64 exec, exec, s[18:19]
	s_and_b64 s[20:21], s[4:5], s[10:11]
	s_and_saveexec_b64 s[18:19], s[20:21]
	s_cbranch_execz .LBB12_64
.LBB12_70:
	s_and_b64 vcc, exec, s[0:1]
	s_cbranch_vccnz .LBB12_72
; %bb.71:
	v_lshl_add_u64 v[88:89], v[82:83], 2, v[78:79]
	flat_load_dword v88, v[88:89]
	s_waitcnt vmcnt(0) lgkmcnt(0)
	v_mul_f32_e32 v88, s28, v88
	s_branch .LBB12_73
.LBB12_72:
	v_mov_b32_e32 v88, 0
.LBB12_73:
	v_pk_add_f32 v[90:91], v[12:13], v[72:73]
	s_nop 0
	v_min3_f32 v89, v90, v91, v156
	v_pk_add_f32 v[90:91], v[14:15], v[74:75]
	s_nop 0
	v_min_f32_e32 v90, v90, v91
	v_min3_f32 v90, v88, v90, v89
	v_lshl_add_u64 v[88:89], v[82:83], 2, v[76:77]
	global_store_dword v[88:89], v90, off
	s_or_b64 exec, exec, s[18:19]
	s_and_b64 s[20:21], s[6:7], s[10:11]
	s_and_saveexec_b64 s[18:19], s[20:21]
	s_cbranch_execz .LBB12_65
.LBB12_74:
	s_and_b64 vcc, exec, s[0:1]
	s_cbranch_vccnz .LBB12_76
; %bb.75:
	v_lshl_add_u64 v[88:89], v[84:85], 2, v[78:79]
	flat_load_dword v88, v[88:89]
	s_waitcnt vmcnt(0) lgkmcnt(0)
	v_mul_f32_e32 v88, s28, v88
	s_branch .LBB12_77
.LBB12_76:
	v_mov_b32_e32 v88, 0
.LBB12_77:
	v_pk_add_f32 v[90:91], v[8:9], v[72:73]
	s_nop 0
	v_min3_f32 v89, v90, v91, v155
	v_pk_add_f32 v[90:91], v[10:11], v[74:75]
	s_nop 0
	v_min_f32_e32 v90, v90, v91
	v_min3_f32 v90, v88, v90, v89
	v_lshl_add_u64 v[88:89], v[84:85], 2, v[76:77]
	global_store_dword v[88:89], v90, off
	s_or_b64 exec, exec, s[18:19]
	s_and_b64 s[18:19], s[8:9], s[10:11]
	s_and_saveexec_b64 s[10:11], s[18:19]
	s_cbranch_execz .LBB12_82
.LBB12_78:
	s_and_b64 vcc, exec, s[0:1]
	s_cbranch_vccnz .LBB12_80
; %bb.79:
	v_lshl_add_u64 v[78:79], v[86:87], 2, v[78:79]
	flat_load_dword v78, v[78:79]
	s_waitcnt vmcnt(0) lgkmcnt(0)
	v_mul_f32_e32 v78, s28, v78
	s_branch .LBB12_81
.LBB12_80:
	v_mov_b32_e32 v78, 0
.LBB12_81:
	v_pk_add_f32 v[72:73], v[0:1], v[72:73]
	s_nop 0
	v_min3_f32 v79, v72, v73, v154
	v_pk_add_f32 v[72:73], v[2:3], v[74:75]
	s_nop 0
	v_min_f32_e32 v72, v72, v73
	v_min3_f32 v74, v78, v72, v79
	v_lshl_add_u64 v[72:73], v[86:87], 2, v[76:77]
	global_store_dword v[72:73], v74, off
.LBB12_82:
	s_or_b64 exec, exec, s[10:11]
	v_add_u32_e32 v76, 16, v124
	v_mad_i64_i32 v[72:73], s[18:19], v76, s23, 0
	v_cmp_gt_i32_e64 s[10:11], s13, v76
	v_lshl_add_u64 v[74:75], v[72:73], 2, s[16:17]
	v_mad_i64_i32 v[72:73], s[18:19], v76, s22, 0
	v_lshl_add_u64 v[72:73], v[72:73], 2, s[14:15]
	s_and_b64 s[20:21], s[2:3], s[10:11]
	s_and_saveexec_b64 s[18:19], s[20:21]
	s_cbranch_execnz .LBB12_86
; %bb.83:
	s_or_b64 exec, exec, s[18:19]
	s_and_b64 s[20:21], s[4:5], s[10:11]
	s_and_saveexec_b64 s[18:19], s[20:21]
	s_cbranch_execnz .LBB12_90
.LBB12_84:
	s_or_b64 exec, exec, s[18:19]
	s_and_b64 s[20:21], s[6:7], s[10:11]
	s_and_saveexec_b64 s[18:19], s[20:21]
	s_cbranch_execnz .LBB12_94
.LBB12_85:
	s_or_b64 exec, exec, s[18:19]
	s_and_b64 s[18:19], s[8:9], s[10:11]
	s_and_saveexec_b64 s[10:11], s[18:19]
	s_cbranch_execnz .LBB12_98
	s_branch .LBB12_102
.LBB12_86:
	s_and_b64 vcc, exec, s[0:1]
	s_cbranch_vccnz .LBB12_88
; %bb.87:
	v_lshl_add_u64 v[76:77], v[80:81], 2, v[74:75]
	flat_load_dword v76, v[76:77]
	s_waitcnt vmcnt(0) lgkmcnt(0)
	v_mul_f32_e32 v76, s28, v76
	s_branch .LBB12_89
.LBB12_88:
	v_mov_b32_e32 v76, 0
.LBB12_89:
	v_pk_add_f32 v[78:79], v[16:17], v[68:69]
	s_nop 0
	v_min3_f32 v77, v78, v79, v153
	v_pk_add_f32 v[78:79], v[18:19], v[70:71]
	s_nop 0
	v_min_f32_e32 v78, v78, v79
	v_min3_f32 v78, v76, v78, v77
	v_lshl_add_u64 v[76:77], v[80:81], 2, v[72:73]
	global_store_dword v[76:77], v78, off
	s_or_b64 exec, exec, s[18:19]
	s_and_b64 s[20:21], s[4:5], s[10:11]
	s_and_saveexec_b64 s[18:19], s[20:21]
	s_cbranch_execz .LBB12_84
.LBB12_90:
	s_and_b64 vcc, exec, s[0:1]
	s_cbranch_vccnz .LBB12_92
; %bb.91:
	v_lshl_add_u64 v[76:77], v[82:83], 2, v[74:75]
	flat_load_dword v76, v[76:77]
	s_waitcnt vmcnt(0) lgkmcnt(0)
	v_mul_f32_e32 v76, s28, v76
	s_branch .LBB12_93
.LBB12_92:
	v_mov_b32_e32 v76, 0
.LBB12_93:
	v_pk_add_f32 v[78:79], v[12:13], v[68:69]
	s_nop 0
	v_min3_f32 v77, v78, v79, v152
	v_pk_add_f32 v[78:79], v[14:15], v[70:71]
	s_nop 0
	v_min_f32_e32 v78, v78, v79
	v_min3_f32 v78, v76, v78, v77
	v_lshl_add_u64 v[76:77], v[82:83], 2, v[72:73]
	global_store_dword v[76:77], v78, off
	s_or_b64 exec, exec, s[18:19]
	s_and_b64 s[20:21], s[6:7], s[10:11]
	s_and_saveexec_b64 s[18:19], s[20:21]
	s_cbranch_execz .LBB12_85
.LBB12_94:
	s_and_b64 vcc, exec, s[0:1]
	s_cbranch_vccnz .LBB12_96
; %bb.95:
	v_lshl_add_u64 v[76:77], v[84:85], 2, v[74:75]
	flat_load_dword v76, v[76:77]
	s_waitcnt vmcnt(0) lgkmcnt(0)
	v_mul_f32_e32 v76, s28, v76
	s_branch .LBB12_97
.LBB12_96:
	v_mov_b32_e32 v76, 0
.LBB12_97:
	v_pk_add_f32 v[78:79], v[8:9], v[68:69]
	s_nop 0
	v_min3_f32 v77, v78, v79, v151
	v_pk_add_f32 v[78:79], v[10:11], v[70:71]
	s_nop 0
	v_min_f32_e32 v78, v78, v79
	v_min3_f32 v78, v76, v78, v77
	v_lshl_add_u64 v[76:77], v[84:85], 2, v[72:73]
	global_store_dword v[76:77], v78, off
	s_or_b64 exec, exec, s[18:19]
	s_and_b64 s[18:19], s[8:9], s[10:11]
	s_and_saveexec_b64 s[10:11], s[18:19]
	s_cbranch_execz .LBB12_102
.LBB12_98:
	s_and_b64 vcc, exec, s[0:1]
	s_cbranch_vccnz .LBB12_100
; %bb.99:
	v_lshl_add_u64 v[74:75], v[86:87], 2, v[74:75]
	flat_load_dword v74, v[74:75]
	s_waitcnt vmcnt(0) lgkmcnt(0)
	v_mul_f32_e32 v74, s28, v74
	s_branch .LBB12_101
.LBB12_100:
	v_mov_b32_e32 v74, 0
.LBB12_101:
	v_pk_add_f32 v[68:69], v[0:1], v[68:69]
	s_nop 0
	v_min3_f32 v75, v68, v69, v150
	v_pk_add_f32 v[68:69], v[2:3], v[70:71]
	s_nop 0
	v_min_f32_e32 v68, v68, v69
	v_min3_f32 v70, v74, v68, v75
	v_lshl_add_u64 v[68:69], v[86:87], 2, v[72:73]
	global_store_dword v[68:69], v70, off
.LBB12_102:
	s_or_b64 exec, exec, s[10:11]
	v_add_u32_e32 v72, 24, v124
	v_mad_i64_i32 v[68:69], s[18:19], v72, s23, 0
	v_cmp_gt_i32_e64 s[10:11], s13, v72
	v_lshl_add_u64 v[70:71], v[68:69], 2, s[16:17]
	v_mad_i64_i32 v[68:69], s[18:19], v72, s22, 0
	v_lshl_add_u64 v[68:69], v[68:69], 2, s[14:15]
	s_and_b64 s[20:21], s[2:3], s[10:11]
	s_and_saveexec_b64 s[18:19], s[20:21]
	s_cbranch_execnz .LBB12_106
; %bb.103:
	s_or_b64 exec, exec, s[18:19]
	s_and_b64 s[20:21], s[4:5], s[10:11]
	s_and_saveexec_b64 s[18:19], s[20:21]
	s_cbranch_execnz .LBB12_110
.LBB12_104:
	s_or_b64 exec, exec, s[18:19]
	s_and_b64 s[20:21], s[6:7], s[10:11]
	s_and_saveexec_b64 s[18:19], s[20:21]
	s_cbranch_execnz .LBB12_114
.LBB12_105:
	s_or_b64 exec, exec, s[18:19]
	s_and_b64 s[18:19], s[8:9], s[10:11]
	s_and_saveexec_b64 s[10:11], s[18:19]
	s_cbranch_execnz .LBB12_118
	s_branch .LBB12_122
.LBB12_106:
	s_and_b64 vcc, exec, s[0:1]
	s_cbranch_vccnz .LBB12_108
; %bb.107:
	v_lshl_add_u64 v[72:73], v[80:81], 2, v[70:71]
	flat_load_dword v72, v[72:73]
	s_waitcnt vmcnt(0) lgkmcnt(0)
	v_mul_f32_e32 v72, s28, v72
	s_branch .LBB12_109
.LBB12_108:
	v_mov_b32_e32 v72, 0
.LBB12_109:
	v_pk_add_f32 v[74:75], v[16:17], v[64:65]
	s_nop 0
	v_min3_f32 v73, v74, v75, v149
	v_pk_add_f32 v[74:75], v[18:19], v[66:67]
	s_nop 0
	v_min_f32_e32 v74, v74, v75
	v_min3_f32 v74, v72, v74, v73
	v_lshl_add_u64 v[72:73], v[80:81], 2, v[68:69]
	global_store_dword v[72:73], v74, off
	s_or_b64 exec, exec, s[18:19]
	s_and_b64 s[20:21], s[4:5], s[10:11]
	s_and_saveexec_b64 s[18:19], s[20:21]
	s_cbranch_execz .LBB12_104
.LBB12_110:
	s_and_b64 vcc, exec, s[0:1]
	s_cbranch_vccnz .LBB12_112
; %bb.111:
	v_lshl_add_u64 v[72:73], v[82:83], 2, v[70:71]
	flat_load_dword v72, v[72:73]
	s_waitcnt vmcnt(0) lgkmcnt(0)
	v_mul_f32_e32 v72, s28, v72
	s_branch .LBB12_113
.LBB12_112:
	v_mov_b32_e32 v72, 0
.LBB12_113:
	v_pk_add_f32 v[74:75], v[12:13], v[64:65]
	s_nop 0
	v_min3_f32 v73, v74, v75, v148
	v_pk_add_f32 v[74:75], v[14:15], v[66:67]
	s_nop 0
	v_min_f32_e32 v74, v74, v75
	v_min3_f32 v74, v72, v74, v73
	v_lshl_add_u64 v[72:73], v[82:83], 2, v[68:69]
	global_store_dword v[72:73], v74, off
	s_or_b64 exec, exec, s[18:19]
	s_and_b64 s[20:21], s[6:7], s[10:11]
	s_and_saveexec_b64 s[18:19], s[20:21]
	s_cbranch_execz .LBB12_105
.LBB12_114:
	s_and_b64 vcc, exec, s[0:1]
	s_cbranch_vccnz .LBB12_116
; %bb.115:
	v_lshl_add_u64 v[72:73], v[84:85], 2, v[70:71]
	flat_load_dword v72, v[72:73]
	s_waitcnt vmcnt(0) lgkmcnt(0)
	v_mul_f32_e32 v72, s28, v72
	s_branch .LBB12_117
.LBB12_116:
	v_mov_b32_e32 v72, 0
.LBB12_117:
	v_pk_add_f32 v[74:75], v[8:9], v[64:65]
	s_nop 0
	v_min3_f32 v73, v74, v75, v147
	v_pk_add_f32 v[74:75], v[10:11], v[66:67]
	s_nop 0
	v_min_f32_e32 v74, v74, v75
	v_min3_f32 v74, v72, v74, v73
	v_lshl_add_u64 v[72:73], v[84:85], 2, v[68:69]
	global_store_dword v[72:73], v74, off
	s_or_b64 exec, exec, s[18:19]
	s_and_b64 s[18:19], s[8:9], s[10:11]
	s_and_saveexec_b64 s[10:11], s[18:19]
	s_cbranch_execz .LBB12_122
.LBB12_118:
	s_and_b64 vcc, exec, s[0:1]
	s_cbranch_vccnz .LBB12_120
; %bb.119:
	v_lshl_add_u64 v[70:71], v[86:87], 2, v[70:71]
	flat_load_dword v70, v[70:71]
	s_waitcnt vmcnt(0) lgkmcnt(0)
	v_mul_f32_e32 v70, s28, v70
	s_branch .LBB12_121
.LBB12_120:
	v_mov_b32_e32 v70, 0
.LBB12_121:
	v_pk_add_f32 v[64:65], v[0:1], v[64:65]
	s_nop 0
	v_min3_f32 v71, v64, v65, v146
	v_pk_add_f32 v[64:65], v[2:3], v[66:67]
	s_nop 0
	v_min_f32_e32 v64, v64, v65
	v_min3_f32 v66, v70, v64, v71
	v_lshl_add_u64 v[64:65], v[86:87], 2, v[68:69]
	global_store_dword v[64:65], v66, off
.LBB12_122:
	s_or_b64 exec, exec, s[10:11]
	v_add_u32_e32 v68, 32, v124
	v_mad_i64_i32 v[64:65], s[18:19], v68, s23, 0
	v_cmp_gt_i32_e64 s[10:11], s13, v68
	v_lshl_add_u64 v[66:67], v[64:65], 2, s[16:17]
	v_mad_i64_i32 v[64:65], s[18:19], v68, s22, 0
	v_lshl_add_u64 v[64:65], v[64:65], 2, s[14:15]
	s_and_b64 s[20:21], s[2:3], s[10:11]
	s_and_saveexec_b64 s[18:19], s[20:21]
	s_cbranch_execnz .LBB12_126
; %bb.123:
	s_or_b64 exec, exec, s[18:19]
	s_and_b64 s[20:21], s[4:5], s[10:11]
	s_and_saveexec_b64 s[18:19], s[20:21]
	s_cbranch_execnz .LBB12_130
.LBB12_124:
	s_or_b64 exec, exec, s[18:19]
	s_and_b64 s[20:21], s[6:7], s[10:11]
	s_and_saveexec_b64 s[18:19], s[20:21]
	s_cbranch_execnz .LBB12_134
.LBB12_125:
	s_or_b64 exec, exec, s[18:19]
	s_and_b64 s[18:19], s[8:9], s[10:11]
	s_and_saveexec_b64 s[10:11], s[18:19]
	s_cbranch_execnz .LBB12_138
	s_branch .LBB12_142
.LBB12_126:
	s_and_b64 vcc, exec, s[0:1]
	s_cbranch_vccnz .LBB12_128
; %bb.127:
	v_lshl_add_u64 v[68:69], v[80:81], 2, v[66:67]
	flat_load_dword v68, v[68:69]
	s_waitcnt vmcnt(0) lgkmcnt(0)
	v_mul_f32_e32 v68, s28, v68
	s_branch .LBB12_129
.LBB12_128:
	v_mov_b32_e32 v68, 0
.LBB12_129:
	v_pk_add_f32 v[70:71], v[16:17], v[60:61]
	s_nop 0
	v_min3_f32 v69, v70, v71, v145
	v_pk_add_f32 v[70:71], v[18:19], v[62:63]
	s_nop 0
	v_min_f32_e32 v70, v70, v71
	v_min3_f32 v70, v68, v70, v69
	v_lshl_add_u64 v[68:69], v[80:81], 2, v[64:65]
	global_store_dword v[68:69], v70, off
	s_or_b64 exec, exec, s[18:19]
	s_and_b64 s[20:21], s[4:5], s[10:11]
	s_and_saveexec_b64 s[18:19], s[20:21]
	s_cbranch_execz .LBB12_124
.LBB12_130:
	s_and_b64 vcc, exec, s[0:1]
	s_cbranch_vccnz .LBB12_132
; %bb.131:
	v_lshl_add_u64 v[68:69], v[82:83], 2, v[66:67]
	flat_load_dword v68, v[68:69]
	s_waitcnt vmcnt(0) lgkmcnt(0)
	v_mul_f32_e32 v68, s28, v68
	s_branch .LBB12_133
.LBB12_132:
	v_mov_b32_e32 v68, 0
.LBB12_133:
	v_pk_add_f32 v[70:71], v[12:13], v[60:61]
	s_nop 0
	v_min3_f32 v69, v70, v71, v143
	v_pk_add_f32 v[70:71], v[14:15], v[62:63]
	s_nop 0
	v_min_f32_e32 v70, v70, v71
	v_min3_f32 v70, v68, v70, v69
	v_lshl_add_u64 v[68:69], v[82:83], 2, v[64:65]
	global_store_dword v[68:69], v70, off
	s_or_b64 exec, exec, s[18:19]
	s_and_b64 s[20:21], s[6:7], s[10:11]
	s_and_saveexec_b64 s[18:19], s[20:21]
	s_cbranch_execz .LBB12_125
.LBB12_134:
	s_and_b64 vcc, exec, s[0:1]
	s_cbranch_vccnz .LBB12_136
; %bb.135:
	v_lshl_add_u64 v[68:69], v[84:85], 2, v[66:67]
	flat_load_dword v68, v[68:69]
	s_waitcnt vmcnt(0) lgkmcnt(0)
	v_mul_f32_e32 v68, s28, v68
	s_branch .LBB12_137
.LBB12_136:
	v_mov_b32_e32 v68, 0
.LBB12_137:
	v_pk_add_f32 v[70:71], v[8:9], v[60:61]
	s_nop 0
	v_min3_f32 v69, v70, v71, v142
	v_pk_add_f32 v[70:71], v[10:11], v[62:63]
	s_nop 0
	v_min_f32_e32 v70, v70, v71
	v_min3_f32 v70, v68, v70, v69
	v_lshl_add_u64 v[68:69], v[84:85], 2, v[64:65]
	global_store_dword v[68:69], v70, off
	s_or_b64 exec, exec, s[18:19]
	s_and_b64 s[18:19], s[8:9], s[10:11]
	s_and_saveexec_b64 s[10:11], s[18:19]
	s_cbranch_execz .LBB12_142
.LBB12_138:
	s_and_b64 vcc, exec, s[0:1]
	s_cbranch_vccnz .LBB12_140
; %bb.139:
	v_lshl_add_u64 v[66:67], v[86:87], 2, v[66:67]
	flat_load_dword v66, v[66:67]
	s_waitcnt vmcnt(0) lgkmcnt(0)
	v_mul_f32_e32 v66, s28, v66
	s_branch .LBB12_141
.LBB12_140:
	v_mov_b32_e32 v66, 0
.LBB12_141:
	v_pk_add_f32 v[60:61], v[0:1], v[60:61]
	s_nop 0
	v_min3_f32 v67, v60, v61, v141
	v_pk_add_f32 v[60:61], v[2:3], v[62:63]
	s_nop 0
	v_min_f32_e32 v60, v60, v61
	v_min3_f32 v62, v66, v60, v67
	v_lshl_add_u64 v[60:61], v[86:87], 2, v[64:65]
	global_store_dword v[60:61], v62, off
.LBB12_142:
	s_or_b64 exec, exec, s[10:11]
	v_add_u32_e32 v64, 40, v124
	v_mad_i64_i32 v[60:61], s[18:19], v64, s23, 0
	v_cmp_gt_i32_e64 s[10:11], s13, v64
	v_lshl_add_u64 v[62:63], v[60:61], 2, s[16:17]
	v_mad_i64_i32 v[60:61], s[18:19], v64, s22, 0
	v_lshl_add_u64 v[60:61], v[60:61], 2, s[14:15]
	s_and_b64 s[20:21], s[2:3], s[10:11]
	s_and_saveexec_b64 s[18:19], s[20:21]
	s_cbranch_execnz .LBB12_146
; %bb.143:
	s_or_b64 exec, exec, s[18:19]
	s_and_b64 s[20:21], s[4:5], s[10:11]
	s_and_saveexec_b64 s[18:19], s[20:21]
	s_cbranch_execnz .LBB12_150
.LBB12_144:
	s_or_b64 exec, exec, s[18:19]
	s_and_b64 s[20:21], s[6:7], s[10:11]
	s_and_saveexec_b64 s[18:19], s[20:21]
	s_cbranch_execnz .LBB12_154
.LBB12_145:
	s_or_b64 exec, exec, s[18:19]
	s_and_b64 s[18:19], s[8:9], s[10:11]
	s_and_saveexec_b64 s[10:11], s[18:19]
	s_cbranch_execnz .LBB12_158
	s_branch .LBB12_162
.LBB12_146:
	s_and_b64 vcc, exec, s[0:1]
	s_cbranch_vccnz .LBB12_148
; %bb.147:
	v_lshl_add_u64 v[64:65], v[80:81], 2, v[62:63]
	flat_load_dword v64, v[64:65]
	s_waitcnt vmcnt(0) lgkmcnt(0)
	v_mul_f32_e32 v64, s28, v64
	s_branch .LBB12_149
.LBB12_148:
	v_mov_b32_e32 v64, 0
.LBB12_149:
	v_pk_add_f32 v[66:67], v[16:17], v[56:57]
	s_nop 0
	v_min3_f32 v65, v66, v67, v140
	v_pk_add_f32 v[66:67], v[18:19], v[58:59]
	s_nop 0
	v_min_f32_e32 v66, v66, v67
	v_min3_f32 v66, v64, v66, v65
	v_lshl_add_u64 v[64:65], v[80:81], 2, v[60:61]
	global_store_dword v[64:65], v66, off
	s_or_b64 exec, exec, s[18:19]
	s_and_b64 s[20:21], s[4:5], s[10:11]
	s_and_saveexec_b64 s[18:19], s[20:21]
	s_cbranch_execz .LBB12_144
.LBB12_150:
	s_and_b64 vcc, exec, s[0:1]
	s_cbranch_vccnz .LBB12_152
; %bb.151:
	v_lshl_add_u64 v[64:65], v[82:83], 2, v[62:63]
	flat_load_dword v64, v[64:65]
	s_waitcnt vmcnt(0) lgkmcnt(0)
	v_mul_f32_e32 v64, s28, v64
	s_branch .LBB12_153
.LBB12_152:
	v_mov_b32_e32 v64, 0
.LBB12_153:
	v_pk_add_f32 v[66:67], v[12:13], v[56:57]
	s_nop 0
	v_min3_f32 v65, v66, v67, v139
	v_pk_add_f32 v[66:67], v[14:15], v[58:59]
	s_nop 0
	v_min_f32_e32 v66, v66, v67
	v_min3_f32 v66, v64, v66, v65
	v_lshl_add_u64 v[64:65], v[82:83], 2, v[60:61]
	global_store_dword v[64:65], v66, off
	s_or_b64 exec, exec, s[18:19]
	s_and_b64 s[20:21], s[6:7], s[10:11]
	s_and_saveexec_b64 s[18:19], s[20:21]
	s_cbranch_execz .LBB12_145
.LBB12_154:
	s_and_b64 vcc, exec, s[0:1]
	s_cbranch_vccnz .LBB12_156
; %bb.155:
	v_lshl_add_u64 v[64:65], v[84:85], 2, v[62:63]
	flat_load_dword v64, v[64:65]
	s_waitcnt vmcnt(0) lgkmcnt(0)
	v_mul_f32_e32 v64, s28, v64
	s_branch .LBB12_157
.LBB12_156:
	v_mov_b32_e32 v64, 0
.LBB12_157:
	v_pk_add_f32 v[66:67], v[8:9], v[56:57]
	s_nop 0
	v_min3_f32 v65, v66, v67, v138
	v_pk_add_f32 v[66:67], v[10:11], v[58:59]
	s_nop 0
	v_min_f32_e32 v66, v66, v67
	v_min3_f32 v66, v64, v66, v65
	v_lshl_add_u64 v[64:65], v[84:85], 2, v[60:61]
	global_store_dword v[64:65], v66, off
	s_or_b64 exec, exec, s[18:19]
	s_and_b64 s[18:19], s[8:9], s[10:11]
	s_and_saveexec_b64 s[10:11], s[18:19]
	s_cbranch_execz .LBB12_162
.LBB12_158:
	s_and_b64 vcc, exec, s[0:1]
	s_cbranch_vccnz .LBB12_160
; %bb.159:
	v_lshl_add_u64 v[62:63], v[86:87], 2, v[62:63]
	flat_load_dword v62, v[62:63]
	s_waitcnt vmcnt(0) lgkmcnt(0)
	v_mul_f32_e32 v62, s28, v62
	s_branch .LBB12_161
.LBB12_160:
	v_mov_b32_e32 v62, 0
.LBB12_161:
	v_pk_add_f32 v[56:57], v[0:1], v[56:57]
	s_nop 0
	v_min3_f32 v63, v56, v57, v137
	v_pk_add_f32 v[56:57], v[2:3], v[58:59]
	s_nop 0
	v_min_f32_e32 v56, v56, v57
	v_min3_f32 v58, v62, v56, v63
	v_lshl_add_u64 v[56:57], v[86:87], 2, v[60:61]
	global_store_dword v[56:57], v58, off
.LBB12_162:
	s_or_b64 exec, exec, s[10:11]
	v_add_u32_e32 v60, 48, v124
	v_mad_i64_i32 v[56:57], s[18:19], v60, s23, 0
	v_cmp_gt_i32_e64 s[10:11], s13, v60
	v_lshl_add_u64 v[58:59], v[56:57], 2, s[16:17]
	v_mad_i64_i32 v[56:57], s[18:19], v60, s22, 0
	v_lshl_add_u64 v[56:57], v[56:57], 2, s[14:15]
	s_and_b64 s[20:21], s[2:3], s[10:11]
	s_and_saveexec_b64 s[18:19], s[20:21]
	s_cbranch_execnz .LBB12_166
; %bb.163:
	s_or_b64 exec, exec, s[18:19]
	s_and_b64 s[20:21], s[4:5], s[10:11]
	s_and_saveexec_b64 s[18:19], s[20:21]
	s_cbranch_execnz .LBB12_170
.LBB12_164:
	s_or_b64 exec, exec, s[18:19]
	s_and_b64 s[20:21], s[6:7], s[10:11]
	s_and_saveexec_b64 s[18:19], s[20:21]
	s_cbranch_execnz .LBB12_174
.LBB12_165:
	s_or_b64 exec, exec, s[18:19]
	s_and_b64 s[18:19], s[8:9], s[10:11]
	s_and_saveexec_b64 s[10:11], s[18:19]
	s_cbranch_execnz .LBB12_178
	s_branch .LBB12_182
.LBB12_166:
	s_and_b64 vcc, exec, s[0:1]
	s_cbranch_vccnz .LBB12_168
; %bb.167:
	v_lshl_add_u64 v[60:61], v[80:81], 2, v[58:59]
	flat_load_dword v60, v[60:61]
	s_waitcnt vmcnt(0) lgkmcnt(0)
	v_mul_f32_e32 v60, s28, v60
	s_branch .LBB12_169
.LBB12_168:
	v_mov_b32_e32 v60, 0
.LBB12_169:
	v_pk_add_f32 v[62:63], v[16:17], v[52:53]
	s_nop 0
	v_min3_f32 v61, v62, v63, v133
	v_pk_add_f32 v[62:63], v[18:19], v[54:55]
	s_nop 0
	v_min_f32_e32 v62, v62, v63
	v_min3_f32 v62, v60, v62, v61
	v_lshl_add_u64 v[60:61], v[80:81], 2, v[56:57]
	global_store_dword v[60:61], v62, off
	s_or_b64 exec, exec, s[18:19]
	s_and_b64 s[20:21], s[4:5], s[10:11]
	s_and_saveexec_b64 s[18:19], s[20:21]
	s_cbranch_execz .LBB12_164
.LBB12_170:
	s_and_b64 vcc, exec, s[0:1]
	s_cbranch_vccnz .LBB12_172
; %bb.171:
	v_lshl_add_u64 v[60:61], v[82:83], 2, v[58:59]
	flat_load_dword v60, v[60:61]
	s_waitcnt vmcnt(0) lgkmcnt(0)
	v_mul_f32_e32 v60, s28, v60
	s_branch .LBB12_173
.LBB12_172:
	v_mov_b32_e32 v60, 0
.LBB12_173:
	v_pk_add_f32 v[62:63], v[12:13], v[52:53]
	s_nop 0
	v_min3_f32 v61, v62, v63, v132
	v_pk_add_f32 v[62:63], v[14:15], v[54:55]
	s_nop 0
	v_min_f32_e32 v62, v62, v63
	v_min3_f32 v62, v60, v62, v61
	v_lshl_add_u64 v[60:61], v[82:83], 2, v[56:57]
	global_store_dword v[60:61], v62, off
	s_or_b64 exec, exec, s[18:19]
	s_and_b64 s[20:21], s[6:7], s[10:11]
	s_and_saveexec_b64 s[18:19], s[20:21]
	s_cbranch_execz .LBB12_165
.LBB12_174:
	s_and_b64 vcc, exec, s[0:1]
	s_cbranch_vccnz .LBB12_176
; %bb.175:
	v_lshl_add_u64 v[60:61], v[84:85], 2, v[58:59]
	flat_load_dword v60, v[60:61]
	s_waitcnt vmcnt(0) lgkmcnt(0)
	v_mul_f32_e32 v60, s28, v60
	s_branch .LBB12_177
.LBB12_176:
	v_mov_b32_e32 v60, 0
.LBB12_177:
	v_pk_add_f32 v[62:63], v[8:9], v[52:53]
	s_nop 0
	v_min3_f32 v61, v62, v63, v131
	v_pk_add_f32 v[62:63], v[10:11], v[54:55]
	s_nop 0
	v_min_f32_e32 v62, v62, v63
	v_min3_f32 v62, v60, v62, v61
	v_lshl_add_u64 v[60:61], v[84:85], 2, v[56:57]
	global_store_dword v[60:61], v62, off
	s_or_b64 exec, exec, s[18:19]
	s_and_b64 s[18:19], s[8:9], s[10:11]
	s_and_saveexec_b64 s[10:11], s[18:19]
	s_cbranch_execz .LBB12_182
.LBB12_178:
	s_and_b64 vcc, exec, s[0:1]
	s_cbranch_vccnz .LBB12_180
; %bb.179:
	v_lshl_add_u64 v[58:59], v[86:87], 2, v[58:59]
	flat_load_dword v58, v[58:59]
	s_waitcnt vmcnt(0) lgkmcnt(0)
	v_mul_f32_e32 v58, s28, v58
	s_branch .LBB12_181
.LBB12_180:
	v_mov_b32_e32 v58, 0
.LBB12_181:
	v_pk_add_f32 v[52:53], v[0:1], v[52:53]
	s_nop 0
	v_min3_f32 v59, v52, v53, v130
	v_pk_add_f32 v[52:53], v[2:3], v[54:55]
	s_nop 0
	v_min_f32_e32 v52, v52, v53
	v_min3_f32 v54, v58, v52, v59
	v_lshl_add_u64 v[52:53], v[86:87], 2, v[56:57]
	global_store_dword v[52:53], v54, off
.LBB12_182:
	s_or_b64 exec, exec, s[10:11]
	v_add_u32_e32 v56, 56, v124
	v_mad_i64_i32 v[52:53], s[18:19], v56, s23, 0
	v_cmp_gt_i32_e64 s[10:11], s13, v56
	v_lshl_add_u64 v[54:55], v[52:53], 2, s[16:17]
	v_mad_i64_i32 v[52:53], s[18:19], v56, s22, 0
	v_lshl_add_u64 v[52:53], v[52:53], 2, s[14:15]
	s_and_b64 s[20:21], s[2:3], s[10:11]
	s_and_saveexec_b64 s[18:19], s[20:21]
	s_cbranch_execnz .LBB12_186
; %bb.183:
	s_or_b64 exec, exec, s[18:19]
	s_and_b64 s[20:21], s[4:5], s[10:11]
	s_and_saveexec_b64 s[18:19], s[20:21]
	s_cbranch_execnz .LBB12_190
.LBB12_184:
	s_or_b64 exec, exec, s[18:19]
	s_and_b64 s[20:21], s[6:7], s[10:11]
	s_and_saveexec_b64 s[18:19], s[20:21]
	s_cbranch_execnz .LBB12_194
.LBB12_185:
	s_or_b64 exec, exec, s[18:19]
	s_and_b64 s[18:19], s[8:9], s[10:11]
	s_and_saveexec_b64 s[10:11], s[18:19]
	s_cbranch_execnz .LBB12_198
	s_branch .LBB12_202
.LBB12_186:
	s_and_b64 vcc, exec, s[0:1]
	s_cbranch_vccnz .LBB12_188
; %bb.187:
	v_lshl_add_u64 v[56:57], v[80:81], 2, v[54:55]
	flat_load_dword v56, v[56:57]
	s_waitcnt vmcnt(0) lgkmcnt(0)
	v_mul_f32_e32 v56, s28, v56
	s_branch .LBB12_189
.LBB12_188:
	v_mov_b32_e32 v56, 0
.LBB12_189:
	v_pk_add_f32 v[58:59], v[16:17], v[48:49]
	s_nop 0
	v_min3_f32 v57, v58, v59, v129
	v_pk_add_f32 v[58:59], v[18:19], v[50:51]
	s_nop 0
	v_min_f32_e32 v58, v58, v59
	v_min3_f32 v58, v56, v58, v57
	v_lshl_add_u64 v[56:57], v[80:81], 2, v[52:53]
	global_store_dword v[56:57], v58, off
	s_or_b64 exec, exec, s[18:19]
	s_and_b64 s[20:21], s[4:5], s[10:11]
	s_and_saveexec_b64 s[18:19], s[20:21]
	s_cbranch_execz .LBB12_184
.LBB12_190:
	s_and_b64 vcc, exec, s[0:1]
	s_cbranch_vccnz .LBB12_192
; %bb.191:
	v_lshl_add_u64 v[56:57], v[82:83], 2, v[54:55]
	flat_load_dword v56, v[56:57]
	s_waitcnt vmcnt(0) lgkmcnt(0)
	v_mul_f32_e32 v56, s28, v56
	s_branch .LBB12_193
.LBB12_192:
	v_mov_b32_e32 v56, 0
.LBB12_193:
	v_pk_add_f32 v[58:59], v[12:13], v[48:49]
	s_nop 0
	v_min3_f32 v57, v58, v59, v128
	v_pk_add_f32 v[58:59], v[14:15], v[50:51]
	s_nop 0
	v_min_f32_e32 v58, v58, v59
	v_min3_f32 v58, v56, v58, v57
	v_lshl_add_u64 v[56:57], v[82:83], 2, v[52:53]
	global_store_dword v[56:57], v58, off
	s_or_b64 exec, exec, s[18:19]
	s_and_b64 s[20:21], s[6:7], s[10:11]
	s_and_saveexec_b64 s[18:19], s[20:21]
	s_cbranch_execz .LBB12_185
.LBB12_194:
	s_and_b64 vcc, exec, s[0:1]
	s_cbranch_vccnz .LBB12_196
; %bb.195:
	v_lshl_add_u64 v[56:57], v[84:85], 2, v[54:55]
	flat_load_dword v56, v[56:57]
	s_waitcnt vmcnt(0) lgkmcnt(0)
	v_mul_f32_e32 v56, s28, v56
	s_branch .LBB12_197
.LBB12_196:
	v_mov_b32_e32 v56, 0
.LBB12_197:
	v_pk_add_f32 v[58:59], v[8:9], v[48:49]
	s_nop 0
	v_min3_f32 v57, v58, v59, v127
	v_pk_add_f32 v[58:59], v[10:11], v[50:51]
	s_nop 0
	v_min_f32_e32 v58, v58, v59
	v_min3_f32 v58, v56, v58, v57
	v_lshl_add_u64 v[56:57], v[84:85], 2, v[52:53]
	global_store_dword v[56:57], v58, off
	s_or_b64 exec, exec, s[18:19]
	s_and_b64 s[18:19], s[8:9], s[10:11]
	s_and_saveexec_b64 s[10:11], s[18:19]
	s_cbranch_execz .LBB12_202
.LBB12_198:
	s_and_b64 vcc, exec, s[0:1]
	s_cbranch_vccnz .LBB12_200
; %bb.199:
	v_lshl_add_u64 v[54:55], v[86:87], 2, v[54:55]
	flat_load_dword v54, v[54:55]
	s_waitcnt vmcnt(0) lgkmcnt(0)
	v_mul_f32_e32 v54, s28, v54
	s_branch .LBB12_201
.LBB12_200:
	v_mov_b32_e32 v54, 0
.LBB12_201:
	v_pk_add_f32 v[48:49], v[0:1], v[48:49]
	s_nop 0
	v_min3_f32 v55, v48, v49, v126
	v_pk_add_f32 v[48:49], v[2:3], v[50:51]
	s_nop 0
	v_min_f32_e32 v48, v48, v49
	v_min3_f32 v50, v54, v48, v55
	v_lshl_add_u64 v[48:49], v[86:87], 2, v[52:53]
	global_store_dword v[48:49], v50, off
.LBB12_202:
	s_or_b64 exec, exec, s[10:11]
	v_add_u32_e32 v52, 64, v124
	v_mad_i64_i32 v[48:49], s[18:19], v52, s23, 0
	v_cmp_gt_i32_e64 s[10:11], s13, v52
	v_lshl_add_u64 v[50:51], v[48:49], 2, s[16:17]
	v_mad_i64_i32 v[48:49], s[18:19], v52, s22, 0
	v_lshl_add_u64 v[48:49], v[48:49], 2, s[14:15]
	s_and_b64 s[20:21], s[2:3], s[10:11]
	s_and_saveexec_b64 s[18:19], s[20:21]
	s_cbranch_execnz .LBB12_206
; %bb.203:
	s_or_b64 exec, exec, s[18:19]
	s_and_b64 s[20:21], s[4:5], s[10:11]
	s_and_saveexec_b64 s[18:19], s[20:21]
	s_cbranch_execnz .LBB12_210
.LBB12_204:
	s_or_b64 exec, exec, s[18:19]
	s_and_b64 s[20:21], s[6:7], s[10:11]
	s_and_saveexec_b64 s[18:19], s[20:21]
	s_cbranch_execnz .LBB12_214
.LBB12_205:
	s_or_b64 exec, exec, s[18:19]
	s_and_b64 s[18:19], s[8:9], s[10:11]
	s_and_saveexec_b64 s[10:11], s[18:19]
	s_cbranch_execnz .LBB12_218
	s_branch .LBB12_222
.LBB12_206:
	s_and_b64 vcc, exec, s[0:1]
	s_cbranch_vccnz .LBB12_208
; %bb.207:
	v_lshl_add_u64 v[52:53], v[80:81], 2, v[50:51]
	flat_load_dword v52, v[52:53]
	s_waitcnt vmcnt(0) lgkmcnt(0)
	v_mul_f32_e32 v52, s28, v52
	s_branch .LBB12_209
.LBB12_208:
	v_mov_b32_e32 v52, 0
.LBB12_209:
	v_pk_add_f32 v[54:55], v[16:17], v[44:45]
	s_nop 0
	v_min3_f32 v53, v54, v55, v123
	v_pk_add_f32 v[54:55], v[18:19], v[46:47]
	s_nop 0
	v_min_f32_e32 v54, v54, v55
	v_min3_f32 v54, v52, v54, v53
	v_lshl_add_u64 v[52:53], v[80:81], 2, v[48:49]
	global_store_dword v[52:53], v54, off
	s_or_b64 exec, exec, s[18:19]
	s_and_b64 s[20:21], s[4:5], s[10:11]
	s_and_saveexec_b64 s[18:19], s[20:21]
	s_cbranch_execz .LBB12_204
.LBB12_210:
	s_and_b64 vcc, exec, s[0:1]
	s_cbranch_vccnz .LBB12_212
; %bb.211:
	v_lshl_add_u64 v[52:53], v[82:83], 2, v[50:51]
	flat_load_dword v52, v[52:53]
	s_waitcnt vmcnt(0) lgkmcnt(0)
	v_mul_f32_e32 v52, s28, v52
	s_branch .LBB12_213
.LBB12_212:
	v_mov_b32_e32 v52, 0
.LBB12_213:
	v_pk_add_f32 v[54:55], v[12:13], v[44:45]
	s_nop 0
	v_min3_f32 v53, v54, v55, v122
	v_pk_add_f32 v[54:55], v[14:15], v[46:47]
	s_nop 0
	v_min_f32_e32 v54, v54, v55
	v_min3_f32 v54, v52, v54, v53
	v_lshl_add_u64 v[52:53], v[82:83], 2, v[48:49]
	global_store_dword v[52:53], v54, off
	s_or_b64 exec, exec, s[18:19]
	s_and_b64 s[20:21], s[6:7], s[10:11]
	s_and_saveexec_b64 s[18:19], s[20:21]
	s_cbranch_execz .LBB12_205
.LBB12_214:
	s_and_b64 vcc, exec, s[0:1]
	s_cbranch_vccnz .LBB12_216
; %bb.215:
	v_lshl_add_u64 v[52:53], v[84:85], 2, v[50:51]
	flat_load_dword v52, v[52:53]
	s_waitcnt vmcnt(0) lgkmcnt(0)
	v_mul_f32_e32 v52, s28, v52
	s_branch .LBB12_217
.LBB12_216:
	v_mov_b32_e32 v52, 0
.LBB12_217:
	v_pk_add_f32 v[54:55], v[8:9], v[44:45]
	s_nop 0
	v_min3_f32 v53, v54, v55, v121
	v_pk_add_f32 v[54:55], v[10:11], v[46:47]
	s_nop 0
	v_min_f32_e32 v54, v54, v55
	v_min3_f32 v54, v52, v54, v53
	v_lshl_add_u64 v[52:53], v[84:85], 2, v[48:49]
	global_store_dword v[52:53], v54, off
	s_or_b64 exec, exec, s[18:19]
	s_and_b64 s[18:19], s[8:9], s[10:11]
	s_and_saveexec_b64 s[10:11], s[18:19]
	s_cbranch_execz .LBB12_222
.LBB12_218:
	s_and_b64 vcc, exec, s[0:1]
	s_cbranch_vccnz .LBB12_220
; %bb.219:
	v_lshl_add_u64 v[50:51], v[86:87], 2, v[50:51]
	flat_load_dword v50, v[50:51]
	s_waitcnt vmcnt(0) lgkmcnt(0)
	v_mul_f32_e32 v50, s28, v50
	s_branch .LBB12_221
.LBB12_220:
	v_mov_b32_e32 v50, 0
.LBB12_221:
	v_pk_add_f32 v[44:45], v[0:1], v[44:45]
	s_nop 0
	v_min3_f32 v51, v44, v45, v120
	v_pk_add_f32 v[44:45], v[2:3], v[46:47]
	s_nop 0
	v_min_f32_e32 v44, v44, v45
	v_min3_f32 v46, v50, v44, v51
	v_lshl_add_u64 v[44:45], v[86:87], 2, v[48:49]
	global_store_dword v[44:45], v46, off
.LBB12_222:
	s_or_b64 exec, exec, s[10:11]
	v_add_u32_e32 v48, 0x48, v124
	v_mad_i64_i32 v[44:45], s[18:19], v48, s23, 0
	v_cmp_gt_i32_e64 s[10:11], s13, v48
	v_lshl_add_u64 v[46:47], v[44:45], 2, s[16:17]
	v_mad_i64_i32 v[44:45], s[18:19], v48, s22, 0
	v_lshl_add_u64 v[44:45], v[44:45], 2, s[14:15]
	s_and_b64 s[20:21], s[2:3], s[10:11]
	s_and_saveexec_b64 s[18:19], s[20:21]
	s_cbranch_execnz .LBB12_226
; %bb.223:
	s_or_b64 exec, exec, s[18:19]
	s_and_b64 s[20:21], s[4:5], s[10:11]
	s_and_saveexec_b64 s[18:19], s[20:21]
	s_cbranch_execnz .LBB12_230
.LBB12_224:
	s_or_b64 exec, exec, s[18:19]
	s_and_b64 s[20:21], s[6:7], s[10:11]
	s_and_saveexec_b64 s[18:19], s[20:21]
	s_cbranch_execnz .LBB12_234
.LBB12_225:
	s_or_b64 exec, exec, s[18:19]
	s_and_b64 s[18:19], s[8:9], s[10:11]
	s_and_saveexec_b64 s[10:11], s[18:19]
	s_cbranch_execnz .LBB12_238
	s_branch .LBB12_242
.LBB12_226:
	s_and_b64 vcc, exec, s[0:1]
	s_cbranch_vccnz .LBB12_228
; %bb.227:
	v_lshl_add_u64 v[48:49], v[80:81], 2, v[46:47]
	flat_load_dword v48, v[48:49]
	s_waitcnt vmcnt(0) lgkmcnt(0)
	v_mul_f32_e32 v48, s28, v48
	s_branch .LBB12_229
.LBB12_228:
	v_mov_b32_e32 v48, 0
.LBB12_229:
	v_pk_add_f32 v[50:51], v[16:17], v[40:41]
	s_nop 0
	v_min3_f32 v49, v50, v51, v119
	v_pk_add_f32 v[50:51], v[18:19], v[42:43]
	s_nop 0
	v_min_f32_e32 v50, v50, v51
	v_min3_f32 v50, v48, v50, v49
	v_lshl_add_u64 v[48:49], v[80:81], 2, v[44:45]
	global_store_dword v[48:49], v50, off
	s_or_b64 exec, exec, s[18:19]
	s_and_b64 s[20:21], s[4:5], s[10:11]
	s_and_saveexec_b64 s[18:19], s[20:21]
	s_cbranch_execz .LBB12_224
.LBB12_230:
	s_and_b64 vcc, exec, s[0:1]
	s_cbranch_vccnz .LBB12_232
; %bb.231:
	v_lshl_add_u64 v[48:49], v[82:83], 2, v[46:47]
	flat_load_dword v48, v[48:49]
	s_waitcnt vmcnt(0) lgkmcnt(0)
	v_mul_f32_e32 v48, s28, v48
	s_branch .LBB12_233
.LBB12_232:
	v_mov_b32_e32 v48, 0
.LBB12_233:
	v_pk_add_f32 v[50:51], v[12:13], v[40:41]
	s_nop 0
	v_min3_f32 v49, v50, v51, v118
	v_pk_add_f32 v[50:51], v[14:15], v[42:43]
	s_nop 0
	v_min_f32_e32 v50, v50, v51
	v_min3_f32 v50, v48, v50, v49
	v_lshl_add_u64 v[48:49], v[82:83], 2, v[44:45]
	global_store_dword v[48:49], v50, off
	s_or_b64 exec, exec, s[18:19]
	s_and_b64 s[20:21], s[6:7], s[10:11]
	s_and_saveexec_b64 s[18:19], s[20:21]
	s_cbranch_execz .LBB12_225
.LBB12_234:
	s_and_b64 vcc, exec, s[0:1]
	s_cbranch_vccnz .LBB12_236
; %bb.235:
	v_lshl_add_u64 v[48:49], v[84:85], 2, v[46:47]
	flat_load_dword v48, v[48:49]
	s_waitcnt vmcnt(0) lgkmcnt(0)
	v_mul_f32_e32 v48, s28, v48
	s_branch .LBB12_237
.LBB12_236:
	v_mov_b32_e32 v48, 0
.LBB12_237:
	v_pk_add_f32 v[50:51], v[8:9], v[40:41]
	s_nop 0
	v_min3_f32 v49, v50, v51, v117
	v_pk_add_f32 v[50:51], v[10:11], v[42:43]
	s_nop 0
	v_min_f32_e32 v50, v50, v51
	v_min3_f32 v50, v48, v50, v49
	v_lshl_add_u64 v[48:49], v[84:85], 2, v[44:45]
	global_store_dword v[48:49], v50, off
	s_or_b64 exec, exec, s[18:19]
	s_and_b64 s[18:19], s[8:9], s[10:11]
	s_and_saveexec_b64 s[10:11], s[18:19]
	s_cbranch_execz .LBB12_242
.LBB12_238:
	s_and_b64 vcc, exec, s[0:1]
	s_cbranch_vccnz .LBB12_240
; %bb.239:
	v_lshl_add_u64 v[46:47], v[86:87], 2, v[46:47]
	flat_load_dword v46, v[46:47]
	s_waitcnt vmcnt(0) lgkmcnt(0)
	v_mul_f32_e32 v46, s28, v46
	s_branch .LBB12_241
.LBB12_240:
	v_mov_b32_e32 v46, 0
.LBB12_241:
	v_pk_add_f32 v[40:41], v[0:1], v[40:41]
	s_nop 0
	v_min3_f32 v47, v40, v41, v116
	v_pk_add_f32 v[40:41], v[2:3], v[42:43]
	s_nop 0
	v_min_f32_e32 v40, v40, v41
	v_min3_f32 v42, v46, v40, v47
	v_lshl_add_u64 v[40:41], v[86:87], 2, v[44:45]
	global_store_dword v[40:41], v42, off
.LBB12_242:
	s_or_b64 exec, exec, s[10:11]
	v_add_u32_e32 v44, 0x50, v124
	v_mad_i64_i32 v[40:41], s[18:19], v44, s23, 0
	v_cmp_gt_i32_e64 s[10:11], s13, v44
	v_lshl_add_u64 v[42:43], v[40:41], 2, s[16:17]
	v_mad_i64_i32 v[40:41], s[18:19], v44, s22, 0
	v_lshl_add_u64 v[40:41], v[40:41], 2, s[14:15]
	s_and_b64 s[20:21], s[2:3], s[10:11]
	s_and_saveexec_b64 s[18:19], s[20:21]
	s_cbranch_execnz .LBB12_246
; %bb.243:
	s_or_b64 exec, exec, s[18:19]
	s_and_b64 s[20:21], s[4:5], s[10:11]
	s_and_saveexec_b64 s[18:19], s[20:21]
	s_cbranch_execnz .LBB12_250
.LBB12_244:
	s_or_b64 exec, exec, s[18:19]
	s_and_b64 s[20:21], s[6:7], s[10:11]
	s_and_saveexec_b64 s[18:19], s[20:21]
	s_cbranch_execnz .LBB12_254
.LBB12_245:
	s_or_b64 exec, exec, s[18:19]
	s_and_b64 s[18:19], s[8:9], s[10:11]
	s_and_saveexec_b64 s[10:11], s[18:19]
	s_cbranch_execnz .LBB12_258
	s_branch .LBB12_262
.LBB12_246:
	s_and_b64 vcc, exec, s[0:1]
	s_cbranch_vccnz .LBB12_248
; %bb.247:
	v_lshl_add_u64 v[44:45], v[80:81], 2, v[42:43]
	flat_load_dword v44, v[44:45]
	s_waitcnt vmcnt(0) lgkmcnt(0)
	v_mul_f32_e32 v44, s28, v44
	s_branch .LBB12_249
.LBB12_248:
	v_mov_b32_e32 v44, 0
.LBB12_249:
	v_pk_add_f32 v[46:47], v[16:17], v[36:37]
	s_nop 0
	v_min3_f32 v45, v46, v47, v115
	v_pk_add_f32 v[46:47], v[18:19], v[38:39]
	s_nop 0
	v_min_f32_e32 v46, v46, v47
	v_min3_f32 v46, v44, v46, v45
	v_lshl_add_u64 v[44:45], v[80:81], 2, v[40:41]
	global_store_dword v[44:45], v46, off
	s_or_b64 exec, exec, s[18:19]
	s_and_b64 s[20:21], s[4:5], s[10:11]
	s_and_saveexec_b64 s[18:19], s[20:21]
	s_cbranch_execz .LBB12_244
.LBB12_250:
	s_and_b64 vcc, exec, s[0:1]
	s_cbranch_vccnz .LBB12_252
; %bb.251:
	v_lshl_add_u64 v[44:45], v[82:83], 2, v[42:43]
	flat_load_dword v44, v[44:45]
	s_waitcnt vmcnt(0) lgkmcnt(0)
	v_mul_f32_e32 v44, s28, v44
	s_branch .LBB12_253
.LBB12_252:
	v_mov_b32_e32 v44, 0
.LBB12_253:
	v_pk_add_f32 v[46:47], v[12:13], v[36:37]
	s_nop 0
	v_min3_f32 v45, v46, v47, v114
	v_pk_add_f32 v[46:47], v[14:15], v[38:39]
	s_nop 0
	v_min_f32_e32 v46, v46, v47
	v_min3_f32 v46, v44, v46, v45
	v_lshl_add_u64 v[44:45], v[82:83], 2, v[40:41]
	global_store_dword v[44:45], v46, off
	s_or_b64 exec, exec, s[18:19]
	s_and_b64 s[20:21], s[6:7], s[10:11]
	s_and_saveexec_b64 s[18:19], s[20:21]
	s_cbranch_execz .LBB12_245
.LBB12_254:
	s_and_b64 vcc, exec, s[0:1]
	s_cbranch_vccnz .LBB12_256
; %bb.255:
	v_lshl_add_u64 v[44:45], v[84:85], 2, v[42:43]
	flat_load_dword v44, v[44:45]
	s_waitcnt vmcnt(0) lgkmcnt(0)
	v_mul_f32_e32 v44, s28, v44
	s_branch .LBB12_257
.LBB12_256:
	v_mov_b32_e32 v44, 0
.LBB12_257:
	v_pk_add_f32 v[46:47], v[8:9], v[36:37]
	s_nop 0
	v_min3_f32 v45, v46, v47, v113
	v_pk_add_f32 v[46:47], v[10:11], v[38:39]
	s_nop 0
	v_min_f32_e32 v46, v46, v47
	v_min3_f32 v46, v44, v46, v45
	v_lshl_add_u64 v[44:45], v[84:85], 2, v[40:41]
	global_store_dword v[44:45], v46, off
	s_or_b64 exec, exec, s[18:19]
	s_and_b64 s[18:19], s[8:9], s[10:11]
	s_and_saveexec_b64 s[10:11], s[18:19]
	s_cbranch_execz .LBB12_262
.LBB12_258:
	s_and_b64 vcc, exec, s[0:1]
	s_cbranch_vccnz .LBB12_260
; %bb.259:
	v_lshl_add_u64 v[42:43], v[86:87], 2, v[42:43]
	flat_load_dword v42, v[42:43]
	s_waitcnt vmcnt(0) lgkmcnt(0)
	v_mul_f32_e32 v42, s28, v42
	s_branch .LBB12_261
.LBB12_260:
	v_mov_b32_e32 v42, 0
.LBB12_261:
	v_pk_add_f32 v[36:37], v[0:1], v[36:37]
	s_nop 0
	v_min3_f32 v43, v36, v37, v112
	v_pk_add_f32 v[36:37], v[2:3], v[38:39]
	s_nop 0
	v_min_f32_e32 v36, v36, v37
	v_min3_f32 v38, v42, v36, v43
	v_lshl_add_u64 v[36:37], v[86:87], 2, v[40:41]
	global_store_dword v[36:37], v38, off
.LBB12_262:
	s_or_b64 exec, exec, s[10:11]
	v_add_u32_e32 v40, 0x58, v124
	v_mad_i64_i32 v[36:37], s[18:19], v40, s23, 0
	v_cmp_gt_i32_e64 s[10:11], s13, v40
	v_lshl_add_u64 v[38:39], v[36:37], 2, s[16:17]
	v_mad_i64_i32 v[36:37], s[18:19], v40, s22, 0
	v_lshl_add_u64 v[36:37], v[36:37], 2, s[14:15]
	s_and_b64 s[20:21], s[2:3], s[10:11]
	s_and_saveexec_b64 s[18:19], s[20:21]
	s_cbranch_execnz .LBB12_266
; %bb.263:
	s_or_b64 exec, exec, s[18:19]
	s_and_b64 s[20:21], s[4:5], s[10:11]
	s_and_saveexec_b64 s[18:19], s[20:21]
	s_cbranch_execnz .LBB12_270
.LBB12_264:
	s_or_b64 exec, exec, s[18:19]
	s_and_b64 s[20:21], s[6:7], s[10:11]
	s_and_saveexec_b64 s[18:19], s[20:21]
	s_cbranch_execnz .LBB12_274
.LBB12_265:
	s_or_b64 exec, exec, s[18:19]
	s_and_b64 s[18:19], s[8:9], s[10:11]
	s_and_saveexec_b64 s[10:11], s[18:19]
	s_cbranch_execnz .LBB12_278
	s_branch .LBB12_282
.LBB12_266:
	s_and_b64 vcc, exec, s[0:1]
	s_cbranch_vccnz .LBB12_268
; %bb.267:
	v_lshl_add_u64 v[40:41], v[80:81], 2, v[38:39]
	flat_load_dword v40, v[40:41]
	s_waitcnt vmcnt(0) lgkmcnt(0)
	v_mul_f32_e32 v40, s28, v40
	s_branch .LBB12_269
.LBB12_268:
	v_mov_b32_e32 v40, 0
.LBB12_269:
	v_pk_add_f32 v[42:43], v[16:17], v[32:33]
	s_nop 0
	v_min3_f32 v41, v42, v43, v111
	v_pk_add_f32 v[42:43], v[18:19], v[34:35]
	s_nop 0
	v_min_f32_e32 v42, v42, v43
	v_min3_f32 v42, v40, v42, v41
	v_lshl_add_u64 v[40:41], v[80:81], 2, v[36:37]
	global_store_dword v[40:41], v42, off
	s_or_b64 exec, exec, s[18:19]
	s_and_b64 s[20:21], s[4:5], s[10:11]
	s_and_saveexec_b64 s[18:19], s[20:21]
	s_cbranch_execz .LBB12_264
.LBB12_270:
	s_and_b64 vcc, exec, s[0:1]
	s_cbranch_vccnz .LBB12_272
; %bb.271:
	v_lshl_add_u64 v[40:41], v[82:83], 2, v[38:39]
	flat_load_dword v40, v[40:41]
	s_waitcnt vmcnt(0) lgkmcnt(0)
	v_mul_f32_e32 v40, s28, v40
	s_branch .LBB12_273
.LBB12_272:
	v_mov_b32_e32 v40, 0
.LBB12_273:
	v_pk_add_f32 v[42:43], v[12:13], v[32:33]
	s_nop 0
	v_min3_f32 v41, v42, v43, v110
	v_pk_add_f32 v[42:43], v[14:15], v[34:35]
	s_nop 0
	v_min_f32_e32 v42, v42, v43
	v_min3_f32 v42, v40, v42, v41
	v_lshl_add_u64 v[40:41], v[82:83], 2, v[36:37]
	global_store_dword v[40:41], v42, off
	s_or_b64 exec, exec, s[18:19]
	s_and_b64 s[20:21], s[6:7], s[10:11]
	s_and_saveexec_b64 s[18:19], s[20:21]
	s_cbranch_execz .LBB12_265
.LBB12_274:
	s_and_b64 vcc, exec, s[0:1]
	s_cbranch_vccnz .LBB12_276
; %bb.275:
	v_lshl_add_u64 v[40:41], v[84:85], 2, v[38:39]
	flat_load_dword v40, v[40:41]
	s_waitcnt vmcnt(0) lgkmcnt(0)
	v_mul_f32_e32 v40, s28, v40
	s_branch .LBB12_277
.LBB12_276:
	v_mov_b32_e32 v40, 0
.LBB12_277:
	v_pk_add_f32 v[42:43], v[8:9], v[32:33]
	s_nop 0
	v_min3_f32 v41, v42, v43, v109
	v_pk_add_f32 v[42:43], v[10:11], v[34:35]
	s_nop 0
	v_min_f32_e32 v42, v42, v43
	v_min3_f32 v42, v40, v42, v41
	v_lshl_add_u64 v[40:41], v[84:85], 2, v[36:37]
	global_store_dword v[40:41], v42, off
	s_or_b64 exec, exec, s[18:19]
	s_and_b64 s[18:19], s[8:9], s[10:11]
	s_and_saveexec_b64 s[10:11], s[18:19]
	s_cbranch_execz .LBB12_282
.LBB12_278:
	s_and_b64 vcc, exec, s[0:1]
	s_cbranch_vccnz .LBB12_280
; %bb.279:
	v_lshl_add_u64 v[38:39], v[86:87], 2, v[38:39]
	flat_load_dword v38, v[38:39]
	s_waitcnt vmcnt(0) lgkmcnt(0)
	v_mul_f32_e32 v38, s28, v38
	s_branch .LBB12_281
.LBB12_280:
	v_mov_b32_e32 v38, 0
.LBB12_281:
	v_pk_add_f32 v[32:33], v[0:1], v[32:33]
	s_nop 0
	v_min3_f32 v39, v32, v33, v108
	v_pk_add_f32 v[32:33], v[2:3], v[34:35]
	s_nop 0
	v_min_f32_e32 v32, v32, v33
	v_min3_f32 v34, v38, v32, v39
	v_lshl_add_u64 v[32:33], v[86:87], 2, v[36:37]
	global_store_dword v[32:33], v34, off
.LBB12_282:
	s_or_b64 exec, exec, s[10:11]
	v_add_u32_e32 v36, 0x60, v124
	v_mad_i64_i32 v[32:33], s[18:19], v36, s23, 0
	v_cmp_gt_i32_e64 s[10:11], s13, v36
	v_lshl_add_u64 v[34:35], v[32:33], 2, s[16:17]
	v_mad_i64_i32 v[32:33], s[18:19], v36, s22, 0
	v_lshl_add_u64 v[32:33], v[32:33], 2, s[14:15]
	s_and_b64 s[20:21], s[2:3], s[10:11]
	s_and_saveexec_b64 s[18:19], s[20:21]
	s_cbranch_execnz .LBB12_286
; %bb.283:
	s_or_b64 exec, exec, s[18:19]
	s_and_b64 s[20:21], s[4:5], s[10:11]
	s_and_saveexec_b64 s[18:19], s[20:21]
	s_cbranch_execnz .LBB12_290
.LBB12_284:
	s_or_b64 exec, exec, s[18:19]
	s_and_b64 s[20:21], s[6:7], s[10:11]
	s_and_saveexec_b64 s[18:19], s[20:21]
	s_cbranch_execnz .LBB12_294
.LBB12_285:
	s_or_b64 exec, exec, s[18:19]
	s_and_b64 s[18:19], s[8:9], s[10:11]
	s_and_saveexec_b64 s[10:11], s[18:19]
	s_cbranch_execnz .LBB12_298
	s_branch .LBB12_302
.LBB12_286:
	s_and_b64 vcc, exec, s[0:1]
	s_cbranch_vccnz .LBB12_288
; %bb.287:
	v_lshl_add_u64 v[36:37], v[80:81], 2, v[34:35]
	flat_load_dword v36, v[36:37]
	s_waitcnt vmcnt(0) lgkmcnt(0)
	v_mul_f32_e32 v36, s28, v36
	s_branch .LBB12_289
.LBB12_288:
	v_mov_b32_e32 v36, 0
.LBB12_289:
	v_pk_add_f32 v[38:39], v[16:17], v[28:29]
	s_nop 0
	v_min3_f32 v37, v38, v39, v107
	v_pk_add_f32 v[38:39], v[18:19], v[30:31]
	s_nop 0
	v_min_f32_e32 v38, v38, v39
	v_min3_f32 v38, v36, v38, v37
	v_lshl_add_u64 v[36:37], v[80:81], 2, v[32:33]
	global_store_dword v[36:37], v38, off
	s_or_b64 exec, exec, s[18:19]
	s_and_b64 s[20:21], s[4:5], s[10:11]
	s_and_saveexec_b64 s[18:19], s[20:21]
	s_cbranch_execz .LBB12_284
.LBB12_290:
	s_and_b64 vcc, exec, s[0:1]
	s_cbranch_vccnz .LBB12_292
; %bb.291:
	v_lshl_add_u64 v[36:37], v[82:83], 2, v[34:35]
	flat_load_dword v36, v[36:37]
	s_waitcnt vmcnt(0) lgkmcnt(0)
	v_mul_f32_e32 v36, s28, v36
	s_branch .LBB12_293
.LBB12_292:
	v_mov_b32_e32 v36, 0
.LBB12_293:
	v_pk_add_f32 v[38:39], v[12:13], v[28:29]
	s_nop 0
	v_min3_f32 v37, v38, v39, v106
	v_pk_add_f32 v[38:39], v[14:15], v[30:31]
	s_nop 0
	v_min_f32_e32 v38, v38, v39
	v_min3_f32 v38, v36, v38, v37
	v_lshl_add_u64 v[36:37], v[82:83], 2, v[32:33]
	global_store_dword v[36:37], v38, off
	s_or_b64 exec, exec, s[18:19]
	s_and_b64 s[20:21], s[6:7], s[10:11]
	s_and_saveexec_b64 s[18:19], s[20:21]
	s_cbranch_execz .LBB12_285
.LBB12_294:
	s_and_b64 vcc, exec, s[0:1]
	s_cbranch_vccnz .LBB12_296
; %bb.295:
	v_lshl_add_u64 v[36:37], v[84:85], 2, v[34:35]
	flat_load_dword v36, v[36:37]
	s_waitcnt vmcnt(0) lgkmcnt(0)
	v_mul_f32_e32 v36, s28, v36
	s_branch .LBB12_297
.LBB12_296:
	v_mov_b32_e32 v36, 0
.LBB12_297:
	v_pk_add_f32 v[38:39], v[8:9], v[28:29]
	s_nop 0
	v_min3_f32 v37, v38, v39, v105
	v_pk_add_f32 v[38:39], v[10:11], v[30:31]
	s_nop 0
	v_min_f32_e32 v38, v38, v39
	v_min3_f32 v38, v36, v38, v37
	v_lshl_add_u64 v[36:37], v[84:85], 2, v[32:33]
	global_store_dword v[36:37], v38, off
	s_or_b64 exec, exec, s[18:19]
	s_and_b64 s[18:19], s[8:9], s[10:11]
	s_and_saveexec_b64 s[10:11], s[18:19]
	s_cbranch_execz .LBB12_302
.LBB12_298:
	s_and_b64 vcc, exec, s[0:1]
	s_cbranch_vccnz .LBB12_300
; %bb.299:
	v_lshl_add_u64 v[34:35], v[86:87], 2, v[34:35]
	flat_load_dword v34, v[34:35]
	s_waitcnt vmcnt(0) lgkmcnt(0)
	v_mul_f32_e32 v34, s28, v34
	s_branch .LBB12_301
.LBB12_300:
	v_mov_b32_e32 v34, 0
.LBB12_301:
	v_pk_add_f32 v[28:29], v[0:1], v[28:29]
	s_nop 0
	v_min3_f32 v35, v28, v29, v104
	v_pk_add_f32 v[28:29], v[2:3], v[30:31]
	s_nop 0
	v_min_f32_e32 v28, v28, v29
	v_min3_f32 v30, v34, v28, v35
	v_lshl_add_u64 v[28:29], v[86:87], 2, v[32:33]
	global_store_dword v[28:29], v30, off
.LBB12_302:
	s_or_b64 exec, exec, s[10:11]
	v_add_u32_e32 v32, 0x68, v124
	v_mad_i64_i32 v[28:29], s[18:19], v32, s23, 0
	v_cmp_gt_i32_e64 s[10:11], s13, v32
	v_lshl_add_u64 v[30:31], v[28:29], 2, s[16:17]
	v_mad_i64_i32 v[28:29], s[18:19], v32, s22, 0
	v_lshl_add_u64 v[28:29], v[28:29], 2, s[14:15]
	s_and_b64 s[20:21], s[2:3], s[10:11]
	s_and_saveexec_b64 s[18:19], s[20:21]
	s_cbranch_execnz .LBB12_306
; %bb.303:
	s_or_b64 exec, exec, s[18:19]
	s_and_b64 s[20:21], s[4:5], s[10:11]
	s_and_saveexec_b64 s[18:19], s[20:21]
	s_cbranch_execnz .LBB12_310
.LBB12_304:
	s_or_b64 exec, exec, s[18:19]
	s_and_b64 s[20:21], s[6:7], s[10:11]
	s_and_saveexec_b64 s[18:19], s[20:21]
	s_cbranch_execnz .LBB12_314
.LBB12_305:
	s_or_b64 exec, exec, s[18:19]
	s_and_b64 s[18:19], s[8:9], s[10:11]
	s_and_saveexec_b64 s[10:11], s[18:19]
	s_cbranch_execnz .LBB12_318
	s_branch .LBB12_322
.LBB12_306:
	s_and_b64 vcc, exec, s[0:1]
	s_cbranch_vccnz .LBB12_308
; %bb.307:
	v_lshl_add_u64 v[32:33], v[80:81], 2, v[30:31]
	flat_load_dword v32, v[32:33]
	s_waitcnt vmcnt(0) lgkmcnt(0)
	v_mul_f32_e32 v32, s28, v32
	s_branch .LBB12_309
.LBB12_308:
	v_mov_b32_e32 v32, 0
.LBB12_309:
	v_pk_add_f32 v[34:35], v[16:17], v[24:25]
	s_nop 0
	v_min3_f32 v33, v34, v35, v103
	v_pk_add_f32 v[34:35], v[18:19], v[26:27]
	s_nop 0
	v_min_f32_e32 v34, v34, v35
	v_min3_f32 v34, v32, v34, v33
	v_lshl_add_u64 v[32:33], v[80:81], 2, v[28:29]
	global_store_dword v[32:33], v34, off
	s_or_b64 exec, exec, s[18:19]
	s_and_b64 s[20:21], s[4:5], s[10:11]
	s_and_saveexec_b64 s[18:19], s[20:21]
	s_cbranch_execz .LBB12_304
.LBB12_310:
	s_and_b64 vcc, exec, s[0:1]
	s_cbranch_vccnz .LBB12_312
; %bb.311:
	v_lshl_add_u64 v[32:33], v[82:83], 2, v[30:31]
	flat_load_dword v32, v[32:33]
	s_waitcnt vmcnt(0) lgkmcnt(0)
	v_mul_f32_e32 v32, s28, v32
	s_branch .LBB12_313
.LBB12_312:
	v_mov_b32_e32 v32, 0
.LBB12_313:
	v_pk_add_f32 v[34:35], v[12:13], v[24:25]
	s_nop 0
	v_min3_f32 v33, v34, v35, v102
	v_pk_add_f32 v[34:35], v[14:15], v[26:27]
	s_nop 0
	v_min_f32_e32 v34, v34, v35
	v_min3_f32 v34, v32, v34, v33
	v_lshl_add_u64 v[32:33], v[82:83], 2, v[28:29]
	global_store_dword v[32:33], v34, off
	s_or_b64 exec, exec, s[18:19]
	s_and_b64 s[20:21], s[6:7], s[10:11]
	s_and_saveexec_b64 s[18:19], s[20:21]
	s_cbranch_execz .LBB12_305
.LBB12_314:
	s_and_b64 vcc, exec, s[0:1]
	s_cbranch_vccnz .LBB12_316
; %bb.315:
	v_lshl_add_u64 v[32:33], v[84:85], 2, v[30:31]
	flat_load_dword v32, v[32:33]
	s_waitcnt vmcnt(0) lgkmcnt(0)
	v_mul_f32_e32 v32, s28, v32
	s_branch .LBB12_317
.LBB12_316:
	v_mov_b32_e32 v32, 0
.LBB12_317:
	v_pk_add_f32 v[34:35], v[8:9], v[24:25]
	s_nop 0
	v_min3_f32 v33, v34, v35, v101
	v_pk_add_f32 v[34:35], v[10:11], v[26:27]
	s_nop 0
	v_min_f32_e32 v34, v34, v35
	v_min3_f32 v34, v32, v34, v33
	v_lshl_add_u64 v[32:33], v[84:85], 2, v[28:29]
	global_store_dword v[32:33], v34, off
	s_or_b64 exec, exec, s[18:19]
	s_and_b64 s[18:19], s[8:9], s[10:11]
	s_and_saveexec_b64 s[10:11], s[18:19]
	s_cbranch_execz .LBB12_322
.LBB12_318:
	s_and_b64 vcc, exec, s[0:1]
	s_cbranch_vccnz .LBB12_320
; %bb.319:
	v_lshl_add_u64 v[30:31], v[86:87], 2, v[30:31]
	flat_load_dword v30, v[30:31]
	s_waitcnt vmcnt(0) lgkmcnt(0)
	v_mul_f32_e32 v30, s28, v30
	s_branch .LBB12_321
.LBB12_320:
	v_mov_b32_e32 v30, 0
.LBB12_321:
	v_pk_add_f32 v[24:25], v[0:1], v[24:25]
	s_nop 0
	v_min3_f32 v31, v24, v25, v100
	v_pk_add_f32 v[24:25], v[2:3], v[26:27]
	s_nop 0
	v_min_f32_e32 v24, v24, v25
	v_min3_f32 v26, v30, v24, v31
	v_lshl_add_u64 v[24:25], v[86:87], 2, v[28:29]
	global_store_dword v[24:25], v26, off
.LBB12_322:
	s_or_b64 exec, exec, s[10:11]
	v_add_u32_e32 v28, 0x70, v124
	v_mad_i64_i32 v[24:25], s[18:19], v28, s23, 0
	v_cmp_gt_i32_e64 s[10:11], s13, v28
	v_lshl_add_u64 v[26:27], v[24:25], 2, s[16:17]
	v_mad_i64_i32 v[24:25], s[18:19], v28, s22, 0
	v_lshl_add_u64 v[24:25], v[24:25], 2, s[14:15]
	s_and_b64 s[20:21], s[2:3], s[10:11]
	s_and_saveexec_b64 s[18:19], s[20:21]
	s_cbranch_execnz .LBB12_326
; %bb.323:
	s_or_b64 exec, exec, s[18:19]
	s_and_b64 s[20:21], s[4:5], s[10:11]
	s_and_saveexec_b64 s[18:19], s[20:21]
	s_cbranch_execnz .LBB12_330
.LBB12_324:
	s_or_b64 exec, exec, s[18:19]
	s_and_b64 s[20:21], s[6:7], s[10:11]
	s_and_saveexec_b64 s[18:19], s[20:21]
	s_cbranch_execnz .LBB12_334
.LBB12_325:
	s_or_b64 exec, exec, s[18:19]
	s_and_b64 s[18:19], s[8:9], s[10:11]
	s_and_saveexec_b64 s[10:11], s[18:19]
	s_cbranch_execnz .LBB12_338
	s_branch .LBB12_342
.LBB12_326:
	s_and_b64 vcc, exec, s[0:1]
	s_cbranch_vccnz .LBB12_328
; %bb.327:
	v_lshl_add_u64 v[28:29], v[80:81], 2, v[26:27]
	flat_load_dword v28, v[28:29]
	s_waitcnt vmcnt(0) lgkmcnt(0)
	v_mul_f32_e32 v28, s28, v28
	s_branch .LBB12_329
.LBB12_328:
	v_mov_b32_e32 v28, 0
.LBB12_329:
	v_pk_add_f32 v[30:31], v[16:17], v[20:21]
	s_nop 0
	v_min3_f32 v29, v30, v31, v99
	v_pk_add_f32 v[30:31], v[18:19], v[22:23]
	s_nop 0
	v_min_f32_e32 v30, v30, v31
	v_min3_f32 v30, v28, v30, v29
	v_lshl_add_u64 v[28:29], v[80:81], 2, v[24:25]
	global_store_dword v[28:29], v30, off
	s_or_b64 exec, exec, s[18:19]
	s_and_b64 s[20:21], s[4:5], s[10:11]
	s_and_saveexec_b64 s[18:19], s[20:21]
	s_cbranch_execz .LBB12_324
.LBB12_330:
	s_and_b64 vcc, exec, s[0:1]
	s_cbranch_vccnz .LBB12_332
; %bb.331:
	v_lshl_add_u64 v[28:29], v[82:83], 2, v[26:27]
	flat_load_dword v28, v[28:29]
	s_waitcnt vmcnt(0) lgkmcnt(0)
	v_mul_f32_e32 v28, s28, v28
	s_branch .LBB12_333
.LBB12_332:
	v_mov_b32_e32 v28, 0
.LBB12_333:
	v_pk_add_f32 v[30:31], v[12:13], v[20:21]
	s_nop 0
	v_min3_f32 v29, v30, v31, v98
	v_pk_add_f32 v[30:31], v[14:15], v[22:23]
	s_nop 0
	v_min_f32_e32 v30, v30, v31
	v_min3_f32 v30, v28, v30, v29
	v_lshl_add_u64 v[28:29], v[82:83], 2, v[24:25]
	global_store_dword v[28:29], v30, off
	s_or_b64 exec, exec, s[18:19]
	s_and_b64 s[20:21], s[6:7], s[10:11]
	s_and_saveexec_b64 s[18:19], s[20:21]
	s_cbranch_execz .LBB12_325
.LBB12_334:
	s_and_b64 vcc, exec, s[0:1]
	s_cbranch_vccnz .LBB12_336
; %bb.335:
	v_lshl_add_u64 v[28:29], v[84:85], 2, v[26:27]
	flat_load_dword v28, v[28:29]
	s_waitcnt vmcnt(0) lgkmcnt(0)
	v_mul_f32_e32 v28, s28, v28
	s_branch .LBB12_337
.LBB12_336:
	v_mov_b32_e32 v28, 0
.LBB12_337:
	v_pk_add_f32 v[30:31], v[8:9], v[20:21]
	s_nop 0
	v_min3_f32 v29, v30, v31, v97
	v_pk_add_f32 v[30:31], v[10:11], v[22:23]
	s_nop 0
	v_min_f32_e32 v30, v30, v31
	v_min3_f32 v30, v28, v30, v29
	v_lshl_add_u64 v[28:29], v[84:85], 2, v[24:25]
	global_store_dword v[28:29], v30, off
	s_or_b64 exec, exec, s[18:19]
	s_and_b64 s[18:19], s[8:9], s[10:11]
	s_and_saveexec_b64 s[10:11], s[18:19]
	s_cbranch_execz .LBB12_342
.LBB12_338:
	s_and_b64 vcc, exec, s[0:1]
	s_cbranch_vccnz .LBB12_340
; %bb.339:
	v_lshl_add_u64 v[26:27], v[86:87], 2, v[26:27]
	flat_load_dword v26, v[26:27]
	s_waitcnt vmcnt(0) lgkmcnt(0)
	v_mul_f32_e32 v26, s28, v26
	s_branch .LBB12_341
.LBB12_340:
	v_mov_b32_e32 v26, 0
.LBB12_341:
	v_pk_add_f32 v[20:21], v[0:1], v[20:21]
	s_nop 0
	v_min3_f32 v27, v20, v21, v96
	v_pk_add_f32 v[20:21], v[2:3], v[22:23]
	s_nop 0
	v_min_f32_e32 v20, v20, v21
	v_min3_f32 v22, v26, v20, v27
	v_lshl_add_u64 v[20:21], v[86:87], 2, v[24:25]
	global_store_dword v[20:21], v22, off
.LBB12_342:
	s_or_b64 exec, exec, s[10:11]
	v_add_u32_e32 v24, 0x78, v124
	v_cmp_gt_i32_e64 s[10:11], s13, v24
	v_mad_i64_i32 v[20:21], s[12:13], v24, s23, 0
	v_lshl_add_u64 v[22:23], v[20:21], 2, s[16:17]
	v_mad_i64_i32 v[20:21], s[12:13], v24, s22, 0
	v_lshl_add_u64 v[20:21], v[20:21], 2, s[14:15]
	s_and_b64 s[12:13], s[2:3], s[10:11]
	s_and_saveexec_b64 s[2:3], s[12:13]
	s_cbranch_execnz .LBB12_347
; %bb.343:
	s_or_b64 exec, exec, s[2:3]
	s_and_b64 s[4:5], s[4:5], s[10:11]
	s_and_saveexec_b64 s[2:3], s[4:5]
	s_cbranch_execnz .LBB12_351
.LBB12_344:
	s_or_b64 exec, exec, s[2:3]
	s_and_b64 s[4:5], s[6:7], s[10:11]
	s_and_saveexec_b64 s[2:3], s[4:5]
	s_cbranch_execnz .LBB12_355
.LBB12_345:
	s_or_b64 exec, exec, s[2:3]
	s_and_b64 s[2:3], s[8:9], s[10:11]
	s_and_saveexec_b64 s[4:5], s[2:3]
	s_cbranch_execnz .LBB12_359
.LBB12_346:
	s_endpgm
.LBB12_347:
	s_and_b64 vcc, exec, s[0:1]
	s_cbranch_vccnz .LBB12_349
; %bb.348:
	v_lshl_add_u64 v[24:25], v[80:81], 2, v[22:23]
	flat_load_dword v24, v[24:25]
	s_waitcnt vmcnt(0) lgkmcnt(0)
	v_mul_f32_e32 v24, s28, v24
	s_branch .LBB12_350
.LBB12_349:
	v_mov_b32_e32 v24, 0
.LBB12_350:
	v_pk_add_f32 v[16:17], v[16:17], v[4:5]
	s_nop 0
	v_min3_f32 v25, v16, v17, v94
	v_pk_add_f32 v[16:17], v[18:19], v[6:7]
	s_nop 0
	v_min_f32_e32 v16, v16, v17
	v_min3_f32 v18, v24, v16, v25
	v_lshl_add_u64 v[16:17], v[80:81], 2, v[20:21]
	global_store_dword v[16:17], v18, off
	s_or_b64 exec, exec, s[2:3]
	s_and_b64 s[4:5], s[4:5], s[10:11]
	s_and_saveexec_b64 s[2:3], s[4:5]
	s_cbranch_execz .LBB12_344
.LBB12_351:
	s_and_b64 vcc, exec, s[0:1]
	s_cbranch_vccnz .LBB12_353
; %bb.352:
	v_lshl_add_u64 v[16:17], v[82:83], 2, v[22:23]
	flat_load_dword v16, v[16:17]
	s_waitcnt vmcnt(0) lgkmcnt(0)
	v_mul_f32_e32 v16, s28, v16
	s_branch .LBB12_354
.LBB12_353:
	v_mov_b32_e32 v16, 0
.LBB12_354:
	v_pk_add_f32 v[12:13], v[12:13], v[4:5]
	s_nop 0
	v_min3_f32 v17, v12, v13, v93
	v_pk_add_f32 v[12:13], v[14:15], v[6:7]
	s_nop 0
	v_min_f32_e32 v12, v12, v13
	v_min3_f32 v14, v16, v12, v17
	v_lshl_add_u64 v[12:13], v[82:83], 2, v[20:21]
	global_store_dword v[12:13], v14, off
	s_or_b64 exec, exec, s[2:3]
	s_and_b64 s[4:5], s[6:7], s[10:11]
	s_and_saveexec_b64 s[2:3], s[4:5]
	s_cbranch_execz .LBB12_345
.LBB12_355:
	s_and_b64 vcc, exec, s[0:1]
	s_cbranch_vccnz .LBB12_357
; %bb.356:
	v_lshl_add_u64 v[12:13], v[84:85], 2, v[22:23]
	flat_load_dword v12, v[12:13]
	s_waitcnt vmcnt(0) lgkmcnt(0)
	v_mul_f32_e32 v12, s28, v12
	s_branch .LBB12_358
.LBB12_357:
	v_mov_b32_e32 v12, 0
.LBB12_358:
	v_pk_add_f32 v[8:9], v[8:9], v[4:5]
	s_nop 0
	v_min3_f32 v13, v8, v9, v92
	v_pk_add_f32 v[8:9], v[10:11], v[6:7]
	s_nop 0
	v_min_f32_e32 v8, v8, v9
	v_min3_f32 v10, v12, v8, v13
	v_lshl_add_u64 v[8:9], v[84:85], 2, v[20:21]
	global_store_dword v[8:9], v10, off
	s_or_b64 exec, exec, s[2:3]
	s_and_b64 s[2:3], s[8:9], s[10:11]
	s_and_saveexec_b64 s[4:5], s[2:3]
	s_cbranch_execz .LBB12_346
.LBB12_359:
	s_and_b64 vcc, exec, s[0:1]
	s_cbranch_vccnz .LBB12_361
; %bb.360:
	v_lshl_add_u64 v[8:9], v[86:87], 2, v[22:23]
	flat_load_dword v8, v[8:9]
	s_waitcnt vmcnt(0) lgkmcnt(0)
	v_mul_f32_e32 v8, s28, v8
	s_branch .LBB12_362
.LBB12_361:
	v_mov_b32_e32 v8, 0
.LBB12_362:
	v_pk_add_f32 v[0:1], v[0:1], v[4:5]
	s_nop 0
	v_min3_f32 v4, v0, v1, v95
	v_pk_add_f32 v[0:1], v[2:3], v[6:7]
	s_nop 0
	v_min_f32_e32 v0, v0, v1
	v_min3_f32 v2, v8, v0, v4
	v_lshl_add_u64 v[0:1], v[86:87], 2, v[20:21]
	global_store_dword v[0:1], v2, off
	s_endpgm
	.section	.rodata,"a",@progbits
	.p2align	6, 0x0
	.amdhsa_kernel _ZN12_GLOBAL__N_120geam_min_plus_kernelIf15HIP_vector_typeIfLj2EEfLi32ELi8ELi128ELi128ELi4ELi4ELi64ELi4ELi64ELc84ELc78ELb0ELb1ELb1EPKfKS4_KPfEEviiiT16_PT17_ilSA_ilS8_SA_ilPT18_ili26rocblas_geam_ex_operation_
		.amdhsa_group_segment_fixed_size 8192
		.amdhsa_private_segment_fixed_size 0
		.amdhsa_kernarg_size 136
		.amdhsa_user_sgpr_count 2
		.amdhsa_user_sgpr_dispatch_ptr 0
		.amdhsa_user_sgpr_queue_ptr 0
		.amdhsa_user_sgpr_kernarg_segment_ptr 1
		.amdhsa_user_sgpr_dispatch_id 0
		.amdhsa_user_sgpr_kernarg_preload_length 0
		.amdhsa_user_sgpr_kernarg_preload_offset 0
		.amdhsa_user_sgpr_private_segment_size 0
		.amdhsa_uses_dynamic_stack 0
		.amdhsa_enable_private_segment 0
		.amdhsa_system_sgpr_workgroup_id_x 1
		.amdhsa_system_sgpr_workgroup_id_y 0
		.amdhsa_system_sgpr_workgroup_id_z 1
		.amdhsa_system_sgpr_workgroup_info 0
		.amdhsa_system_vgpr_workitem_id 1
		.amdhsa_next_free_vgpr 200
		.amdhsa_next_free_sgpr 38
		.amdhsa_accum_offset 200
		.amdhsa_reserve_vcc 1
		.amdhsa_float_round_mode_32 0
		.amdhsa_float_round_mode_16_64 0
		.amdhsa_float_denorm_mode_32 3
		.amdhsa_float_denorm_mode_16_64 3
		.amdhsa_dx10_clamp 1
		.amdhsa_ieee_mode 1
		.amdhsa_fp16_overflow 0
		.amdhsa_tg_split 0
		.amdhsa_exception_fp_ieee_invalid_op 0
		.amdhsa_exception_fp_denorm_src 0
		.amdhsa_exception_fp_ieee_div_zero 0
		.amdhsa_exception_fp_ieee_overflow 0
		.amdhsa_exception_fp_ieee_underflow 0
		.amdhsa_exception_fp_ieee_inexact 0
		.amdhsa_exception_int_div_zero 0
	.end_amdhsa_kernel
	.section	.text._ZN12_GLOBAL__N_120geam_min_plus_kernelIf15HIP_vector_typeIfLj2EEfLi32ELi8ELi128ELi128ELi4ELi4ELi64ELi4ELi64ELc84ELc78ELb0ELb1ELb1EPKfKS4_KPfEEviiiT16_PT17_ilSA_ilS8_SA_ilPT18_ili26rocblas_geam_ex_operation_,"axG",@progbits,_ZN12_GLOBAL__N_120geam_min_plus_kernelIf15HIP_vector_typeIfLj2EEfLi32ELi8ELi128ELi128ELi4ELi4ELi64ELi4ELi64ELc84ELc78ELb0ELb1ELb1EPKfKS4_KPfEEviiiT16_PT17_ilSA_ilS8_SA_ilPT18_ili26rocblas_geam_ex_operation_,comdat
.Lfunc_end12:
	.size	_ZN12_GLOBAL__N_120geam_min_plus_kernelIf15HIP_vector_typeIfLj2EEfLi32ELi8ELi128ELi128ELi4ELi4ELi64ELi4ELi64ELc84ELc78ELb0ELb1ELb1EPKfKS4_KPfEEviiiT16_PT17_ilSA_ilS8_SA_ilPT18_ili26rocblas_geam_ex_operation_, .Lfunc_end12-_ZN12_GLOBAL__N_120geam_min_plus_kernelIf15HIP_vector_typeIfLj2EEfLi32ELi8ELi128ELi128ELi4ELi4ELi64ELi4ELi64ELc84ELc78ELb0ELb1ELb1EPKfKS4_KPfEEviiiT16_PT17_ilSA_ilS8_SA_ilPT18_ili26rocblas_geam_ex_operation_
                                        ; -- End function
	.section	.AMDGPU.csdata,"",@progbits
; Kernel info:
; codeLenInByte = 18952
; NumSgprs: 44
; NumVgprs: 200
; NumAgprs: 0
; TotalNumVgprs: 200
; ScratchSize: 0
; MemoryBound: 0
; FloatMode: 240
; IeeeMode: 1
; LDSByteSize: 8192 bytes/workgroup (compile time only)
; SGPRBlocks: 5
; VGPRBlocks: 24
; NumSGPRsForWavesPerEU: 44
; NumVGPRsForWavesPerEU: 200
; AccumOffset: 200
; Occupancy: 2
; WaveLimiterHint : 1
; COMPUTE_PGM_RSRC2:SCRATCH_EN: 0
; COMPUTE_PGM_RSRC2:USER_SGPR: 2
; COMPUTE_PGM_RSRC2:TRAP_HANDLER: 0
; COMPUTE_PGM_RSRC2:TGID_X_EN: 1
; COMPUTE_PGM_RSRC2:TGID_Y_EN: 0
; COMPUTE_PGM_RSRC2:TGID_Z_EN: 1
; COMPUTE_PGM_RSRC2:TIDIG_COMP_CNT: 1
; COMPUTE_PGM_RSRC3_GFX90A:ACCUM_OFFSET: 49
; COMPUTE_PGM_RSRC3_GFX90A:TG_SPLIT: 0
	.section	.text._ZN12_GLOBAL__N_120geam_min_plus_kernelIf15HIP_vector_typeIfLj2EEfLi32ELi8ELi128ELi128ELi4ELi4ELi64ELi4ELi64ELc84ELc78ELb1ELb1ELb1EfKPKfKPfEEviiiT16_PT17_ilSA_ilS8_SA_ilPT18_ili26rocblas_geam_ex_operation_,"axG",@progbits,_ZN12_GLOBAL__N_120geam_min_plus_kernelIf15HIP_vector_typeIfLj2EEfLi32ELi8ELi128ELi128ELi4ELi4ELi64ELi4ELi64ELc84ELc78ELb1ELb1ELb1EfKPKfKPfEEviiiT16_PT17_ilSA_ilS8_SA_ilPT18_ili26rocblas_geam_ex_operation_,comdat
	.globl	_ZN12_GLOBAL__N_120geam_min_plus_kernelIf15HIP_vector_typeIfLj2EEfLi32ELi8ELi128ELi128ELi4ELi4ELi64ELi4ELi64ELc84ELc78ELb1ELb1ELb1EfKPKfKPfEEviiiT16_PT17_ilSA_ilS8_SA_ilPT18_ili26rocblas_geam_ex_operation_ ; -- Begin function _ZN12_GLOBAL__N_120geam_min_plus_kernelIf15HIP_vector_typeIfLj2EEfLi32ELi8ELi128ELi128ELi4ELi4ELi64ELi4ELi64ELc84ELc78ELb1ELb1ELb1EfKPKfKPfEEviiiT16_PT17_ilSA_ilS8_SA_ilPT18_ili26rocblas_geam_ex_operation_
	.p2align	8
	.type	_ZN12_GLOBAL__N_120geam_min_plus_kernelIf15HIP_vector_typeIfLj2EEfLi32ELi8ELi128ELi128ELi4ELi4ELi64ELi4ELi64ELc84ELc78ELb1ELb1ELb1EfKPKfKPfEEviiiT16_PT17_ilSA_ilS8_SA_ilPT18_ili26rocblas_geam_ex_operation_,@function
_ZN12_GLOBAL__N_120geam_min_plus_kernelIf15HIP_vector_typeIfLj2EEfLi32ELi8ELi128ELi128ELi4ELi4ELi64ELi4ELi64ELc84ELc78ELb1ELb1ELb1EfKPKfKPfEEviiiT16_PT17_ilSA_ilS8_SA_ilPT18_ili26rocblas_geam_ex_operation_: ; @_ZN12_GLOBAL__N_120geam_min_plus_kernelIf15HIP_vector_typeIfLj2EEfLi32ELi8ELi128ELi128ELi4ELi4ELi64ELi4ELi64ELc84ELc78ELb1ELb1ELb1EfKPKfKPfEEviiiT16_PT17_ilSA_ilS8_SA_ilPT18_ili26rocblas_geam_ex_operation_
; %bb.0:
	s_load_dwordx4 s[12:15], s[0:1], 0x0
	s_load_dwordx4 s[4:7], s[0:1], 0x20
	s_mov_b32 s8, s3
	s_mov_b32 s9, 0
	s_waitcnt lgkmcnt(0)
	v_cmp_eq_f32_e64 s[10:11], s15, 0
	s_and_b64 vcc, exec, s[10:11]
	s_cbranch_vccnz .LBB13_3
; %bb.1:
	s_load_dwordx2 s[16:17], s[0:1], 0x10
	s_lshl_b64 s[18:19], s[8:9], 3
	s_waitcnt lgkmcnt(0)
	s_add_u32 s16, s16, s18
	s_addc_u32 s17, s17, s19
	s_load_dwordx2 s[16:17], s[16:17], 0x0
	s_lshl_b64 s[4:5], s[4:5], 2
	s_waitcnt lgkmcnt(0)
	s_add_u32 s20, s16, s4
	s_addc_u32 s21, s17, s5
	s_andn2_b64 vcc, exec, s[10:11]
	s_cbranch_vccnz .LBB13_4
.LBB13_2:
	s_mov_b64 s[22:23], 0
	s_cbranch_execz .LBB13_5
	s_branch .LBB13_6
.LBB13_3:
	s_mov_b64 s[20:21], 0
	s_andn2_b64 vcc, exec, s[10:11]
	s_cbranch_vccz .LBB13_2
.LBB13_4:
                                        ; implicit-def: $sgpr22_sgpr23
.LBB13_5:
	s_lshl_b64 s[10:11], s[8:9], 3
	s_add_u32 s6, s6, s10
	s_load_dwordx2 s[4:5], s[0:1], 0x38
	s_addc_u32 s7, s7, s11
	s_load_dwordx2 s[6:7], s[6:7], 0x0
	s_waitcnt lgkmcnt(0)
	s_lshl_b64 s[4:5], s[4:5], 2
	s_add_u32 s22, s6, s4
	s_addc_u32 s23, s7, s5
.LBB13_6:
	s_load_dword s26, s[0:1], 0x40
	s_load_dwordx4 s[4:7], s[0:1], 0x58
	s_waitcnt lgkmcnt(0)
	v_cmp_eq_f32_e64 s[10:11], s26, 0
	v_cmp_neq_f32_e64 s[18:19], s26, 0
	s_and_b64 vcc, exec, s[10:11]
	s_cbranch_vccnz .LBB13_8
; %bb.7:
	s_load_dwordx2 s[10:11], s[0:1], 0x48
	s_lshl_b64 s[16:17], s[8:9], 3
	s_waitcnt lgkmcnt(0)
	s_add_u32 s10, s10, s16
	s_addc_u32 s11, s11, s17
	s_load_dwordx2 s[10:11], s[10:11], 0x0
	s_lshl_b64 s[4:5], s[4:5], 2
	s_waitcnt lgkmcnt(0)
	s_add_u32 s16, s10, s4
	s_addc_u32 s17, s11, s5
	s_branch .LBB13_9
.LBB13_8:
	s_mov_b64 s[16:17], 0
.LBB13_9:
	s_lshl_b64 s[4:5], s[8:9], 3
	s_add_u32 s4, s6, s4
	s_addc_u32 s5, s7, s5
	s_add_i32 s3, s12, -1
	s_ashr_i32 s6, s3, 31
	s_lshr_b32 s6, s6, 25
	s_add_i32 s3, s3, s6
	s_ashr_i32 s3, s3, 7
	s_add_i32 s7, s3, 1
	v_cvt_f32_u32_e32 v1, s7
	v_and_b32_e32 v131, 0x3ff, v0
	v_bfe_u32 v132, v0, 10, 10
	s_load_dwordx2 s[10:11], s[4:5], 0x0
	v_rcp_iflag_f32_e32 v1, v1
	s_not_b32 s3, s3
	s_load_dword s29, s[0:1], 0x18
	v_and_b32_e32 v144, 3, v131
	v_mul_f32_e32 v0, 0x4f7ffffe, v1
	v_cvt_u32_f32_e32 v0, v0
	v_lshl_add_u32 v1, v132, 5, v131
	v_lshrrev_b32_e32 v4, 2, v1
	v_cmp_le_i32_e64 s[8:9], s14, v144
	v_readfirstlane_b32 s4, v0
	s_mul_i32 s3, s3, s4
	s_mul_hi_u32 s3, s4, s3
	s_add_i32 s4, s4, s3
	s_mul_hi_u32 s3, s2, s4
	s_mul_i32 s4, s3, s7
	s_sub_i32 s4, s2, s4
	s_add_i32 s5, s3, 1
	s_sub_i32 s6, s4, s7
	s_cmp_ge_u32 s4, s7
	s_cselect_b32 s3, s5, s3
	s_cselect_b32 s4, s6, s4
	s_add_i32 s5, s3, 1
	s_cmp_ge_u32 s4, s7
	s_cselect_b32 s6, s5, s3
	s_mul_i32 s3, s6, s7
	s_sub_i32 s2, s2, s3
	s_lshl_b32 s27, s2, 7
	v_add_u32_e32 v86, s27, v4
	v_cmp_le_i32_e32 vcc, s12, v86
	v_mov_b32_e32 v81, 0
	v_lshlrev_b32_e32 v80, 2, v144
	s_or_b64 s[2:3], s[8:9], vcc
	v_lshl_add_u64 v[0:1], s[20:21], 0, v[80:81]
	s_xor_b64 s[4:5], s[2:3], -1
	v_mov_b32_e32 v5, 0x7f7fffff
	v_mov_b32_e32 v6, 0x7f7fffff
	s_and_saveexec_b64 s[2:3], s[4:5]
	s_cbranch_execz .LBB13_11
; %bb.10:
	s_waitcnt lgkmcnt(0)
	v_mad_i64_i32 v[2:3], s[4:5], v86, s29, 0
	v_lshl_add_u64 v[2:3], v[2:3], 2, v[0:1]
	flat_load_dword v6, v[2:3]
.LBB13_11:
	s_or_b64 exec, exec, s[2:3]
	v_add_u32_e32 v88, 64, v86
	v_cmp_le_i32_e64 s[2:3], s12, v88
	s_or_b64 s[4:5], s[8:9], s[2:3]
	s_xor_b64 s[24:25], s[4:5], -1
	s_and_saveexec_b64 s[4:5], s[24:25]
	s_cbranch_execz .LBB13_13
; %bb.12:
	s_waitcnt lgkmcnt(0)
	v_mad_i64_i32 v[2:3], s[24:25], v88, s29, 0
	v_lshl_add_u64 v[2:3], v[2:3], 2, v[0:1]
	flat_load_dword v5, v[2:3]
.LBB13_13:
	s_or_b64 exec, exec, s[4:5]
	s_load_dword s30, s[0:1], 0x30
	s_lshl_b32 s28, s6, 7
	v_add_u32_e32 v82, s28, v4
	v_cmp_le_i32_e64 s[4:5], s13, v82
	v_mov_b32_e32 v81, 0
	s_or_b64 s[6:7], s[8:9], s[4:5]
	v_lshl_add_u64 v[2:3], s[22:23], 0, v[80:81]
	s_xor_b64 s[24:25], s[6:7], -1
	v_mov_b32_e32 v7, 0x7f7fffff
	v_mov_b32_e32 v8, 0x7f7fffff
	s_and_saveexec_b64 s[6:7], s[24:25]
	s_cbranch_execz .LBB13_15
; %bb.14:
	s_waitcnt lgkmcnt(0)
	v_mad_i64_i32 v[8:9], s[24:25], v82, s30, 0
	v_lshl_add_u64 v[8:9], v[8:9], 2, v[2:3]
	flat_load_dword v8, v[8:9]
.LBB13_15:
	s_or_b64 exec, exec, s[6:7]
	v_add_u32_e32 v84, 64, v82
	v_cmp_le_i32_e64 s[6:7], s13, v84
	s_or_b64 s[8:9], s[8:9], s[6:7]
	s_xor_b64 s[24:25], s[8:9], -1
	s_and_saveexec_b64 s[8:9], s[24:25]
	s_cbranch_execz .LBB13_17
; %bb.16:
	s_waitcnt lgkmcnt(0)
	v_mad_i64_i32 v[10:11], s[24:25], v84, s30, 0
	v_lshl_add_u64 v[10:11], v[10:11], 2, v[2:3]
	flat_load_dword v7, v[10:11]
.LBB13_17:
	s_or_b64 exec, exec, s[8:9]
	v_or_b32_e32 v9, 4, v144
	v_cmp_le_i32_e64 s[8:9], s14, v9
	s_or_b64 s[24:25], s[8:9], vcc
	s_xor_b64 s[34:35], s[24:25], -1
	v_mov_b32_e32 v81, 0x7f7fffff
	v_mov_b32_e32 v83, 0x7f7fffff
	s_and_saveexec_b64 s[24:25], s[34:35]
	s_cbranch_execz .LBB13_19
; %bb.18:
	s_waitcnt lgkmcnt(0)
	v_mad_i64_i32 v[10:11], s[34:35], v86, s29, 0
	v_lshl_add_u64 v[10:11], v[10:11], 2, v[0:1]
	flat_load_dword v83, v[10:11] offset:16
.LBB13_19:
	s_or_b64 exec, exec, s[24:25]
	s_or_b64 s[24:25], s[8:9], s[2:3]
	s_xor_b64 s[34:35], s[24:25], -1
	s_and_saveexec_b64 s[24:25], s[34:35]
	s_cbranch_execz .LBB13_21
; %bb.20:
	s_waitcnt lgkmcnt(0)
	v_mad_i64_i32 v[10:11], s[34:35], v88, s29, 0
	v_lshl_add_u64 v[0:1], v[10:11], 2, v[0:1]
	flat_load_dword v81, v[0:1] offset:16
.LBB13_21:
	s_or_b64 exec, exec, s[24:25]
	s_or_b64 s[24:25], s[8:9], s[4:5]
	s_xor_b64 s[34:35], s[24:25], -1
	v_mov_b32_e32 v85, 0x7f7fffff
	v_mov_b32_e32 v87, 0x7f7fffff
	s_and_saveexec_b64 s[24:25], s[34:35]
	s_cbranch_execz .LBB13_23
; %bb.22:
	s_waitcnt lgkmcnt(0)
	v_mad_i64_i32 v[0:1], s[34:35], v82, s30, 0
	v_lshl_add_u64 v[0:1], v[0:1], 2, v[2:3]
	flat_load_dword v87, v[0:1] offset:16
.LBB13_23:
	s_or_b64 exec, exec, s[24:25]
	s_or_b64 s[8:9], s[8:9], s[6:7]
	s_xor_b64 s[24:25], s[8:9], -1
	s_and_saveexec_b64 s[8:9], s[24:25]
	s_cbranch_execz .LBB13_25
; %bb.24:
	s_waitcnt lgkmcnt(0)
	v_mad_i64_i32 v[0:1], s[24:25], v84, s30, 0
	v_lshl_add_u64 v[0:1], v[0:1], 2, v[2:3]
	flat_load_dword v85, v[0:1] offset:16
.LBB13_25:
	s_or_b64 exec, exec, s[8:9]
	v_lshl_or_b32 v150, v4, 4, v80
	v_lshlrev_b32_e32 v140, 4, v131
	s_waitcnt vmcnt(0) lgkmcnt(0)
	ds_write2st64_b32 v150, v6, v5 offset1:4
	ds_write2st64_b32 v150, v8, v7 offset0:16 offset1:20
	s_waitcnt lgkmcnt(0)
	s_barrier
	ds_read_b128 v[12:15], v140
	ds_read_b128 v[8:11], v140 offset:512
	ds_read_b128 v[4:7], v140 offset:1024
	;; [unrolled: 1-line block ×3, first 2 shown]
	v_lshlrev_b32_e32 v141, 4, v132
	ds_read_b128 v[76:79], v141 offset:4096
	ds_read_b128 v[72:75], v141 offset:4224
	;; [unrolled: 1-line block ×16, first 2 shown]
	s_waitcnt lgkmcnt(14)
	v_pk_add_f32 v[90:91], v[12:13], v[76:77]
	s_mov_b32 s8, 0x7f7fffff
	v_min3_f32 v89, v90, v91, s8
	v_pk_add_f32 v[90:91], v[8:9], v[76:77]
	s_cmp_lt_i32 s14, 9
	v_min3_f32 v92, v90, v91, s8
	v_pk_add_f32 v[90:91], v[4:5], v[76:77]
	v_pk_add_f32 v[76:77], v[0:1], v[76:77]
	v_min3_f32 v90, v90, v91, s8
	v_min3_f32 v91, v76, v77, s8
	v_pk_add_f32 v[76:77], v[12:13], v[72:73]
	ds_write2st64_b32 v150, v83, v81 offset0:8 offset1:12
	ds_write2st64_b32 v150, v87, v85 offset0:24 offset1:28
	v_min3_f32 v93, v76, v77, s8
	v_pk_add_f32 v[76:77], v[8:9], v[72:73]
	s_waitcnt lgkmcnt(0)
	v_min3_f32 v94, v76, v77, s8
	v_pk_add_f32 v[76:77], v[4:5], v[72:73]
	v_pk_add_f32 v[72:73], v[0:1], v[72:73]
	v_min3_f32 v76, v76, v77, s8
	v_min3_f32 v77, v72, v73, s8
	v_pk_add_f32 v[72:73], v[12:13], v[68:69]
	s_barrier
	v_min3_f32 v95, v72, v73, s8
	v_pk_add_f32 v[72:73], v[8:9], v[68:69]
	s_nop 0
	v_min3_f32 v96, v72, v73, s8
	v_pk_add_f32 v[72:73], v[4:5], v[68:69]
	v_pk_add_f32 v[68:69], v[0:1], v[68:69]
	v_min3_f32 v72, v72, v73, s8
	v_min3_f32 v73, v68, v69, s8
	v_pk_add_f32 v[68:69], v[12:13], v[64:65]
	s_nop 0
	v_min3_f32 v97, v68, v69, s8
	v_pk_add_f32 v[68:69], v[8:9], v[64:65]
	s_nop 0
	v_min3_f32 v98, v68, v69, s8
	v_pk_add_f32 v[68:69], v[4:5], v[64:65]
	v_pk_add_f32 v[64:65], v[0:1], v[64:65]
	v_min3_f32 v68, v68, v69, s8
	v_min3_f32 v69, v64, v65, s8
	v_pk_add_f32 v[64:65], v[12:13], v[60:61]
	s_nop 0
	;; [unrolled: 10-line block ×11, first 2 shown]
	v_min3_f32 v170, v28, v29, s8
	v_pk_add_f32 v[28:29], v[8:9], v[24:25]
	s_nop 0
	v_min3_f32 v171, v28, v29, s8
	v_pk_add_f32 v[28:29], v[4:5], v[24:25]
	v_pk_add_f32 v[24:25], v[0:1], v[24:25]
	v_min3_f32 v28, v28, v29, s8
	v_min3_f32 v29, v24, v25, s8
	v_pk_add_f32 v[24:25], v[12:13], v[20:21]
	v_pk_add_f32 v[12:13], v[12:13], v[16:17]
	v_min3_f32 v172, v24, v25, s8
	v_pk_add_f32 v[24:25], v[8:9], v[20:21]
	v_min3_f32 v12, v12, v13, s8
	v_min3_f32 v173, v24, v25, s8
	v_pk_add_f32 v[24:25], v[4:5], v[20:21]
	v_pk_add_f32 v[20:21], v[0:1], v[20:21]
	;; [unrolled: 1-line block ×4, first 2 shown]
	v_min3_f32 v4, v4, v5, s8
	v_min3_f32 v5, v0, v1, s8
	v_pk_add_f32 v[0:1], v[14:15], v[78:79]
	v_min3_f32 v24, v24, v25, s8
	v_min3_f32 v167, v0, v1, v89
	v_pk_add_f32 v[0:1], v[10:11], v[78:79]
	v_min3_f32 v20, v20, v21, s8
	v_min3_f32 v166, v0, v1, v92
	v_pk_add_f32 v[0:1], v[6:7], v[78:79]
	v_pk_add_f32 v[8:9], v[8:9], v[16:17]
	v_min3_f32 v165, v0, v1, v90
	v_pk_add_f32 v[0:1], v[2:3], v[78:79]
	v_min3_f32 v8, v8, v9, s8
	v_min3_f32 v164, v0, v1, v91
	v_pk_add_f32 v[0:1], v[14:15], v[74:75]
	s_nop 0
	v_min3_f32 v163, v0, v1, v93
	v_pk_add_f32 v[0:1], v[10:11], v[74:75]
	s_nop 0
	;; [unrolled: 3-line block ×60, first 2 shown]
	v_min3_f32 v101, v0, v1, v5
	s_cbranch_scc1 .LBB13_44
; %bb.26:
	v_mov_b32_e32 v0, 0x800
	v_lshl_add_u32 v172, v131, 4, v0
	v_mov_b32_e32 v0, 0x1800
	v_lshl_add_u32 v173, v132, 4, v0
	v_mad_i64_i32 v[0:1], s[8:9], s30, v82, 0
	v_lshl_add_u64 v[82:83], v[0:1], 2, s[22:23]
	v_mad_i64_i32 v[0:1], s[8:9], s30, v84, 0
	v_lshl_add_u64 v[84:85], v[0:1], 2, s[22:23]
	;; [unrolled: 2-line block ×3, first 2 shown]
	v_mad_i64_i32 v[0:1], s[8:9], s29, v88, 0
	v_add_u32_e32 v168, 0x1000, v150
	v_add_u32_e32 v169, 0x1000, v141
	;; [unrolled: 1-line block ×4, first 2 shown]
	s_add_i32 s15, s14, -8
	v_mov_b32_e32 v81, 0
	v_lshl_add_u64 v[88:89], v[0:1], 2, s[20:21]
	s_mov_b32 s22, 0
	s_branch .LBB13_28
.LBB13_27:                              ;   in Loop: Header=BB13_28 Depth=1
	s_or_b64 exec, exec, s[8:9]
	ds_read_b128 v[0:3], v140
	ds_read_b128 v[4:7], v140 offset:512
	ds_read_b128 v[8:11], v140 offset:1024
	;; [unrolled: 1-line block ×3, first 2 shown]
	ds_read_b128 v[102:105], v169
	ds_read_b128 v[106:109], v169 offset:128
	ds_read_b128 v[110:113], v169 offset:256
	ds_read_b128 v[114:117], v169 offset:384
	ds_read_b128 v[118:121], v169 offset:512
	ds_read_b128 v[122:125], v169 offset:640
	ds_read_b128 v[126:129], v169 offset:768
	ds_read_b128 v[176:179], v169 offset:896
	ds_read_b128 v[180:183], v169 offset:1024
	ds_read_b128 v[184:187], v169 offset:1152
	ds_read_b128 v[188:191], v169 offset:1280
	ds_read_b128 v[192:195], v169 offset:1408
	ds_read_b128 v[196:199], v169 offset:1536
	ds_read_b128 v[200:203], v169 offset:1664
	ds_read_b128 v[20:23], v169 offset:1792
	ds_read_b128 v[16:19], v169 offset:1920
	s_waitcnt lgkmcnt(0)
	v_pk_add_f32 v[90:91], v[0:1], v[102:103]
	s_add_i32 s22, s22, 8
	v_min3_f32 v130, v90, v91, v24
	v_pk_add_f32 v[90:91], v[4:5], v[102:103]
	v_lshl_add_u64 v[82:83], v[82:83], 0, 32
	v_min3_f32 v90, v90, v91, v25
	v_pk_add_f32 v[24:25], v[8:9], v[102:103]
	v_lshl_add_u64 v[84:85], v[84:85], 0, 32
	;; [unrolled: 3-line block ×3, first 2 shown]
	v_min3_f32 v29, v24, v25, v29
	v_pk_add_f32 v[24:25], v[0:1], v[106:107]
	s_cmp_ge_i32 s22, s15
	v_min3_f32 v32, v24, v25, v32
	v_pk_add_f32 v[24:25], v[4:5], v[106:107]
	v_lshl_add_u64 v[88:89], v[88:89], 0, 32
	v_min3_f32 v33, v24, v25, v33
	v_pk_add_f32 v[24:25], v[8:9], v[106:107]
	s_waitcnt vmcnt(0)
	ds_write2st64_b32 v170, v175, v174 offset1:4
	ds_write2st64_b32 v171, v93, v92 offset1:4
	v_min3_f32 v36, v24, v25, v36
	v_pk_add_f32 v[24:25], v[12:13], v[106:107]
	s_waitcnt lgkmcnt(0)
	v_min3_f32 v37, v24, v25, v37
	v_pk_add_f32 v[24:25], v[0:1], v[110:111]
	s_barrier
	v_min3_f32 v40, v24, v25, v40
	v_pk_add_f32 v[24:25], v[4:5], v[110:111]
	s_nop 0
	v_min3_f32 v41, v24, v25, v41
	v_pk_add_f32 v[24:25], v[8:9], v[110:111]
	s_nop 0
	;; [unrolled: 3-line block ×47, first 2 shown]
	v_min3_f32 v26, v24, v25, v26
	v_pk_add_f32 v[24:25], v[0:1], v[20:21]
	v_pk_add_f32 v[0:1], v[0:1], v[16:17]
	v_min3_f32 v27, v24, v25, v27
	v_pk_add_f32 v[24:25], v[4:5], v[20:21]
	s_nop 0
	v_min3_f32 v94, v24, v25, v95
	v_pk_add_f32 v[24:25], v[8:9], v[20:21]
	v_pk_add_f32 v[20:21], v[12:13], v[20:21]
	v_min3_f32 v24, v24, v25, v96
	v_min3_f32 v20, v20, v21, v97
	;; [unrolled: 1-line block ×3, first 2 shown]
	v_pk_add_f32 v[0:1], v[4:5], v[16:17]
	s_nop 0
	v_min3_f32 v4, v0, v1, v99
	v_pk_add_f32 v[0:1], v[8:9], v[16:17]
	s_nop 0
	v_min3_f32 v5, v0, v1, v100
	;; [unrolled: 3-line block ×67, first 2 shown]
	s_cbranch_scc1 .LBB13_44
.LBB13_28:                              ; =>This Inner Loop Header: Depth=1
	v_add_u32_e32 v174, s22, v144
	v_add_u32_e32 v0, 8, v174
	v_cmp_le_i32_e64 s[8:9], s14, v0
	s_or_b64 s[20:21], vcc, s[8:9]
	s_xor_b64 s[24:25], s[20:21], -1
	v_mov_b32_e32 v175, 0x7f7fffff
	v_lshl_add_u64 v[92:93], v[86:87], 0, v[80:81]
	v_mov_b32_e32 v176, 0x7f7fffff
	s_and_saveexec_b64 s[20:21], s[24:25]
	s_cbranch_execz .LBB13_30
; %bb.29:                               ;   in Loop: Header=BB13_28 Depth=1
	flat_load_dword v176, v[92:93] offset:32
.LBB13_30:                              ;   in Loop: Header=BB13_28 Depth=1
	s_or_b64 exec, exec, s[20:21]
	s_or_b64 s[20:21], s[2:3], s[8:9]
	s_xor_b64 s[24:25], s[20:21], -1
	v_lshl_add_u64 v[94:95], v[88:89], 0, v[80:81]
	s_and_saveexec_b64 s[20:21], s[24:25]
	s_cbranch_execz .LBB13_32
; %bb.31:                               ;   in Loop: Header=BB13_28 Depth=1
	flat_load_dword v175, v[94:95] offset:32
.LBB13_32:                              ;   in Loop: Header=BB13_28 Depth=1
	s_or_b64 exec, exec, s[20:21]
	s_or_b64 s[20:21], s[4:5], s[8:9]
	s_xor_b64 s[24:25], s[20:21], -1
	v_mov_b32_e32 v177, 0x7f7fffff
	v_lshl_add_u64 v[96:97], v[82:83], 0, v[80:81]
	v_mov_b32_e32 v178, 0x7f7fffff
	s_and_saveexec_b64 s[20:21], s[24:25]
	s_cbranch_execz .LBB13_34
; %bb.33:                               ;   in Loop: Header=BB13_28 Depth=1
	flat_load_dword v178, v[96:97] offset:32
.LBB13_34:                              ;   in Loop: Header=BB13_28 Depth=1
	s_or_b64 exec, exec, s[20:21]
	s_or_b64 s[8:9], s[6:7], s[8:9]
	s_xor_b64 s[20:21], s[8:9], -1
	v_lshl_add_u64 v[90:91], v[84:85], 0, v[80:81]
	s_and_saveexec_b64 s[8:9], s[20:21]
	s_cbranch_execz .LBB13_36
; %bb.35:                               ;   in Loop: Header=BB13_28 Depth=1
	flat_load_dword v177, v[90:91] offset:32
.LBB13_36:                              ;   in Loop: Header=BB13_28 Depth=1
	s_or_b64 exec, exec, s[8:9]
	ds_read_b128 v[12:15], v172
	ds_read_b128 v[8:11], v172 offset:512
	ds_read_b128 v[4:7], v172 offset:1024
	;; [unrolled: 1-line block ×3, first 2 shown]
	ds_read_b128 v[76:79], v173
	ds_read_b128 v[72:75], v173 offset:128
	ds_read_b128 v[68:71], v173 offset:256
	;; [unrolled: 1-line block ×15, first 2 shown]
	v_add_u32_e32 v174, 12, v174
	v_cmp_le_i32_e64 s[8:9], s14, v174
	s_or_b64 s[20:21], vcc, s[8:9]
	s_waitcnt vmcnt(0) lgkmcnt(0)
	ds_write2st64_b32 v150, v176, v175 offset1:4
	ds_write2st64_b32 v168, v178, v177 offset1:4
	s_xor_b64 s[24:25], s[20:21], -1
	v_mov_b32_e32 v174, 0x7f7fffff
	v_mov_b32_e32 v175, 0x7f7fffff
	s_waitcnt lgkmcnt(0)
	s_barrier
	s_and_saveexec_b64 s[20:21], s[24:25]
	s_cbranch_execz .LBB13_38
; %bb.37:                               ;   in Loop: Header=BB13_28 Depth=1
	flat_load_dword v175, v[92:93] offset:48
.LBB13_38:                              ;   in Loop: Header=BB13_28 Depth=1
	s_or_b64 exec, exec, s[20:21]
	s_or_b64 s[20:21], s[2:3], s[8:9]
	s_xor_b64 s[24:25], s[20:21], -1
	s_and_saveexec_b64 s[20:21], s[24:25]
	s_cbranch_execz .LBB13_40
; %bb.39:                               ;   in Loop: Header=BB13_28 Depth=1
	flat_load_dword v174, v[94:95] offset:48
.LBB13_40:                              ;   in Loop: Header=BB13_28 Depth=1
	s_or_b64 exec, exec, s[20:21]
	s_or_b64 s[20:21], s[4:5], s[8:9]
	s_xor_b64 s[24:25], s[20:21], -1
	v_mov_b32_e32 v92, 0x7f7fffff
	v_mov_b32_e32 v93, 0x7f7fffff
	s_and_saveexec_b64 s[20:21], s[24:25]
	s_cbranch_execz .LBB13_42
; %bb.41:                               ;   in Loop: Header=BB13_28 Depth=1
	flat_load_dword v93, v[96:97] offset:48
.LBB13_42:                              ;   in Loop: Header=BB13_28 Depth=1
	s_or_b64 exec, exec, s[20:21]
	v_pk_add_f32 v[94:95], v[12:13], v[76:77]
	s_or_b64 s[8:9], s[6:7], s[8:9]
	v_min3_f32 v96, v94, v95, v167
	v_pk_add_f32 v[94:95], v[8:9], v[76:77]
	s_xor_b64 s[20:21], s[8:9], -1
	v_min3_f32 v97, v94, v95, v166
	v_pk_add_f32 v[94:95], v[4:5], v[76:77]
	v_pk_add_f32 v[76:77], v[0:1], v[76:77]
	v_min3_f32 v94, v94, v95, v165
	v_min3_f32 v95, v76, v77, v164
	v_pk_add_f32 v[76:77], v[12:13], v[72:73]
	s_nop 0
	v_min3_f32 v163, v76, v77, v163
	v_pk_add_f32 v[76:77], v[8:9], v[72:73]
	s_nop 0
	v_min3_f32 v162, v76, v77, v162
	v_pk_add_f32 v[76:77], v[4:5], v[72:73]
	v_pk_add_f32 v[72:73], v[0:1], v[72:73]
	v_min3_f32 v76, v76, v77, v161
	v_min3_f32 v77, v72, v73, v160
	v_pk_add_f32 v[72:73], v[12:13], v[68:69]
	s_nop 0
	v_min3_f32 v159, v72, v73, v159
	v_pk_add_f32 v[72:73], v[8:9], v[68:69]
	s_nop 0
	;; [unrolled: 10-line block ×13, first 2 shown]
	v_min3_f32 v108, v28, v29, v108
	v_pk_add_f32 v[28:29], v[4:5], v[24:25]
	v_pk_add_f32 v[24:25], v[0:1], v[24:25]
	v_min3_f32 v107, v28, v29, v107
	v_min3_f32 v106, v24, v25, v106
	v_pk_add_f32 v[24:25], v[12:13], v[20:21]
	v_pk_add_f32 v[12:13], v[12:13], v[16:17]
	v_min3_f32 v105, v24, v25, v105
	v_pk_add_f32 v[24:25], v[8:9], v[20:21]
	v_min3_f32 v12, v12, v13, v100
	v_min3_f32 v104, v24, v25, v104
	v_pk_add_f32 v[24:25], v[4:5], v[20:21]
	v_pk_add_f32 v[20:21], v[0:1], v[20:21]
	;; [unrolled: 1-line block ×4, first 2 shown]
	v_min3_f32 v4, v4, v5, v98
	v_min3_f32 v5, v0, v1, v101
	v_pk_add_f32 v[0:1], v[14:15], v[78:79]
	v_min3_f32 v103, v24, v25, v103
	v_min3_f32 v24, v0, v1, v96
	v_pk_add_f32 v[0:1], v[10:11], v[78:79]
	;; [unrolled: 3-line block ×3, first 2 shown]
	v_pk_add_f32 v[8:9], v[8:9], v[16:17]
	v_min3_f32 v28, v0, v1, v94
	v_pk_add_f32 v[0:1], v[2:3], v[78:79]
	v_min3_f32 v8, v8, v9, v99
	v_min3_f32 v29, v0, v1, v95
	v_pk_add_f32 v[0:1], v[14:15], v[74:75]
	s_nop 0
	v_min3_f32 v32, v0, v1, v163
	v_pk_add_f32 v[0:1], v[10:11], v[74:75]
	s_nop 0
	;; [unrolled: 3-line block ×60, first 2 shown]
	v_min3_f32 v101, v0, v1, v5
	s_and_saveexec_b64 s[8:9], s[20:21]
	s_cbranch_execz .LBB13_27
; %bb.43:                               ;   in Loop: Header=BB13_28 Depth=1
	flat_load_dword v92, v[90:91] offset:48
	s_branch .LBB13_27
.LBB13_44:
	s_load_dwordx2 s[2:3], s[0:1], 0x70
	s_load_dword s21, s[0:1], 0x50
	s_load_dword s20, s[0:1], 0x68
	ds_read_b128 v[16:19], v140 offset:2048
	ds_read_b128 v[12:15], v140 offset:2560
	;; [unrolled: 1-line block ×20, first 2 shown]
	s_waitcnt lgkmcnt(0)
	s_lshl_b64 s[0:1], s[2:3], 2
	s_add_u32 s14, s10, s0
	v_add_u32_e32 v92, s28, v132
	s_addc_u32 s15, s11, s1
	v_mad_i64_i32 v[82:83], s[0:1], v92, s21, 0
	v_add_u32_e32 v80, s27, v131
	v_lshl_add_u64 v[90:91], v[82:83], 2, s[16:17]
	v_mad_i64_i32 v[82:83], s[0:1], v92, s20, 0
	v_cmp_gt_i32_e64 s[2:3], s12, v80
	v_cmp_gt_i32_e64 s[10:11], s13, v92
	v_lshl_add_u64 v[88:89], v[82:83], 2, s[14:15]
	v_cndmask_b32_e64 v82, 0, 1, s[18:19]
	v_ashrrev_i32_e32 v81, 31, v80
	s_and_b64 s[6:7], s[2:3], s[10:11]
	v_cmp_ne_u32_e64 s[0:1], 1, v82
	s_and_saveexec_b64 s[4:5], s[6:7]
	s_cbranch_execz .LBB13_49
; %bb.45:
	s_and_b64 vcc, exec, s[0:1]
	s_cbranch_vccnz .LBB13_47
; %bb.46:
	v_lshl_add_u64 v[82:83], v[80:81], 2, v[90:91]
	flat_load_dword v82, v[82:83]
	s_waitcnt vmcnt(0) lgkmcnt(0)
	v_mul_f32_e32 v82, s26, v82
	s_branch .LBB13_48
.LBB13_47:
	v_mov_b32_e32 v82, 0
.LBB13_48:
	v_pk_add_f32 v[84:85], v[16:17], v[76:77]
	s_nop 0
	v_min3_f32 v83, v84, v85, v167
	v_pk_add_f32 v[84:85], v[18:19], v[78:79]
	s_nop 0
	v_min_f32_e32 v84, v84, v85
	v_min3_f32 v84, v82, v84, v83
	v_lshl_add_u64 v[82:83], v[80:81], 2, v[88:89]
	global_store_dword v[82:83], v84, off
.LBB13_49:
	s_or_b64 exec, exec, s[4:5]
	v_add_u32_e32 v82, 32, v80
	v_cmp_gt_i32_e64 s[4:5], s12, v82
	v_ashrrev_i32_e32 v83, 31, v82
	s_and_b64 s[8:9], s[4:5], s[10:11]
	s_and_saveexec_b64 s[6:7], s[8:9]
	s_cbranch_execz .LBB13_54
; %bb.50:
	s_and_b64 vcc, exec, s[0:1]
	s_cbranch_vccnz .LBB13_52
; %bb.51:
	v_lshl_add_u64 v[84:85], v[82:83], 2, v[90:91]
	flat_load_dword v84, v[84:85]
	s_waitcnt vmcnt(0) lgkmcnt(0)
	v_mul_f32_e32 v84, s26, v84
	s_branch .LBB13_53
.LBB13_52:
	v_mov_b32_e32 v84, 0
.LBB13_53:
	v_pk_add_f32 v[86:87], v[12:13], v[76:77]
	s_nop 0
	v_min3_f32 v85, v86, v87, v166
	v_pk_add_f32 v[86:87], v[14:15], v[78:79]
	s_nop 0
	v_min_f32_e32 v86, v86, v87
	v_min3_f32 v86, v84, v86, v85
	v_lshl_add_u64 v[84:85], v[82:83], 2, v[88:89]
	global_store_dword v[84:85], v86, off
.LBB13_54:
	s_or_b64 exec, exec, s[6:7]
	v_add_u32_e32 v84, 64, v80
	v_cmp_gt_i32_e64 s[6:7], s12, v84
	v_ashrrev_i32_e32 v85, 31, v84
	s_and_b64 s[18:19], s[6:7], s[10:11]
	;; [unrolled: 29-line block ×3, first 2 shown]
	s_and_saveexec_b64 s[10:11], s[18:19]
	s_cbranch_execz .LBB13_64
; %bb.60:
	s_and_b64 vcc, exec, s[0:1]
	s_cbranch_vccnz .LBB13_62
; %bb.61:
	v_lshl_add_u64 v[90:91], v[86:87], 2, v[90:91]
	flat_load_dword v90, v[90:91]
	s_waitcnt vmcnt(0) lgkmcnt(0)
	v_mul_f32_e32 v90, s26, v90
	s_branch .LBB13_63
.LBB13_62:
	v_mov_b32_e32 v90, 0
.LBB13_63:
	v_pk_add_f32 v[76:77], v[0:1], v[76:77]
	s_nop 0
	v_min3_f32 v91, v76, v77, v164
	v_pk_add_f32 v[76:77], v[2:3], v[78:79]
	s_nop 0
	v_min_f32_e32 v76, v76, v77
	v_min3_f32 v78, v90, v76, v91
	v_lshl_add_u64 v[76:77], v[86:87], 2, v[88:89]
	global_store_dword v[76:77], v78, off
.LBB13_64:
	s_or_b64 exec, exec, s[10:11]
	v_add_u32_e32 v88, 8, v92
	v_mad_i64_i32 v[76:77], s[18:19], v88, s21, 0
	v_cmp_gt_i32_e64 s[10:11], s13, v88
	v_lshl_add_u64 v[78:79], v[76:77], 2, s[16:17]
	v_mad_i64_i32 v[76:77], s[18:19], v88, s20, 0
	v_lshl_add_u64 v[76:77], v[76:77], 2, s[14:15]
	s_and_b64 s[22:23], s[2:3], s[10:11]
	s_and_saveexec_b64 s[18:19], s[22:23]
	s_cbranch_execnz .LBB13_68
; %bb.65:
	s_or_b64 exec, exec, s[18:19]
	s_and_b64 s[22:23], s[4:5], s[10:11]
	s_and_saveexec_b64 s[18:19], s[22:23]
	s_cbranch_execnz .LBB13_72
.LBB13_66:
	s_or_b64 exec, exec, s[18:19]
	s_and_b64 s[22:23], s[6:7], s[10:11]
	s_and_saveexec_b64 s[18:19], s[22:23]
	s_cbranch_execnz .LBB13_76
.LBB13_67:
	s_or_b64 exec, exec, s[18:19]
	s_and_b64 s[18:19], s[8:9], s[10:11]
	s_and_saveexec_b64 s[10:11], s[18:19]
	s_cbranch_execnz .LBB13_80
	s_branch .LBB13_84
.LBB13_68:
	s_and_b64 vcc, exec, s[0:1]
	s_cbranch_vccnz .LBB13_70
; %bb.69:
	v_lshl_add_u64 v[88:89], v[80:81], 2, v[78:79]
	flat_load_dword v88, v[88:89]
	s_waitcnt vmcnt(0) lgkmcnt(0)
	v_mul_f32_e32 v88, s26, v88
	s_branch .LBB13_71
.LBB13_70:
	v_mov_b32_e32 v88, 0
.LBB13_71:
	v_pk_add_f32 v[90:91], v[16:17], v[72:73]
	s_nop 0
	v_min3_f32 v89, v90, v91, v163
	v_pk_add_f32 v[90:91], v[18:19], v[74:75]
	s_nop 0
	v_min_f32_e32 v90, v90, v91
	v_min3_f32 v90, v88, v90, v89
	v_lshl_add_u64 v[88:89], v[80:81], 2, v[76:77]
	global_store_dword v[88:89], v90, off
	s_or_b64 exec, exec, s[18:19]
	s_and_b64 s[22:23], s[4:5], s[10:11]
	s_and_saveexec_b64 s[18:19], s[22:23]
	s_cbranch_execz .LBB13_66
.LBB13_72:
	s_and_b64 vcc, exec, s[0:1]
	s_cbranch_vccnz .LBB13_74
; %bb.73:
	v_lshl_add_u64 v[88:89], v[82:83], 2, v[78:79]
	flat_load_dword v88, v[88:89]
	s_waitcnt vmcnt(0) lgkmcnt(0)
	v_mul_f32_e32 v88, s26, v88
	s_branch .LBB13_75
.LBB13_74:
	v_mov_b32_e32 v88, 0
.LBB13_75:
	v_pk_add_f32 v[90:91], v[12:13], v[72:73]
	s_nop 0
	v_min3_f32 v89, v90, v91, v162
	v_pk_add_f32 v[90:91], v[14:15], v[74:75]
	s_nop 0
	v_min_f32_e32 v90, v90, v91
	v_min3_f32 v90, v88, v90, v89
	v_lshl_add_u64 v[88:89], v[82:83], 2, v[76:77]
	global_store_dword v[88:89], v90, off
	s_or_b64 exec, exec, s[18:19]
	s_and_b64 s[22:23], s[6:7], s[10:11]
	s_and_saveexec_b64 s[18:19], s[22:23]
	s_cbranch_execz .LBB13_67
.LBB13_76:
	s_and_b64 vcc, exec, s[0:1]
	s_cbranch_vccnz .LBB13_78
; %bb.77:
	v_lshl_add_u64 v[88:89], v[84:85], 2, v[78:79]
	flat_load_dword v88, v[88:89]
	s_waitcnt vmcnt(0) lgkmcnt(0)
	v_mul_f32_e32 v88, s26, v88
	s_branch .LBB13_79
.LBB13_78:
	v_mov_b32_e32 v88, 0
.LBB13_79:
	v_pk_add_f32 v[90:91], v[8:9], v[72:73]
	s_nop 0
	v_min3_f32 v89, v90, v91, v161
	v_pk_add_f32 v[90:91], v[10:11], v[74:75]
	s_nop 0
	v_min_f32_e32 v90, v90, v91
	v_min3_f32 v90, v88, v90, v89
	v_lshl_add_u64 v[88:89], v[84:85], 2, v[76:77]
	global_store_dword v[88:89], v90, off
	s_or_b64 exec, exec, s[18:19]
	s_and_b64 s[18:19], s[8:9], s[10:11]
	s_and_saveexec_b64 s[10:11], s[18:19]
	s_cbranch_execz .LBB13_84
.LBB13_80:
	s_and_b64 vcc, exec, s[0:1]
	s_cbranch_vccnz .LBB13_82
; %bb.81:
	v_lshl_add_u64 v[78:79], v[86:87], 2, v[78:79]
	flat_load_dword v78, v[78:79]
	s_waitcnt vmcnt(0) lgkmcnt(0)
	v_mul_f32_e32 v78, s26, v78
	s_branch .LBB13_83
.LBB13_82:
	v_mov_b32_e32 v78, 0
.LBB13_83:
	v_pk_add_f32 v[72:73], v[0:1], v[72:73]
	s_nop 0
	v_min3_f32 v79, v72, v73, v160
	v_pk_add_f32 v[72:73], v[2:3], v[74:75]
	s_nop 0
	v_min_f32_e32 v72, v72, v73
	v_min3_f32 v74, v78, v72, v79
	v_lshl_add_u64 v[72:73], v[86:87], 2, v[76:77]
	global_store_dword v[72:73], v74, off
.LBB13_84:
	s_or_b64 exec, exec, s[10:11]
	v_add_u32_e32 v76, 16, v92
	v_mad_i64_i32 v[72:73], s[18:19], v76, s21, 0
	v_cmp_gt_i32_e64 s[10:11], s13, v76
	v_lshl_add_u64 v[74:75], v[72:73], 2, s[16:17]
	v_mad_i64_i32 v[72:73], s[18:19], v76, s20, 0
	v_lshl_add_u64 v[72:73], v[72:73], 2, s[14:15]
	s_and_b64 s[22:23], s[2:3], s[10:11]
	s_and_saveexec_b64 s[18:19], s[22:23]
	s_cbranch_execnz .LBB13_88
; %bb.85:
	s_or_b64 exec, exec, s[18:19]
	s_and_b64 s[22:23], s[4:5], s[10:11]
	s_and_saveexec_b64 s[18:19], s[22:23]
	s_cbranch_execnz .LBB13_92
.LBB13_86:
	s_or_b64 exec, exec, s[18:19]
	s_and_b64 s[22:23], s[6:7], s[10:11]
	s_and_saveexec_b64 s[18:19], s[22:23]
	s_cbranch_execnz .LBB13_96
.LBB13_87:
	s_or_b64 exec, exec, s[18:19]
	s_and_b64 s[18:19], s[8:9], s[10:11]
	s_and_saveexec_b64 s[10:11], s[18:19]
	s_cbranch_execnz .LBB13_100
	s_branch .LBB13_104
.LBB13_88:
	s_and_b64 vcc, exec, s[0:1]
	s_cbranch_vccnz .LBB13_90
; %bb.89:
	v_lshl_add_u64 v[76:77], v[80:81], 2, v[74:75]
	flat_load_dword v76, v[76:77]
	s_waitcnt vmcnt(0) lgkmcnt(0)
	v_mul_f32_e32 v76, s26, v76
	s_branch .LBB13_91
.LBB13_90:
	v_mov_b32_e32 v76, 0
.LBB13_91:
	v_pk_add_f32 v[78:79], v[16:17], v[68:69]
	s_nop 0
	v_min3_f32 v77, v78, v79, v159
	v_pk_add_f32 v[78:79], v[18:19], v[70:71]
	s_nop 0
	v_min_f32_e32 v78, v78, v79
	v_min3_f32 v78, v76, v78, v77
	v_lshl_add_u64 v[76:77], v[80:81], 2, v[72:73]
	global_store_dword v[76:77], v78, off
	s_or_b64 exec, exec, s[18:19]
	s_and_b64 s[22:23], s[4:5], s[10:11]
	s_and_saveexec_b64 s[18:19], s[22:23]
	s_cbranch_execz .LBB13_86
.LBB13_92:
	s_and_b64 vcc, exec, s[0:1]
	s_cbranch_vccnz .LBB13_94
; %bb.93:
	v_lshl_add_u64 v[76:77], v[82:83], 2, v[74:75]
	flat_load_dword v76, v[76:77]
	s_waitcnt vmcnt(0) lgkmcnt(0)
	v_mul_f32_e32 v76, s26, v76
	s_branch .LBB13_95
.LBB13_94:
	v_mov_b32_e32 v76, 0
.LBB13_95:
	v_pk_add_f32 v[78:79], v[12:13], v[68:69]
	s_nop 0
	v_min3_f32 v77, v78, v79, v158
	v_pk_add_f32 v[78:79], v[14:15], v[70:71]
	s_nop 0
	v_min_f32_e32 v78, v78, v79
	v_min3_f32 v78, v76, v78, v77
	v_lshl_add_u64 v[76:77], v[82:83], 2, v[72:73]
	global_store_dword v[76:77], v78, off
	s_or_b64 exec, exec, s[18:19]
	s_and_b64 s[22:23], s[6:7], s[10:11]
	s_and_saveexec_b64 s[18:19], s[22:23]
	s_cbranch_execz .LBB13_87
.LBB13_96:
	s_and_b64 vcc, exec, s[0:1]
	s_cbranch_vccnz .LBB13_98
; %bb.97:
	v_lshl_add_u64 v[76:77], v[84:85], 2, v[74:75]
	flat_load_dword v76, v[76:77]
	s_waitcnt vmcnt(0) lgkmcnt(0)
	v_mul_f32_e32 v76, s26, v76
	s_branch .LBB13_99
.LBB13_98:
	v_mov_b32_e32 v76, 0
.LBB13_99:
	v_pk_add_f32 v[78:79], v[8:9], v[68:69]
	s_nop 0
	v_min3_f32 v77, v78, v79, v157
	v_pk_add_f32 v[78:79], v[10:11], v[70:71]
	s_nop 0
	v_min_f32_e32 v78, v78, v79
	v_min3_f32 v78, v76, v78, v77
	v_lshl_add_u64 v[76:77], v[84:85], 2, v[72:73]
	global_store_dword v[76:77], v78, off
	s_or_b64 exec, exec, s[18:19]
	s_and_b64 s[18:19], s[8:9], s[10:11]
	s_and_saveexec_b64 s[10:11], s[18:19]
	s_cbranch_execz .LBB13_104
.LBB13_100:
	s_and_b64 vcc, exec, s[0:1]
	s_cbranch_vccnz .LBB13_102
; %bb.101:
	v_lshl_add_u64 v[74:75], v[86:87], 2, v[74:75]
	flat_load_dword v74, v[74:75]
	s_waitcnt vmcnt(0) lgkmcnt(0)
	v_mul_f32_e32 v74, s26, v74
	s_branch .LBB13_103
.LBB13_102:
	v_mov_b32_e32 v74, 0
.LBB13_103:
	v_pk_add_f32 v[68:69], v[0:1], v[68:69]
	s_nop 0
	v_min3_f32 v75, v68, v69, v156
	v_pk_add_f32 v[68:69], v[2:3], v[70:71]
	s_nop 0
	v_min_f32_e32 v68, v68, v69
	v_min3_f32 v70, v74, v68, v75
	v_lshl_add_u64 v[68:69], v[86:87], 2, v[72:73]
	global_store_dword v[68:69], v70, off
.LBB13_104:
	s_or_b64 exec, exec, s[10:11]
	v_add_u32_e32 v72, 24, v92
	v_mad_i64_i32 v[68:69], s[18:19], v72, s21, 0
	v_cmp_gt_i32_e64 s[10:11], s13, v72
	v_lshl_add_u64 v[70:71], v[68:69], 2, s[16:17]
	v_mad_i64_i32 v[68:69], s[18:19], v72, s20, 0
	v_lshl_add_u64 v[68:69], v[68:69], 2, s[14:15]
	s_and_b64 s[22:23], s[2:3], s[10:11]
	s_and_saveexec_b64 s[18:19], s[22:23]
	s_cbranch_execnz .LBB13_108
; %bb.105:
	s_or_b64 exec, exec, s[18:19]
	s_and_b64 s[22:23], s[4:5], s[10:11]
	s_and_saveexec_b64 s[18:19], s[22:23]
	s_cbranch_execnz .LBB13_112
.LBB13_106:
	s_or_b64 exec, exec, s[18:19]
	s_and_b64 s[22:23], s[6:7], s[10:11]
	s_and_saveexec_b64 s[18:19], s[22:23]
	s_cbranch_execnz .LBB13_116
.LBB13_107:
	s_or_b64 exec, exec, s[18:19]
	s_and_b64 s[18:19], s[8:9], s[10:11]
	s_and_saveexec_b64 s[10:11], s[18:19]
	s_cbranch_execnz .LBB13_120
	s_branch .LBB13_124
.LBB13_108:
	s_and_b64 vcc, exec, s[0:1]
	s_cbranch_vccnz .LBB13_110
; %bb.109:
	v_lshl_add_u64 v[72:73], v[80:81], 2, v[70:71]
	flat_load_dword v72, v[72:73]
	s_waitcnt vmcnt(0) lgkmcnt(0)
	v_mul_f32_e32 v72, s26, v72
	s_branch .LBB13_111
.LBB13_110:
	v_mov_b32_e32 v72, 0
.LBB13_111:
	v_pk_add_f32 v[74:75], v[16:17], v[64:65]
	s_nop 0
	v_min3_f32 v73, v74, v75, v155
	v_pk_add_f32 v[74:75], v[18:19], v[66:67]
	s_nop 0
	v_min_f32_e32 v74, v74, v75
	v_min3_f32 v74, v72, v74, v73
	v_lshl_add_u64 v[72:73], v[80:81], 2, v[68:69]
	global_store_dword v[72:73], v74, off
	s_or_b64 exec, exec, s[18:19]
	s_and_b64 s[22:23], s[4:5], s[10:11]
	s_and_saveexec_b64 s[18:19], s[22:23]
	s_cbranch_execz .LBB13_106
.LBB13_112:
	s_and_b64 vcc, exec, s[0:1]
	s_cbranch_vccnz .LBB13_114
; %bb.113:
	v_lshl_add_u64 v[72:73], v[82:83], 2, v[70:71]
	flat_load_dword v72, v[72:73]
	s_waitcnt vmcnt(0) lgkmcnt(0)
	v_mul_f32_e32 v72, s26, v72
	s_branch .LBB13_115
.LBB13_114:
	v_mov_b32_e32 v72, 0
.LBB13_115:
	v_pk_add_f32 v[74:75], v[12:13], v[64:65]
	s_nop 0
	v_min3_f32 v73, v74, v75, v154
	v_pk_add_f32 v[74:75], v[14:15], v[66:67]
	s_nop 0
	v_min_f32_e32 v74, v74, v75
	v_min3_f32 v74, v72, v74, v73
	v_lshl_add_u64 v[72:73], v[82:83], 2, v[68:69]
	global_store_dword v[72:73], v74, off
	s_or_b64 exec, exec, s[18:19]
	s_and_b64 s[22:23], s[6:7], s[10:11]
	s_and_saveexec_b64 s[18:19], s[22:23]
	s_cbranch_execz .LBB13_107
.LBB13_116:
	s_and_b64 vcc, exec, s[0:1]
	s_cbranch_vccnz .LBB13_118
; %bb.117:
	v_lshl_add_u64 v[72:73], v[84:85], 2, v[70:71]
	flat_load_dword v72, v[72:73]
	s_waitcnt vmcnt(0) lgkmcnt(0)
	v_mul_f32_e32 v72, s26, v72
	s_branch .LBB13_119
.LBB13_118:
	v_mov_b32_e32 v72, 0
.LBB13_119:
	v_pk_add_f32 v[74:75], v[8:9], v[64:65]
	s_nop 0
	v_min3_f32 v73, v74, v75, v153
	v_pk_add_f32 v[74:75], v[10:11], v[66:67]
	s_nop 0
	v_min_f32_e32 v74, v74, v75
	v_min3_f32 v74, v72, v74, v73
	v_lshl_add_u64 v[72:73], v[84:85], 2, v[68:69]
	global_store_dword v[72:73], v74, off
	s_or_b64 exec, exec, s[18:19]
	s_and_b64 s[18:19], s[8:9], s[10:11]
	s_and_saveexec_b64 s[10:11], s[18:19]
	s_cbranch_execz .LBB13_124
.LBB13_120:
	s_and_b64 vcc, exec, s[0:1]
	s_cbranch_vccnz .LBB13_122
; %bb.121:
	v_lshl_add_u64 v[70:71], v[86:87], 2, v[70:71]
	flat_load_dword v70, v[70:71]
	s_waitcnt vmcnt(0) lgkmcnt(0)
	v_mul_f32_e32 v70, s26, v70
	s_branch .LBB13_123
.LBB13_122:
	v_mov_b32_e32 v70, 0
.LBB13_123:
	v_pk_add_f32 v[64:65], v[0:1], v[64:65]
	s_nop 0
	v_min3_f32 v71, v64, v65, v152
	v_pk_add_f32 v[64:65], v[2:3], v[66:67]
	s_nop 0
	v_min_f32_e32 v64, v64, v65
	v_min3_f32 v66, v70, v64, v71
	v_lshl_add_u64 v[64:65], v[86:87], 2, v[68:69]
	global_store_dword v[64:65], v66, off
.LBB13_124:
	s_or_b64 exec, exec, s[10:11]
	v_add_u32_e32 v68, 32, v92
	v_mad_i64_i32 v[64:65], s[18:19], v68, s21, 0
	v_cmp_gt_i32_e64 s[10:11], s13, v68
	v_lshl_add_u64 v[66:67], v[64:65], 2, s[16:17]
	v_mad_i64_i32 v[64:65], s[18:19], v68, s20, 0
	v_lshl_add_u64 v[64:65], v[64:65], 2, s[14:15]
	s_and_b64 s[22:23], s[2:3], s[10:11]
	s_and_saveexec_b64 s[18:19], s[22:23]
	s_cbranch_execnz .LBB13_128
; %bb.125:
	s_or_b64 exec, exec, s[18:19]
	s_and_b64 s[22:23], s[4:5], s[10:11]
	s_and_saveexec_b64 s[18:19], s[22:23]
	s_cbranch_execnz .LBB13_132
.LBB13_126:
	s_or_b64 exec, exec, s[18:19]
	s_and_b64 s[22:23], s[6:7], s[10:11]
	s_and_saveexec_b64 s[18:19], s[22:23]
	s_cbranch_execnz .LBB13_136
.LBB13_127:
	s_or_b64 exec, exec, s[18:19]
	s_and_b64 s[18:19], s[8:9], s[10:11]
	s_and_saveexec_b64 s[10:11], s[18:19]
	s_cbranch_execnz .LBB13_140
	s_branch .LBB13_144
.LBB13_128:
	s_and_b64 vcc, exec, s[0:1]
	s_cbranch_vccnz .LBB13_130
; %bb.129:
	v_lshl_add_u64 v[68:69], v[80:81], 2, v[66:67]
	flat_load_dword v68, v[68:69]
	s_waitcnt vmcnt(0) lgkmcnt(0)
	v_mul_f32_e32 v68, s26, v68
	s_branch .LBB13_131
.LBB13_130:
	v_mov_b32_e32 v68, 0
.LBB13_131:
	v_pk_add_f32 v[70:71], v[16:17], v[60:61]
	s_nop 0
	v_min3_f32 v69, v70, v71, v151
	v_pk_add_f32 v[70:71], v[18:19], v[62:63]
	s_nop 0
	v_min_f32_e32 v70, v70, v71
	v_min3_f32 v70, v68, v70, v69
	v_lshl_add_u64 v[68:69], v[80:81], 2, v[64:65]
	global_store_dword v[68:69], v70, off
	s_or_b64 exec, exec, s[18:19]
	s_and_b64 s[22:23], s[4:5], s[10:11]
	s_and_saveexec_b64 s[18:19], s[22:23]
	s_cbranch_execz .LBB13_126
.LBB13_132:
	s_and_b64 vcc, exec, s[0:1]
	s_cbranch_vccnz .LBB13_134
; %bb.133:
	v_lshl_add_u64 v[68:69], v[82:83], 2, v[66:67]
	flat_load_dword v68, v[68:69]
	s_waitcnt vmcnt(0) lgkmcnt(0)
	v_mul_f32_e32 v68, s26, v68
	s_branch .LBB13_135
.LBB13_134:
	v_mov_b32_e32 v68, 0
.LBB13_135:
	v_pk_add_f32 v[70:71], v[12:13], v[60:61]
	s_nop 0
	v_min3_f32 v69, v70, v71, v149
	v_pk_add_f32 v[70:71], v[14:15], v[62:63]
	s_nop 0
	v_min_f32_e32 v70, v70, v71
	v_min3_f32 v70, v68, v70, v69
	v_lshl_add_u64 v[68:69], v[82:83], 2, v[64:65]
	global_store_dword v[68:69], v70, off
	s_or_b64 exec, exec, s[18:19]
	s_and_b64 s[22:23], s[6:7], s[10:11]
	s_and_saveexec_b64 s[18:19], s[22:23]
	s_cbranch_execz .LBB13_127
.LBB13_136:
	s_and_b64 vcc, exec, s[0:1]
	s_cbranch_vccnz .LBB13_138
; %bb.137:
	v_lshl_add_u64 v[68:69], v[84:85], 2, v[66:67]
	flat_load_dword v68, v[68:69]
	s_waitcnt vmcnt(0) lgkmcnt(0)
	v_mul_f32_e32 v68, s26, v68
	s_branch .LBB13_139
.LBB13_138:
	v_mov_b32_e32 v68, 0
.LBB13_139:
	v_pk_add_f32 v[70:71], v[8:9], v[60:61]
	s_nop 0
	v_min3_f32 v69, v70, v71, v148
	v_pk_add_f32 v[70:71], v[10:11], v[62:63]
	s_nop 0
	v_min_f32_e32 v70, v70, v71
	v_min3_f32 v70, v68, v70, v69
	v_lshl_add_u64 v[68:69], v[84:85], 2, v[64:65]
	global_store_dword v[68:69], v70, off
	s_or_b64 exec, exec, s[18:19]
	s_and_b64 s[18:19], s[8:9], s[10:11]
	s_and_saveexec_b64 s[10:11], s[18:19]
	s_cbranch_execz .LBB13_144
.LBB13_140:
	s_and_b64 vcc, exec, s[0:1]
	s_cbranch_vccnz .LBB13_142
; %bb.141:
	v_lshl_add_u64 v[66:67], v[86:87], 2, v[66:67]
	flat_load_dword v66, v[66:67]
	s_waitcnt vmcnt(0) lgkmcnt(0)
	v_mul_f32_e32 v66, s26, v66
	s_branch .LBB13_143
.LBB13_142:
	v_mov_b32_e32 v66, 0
.LBB13_143:
	v_pk_add_f32 v[60:61], v[0:1], v[60:61]
	s_nop 0
	v_min3_f32 v67, v60, v61, v147
	v_pk_add_f32 v[60:61], v[2:3], v[62:63]
	s_nop 0
	v_min_f32_e32 v60, v60, v61
	v_min3_f32 v62, v66, v60, v67
	v_lshl_add_u64 v[60:61], v[86:87], 2, v[64:65]
	global_store_dword v[60:61], v62, off
.LBB13_144:
	s_or_b64 exec, exec, s[10:11]
	v_add_u32_e32 v64, 40, v92
	v_mad_i64_i32 v[60:61], s[18:19], v64, s21, 0
	v_cmp_gt_i32_e64 s[10:11], s13, v64
	v_lshl_add_u64 v[62:63], v[60:61], 2, s[16:17]
	v_mad_i64_i32 v[60:61], s[18:19], v64, s20, 0
	v_lshl_add_u64 v[60:61], v[60:61], 2, s[14:15]
	s_and_b64 s[22:23], s[2:3], s[10:11]
	s_and_saveexec_b64 s[18:19], s[22:23]
	s_cbranch_execnz .LBB13_148
; %bb.145:
	s_or_b64 exec, exec, s[18:19]
	s_and_b64 s[22:23], s[4:5], s[10:11]
	s_and_saveexec_b64 s[18:19], s[22:23]
	s_cbranch_execnz .LBB13_152
.LBB13_146:
	s_or_b64 exec, exec, s[18:19]
	s_and_b64 s[22:23], s[6:7], s[10:11]
	s_and_saveexec_b64 s[18:19], s[22:23]
	s_cbranch_execnz .LBB13_156
.LBB13_147:
	s_or_b64 exec, exec, s[18:19]
	s_and_b64 s[18:19], s[8:9], s[10:11]
	s_and_saveexec_b64 s[10:11], s[18:19]
	s_cbranch_execnz .LBB13_160
	s_branch .LBB13_164
.LBB13_148:
	s_and_b64 vcc, exec, s[0:1]
	s_cbranch_vccnz .LBB13_150
; %bb.149:
	v_lshl_add_u64 v[64:65], v[80:81], 2, v[62:63]
	flat_load_dword v64, v[64:65]
	s_waitcnt vmcnt(0) lgkmcnt(0)
	v_mul_f32_e32 v64, s26, v64
	s_branch .LBB13_151
.LBB13_150:
	v_mov_b32_e32 v64, 0
.LBB13_151:
	v_pk_add_f32 v[66:67], v[16:17], v[56:57]
	s_nop 0
	v_min3_f32 v65, v66, v67, v146
	v_pk_add_f32 v[66:67], v[18:19], v[58:59]
	s_nop 0
	v_min_f32_e32 v66, v66, v67
	v_min3_f32 v66, v64, v66, v65
	v_lshl_add_u64 v[64:65], v[80:81], 2, v[60:61]
	global_store_dword v[64:65], v66, off
	s_or_b64 exec, exec, s[18:19]
	s_and_b64 s[22:23], s[4:5], s[10:11]
	s_and_saveexec_b64 s[18:19], s[22:23]
	s_cbranch_execz .LBB13_146
.LBB13_152:
	s_and_b64 vcc, exec, s[0:1]
	s_cbranch_vccnz .LBB13_154
; %bb.153:
	v_lshl_add_u64 v[64:65], v[82:83], 2, v[62:63]
	flat_load_dword v64, v[64:65]
	s_waitcnt vmcnt(0) lgkmcnt(0)
	v_mul_f32_e32 v64, s26, v64
	s_branch .LBB13_155
.LBB13_154:
	v_mov_b32_e32 v64, 0
.LBB13_155:
	v_pk_add_f32 v[66:67], v[12:13], v[56:57]
	s_nop 0
	v_min3_f32 v65, v66, v67, v145
	v_pk_add_f32 v[66:67], v[14:15], v[58:59]
	s_nop 0
	v_min_f32_e32 v66, v66, v67
	v_min3_f32 v66, v64, v66, v65
	v_lshl_add_u64 v[64:65], v[82:83], 2, v[60:61]
	global_store_dword v[64:65], v66, off
	s_or_b64 exec, exec, s[18:19]
	s_and_b64 s[22:23], s[6:7], s[10:11]
	s_and_saveexec_b64 s[18:19], s[22:23]
	s_cbranch_execz .LBB13_147
.LBB13_156:
	s_and_b64 vcc, exec, s[0:1]
	s_cbranch_vccnz .LBB13_158
; %bb.157:
	v_lshl_add_u64 v[64:65], v[84:85], 2, v[62:63]
	flat_load_dword v64, v[64:65]
	s_waitcnt vmcnt(0) lgkmcnt(0)
	v_mul_f32_e32 v64, s26, v64
	s_branch .LBB13_159
.LBB13_158:
	v_mov_b32_e32 v64, 0
.LBB13_159:
	v_pk_add_f32 v[66:67], v[8:9], v[56:57]
	s_nop 0
	v_min3_f32 v65, v66, v67, v143
	v_pk_add_f32 v[66:67], v[10:11], v[58:59]
	s_nop 0
	v_min_f32_e32 v66, v66, v67
	v_min3_f32 v66, v64, v66, v65
	v_lshl_add_u64 v[64:65], v[84:85], 2, v[60:61]
	global_store_dword v[64:65], v66, off
	s_or_b64 exec, exec, s[18:19]
	s_and_b64 s[18:19], s[8:9], s[10:11]
	s_and_saveexec_b64 s[10:11], s[18:19]
	s_cbranch_execz .LBB13_164
.LBB13_160:
	s_and_b64 vcc, exec, s[0:1]
	s_cbranch_vccnz .LBB13_162
; %bb.161:
	v_lshl_add_u64 v[62:63], v[86:87], 2, v[62:63]
	flat_load_dword v62, v[62:63]
	s_waitcnt vmcnt(0) lgkmcnt(0)
	v_mul_f32_e32 v62, s26, v62
	s_branch .LBB13_163
.LBB13_162:
	v_mov_b32_e32 v62, 0
.LBB13_163:
	v_pk_add_f32 v[56:57], v[0:1], v[56:57]
	s_nop 0
	v_min3_f32 v63, v56, v57, v142
	v_pk_add_f32 v[56:57], v[2:3], v[58:59]
	s_nop 0
	v_min_f32_e32 v56, v56, v57
	v_min3_f32 v58, v62, v56, v63
	v_lshl_add_u64 v[56:57], v[86:87], 2, v[60:61]
	global_store_dword v[56:57], v58, off
.LBB13_164:
	s_or_b64 exec, exec, s[10:11]
	v_add_u32_e32 v60, 48, v92
	v_mad_i64_i32 v[56:57], s[18:19], v60, s21, 0
	v_cmp_gt_i32_e64 s[10:11], s13, v60
	v_lshl_add_u64 v[58:59], v[56:57], 2, s[16:17]
	v_mad_i64_i32 v[56:57], s[18:19], v60, s20, 0
	v_lshl_add_u64 v[56:57], v[56:57], 2, s[14:15]
	s_and_b64 s[22:23], s[2:3], s[10:11]
	s_and_saveexec_b64 s[18:19], s[22:23]
	s_cbranch_execnz .LBB13_168
; %bb.165:
	s_or_b64 exec, exec, s[18:19]
	s_and_b64 s[22:23], s[4:5], s[10:11]
	s_and_saveexec_b64 s[18:19], s[22:23]
	s_cbranch_execnz .LBB13_172
.LBB13_166:
	s_or_b64 exec, exec, s[18:19]
	s_and_b64 s[22:23], s[6:7], s[10:11]
	s_and_saveexec_b64 s[18:19], s[22:23]
	s_cbranch_execnz .LBB13_176
.LBB13_167:
	s_or_b64 exec, exec, s[18:19]
	s_and_b64 s[18:19], s[8:9], s[10:11]
	s_and_saveexec_b64 s[10:11], s[18:19]
	s_cbranch_execnz .LBB13_180
	s_branch .LBB13_184
.LBB13_168:
	s_and_b64 vcc, exec, s[0:1]
	s_cbranch_vccnz .LBB13_170
; %bb.169:
	v_lshl_add_u64 v[60:61], v[80:81], 2, v[58:59]
	flat_load_dword v60, v[60:61]
	s_waitcnt vmcnt(0) lgkmcnt(0)
	v_mul_f32_e32 v60, s26, v60
	s_branch .LBB13_171
.LBB13_170:
	v_mov_b32_e32 v60, 0
.LBB13_171:
	v_pk_add_f32 v[62:63], v[16:17], v[52:53]
	s_nop 0
	v_min3_f32 v61, v62, v63, v139
	v_pk_add_f32 v[62:63], v[18:19], v[54:55]
	s_nop 0
	v_min_f32_e32 v62, v62, v63
	v_min3_f32 v62, v60, v62, v61
	v_lshl_add_u64 v[60:61], v[80:81], 2, v[56:57]
	global_store_dword v[60:61], v62, off
	s_or_b64 exec, exec, s[18:19]
	s_and_b64 s[22:23], s[4:5], s[10:11]
	s_and_saveexec_b64 s[18:19], s[22:23]
	s_cbranch_execz .LBB13_166
.LBB13_172:
	s_and_b64 vcc, exec, s[0:1]
	s_cbranch_vccnz .LBB13_174
; %bb.173:
	v_lshl_add_u64 v[60:61], v[82:83], 2, v[58:59]
	flat_load_dword v60, v[60:61]
	s_waitcnt vmcnt(0) lgkmcnt(0)
	v_mul_f32_e32 v60, s26, v60
	s_branch .LBB13_175
.LBB13_174:
	v_mov_b32_e32 v60, 0
.LBB13_175:
	v_pk_add_f32 v[62:63], v[12:13], v[52:53]
	s_nop 0
	v_min3_f32 v61, v62, v63, v138
	v_pk_add_f32 v[62:63], v[14:15], v[54:55]
	s_nop 0
	v_min_f32_e32 v62, v62, v63
	v_min3_f32 v62, v60, v62, v61
	v_lshl_add_u64 v[60:61], v[82:83], 2, v[56:57]
	global_store_dword v[60:61], v62, off
	s_or_b64 exec, exec, s[18:19]
	s_and_b64 s[22:23], s[6:7], s[10:11]
	s_and_saveexec_b64 s[18:19], s[22:23]
	s_cbranch_execz .LBB13_167
.LBB13_176:
	s_and_b64 vcc, exec, s[0:1]
	s_cbranch_vccnz .LBB13_178
; %bb.177:
	v_lshl_add_u64 v[60:61], v[84:85], 2, v[58:59]
	flat_load_dword v60, v[60:61]
	s_waitcnt vmcnt(0) lgkmcnt(0)
	v_mul_f32_e32 v60, s26, v60
	s_branch .LBB13_179
.LBB13_178:
	v_mov_b32_e32 v60, 0
.LBB13_179:
	v_pk_add_f32 v[62:63], v[8:9], v[52:53]
	s_nop 0
	v_min3_f32 v61, v62, v63, v137
	v_pk_add_f32 v[62:63], v[10:11], v[54:55]
	s_nop 0
	v_min_f32_e32 v62, v62, v63
	v_min3_f32 v62, v60, v62, v61
	v_lshl_add_u64 v[60:61], v[84:85], 2, v[56:57]
	global_store_dword v[60:61], v62, off
	s_or_b64 exec, exec, s[18:19]
	s_and_b64 s[18:19], s[8:9], s[10:11]
	s_and_saveexec_b64 s[10:11], s[18:19]
	s_cbranch_execz .LBB13_184
.LBB13_180:
	s_and_b64 vcc, exec, s[0:1]
	s_cbranch_vccnz .LBB13_182
; %bb.181:
	v_lshl_add_u64 v[58:59], v[86:87], 2, v[58:59]
	flat_load_dword v58, v[58:59]
	s_waitcnt vmcnt(0) lgkmcnt(0)
	v_mul_f32_e32 v58, s26, v58
	s_branch .LBB13_183
.LBB13_182:
	v_mov_b32_e32 v58, 0
.LBB13_183:
	v_pk_add_f32 v[52:53], v[0:1], v[52:53]
	s_nop 0
	v_min3_f32 v59, v52, v53, v136
	v_pk_add_f32 v[52:53], v[2:3], v[54:55]
	s_nop 0
	v_min_f32_e32 v52, v52, v53
	v_min3_f32 v54, v58, v52, v59
	v_lshl_add_u64 v[52:53], v[86:87], 2, v[56:57]
	global_store_dword v[52:53], v54, off
.LBB13_184:
	s_or_b64 exec, exec, s[10:11]
	v_add_u32_e32 v56, 56, v92
	v_mad_i64_i32 v[52:53], s[18:19], v56, s21, 0
	v_cmp_gt_i32_e64 s[10:11], s13, v56
	v_lshl_add_u64 v[54:55], v[52:53], 2, s[16:17]
	v_mad_i64_i32 v[52:53], s[18:19], v56, s20, 0
	v_lshl_add_u64 v[52:53], v[52:53], 2, s[14:15]
	s_and_b64 s[22:23], s[2:3], s[10:11]
	s_and_saveexec_b64 s[18:19], s[22:23]
	s_cbranch_execnz .LBB13_188
; %bb.185:
	s_or_b64 exec, exec, s[18:19]
	s_and_b64 s[22:23], s[4:5], s[10:11]
	s_and_saveexec_b64 s[18:19], s[22:23]
	s_cbranch_execnz .LBB13_192
.LBB13_186:
	s_or_b64 exec, exec, s[18:19]
	s_and_b64 s[22:23], s[6:7], s[10:11]
	s_and_saveexec_b64 s[18:19], s[22:23]
	s_cbranch_execnz .LBB13_196
.LBB13_187:
	s_or_b64 exec, exec, s[18:19]
	s_and_b64 s[18:19], s[8:9], s[10:11]
	s_and_saveexec_b64 s[10:11], s[18:19]
	s_cbranch_execnz .LBB13_200
	s_branch .LBB13_204
.LBB13_188:
	s_and_b64 vcc, exec, s[0:1]
	s_cbranch_vccnz .LBB13_190
; %bb.189:
	v_lshl_add_u64 v[56:57], v[80:81], 2, v[54:55]
	flat_load_dword v56, v[56:57]
	s_waitcnt vmcnt(0) lgkmcnt(0)
	v_mul_f32_e32 v56, s26, v56
	s_branch .LBB13_191
.LBB13_190:
	v_mov_b32_e32 v56, 0
.LBB13_191:
	v_pk_add_f32 v[58:59], v[16:17], v[48:49]
	s_nop 0
	v_min3_f32 v57, v58, v59, v135
	v_pk_add_f32 v[58:59], v[18:19], v[50:51]
	s_nop 0
	v_min_f32_e32 v58, v58, v59
	v_min3_f32 v58, v56, v58, v57
	v_lshl_add_u64 v[56:57], v[80:81], 2, v[52:53]
	global_store_dword v[56:57], v58, off
	s_or_b64 exec, exec, s[18:19]
	s_and_b64 s[22:23], s[4:5], s[10:11]
	s_and_saveexec_b64 s[18:19], s[22:23]
	s_cbranch_execz .LBB13_186
.LBB13_192:
	s_and_b64 vcc, exec, s[0:1]
	s_cbranch_vccnz .LBB13_194
; %bb.193:
	v_lshl_add_u64 v[56:57], v[82:83], 2, v[54:55]
	flat_load_dword v56, v[56:57]
	s_waitcnt vmcnt(0) lgkmcnt(0)
	v_mul_f32_e32 v56, s26, v56
	s_branch .LBB13_195
.LBB13_194:
	v_mov_b32_e32 v56, 0
.LBB13_195:
	v_pk_add_f32 v[58:59], v[12:13], v[48:49]
	s_nop 0
	v_min3_f32 v57, v58, v59, v134
	v_pk_add_f32 v[58:59], v[14:15], v[50:51]
	s_nop 0
	v_min_f32_e32 v58, v58, v59
	v_min3_f32 v58, v56, v58, v57
	v_lshl_add_u64 v[56:57], v[82:83], 2, v[52:53]
	global_store_dword v[56:57], v58, off
	s_or_b64 exec, exec, s[18:19]
	s_and_b64 s[22:23], s[6:7], s[10:11]
	s_and_saveexec_b64 s[18:19], s[22:23]
	s_cbranch_execz .LBB13_187
.LBB13_196:
	s_and_b64 vcc, exec, s[0:1]
	s_cbranch_vccnz .LBB13_198
; %bb.197:
	v_lshl_add_u64 v[56:57], v[84:85], 2, v[54:55]
	flat_load_dword v56, v[56:57]
	s_waitcnt vmcnt(0) lgkmcnt(0)
	v_mul_f32_e32 v56, s26, v56
	s_branch .LBB13_199
.LBB13_198:
	v_mov_b32_e32 v56, 0
.LBB13_199:
	v_pk_add_f32 v[58:59], v[8:9], v[48:49]
	s_nop 0
	v_min3_f32 v57, v58, v59, v133
	v_pk_add_f32 v[58:59], v[10:11], v[50:51]
	s_nop 0
	v_min_f32_e32 v58, v58, v59
	v_min3_f32 v58, v56, v58, v57
	v_lshl_add_u64 v[56:57], v[84:85], 2, v[52:53]
	global_store_dword v[56:57], v58, off
	s_or_b64 exec, exec, s[18:19]
	s_and_b64 s[18:19], s[8:9], s[10:11]
	s_and_saveexec_b64 s[10:11], s[18:19]
	s_cbranch_execz .LBB13_204
.LBB13_200:
	s_and_b64 vcc, exec, s[0:1]
	s_cbranch_vccnz .LBB13_202
; %bb.201:
	v_lshl_add_u64 v[54:55], v[86:87], 2, v[54:55]
	flat_load_dword v54, v[54:55]
	s_waitcnt vmcnt(0) lgkmcnt(0)
	v_mul_f32_e32 v54, s26, v54
	s_branch .LBB13_203
.LBB13_202:
	v_mov_b32_e32 v54, 0
.LBB13_203:
	v_pk_add_f32 v[48:49], v[0:1], v[48:49]
	s_nop 0
	v_min3_f32 v55, v48, v49, v130
	v_pk_add_f32 v[48:49], v[2:3], v[50:51]
	s_nop 0
	v_min_f32_e32 v48, v48, v49
	v_min3_f32 v50, v54, v48, v55
	v_lshl_add_u64 v[48:49], v[86:87], 2, v[52:53]
	global_store_dword v[48:49], v50, off
.LBB13_204:
	s_or_b64 exec, exec, s[10:11]
	v_add_u32_e32 v52, 64, v92
	v_mad_i64_i32 v[48:49], s[18:19], v52, s21, 0
	v_cmp_gt_i32_e64 s[10:11], s13, v52
	v_lshl_add_u64 v[50:51], v[48:49], 2, s[16:17]
	v_mad_i64_i32 v[48:49], s[18:19], v52, s20, 0
	v_lshl_add_u64 v[48:49], v[48:49], 2, s[14:15]
	s_and_b64 s[22:23], s[2:3], s[10:11]
	s_and_saveexec_b64 s[18:19], s[22:23]
	s_cbranch_execnz .LBB13_208
; %bb.205:
	s_or_b64 exec, exec, s[18:19]
	s_and_b64 s[22:23], s[4:5], s[10:11]
	s_and_saveexec_b64 s[18:19], s[22:23]
	s_cbranch_execnz .LBB13_212
.LBB13_206:
	s_or_b64 exec, exec, s[18:19]
	s_and_b64 s[22:23], s[6:7], s[10:11]
	s_and_saveexec_b64 s[18:19], s[22:23]
	s_cbranch_execnz .LBB13_216
.LBB13_207:
	s_or_b64 exec, exec, s[18:19]
	s_and_b64 s[18:19], s[8:9], s[10:11]
	s_and_saveexec_b64 s[10:11], s[18:19]
	s_cbranch_execnz .LBB13_220
	s_branch .LBB13_224
.LBB13_208:
	s_and_b64 vcc, exec, s[0:1]
	s_cbranch_vccnz .LBB13_210
; %bb.209:
	v_lshl_add_u64 v[52:53], v[80:81], 2, v[50:51]
	flat_load_dword v52, v[52:53]
	s_waitcnt vmcnt(0) lgkmcnt(0)
	v_mul_f32_e32 v52, s26, v52
	s_branch .LBB13_211
.LBB13_210:
	v_mov_b32_e32 v52, 0
.LBB13_211:
	v_pk_add_f32 v[54:55], v[16:17], v[44:45]
	s_nop 0
	v_min3_f32 v53, v54, v55, v129
	v_pk_add_f32 v[54:55], v[18:19], v[46:47]
	s_nop 0
	v_min_f32_e32 v54, v54, v55
	v_min3_f32 v54, v52, v54, v53
	v_lshl_add_u64 v[52:53], v[80:81], 2, v[48:49]
	global_store_dword v[52:53], v54, off
	s_or_b64 exec, exec, s[18:19]
	s_and_b64 s[22:23], s[4:5], s[10:11]
	s_and_saveexec_b64 s[18:19], s[22:23]
	s_cbranch_execz .LBB13_206
.LBB13_212:
	s_and_b64 vcc, exec, s[0:1]
	s_cbranch_vccnz .LBB13_214
; %bb.213:
	v_lshl_add_u64 v[52:53], v[82:83], 2, v[50:51]
	flat_load_dword v52, v[52:53]
	s_waitcnt vmcnt(0) lgkmcnt(0)
	v_mul_f32_e32 v52, s26, v52
	s_branch .LBB13_215
.LBB13_214:
	v_mov_b32_e32 v52, 0
.LBB13_215:
	v_pk_add_f32 v[54:55], v[12:13], v[44:45]
	s_nop 0
	v_min3_f32 v53, v54, v55, v128
	v_pk_add_f32 v[54:55], v[14:15], v[46:47]
	s_nop 0
	v_min_f32_e32 v54, v54, v55
	v_min3_f32 v54, v52, v54, v53
	v_lshl_add_u64 v[52:53], v[82:83], 2, v[48:49]
	global_store_dword v[52:53], v54, off
	s_or_b64 exec, exec, s[18:19]
	s_and_b64 s[22:23], s[6:7], s[10:11]
	s_and_saveexec_b64 s[18:19], s[22:23]
	s_cbranch_execz .LBB13_207
.LBB13_216:
	s_and_b64 vcc, exec, s[0:1]
	s_cbranch_vccnz .LBB13_218
; %bb.217:
	v_lshl_add_u64 v[52:53], v[84:85], 2, v[50:51]
	flat_load_dword v52, v[52:53]
	s_waitcnt vmcnt(0) lgkmcnt(0)
	v_mul_f32_e32 v52, s26, v52
	s_branch .LBB13_219
.LBB13_218:
	v_mov_b32_e32 v52, 0
.LBB13_219:
	v_pk_add_f32 v[54:55], v[8:9], v[44:45]
	s_nop 0
	v_min3_f32 v53, v54, v55, v127
	v_pk_add_f32 v[54:55], v[10:11], v[46:47]
	s_nop 0
	v_min_f32_e32 v54, v54, v55
	v_min3_f32 v54, v52, v54, v53
	v_lshl_add_u64 v[52:53], v[84:85], 2, v[48:49]
	global_store_dword v[52:53], v54, off
	s_or_b64 exec, exec, s[18:19]
	s_and_b64 s[18:19], s[8:9], s[10:11]
	s_and_saveexec_b64 s[10:11], s[18:19]
	s_cbranch_execz .LBB13_224
.LBB13_220:
	s_and_b64 vcc, exec, s[0:1]
	s_cbranch_vccnz .LBB13_222
; %bb.221:
	v_lshl_add_u64 v[50:51], v[86:87], 2, v[50:51]
	flat_load_dword v50, v[50:51]
	s_waitcnt vmcnt(0) lgkmcnt(0)
	v_mul_f32_e32 v50, s26, v50
	s_branch .LBB13_223
.LBB13_222:
	v_mov_b32_e32 v50, 0
.LBB13_223:
	v_pk_add_f32 v[44:45], v[0:1], v[44:45]
	s_nop 0
	v_min3_f32 v51, v44, v45, v126
	v_pk_add_f32 v[44:45], v[2:3], v[46:47]
	s_nop 0
	v_min_f32_e32 v44, v44, v45
	v_min3_f32 v46, v50, v44, v51
	v_lshl_add_u64 v[44:45], v[86:87], 2, v[48:49]
	global_store_dword v[44:45], v46, off
.LBB13_224:
	s_or_b64 exec, exec, s[10:11]
	v_add_u32_e32 v48, 0x48, v92
	v_mad_i64_i32 v[44:45], s[18:19], v48, s21, 0
	v_cmp_gt_i32_e64 s[10:11], s13, v48
	v_lshl_add_u64 v[46:47], v[44:45], 2, s[16:17]
	v_mad_i64_i32 v[44:45], s[18:19], v48, s20, 0
	v_lshl_add_u64 v[44:45], v[44:45], 2, s[14:15]
	s_and_b64 s[22:23], s[2:3], s[10:11]
	s_and_saveexec_b64 s[18:19], s[22:23]
	s_cbranch_execnz .LBB13_228
; %bb.225:
	s_or_b64 exec, exec, s[18:19]
	s_and_b64 s[22:23], s[4:5], s[10:11]
	s_and_saveexec_b64 s[18:19], s[22:23]
	s_cbranch_execnz .LBB13_232
.LBB13_226:
	s_or_b64 exec, exec, s[18:19]
	s_and_b64 s[22:23], s[6:7], s[10:11]
	s_and_saveexec_b64 s[18:19], s[22:23]
	s_cbranch_execnz .LBB13_236
.LBB13_227:
	s_or_b64 exec, exec, s[18:19]
	s_and_b64 s[18:19], s[8:9], s[10:11]
	s_and_saveexec_b64 s[10:11], s[18:19]
	s_cbranch_execnz .LBB13_240
	s_branch .LBB13_244
.LBB13_228:
	s_and_b64 vcc, exec, s[0:1]
	s_cbranch_vccnz .LBB13_230
; %bb.229:
	v_lshl_add_u64 v[48:49], v[80:81], 2, v[46:47]
	flat_load_dword v48, v[48:49]
	s_waitcnt vmcnt(0) lgkmcnt(0)
	v_mul_f32_e32 v48, s26, v48
	s_branch .LBB13_231
.LBB13_230:
	v_mov_b32_e32 v48, 0
.LBB13_231:
	v_pk_add_f32 v[50:51], v[16:17], v[40:41]
	s_nop 0
	v_min3_f32 v49, v50, v51, v125
	v_pk_add_f32 v[50:51], v[18:19], v[42:43]
	s_nop 0
	v_min_f32_e32 v50, v50, v51
	v_min3_f32 v50, v48, v50, v49
	v_lshl_add_u64 v[48:49], v[80:81], 2, v[44:45]
	global_store_dword v[48:49], v50, off
	s_or_b64 exec, exec, s[18:19]
	s_and_b64 s[22:23], s[4:5], s[10:11]
	s_and_saveexec_b64 s[18:19], s[22:23]
	s_cbranch_execz .LBB13_226
.LBB13_232:
	s_and_b64 vcc, exec, s[0:1]
	s_cbranch_vccnz .LBB13_234
; %bb.233:
	v_lshl_add_u64 v[48:49], v[82:83], 2, v[46:47]
	flat_load_dword v48, v[48:49]
	s_waitcnt vmcnt(0) lgkmcnt(0)
	v_mul_f32_e32 v48, s26, v48
	s_branch .LBB13_235
.LBB13_234:
	v_mov_b32_e32 v48, 0
.LBB13_235:
	v_pk_add_f32 v[50:51], v[12:13], v[40:41]
	s_nop 0
	v_min3_f32 v49, v50, v51, v124
	v_pk_add_f32 v[50:51], v[14:15], v[42:43]
	s_nop 0
	v_min_f32_e32 v50, v50, v51
	v_min3_f32 v50, v48, v50, v49
	v_lshl_add_u64 v[48:49], v[82:83], 2, v[44:45]
	global_store_dword v[48:49], v50, off
	s_or_b64 exec, exec, s[18:19]
	s_and_b64 s[22:23], s[6:7], s[10:11]
	s_and_saveexec_b64 s[18:19], s[22:23]
	s_cbranch_execz .LBB13_227
.LBB13_236:
	s_and_b64 vcc, exec, s[0:1]
	s_cbranch_vccnz .LBB13_238
; %bb.237:
	v_lshl_add_u64 v[48:49], v[84:85], 2, v[46:47]
	flat_load_dword v48, v[48:49]
	s_waitcnt vmcnt(0) lgkmcnt(0)
	v_mul_f32_e32 v48, s26, v48
	s_branch .LBB13_239
.LBB13_238:
	v_mov_b32_e32 v48, 0
.LBB13_239:
	v_pk_add_f32 v[50:51], v[8:9], v[40:41]
	s_nop 0
	v_min3_f32 v49, v50, v51, v123
	v_pk_add_f32 v[50:51], v[10:11], v[42:43]
	s_nop 0
	v_min_f32_e32 v50, v50, v51
	v_min3_f32 v50, v48, v50, v49
	v_lshl_add_u64 v[48:49], v[84:85], 2, v[44:45]
	global_store_dword v[48:49], v50, off
	s_or_b64 exec, exec, s[18:19]
	s_and_b64 s[18:19], s[8:9], s[10:11]
	s_and_saveexec_b64 s[10:11], s[18:19]
	s_cbranch_execz .LBB13_244
.LBB13_240:
	s_and_b64 vcc, exec, s[0:1]
	s_cbranch_vccnz .LBB13_242
; %bb.241:
	v_lshl_add_u64 v[46:47], v[86:87], 2, v[46:47]
	flat_load_dword v46, v[46:47]
	s_waitcnt vmcnt(0) lgkmcnt(0)
	v_mul_f32_e32 v46, s26, v46
	s_branch .LBB13_243
.LBB13_242:
	v_mov_b32_e32 v46, 0
.LBB13_243:
	v_pk_add_f32 v[40:41], v[0:1], v[40:41]
	s_nop 0
	v_min3_f32 v47, v40, v41, v122
	v_pk_add_f32 v[40:41], v[2:3], v[42:43]
	s_nop 0
	v_min_f32_e32 v40, v40, v41
	v_min3_f32 v42, v46, v40, v47
	v_lshl_add_u64 v[40:41], v[86:87], 2, v[44:45]
	global_store_dword v[40:41], v42, off
.LBB13_244:
	s_or_b64 exec, exec, s[10:11]
	v_add_u32_e32 v44, 0x50, v92
	v_mad_i64_i32 v[40:41], s[18:19], v44, s21, 0
	v_cmp_gt_i32_e64 s[10:11], s13, v44
	v_lshl_add_u64 v[42:43], v[40:41], 2, s[16:17]
	v_mad_i64_i32 v[40:41], s[18:19], v44, s20, 0
	v_lshl_add_u64 v[40:41], v[40:41], 2, s[14:15]
	s_and_b64 s[22:23], s[2:3], s[10:11]
	s_and_saveexec_b64 s[18:19], s[22:23]
	s_cbranch_execnz .LBB13_248
; %bb.245:
	s_or_b64 exec, exec, s[18:19]
	s_and_b64 s[22:23], s[4:5], s[10:11]
	s_and_saveexec_b64 s[18:19], s[22:23]
	s_cbranch_execnz .LBB13_252
.LBB13_246:
	s_or_b64 exec, exec, s[18:19]
	s_and_b64 s[22:23], s[6:7], s[10:11]
	s_and_saveexec_b64 s[18:19], s[22:23]
	s_cbranch_execnz .LBB13_256
.LBB13_247:
	s_or_b64 exec, exec, s[18:19]
	s_and_b64 s[18:19], s[8:9], s[10:11]
	s_and_saveexec_b64 s[10:11], s[18:19]
	s_cbranch_execnz .LBB13_260
	s_branch .LBB13_264
.LBB13_248:
	s_and_b64 vcc, exec, s[0:1]
	s_cbranch_vccnz .LBB13_250
; %bb.249:
	v_lshl_add_u64 v[44:45], v[80:81], 2, v[42:43]
	flat_load_dword v44, v[44:45]
	s_waitcnt vmcnt(0) lgkmcnt(0)
	v_mul_f32_e32 v44, s26, v44
	s_branch .LBB13_251
.LBB13_250:
	v_mov_b32_e32 v44, 0
.LBB13_251:
	v_pk_add_f32 v[46:47], v[16:17], v[36:37]
	s_nop 0
	v_min3_f32 v45, v46, v47, v121
	v_pk_add_f32 v[46:47], v[18:19], v[38:39]
	s_nop 0
	v_min_f32_e32 v46, v46, v47
	v_min3_f32 v46, v44, v46, v45
	v_lshl_add_u64 v[44:45], v[80:81], 2, v[40:41]
	global_store_dword v[44:45], v46, off
	s_or_b64 exec, exec, s[18:19]
	s_and_b64 s[22:23], s[4:5], s[10:11]
	s_and_saveexec_b64 s[18:19], s[22:23]
	s_cbranch_execz .LBB13_246
.LBB13_252:
	s_and_b64 vcc, exec, s[0:1]
	s_cbranch_vccnz .LBB13_254
; %bb.253:
	v_lshl_add_u64 v[44:45], v[82:83], 2, v[42:43]
	flat_load_dword v44, v[44:45]
	s_waitcnt vmcnt(0) lgkmcnt(0)
	v_mul_f32_e32 v44, s26, v44
	s_branch .LBB13_255
.LBB13_254:
	v_mov_b32_e32 v44, 0
.LBB13_255:
	v_pk_add_f32 v[46:47], v[12:13], v[36:37]
	s_nop 0
	v_min3_f32 v45, v46, v47, v120
	v_pk_add_f32 v[46:47], v[14:15], v[38:39]
	s_nop 0
	v_min_f32_e32 v46, v46, v47
	v_min3_f32 v46, v44, v46, v45
	v_lshl_add_u64 v[44:45], v[82:83], 2, v[40:41]
	global_store_dword v[44:45], v46, off
	s_or_b64 exec, exec, s[18:19]
	s_and_b64 s[22:23], s[6:7], s[10:11]
	s_and_saveexec_b64 s[18:19], s[22:23]
	s_cbranch_execz .LBB13_247
.LBB13_256:
	s_and_b64 vcc, exec, s[0:1]
	s_cbranch_vccnz .LBB13_258
; %bb.257:
	v_lshl_add_u64 v[44:45], v[84:85], 2, v[42:43]
	flat_load_dword v44, v[44:45]
	s_waitcnt vmcnt(0) lgkmcnt(0)
	v_mul_f32_e32 v44, s26, v44
	s_branch .LBB13_259
.LBB13_258:
	v_mov_b32_e32 v44, 0
.LBB13_259:
	v_pk_add_f32 v[46:47], v[8:9], v[36:37]
	s_nop 0
	v_min3_f32 v45, v46, v47, v119
	v_pk_add_f32 v[46:47], v[10:11], v[38:39]
	s_nop 0
	v_min_f32_e32 v46, v46, v47
	v_min3_f32 v46, v44, v46, v45
	v_lshl_add_u64 v[44:45], v[84:85], 2, v[40:41]
	global_store_dword v[44:45], v46, off
	s_or_b64 exec, exec, s[18:19]
	s_and_b64 s[18:19], s[8:9], s[10:11]
	s_and_saveexec_b64 s[10:11], s[18:19]
	s_cbranch_execz .LBB13_264
.LBB13_260:
	s_and_b64 vcc, exec, s[0:1]
	s_cbranch_vccnz .LBB13_262
; %bb.261:
	v_lshl_add_u64 v[42:43], v[86:87], 2, v[42:43]
	flat_load_dword v42, v[42:43]
	s_waitcnt vmcnt(0) lgkmcnt(0)
	v_mul_f32_e32 v42, s26, v42
	s_branch .LBB13_263
.LBB13_262:
	v_mov_b32_e32 v42, 0
.LBB13_263:
	v_pk_add_f32 v[36:37], v[0:1], v[36:37]
	s_nop 0
	v_min3_f32 v43, v36, v37, v118
	v_pk_add_f32 v[36:37], v[2:3], v[38:39]
	s_nop 0
	v_min_f32_e32 v36, v36, v37
	v_min3_f32 v38, v42, v36, v43
	v_lshl_add_u64 v[36:37], v[86:87], 2, v[40:41]
	global_store_dword v[36:37], v38, off
.LBB13_264:
	s_or_b64 exec, exec, s[10:11]
	v_add_u32_e32 v40, 0x58, v92
	v_mad_i64_i32 v[36:37], s[18:19], v40, s21, 0
	v_cmp_gt_i32_e64 s[10:11], s13, v40
	v_lshl_add_u64 v[38:39], v[36:37], 2, s[16:17]
	v_mad_i64_i32 v[36:37], s[18:19], v40, s20, 0
	v_lshl_add_u64 v[36:37], v[36:37], 2, s[14:15]
	s_and_b64 s[22:23], s[2:3], s[10:11]
	s_and_saveexec_b64 s[18:19], s[22:23]
	s_cbranch_execnz .LBB13_268
; %bb.265:
	s_or_b64 exec, exec, s[18:19]
	s_and_b64 s[22:23], s[4:5], s[10:11]
	s_and_saveexec_b64 s[18:19], s[22:23]
	s_cbranch_execnz .LBB13_272
.LBB13_266:
	s_or_b64 exec, exec, s[18:19]
	s_and_b64 s[22:23], s[6:7], s[10:11]
	s_and_saveexec_b64 s[18:19], s[22:23]
	s_cbranch_execnz .LBB13_276
.LBB13_267:
	s_or_b64 exec, exec, s[18:19]
	s_and_b64 s[18:19], s[8:9], s[10:11]
	s_and_saveexec_b64 s[10:11], s[18:19]
	s_cbranch_execnz .LBB13_280
	s_branch .LBB13_284
.LBB13_268:
	s_and_b64 vcc, exec, s[0:1]
	s_cbranch_vccnz .LBB13_270
; %bb.269:
	v_lshl_add_u64 v[40:41], v[80:81], 2, v[38:39]
	flat_load_dword v40, v[40:41]
	s_waitcnt vmcnt(0) lgkmcnt(0)
	v_mul_f32_e32 v40, s26, v40
	s_branch .LBB13_271
.LBB13_270:
	v_mov_b32_e32 v40, 0
.LBB13_271:
	v_pk_add_f32 v[42:43], v[16:17], v[32:33]
	s_nop 0
	v_min3_f32 v41, v42, v43, v117
	v_pk_add_f32 v[42:43], v[18:19], v[34:35]
	s_nop 0
	v_min_f32_e32 v42, v42, v43
	v_min3_f32 v42, v40, v42, v41
	v_lshl_add_u64 v[40:41], v[80:81], 2, v[36:37]
	global_store_dword v[40:41], v42, off
	s_or_b64 exec, exec, s[18:19]
	s_and_b64 s[22:23], s[4:5], s[10:11]
	s_and_saveexec_b64 s[18:19], s[22:23]
	s_cbranch_execz .LBB13_266
.LBB13_272:
	s_and_b64 vcc, exec, s[0:1]
	s_cbranch_vccnz .LBB13_274
; %bb.273:
	v_lshl_add_u64 v[40:41], v[82:83], 2, v[38:39]
	flat_load_dword v40, v[40:41]
	s_waitcnt vmcnt(0) lgkmcnt(0)
	v_mul_f32_e32 v40, s26, v40
	s_branch .LBB13_275
.LBB13_274:
	v_mov_b32_e32 v40, 0
.LBB13_275:
	v_pk_add_f32 v[42:43], v[12:13], v[32:33]
	s_nop 0
	v_min3_f32 v41, v42, v43, v116
	v_pk_add_f32 v[42:43], v[14:15], v[34:35]
	s_nop 0
	v_min_f32_e32 v42, v42, v43
	v_min3_f32 v42, v40, v42, v41
	v_lshl_add_u64 v[40:41], v[82:83], 2, v[36:37]
	global_store_dword v[40:41], v42, off
	s_or_b64 exec, exec, s[18:19]
	s_and_b64 s[22:23], s[6:7], s[10:11]
	s_and_saveexec_b64 s[18:19], s[22:23]
	s_cbranch_execz .LBB13_267
.LBB13_276:
	s_and_b64 vcc, exec, s[0:1]
	s_cbranch_vccnz .LBB13_278
; %bb.277:
	v_lshl_add_u64 v[40:41], v[84:85], 2, v[38:39]
	flat_load_dword v40, v[40:41]
	s_waitcnt vmcnt(0) lgkmcnt(0)
	v_mul_f32_e32 v40, s26, v40
	s_branch .LBB13_279
.LBB13_278:
	v_mov_b32_e32 v40, 0
.LBB13_279:
	v_pk_add_f32 v[42:43], v[8:9], v[32:33]
	s_nop 0
	v_min3_f32 v41, v42, v43, v115
	v_pk_add_f32 v[42:43], v[10:11], v[34:35]
	s_nop 0
	v_min_f32_e32 v42, v42, v43
	v_min3_f32 v42, v40, v42, v41
	v_lshl_add_u64 v[40:41], v[84:85], 2, v[36:37]
	global_store_dword v[40:41], v42, off
	s_or_b64 exec, exec, s[18:19]
	s_and_b64 s[18:19], s[8:9], s[10:11]
	s_and_saveexec_b64 s[10:11], s[18:19]
	s_cbranch_execz .LBB13_284
.LBB13_280:
	s_and_b64 vcc, exec, s[0:1]
	s_cbranch_vccnz .LBB13_282
; %bb.281:
	v_lshl_add_u64 v[38:39], v[86:87], 2, v[38:39]
	flat_load_dword v38, v[38:39]
	s_waitcnt vmcnt(0) lgkmcnt(0)
	v_mul_f32_e32 v38, s26, v38
	s_branch .LBB13_283
.LBB13_282:
	v_mov_b32_e32 v38, 0
.LBB13_283:
	v_pk_add_f32 v[32:33], v[0:1], v[32:33]
	s_nop 0
	v_min3_f32 v39, v32, v33, v114
	v_pk_add_f32 v[32:33], v[2:3], v[34:35]
	s_nop 0
	v_min_f32_e32 v32, v32, v33
	v_min3_f32 v34, v38, v32, v39
	v_lshl_add_u64 v[32:33], v[86:87], 2, v[36:37]
	global_store_dword v[32:33], v34, off
.LBB13_284:
	s_or_b64 exec, exec, s[10:11]
	v_add_u32_e32 v36, 0x60, v92
	v_mad_i64_i32 v[32:33], s[18:19], v36, s21, 0
	v_cmp_gt_i32_e64 s[10:11], s13, v36
	v_lshl_add_u64 v[34:35], v[32:33], 2, s[16:17]
	v_mad_i64_i32 v[32:33], s[18:19], v36, s20, 0
	v_lshl_add_u64 v[32:33], v[32:33], 2, s[14:15]
	s_and_b64 s[22:23], s[2:3], s[10:11]
	s_and_saveexec_b64 s[18:19], s[22:23]
	s_cbranch_execnz .LBB13_288
; %bb.285:
	s_or_b64 exec, exec, s[18:19]
	s_and_b64 s[22:23], s[4:5], s[10:11]
	s_and_saveexec_b64 s[18:19], s[22:23]
	s_cbranch_execnz .LBB13_292
.LBB13_286:
	s_or_b64 exec, exec, s[18:19]
	s_and_b64 s[22:23], s[6:7], s[10:11]
	s_and_saveexec_b64 s[18:19], s[22:23]
	s_cbranch_execnz .LBB13_296
.LBB13_287:
	s_or_b64 exec, exec, s[18:19]
	s_and_b64 s[18:19], s[8:9], s[10:11]
	s_and_saveexec_b64 s[10:11], s[18:19]
	s_cbranch_execnz .LBB13_300
	s_branch .LBB13_304
.LBB13_288:
	s_and_b64 vcc, exec, s[0:1]
	s_cbranch_vccnz .LBB13_290
; %bb.289:
	v_lshl_add_u64 v[36:37], v[80:81], 2, v[34:35]
	flat_load_dword v36, v[36:37]
	s_waitcnt vmcnt(0) lgkmcnt(0)
	v_mul_f32_e32 v36, s26, v36
	s_branch .LBB13_291
.LBB13_290:
	v_mov_b32_e32 v36, 0
.LBB13_291:
	v_pk_add_f32 v[38:39], v[16:17], v[28:29]
	s_nop 0
	v_min3_f32 v37, v38, v39, v113
	v_pk_add_f32 v[38:39], v[18:19], v[30:31]
	s_nop 0
	v_min_f32_e32 v38, v38, v39
	v_min3_f32 v38, v36, v38, v37
	v_lshl_add_u64 v[36:37], v[80:81], 2, v[32:33]
	global_store_dword v[36:37], v38, off
	s_or_b64 exec, exec, s[18:19]
	s_and_b64 s[22:23], s[4:5], s[10:11]
	s_and_saveexec_b64 s[18:19], s[22:23]
	s_cbranch_execz .LBB13_286
.LBB13_292:
	s_and_b64 vcc, exec, s[0:1]
	s_cbranch_vccnz .LBB13_294
; %bb.293:
	v_lshl_add_u64 v[36:37], v[82:83], 2, v[34:35]
	flat_load_dword v36, v[36:37]
	s_waitcnt vmcnt(0) lgkmcnt(0)
	v_mul_f32_e32 v36, s26, v36
	s_branch .LBB13_295
.LBB13_294:
	v_mov_b32_e32 v36, 0
.LBB13_295:
	v_pk_add_f32 v[38:39], v[12:13], v[28:29]
	s_nop 0
	v_min3_f32 v37, v38, v39, v112
	v_pk_add_f32 v[38:39], v[14:15], v[30:31]
	s_nop 0
	v_min_f32_e32 v38, v38, v39
	v_min3_f32 v38, v36, v38, v37
	v_lshl_add_u64 v[36:37], v[82:83], 2, v[32:33]
	global_store_dword v[36:37], v38, off
	s_or_b64 exec, exec, s[18:19]
	s_and_b64 s[22:23], s[6:7], s[10:11]
	s_and_saveexec_b64 s[18:19], s[22:23]
	s_cbranch_execz .LBB13_287
.LBB13_296:
	s_and_b64 vcc, exec, s[0:1]
	s_cbranch_vccnz .LBB13_298
; %bb.297:
	v_lshl_add_u64 v[36:37], v[84:85], 2, v[34:35]
	flat_load_dword v36, v[36:37]
	s_waitcnt vmcnt(0) lgkmcnt(0)
	v_mul_f32_e32 v36, s26, v36
	s_branch .LBB13_299
.LBB13_298:
	v_mov_b32_e32 v36, 0
.LBB13_299:
	v_pk_add_f32 v[38:39], v[8:9], v[28:29]
	s_nop 0
	v_min3_f32 v37, v38, v39, v111
	v_pk_add_f32 v[38:39], v[10:11], v[30:31]
	s_nop 0
	v_min_f32_e32 v38, v38, v39
	v_min3_f32 v38, v36, v38, v37
	v_lshl_add_u64 v[36:37], v[84:85], 2, v[32:33]
	global_store_dword v[36:37], v38, off
	s_or_b64 exec, exec, s[18:19]
	s_and_b64 s[18:19], s[8:9], s[10:11]
	s_and_saveexec_b64 s[10:11], s[18:19]
	s_cbranch_execz .LBB13_304
.LBB13_300:
	s_and_b64 vcc, exec, s[0:1]
	s_cbranch_vccnz .LBB13_302
; %bb.301:
	v_lshl_add_u64 v[34:35], v[86:87], 2, v[34:35]
	flat_load_dword v34, v[34:35]
	s_waitcnt vmcnt(0) lgkmcnt(0)
	v_mul_f32_e32 v34, s26, v34
	s_branch .LBB13_303
.LBB13_302:
	v_mov_b32_e32 v34, 0
.LBB13_303:
	v_pk_add_f32 v[28:29], v[0:1], v[28:29]
	s_nop 0
	v_min3_f32 v35, v28, v29, v110
	v_pk_add_f32 v[28:29], v[2:3], v[30:31]
	s_nop 0
	v_min_f32_e32 v28, v28, v29
	v_min3_f32 v30, v34, v28, v35
	v_lshl_add_u64 v[28:29], v[86:87], 2, v[32:33]
	global_store_dword v[28:29], v30, off
.LBB13_304:
	s_or_b64 exec, exec, s[10:11]
	v_add_u32_e32 v32, 0x68, v92
	v_mad_i64_i32 v[28:29], s[18:19], v32, s21, 0
	v_cmp_gt_i32_e64 s[10:11], s13, v32
	v_lshl_add_u64 v[30:31], v[28:29], 2, s[16:17]
	v_mad_i64_i32 v[28:29], s[18:19], v32, s20, 0
	v_lshl_add_u64 v[28:29], v[28:29], 2, s[14:15]
	s_and_b64 s[22:23], s[2:3], s[10:11]
	s_and_saveexec_b64 s[18:19], s[22:23]
	s_cbranch_execnz .LBB13_308
; %bb.305:
	s_or_b64 exec, exec, s[18:19]
	s_and_b64 s[22:23], s[4:5], s[10:11]
	s_and_saveexec_b64 s[18:19], s[22:23]
	s_cbranch_execnz .LBB13_312
.LBB13_306:
	s_or_b64 exec, exec, s[18:19]
	s_and_b64 s[22:23], s[6:7], s[10:11]
	s_and_saveexec_b64 s[18:19], s[22:23]
	s_cbranch_execnz .LBB13_316
.LBB13_307:
	s_or_b64 exec, exec, s[18:19]
	s_and_b64 s[18:19], s[8:9], s[10:11]
	s_and_saveexec_b64 s[10:11], s[18:19]
	s_cbranch_execnz .LBB13_320
	s_branch .LBB13_324
.LBB13_308:
	s_and_b64 vcc, exec, s[0:1]
	s_cbranch_vccnz .LBB13_310
; %bb.309:
	v_lshl_add_u64 v[32:33], v[80:81], 2, v[30:31]
	flat_load_dword v32, v[32:33]
	s_waitcnt vmcnt(0) lgkmcnt(0)
	v_mul_f32_e32 v32, s26, v32
	s_branch .LBB13_311
.LBB13_310:
	v_mov_b32_e32 v32, 0
.LBB13_311:
	v_pk_add_f32 v[34:35], v[16:17], v[24:25]
	s_nop 0
	v_min3_f32 v33, v34, v35, v109
	v_pk_add_f32 v[34:35], v[18:19], v[26:27]
	s_nop 0
	v_min_f32_e32 v34, v34, v35
	v_min3_f32 v34, v32, v34, v33
	v_lshl_add_u64 v[32:33], v[80:81], 2, v[28:29]
	global_store_dword v[32:33], v34, off
	s_or_b64 exec, exec, s[18:19]
	s_and_b64 s[22:23], s[4:5], s[10:11]
	s_and_saveexec_b64 s[18:19], s[22:23]
	s_cbranch_execz .LBB13_306
.LBB13_312:
	s_and_b64 vcc, exec, s[0:1]
	s_cbranch_vccnz .LBB13_314
; %bb.313:
	v_lshl_add_u64 v[32:33], v[82:83], 2, v[30:31]
	flat_load_dword v32, v[32:33]
	s_waitcnt vmcnt(0) lgkmcnt(0)
	v_mul_f32_e32 v32, s26, v32
	s_branch .LBB13_315
.LBB13_314:
	v_mov_b32_e32 v32, 0
.LBB13_315:
	v_pk_add_f32 v[34:35], v[12:13], v[24:25]
	s_nop 0
	v_min3_f32 v33, v34, v35, v108
	v_pk_add_f32 v[34:35], v[14:15], v[26:27]
	s_nop 0
	v_min_f32_e32 v34, v34, v35
	v_min3_f32 v34, v32, v34, v33
	v_lshl_add_u64 v[32:33], v[82:83], 2, v[28:29]
	global_store_dword v[32:33], v34, off
	s_or_b64 exec, exec, s[18:19]
	s_and_b64 s[22:23], s[6:7], s[10:11]
	s_and_saveexec_b64 s[18:19], s[22:23]
	s_cbranch_execz .LBB13_307
.LBB13_316:
	s_and_b64 vcc, exec, s[0:1]
	s_cbranch_vccnz .LBB13_318
; %bb.317:
	v_lshl_add_u64 v[32:33], v[84:85], 2, v[30:31]
	flat_load_dword v32, v[32:33]
	s_waitcnt vmcnt(0) lgkmcnt(0)
	v_mul_f32_e32 v32, s26, v32
	s_branch .LBB13_319
.LBB13_318:
	v_mov_b32_e32 v32, 0
.LBB13_319:
	v_pk_add_f32 v[34:35], v[8:9], v[24:25]
	s_nop 0
	v_min3_f32 v33, v34, v35, v107
	v_pk_add_f32 v[34:35], v[10:11], v[26:27]
	s_nop 0
	v_min_f32_e32 v34, v34, v35
	v_min3_f32 v34, v32, v34, v33
	v_lshl_add_u64 v[32:33], v[84:85], 2, v[28:29]
	global_store_dword v[32:33], v34, off
	s_or_b64 exec, exec, s[18:19]
	s_and_b64 s[18:19], s[8:9], s[10:11]
	s_and_saveexec_b64 s[10:11], s[18:19]
	s_cbranch_execz .LBB13_324
.LBB13_320:
	s_and_b64 vcc, exec, s[0:1]
	s_cbranch_vccnz .LBB13_322
; %bb.321:
	v_lshl_add_u64 v[30:31], v[86:87], 2, v[30:31]
	flat_load_dword v30, v[30:31]
	s_waitcnt vmcnt(0) lgkmcnt(0)
	v_mul_f32_e32 v30, s26, v30
	s_branch .LBB13_323
.LBB13_322:
	v_mov_b32_e32 v30, 0
.LBB13_323:
	v_pk_add_f32 v[24:25], v[0:1], v[24:25]
	s_nop 0
	v_min3_f32 v31, v24, v25, v106
	v_pk_add_f32 v[24:25], v[2:3], v[26:27]
	s_nop 0
	v_min_f32_e32 v24, v24, v25
	v_min3_f32 v26, v30, v24, v31
	v_lshl_add_u64 v[24:25], v[86:87], 2, v[28:29]
	global_store_dword v[24:25], v26, off
.LBB13_324:
	s_or_b64 exec, exec, s[10:11]
	v_add_u32_e32 v28, 0x70, v92
	v_mad_i64_i32 v[24:25], s[18:19], v28, s21, 0
	v_cmp_gt_i32_e64 s[10:11], s13, v28
	v_lshl_add_u64 v[26:27], v[24:25], 2, s[16:17]
	v_mad_i64_i32 v[24:25], s[18:19], v28, s20, 0
	v_lshl_add_u64 v[24:25], v[24:25], 2, s[14:15]
	s_and_b64 s[22:23], s[2:3], s[10:11]
	s_and_saveexec_b64 s[18:19], s[22:23]
	s_cbranch_execnz .LBB13_328
; %bb.325:
	s_or_b64 exec, exec, s[18:19]
	s_and_b64 s[22:23], s[4:5], s[10:11]
	s_and_saveexec_b64 s[18:19], s[22:23]
	s_cbranch_execnz .LBB13_332
.LBB13_326:
	s_or_b64 exec, exec, s[18:19]
	s_and_b64 s[22:23], s[6:7], s[10:11]
	s_and_saveexec_b64 s[18:19], s[22:23]
	s_cbranch_execnz .LBB13_336
.LBB13_327:
	s_or_b64 exec, exec, s[18:19]
	s_and_b64 s[18:19], s[8:9], s[10:11]
	s_and_saveexec_b64 s[10:11], s[18:19]
	s_cbranch_execnz .LBB13_340
	s_branch .LBB13_344
.LBB13_328:
	s_and_b64 vcc, exec, s[0:1]
	s_cbranch_vccnz .LBB13_330
; %bb.329:
	v_lshl_add_u64 v[28:29], v[80:81], 2, v[26:27]
	flat_load_dword v28, v[28:29]
	s_waitcnt vmcnt(0) lgkmcnt(0)
	v_mul_f32_e32 v28, s26, v28
	s_branch .LBB13_331
.LBB13_330:
	v_mov_b32_e32 v28, 0
.LBB13_331:
	v_pk_add_f32 v[30:31], v[16:17], v[20:21]
	s_nop 0
	v_min3_f32 v29, v30, v31, v105
	v_pk_add_f32 v[30:31], v[18:19], v[22:23]
	s_nop 0
	v_min_f32_e32 v30, v30, v31
	v_min3_f32 v30, v28, v30, v29
	v_lshl_add_u64 v[28:29], v[80:81], 2, v[24:25]
	global_store_dword v[28:29], v30, off
	s_or_b64 exec, exec, s[18:19]
	s_and_b64 s[22:23], s[4:5], s[10:11]
	s_and_saveexec_b64 s[18:19], s[22:23]
	s_cbranch_execz .LBB13_326
.LBB13_332:
	s_and_b64 vcc, exec, s[0:1]
	s_cbranch_vccnz .LBB13_334
; %bb.333:
	v_lshl_add_u64 v[28:29], v[82:83], 2, v[26:27]
	flat_load_dword v28, v[28:29]
	s_waitcnt vmcnt(0) lgkmcnt(0)
	v_mul_f32_e32 v28, s26, v28
	s_branch .LBB13_335
.LBB13_334:
	v_mov_b32_e32 v28, 0
.LBB13_335:
	v_pk_add_f32 v[30:31], v[12:13], v[20:21]
	s_nop 0
	v_min3_f32 v29, v30, v31, v104
	v_pk_add_f32 v[30:31], v[14:15], v[22:23]
	s_nop 0
	v_min_f32_e32 v30, v30, v31
	v_min3_f32 v30, v28, v30, v29
	v_lshl_add_u64 v[28:29], v[82:83], 2, v[24:25]
	global_store_dword v[28:29], v30, off
	s_or_b64 exec, exec, s[18:19]
	s_and_b64 s[22:23], s[6:7], s[10:11]
	s_and_saveexec_b64 s[18:19], s[22:23]
	s_cbranch_execz .LBB13_327
.LBB13_336:
	s_and_b64 vcc, exec, s[0:1]
	s_cbranch_vccnz .LBB13_338
; %bb.337:
	v_lshl_add_u64 v[28:29], v[84:85], 2, v[26:27]
	flat_load_dword v28, v[28:29]
	s_waitcnt vmcnt(0) lgkmcnt(0)
	v_mul_f32_e32 v28, s26, v28
	s_branch .LBB13_339
.LBB13_338:
	v_mov_b32_e32 v28, 0
.LBB13_339:
	v_pk_add_f32 v[30:31], v[8:9], v[20:21]
	s_nop 0
	v_min3_f32 v29, v30, v31, v103
	v_pk_add_f32 v[30:31], v[10:11], v[22:23]
	s_nop 0
	v_min_f32_e32 v30, v30, v31
	v_min3_f32 v30, v28, v30, v29
	v_lshl_add_u64 v[28:29], v[84:85], 2, v[24:25]
	global_store_dword v[28:29], v30, off
	s_or_b64 exec, exec, s[18:19]
	s_and_b64 s[18:19], s[8:9], s[10:11]
	s_and_saveexec_b64 s[10:11], s[18:19]
	s_cbranch_execz .LBB13_344
.LBB13_340:
	s_and_b64 vcc, exec, s[0:1]
	s_cbranch_vccnz .LBB13_342
; %bb.341:
	v_lshl_add_u64 v[26:27], v[86:87], 2, v[26:27]
	flat_load_dword v26, v[26:27]
	s_waitcnt vmcnt(0) lgkmcnt(0)
	v_mul_f32_e32 v26, s26, v26
	s_branch .LBB13_343
.LBB13_342:
	v_mov_b32_e32 v26, 0
.LBB13_343:
	v_pk_add_f32 v[20:21], v[0:1], v[20:21]
	s_nop 0
	v_min3_f32 v27, v20, v21, v102
	v_pk_add_f32 v[20:21], v[2:3], v[22:23]
	s_nop 0
	v_min_f32_e32 v20, v20, v21
	v_min3_f32 v22, v26, v20, v27
	v_lshl_add_u64 v[20:21], v[86:87], 2, v[24:25]
	global_store_dword v[20:21], v22, off
.LBB13_344:
	s_or_b64 exec, exec, s[10:11]
	v_add_u32_e32 v24, 0x78, v92
	v_cmp_gt_i32_e64 s[10:11], s13, v24
	v_mad_i64_i32 v[20:21], s[12:13], v24, s21, 0
	v_lshl_add_u64 v[22:23], v[20:21], 2, s[16:17]
	v_mad_i64_i32 v[20:21], s[12:13], v24, s20, 0
	v_lshl_add_u64 v[20:21], v[20:21], 2, s[14:15]
	s_and_b64 s[12:13], s[2:3], s[10:11]
	s_and_saveexec_b64 s[2:3], s[12:13]
	s_cbranch_execnz .LBB13_349
; %bb.345:
	s_or_b64 exec, exec, s[2:3]
	s_and_b64 s[4:5], s[4:5], s[10:11]
	s_and_saveexec_b64 s[2:3], s[4:5]
	s_cbranch_execnz .LBB13_353
.LBB13_346:
	s_or_b64 exec, exec, s[2:3]
	s_and_b64 s[4:5], s[6:7], s[10:11]
	s_and_saveexec_b64 s[2:3], s[4:5]
	s_cbranch_execnz .LBB13_357
.LBB13_347:
	s_or_b64 exec, exec, s[2:3]
	s_and_b64 s[2:3], s[8:9], s[10:11]
	s_and_saveexec_b64 s[4:5], s[2:3]
	s_cbranch_execnz .LBB13_361
.LBB13_348:
	s_endpgm
.LBB13_349:
	s_and_b64 vcc, exec, s[0:1]
	s_cbranch_vccnz .LBB13_351
; %bb.350:
	v_lshl_add_u64 v[24:25], v[80:81], 2, v[22:23]
	flat_load_dword v24, v[24:25]
	s_waitcnt vmcnt(0) lgkmcnt(0)
	v_mul_f32_e32 v24, s26, v24
	s_branch .LBB13_352
.LBB13_351:
	v_mov_b32_e32 v24, 0
.LBB13_352:
	v_pk_add_f32 v[16:17], v[16:17], v[4:5]
	s_nop 0
	v_min3_f32 v25, v16, v17, v100
	v_pk_add_f32 v[16:17], v[18:19], v[6:7]
	s_nop 0
	v_min_f32_e32 v16, v16, v17
	v_min3_f32 v18, v24, v16, v25
	v_lshl_add_u64 v[16:17], v[80:81], 2, v[20:21]
	global_store_dword v[16:17], v18, off
	s_or_b64 exec, exec, s[2:3]
	s_and_b64 s[4:5], s[4:5], s[10:11]
	s_and_saveexec_b64 s[2:3], s[4:5]
	s_cbranch_execz .LBB13_346
.LBB13_353:
	s_and_b64 vcc, exec, s[0:1]
	s_cbranch_vccnz .LBB13_355
; %bb.354:
	v_lshl_add_u64 v[16:17], v[82:83], 2, v[22:23]
	flat_load_dword v16, v[16:17]
	s_waitcnt vmcnt(0) lgkmcnt(0)
	v_mul_f32_e32 v16, s26, v16
	s_branch .LBB13_356
.LBB13_355:
	v_mov_b32_e32 v16, 0
.LBB13_356:
	v_pk_add_f32 v[12:13], v[12:13], v[4:5]
	s_nop 0
	v_min3_f32 v17, v12, v13, v99
	v_pk_add_f32 v[12:13], v[14:15], v[6:7]
	s_nop 0
	v_min_f32_e32 v12, v12, v13
	v_min3_f32 v14, v16, v12, v17
	v_lshl_add_u64 v[12:13], v[82:83], 2, v[20:21]
	global_store_dword v[12:13], v14, off
	s_or_b64 exec, exec, s[2:3]
	s_and_b64 s[4:5], s[6:7], s[10:11]
	s_and_saveexec_b64 s[2:3], s[4:5]
	s_cbranch_execz .LBB13_347
.LBB13_357:
	s_and_b64 vcc, exec, s[0:1]
	s_cbranch_vccnz .LBB13_359
; %bb.358:
	v_lshl_add_u64 v[12:13], v[84:85], 2, v[22:23]
	flat_load_dword v12, v[12:13]
	s_waitcnt vmcnt(0) lgkmcnt(0)
	v_mul_f32_e32 v12, s26, v12
	s_branch .LBB13_360
.LBB13_359:
	v_mov_b32_e32 v12, 0
.LBB13_360:
	v_pk_add_f32 v[8:9], v[8:9], v[4:5]
	s_nop 0
	v_min3_f32 v13, v8, v9, v98
	v_pk_add_f32 v[8:9], v[10:11], v[6:7]
	s_nop 0
	v_min_f32_e32 v8, v8, v9
	v_min3_f32 v10, v12, v8, v13
	v_lshl_add_u64 v[8:9], v[84:85], 2, v[20:21]
	global_store_dword v[8:9], v10, off
	s_or_b64 exec, exec, s[2:3]
	s_and_b64 s[2:3], s[8:9], s[10:11]
	s_and_saveexec_b64 s[4:5], s[2:3]
	s_cbranch_execz .LBB13_348
.LBB13_361:
	s_and_b64 vcc, exec, s[0:1]
	s_cbranch_vccnz .LBB13_363
; %bb.362:
	v_lshl_add_u64 v[8:9], v[86:87], 2, v[22:23]
	flat_load_dword v8, v[8:9]
	s_waitcnt vmcnt(0) lgkmcnt(0)
	v_mul_f32_e32 v8, s26, v8
	s_branch .LBB13_364
.LBB13_363:
	v_mov_b32_e32 v8, 0
.LBB13_364:
	v_pk_add_f32 v[0:1], v[0:1], v[4:5]
	s_nop 0
	v_min3_f32 v4, v0, v1, v101
	v_pk_add_f32 v[0:1], v[2:3], v[6:7]
	s_nop 0
	v_min_f32_e32 v0, v0, v1
	v_min3_f32 v2, v8, v0, v4
	v_lshl_add_u64 v[0:1], v[86:87], 2, v[20:21]
	global_store_dword v[0:1], v2, off
	s_endpgm
	.section	.rodata,"a",@progbits
	.p2align	6, 0x0
	.amdhsa_kernel _ZN12_GLOBAL__N_120geam_min_plus_kernelIf15HIP_vector_typeIfLj2EEfLi32ELi8ELi128ELi128ELi4ELi4ELi64ELi4ELi64ELc84ELc78ELb1ELb1ELb1EfKPKfKPfEEviiiT16_PT17_ilSA_ilS8_SA_ilPT18_ili26rocblas_geam_ex_operation_
		.amdhsa_group_segment_fixed_size 8192
		.amdhsa_private_segment_fixed_size 0
		.amdhsa_kernarg_size 128
		.amdhsa_user_sgpr_count 2
		.amdhsa_user_sgpr_dispatch_ptr 0
		.amdhsa_user_sgpr_queue_ptr 0
		.amdhsa_user_sgpr_kernarg_segment_ptr 1
		.amdhsa_user_sgpr_dispatch_id 0
		.amdhsa_user_sgpr_kernarg_preload_length 0
		.amdhsa_user_sgpr_kernarg_preload_offset 0
		.amdhsa_user_sgpr_private_segment_size 0
		.amdhsa_uses_dynamic_stack 0
		.amdhsa_enable_private_segment 0
		.amdhsa_system_sgpr_workgroup_id_x 1
		.amdhsa_system_sgpr_workgroup_id_y 0
		.amdhsa_system_sgpr_workgroup_id_z 1
		.amdhsa_system_sgpr_workgroup_info 0
		.amdhsa_system_vgpr_workitem_id 1
		.amdhsa_next_free_vgpr 204
		.amdhsa_next_free_sgpr 36
		.amdhsa_accum_offset 204
		.amdhsa_reserve_vcc 1
		.amdhsa_float_round_mode_32 0
		.amdhsa_float_round_mode_16_64 0
		.amdhsa_float_denorm_mode_32 3
		.amdhsa_float_denorm_mode_16_64 3
		.amdhsa_dx10_clamp 1
		.amdhsa_ieee_mode 1
		.amdhsa_fp16_overflow 0
		.amdhsa_tg_split 0
		.amdhsa_exception_fp_ieee_invalid_op 0
		.amdhsa_exception_fp_denorm_src 0
		.amdhsa_exception_fp_ieee_div_zero 0
		.amdhsa_exception_fp_ieee_overflow 0
		.amdhsa_exception_fp_ieee_underflow 0
		.amdhsa_exception_fp_ieee_inexact 0
		.amdhsa_exception_int_div_zero 0
	.end_amdhsa_kernel
	.section	.text._ZN12_GLOBAL__N_120geam_min_plus_kernelIf15HIP_vector_typeIfLj2EEfLi32ELi8ELi128ELi128ELi4ELi4ELi64ELi4ELi64ELc84ELc78ELb1ELb1ELb1EfKPKfKPfEEviiiT16_PT17_ilSA_ilS8_SA_ilPT18_ili26rocblas_geam_ex_operation_,"axG",@progbits,_ZN12_GLOBAL__N_120geam_min_plus_kernelIf15HIP_vector_typeIfLj2EEfLi32ELi8ELi128ELi128ELi4ELi4ELi64ELi4ELi64ELc84ELc78ELb1ELb1ELb1EfKPKfKPfEEviiiT16_PT17_ilSA_ilS8_SA_ilPT18_ili26rocblas_geam_ex_operation_,comdat
.Lfunc_end13:
	.size	_ZN12_GLOBAL__N_120geam_min_plus_kernelIf15HIP_vector_typeIfLj2EEfLi32ELi8ELi128ELi128ELi4ELi4ELi64ELi4ELi64ELc84ELc78ELb1ELb1ELb1EfKPKfKPfEEviiiT16_PT17_ilSA_ilS8_SA_ilPT18_ili26rocblas_geam_ex_operation_, .Lfunc_end13-_ZN12_GLOBAL__N_120geam_min_plus_kernelIf15HIP_vector_typeIfLj2EEfLi32ELi8ELi128ELi128ELi4ELi4ELi64ELi4ELi64ELc84ELc78ELb1ELb1ELb1EfKPKfKPfEEviiiT16_PT17_ilSA_ilS8_SA_ilPT18_ili26rocblas_geam_ex_operation_
                                        ; -- End function
	.section	.AMDGPU.csdata,"",@progbits
; Kernel info:
; codeLenInByte = 18668
; NumSgprs: 42
; NumVgprs: 204
; NumAgprs: 0
; TotalNumVgprs: 204
; ScratchSize: 0
; MemoryBound: 0
; FloatMode: 240
; IeeeMode: 1
; LDSByteSize: 8192 bytes/workgroup (compile time only)
; SGPRBlocks: 5
; VGPRBlocks: 25
; NumSGPRsForWavesPerEU: 42
; NumVGPRsForWavesPerEU: 204
; AccumOffset: 204
; Occupancy: 2
; WaveLimiterHint : 1
; COMPUTE_PGM_RSRC2:SCRATCH_EN: 0
; COMPUTE_PGM_RSRC2:USER_SGPR: 2
; COMPUTE_PGM_RSRC2:TRAP_HANDLER: 0
; COMPUTE_PGM_RSRC2:TGID_X_EN: 1
; COMPUTE_PGM_RSRC2:TGID_Y_EN: 0
; COMPUTE_PGM_RSRC2:TGID_Z_EN: 1
; COMPUTE_PGM_RSRC2:TIDIG_COMP_CNT: 1
; COMPUTE_PGM_RSRC3_GFX90A:ACCUM_OFFSET: 50
; COMPUTE_PGM_RSRC3_GFX90A:TG_SPLIT: 0
	.section	.text._ZN12_GLOBAL__N_120geam_min_plus_kernelIf15HIP_vector_typeIfLj2EEfLi32ELi8ELi128ELi128ELi4ELi4ELi64ELi4ELi64ELc84ELc78ELb0ELb1ELb1EfKPKfKPfEEviiiT16_PT17_ilSA_ilS8_SA_ilPT18_ili26rocblas_geam_ex_operation_,"axG",@progbits,_ZN12_GLOBAL__N_120geam_min_plus_kernelIf15HIP_vector_typeIfLj2EEfLi32ELi8ELi128ELi128ELi4ELi4ELi64ELi4ELi64ELc84ELc78ELb0ELb1ELb1EfKPKfKPfEEviiiT16_PT17_ilSA_ilS8_SA_ilPT18_ili26rocblas_geam_ex_operation_,comdat
	.globl	_ZN12_GLOBAL__N_120geam_min_plus_kernelIf15HIP_vector_typeIfLj2EEfLi32ELi8ELi128ELi128ELi4ELi4ELi64ELi4ELi64ELc84ELc78ELb0ELb1ELb1EfKPKfKPfEEviiiT16_PT17_ilSA_ilS8_SA_ilPT18_ili26rocblas_geam_ex_operation_ ; -- Begin function _ZN12_GLOBAL__N_120geam_min_plus_kernelIf15HIP_vector_typeIfLj2EEfLi32ELi8ELi128ELi128ELi4ELi4ELi64ELi4ELi64ELc84ELc78ELb0ELb1ELb1EfKPKfKPfEEviiiT16_PT17_ilSA_ilS8_SA_ilPT18_ili26rocblas_geam_ex_operation_
	.p2align	8
	.type	_ZN12_GLOBAL__N_120geam_min_plus_kernelIf15HIP_vector_typeIfLj2EEfLi32ELi8ELi128ELi128ELi4ELi4ELi64ELi4ELi64ELc84ELc78ELb0ELb1ELb1EfKPKfKPfEEviiiT16_PT17_ilSA_ilS8_SA_ilPT18_ili26rocblas_geam_ex_operation_,@function
_ZN12_GLOBAL__N_120geam_min_plus_kernelIf15HIP_vector_typeIfLj2EEfLi32ELi8ELi128ELi128ELi4ELi4ELi64ELi4ELi64ELc84ELc78ELb0ELb1ELb1EfKPKfKPfEEviiiT16_PT17_ilSA_ilS8_SA_ilPT18_ili26rocblas_geam_ex_operation_: ; @_ZN12_GLOBAL__N_120geam_min_plus_kernelIf15HIP_vector_typeIfLj2EEfLi32ELi8ELi128ELi128ELi4ELi4ELi64ELi4ELi64ELc84ELc78ELb0ELb1ELb1EfKPKfKPfEEviiiT16_PT17_ilSA_ilS8_SA_ilPT18_ili26rocblas_geam_ex_operation_
; %bb.0:
	s_load_dwordx4 s[12:15], s[0:1], 0x0
	s_load_dwordx4 s[4:7], s[0:1], 0x20
	s_mov_b32 s8, s3
	s_mov_b32 s9, 0
	s_waitcnt lgkmcnt(0)
	v_cmp_eq_f32_e64 s[10:11], s15, 0
	s_and_b64 vcc, exec, s[10:11]
	s_cbranch_vccnz .LBB14_3
; %bb.1:
	s_load_dwordx2 s[16:17], s[0:1], 0x10
	s_lshl_b64 s[18:19], s[8:9], 3
	s_waitcnt lgkmcnt(0)
	s_add_u32 s16, s16, s18
	s_addc_u32 s17, s17, s19
	s_load_dwordx2 s[16:17], s[16:17], 0x0
	s_lshl_b64 s[4:5], s[4:5], 2
	s_waitcnt lgkmcnt(0)
	s_add_u32 s22, s16, s4
	s_addc_u32 s23, s17, s5
	s_andn2_b64 vcc, exec, s[10:11]
	s_cbranch_vccnz .LBB14_4
.LBB14_2:
	s_mov_b64 s[24:25], 0
	s_cbranch_execz .LBB14_5
	s_branch .LBB14_6
.LBB14_3:
	s_mov_b64 s[22:23], 0
	s_andn2_b64 vcc, exec, s[10:11]
	s_cbranch_vccz .LBB14_2
.LBB14_4:
                                        ; implicit-def: $sgpr24_sgpr25
.LBB14_5:
	s_lshl_b64 s[10:11], s[8:9], 3
	s_add_u32 s6, s6, s10
	s_load_dwordx2 s[4:5], s[0:1], 0x38
	s_addc_u32 s7, s7, s11
	s_load_dwordx2 s[6:7], s[6:7], 0x0
	s_waitcnt lgkmcnt(0)
	s_lshl_b64 s[4:5], s[4:5], 2
	s_add_u32 s24, s6, s4
	s_addc_u32 s25, s7, s5
.LBB14_6:
	s_load_dword s28, s[0:1], 0x40
	s_load_dwordx4 s[4:7], s[0:1], 0x58
	s_waitcnt lgkmcnt(0)
	v_cmp_eq_f32_e64 s[10:11], s28, 0
	v_cmp_neq_f32_e64 s[18:19], s28, 0
	s_and_b64 vcc, exec, s[10:11]
	s_cbranch_vccnz .LBB14_8
; %bb.7:
	s_load_dwordx2 s[10:11], s[0:1], 0x48
	s_lshl_b64 s[16:17], s[8:9], 3
	s_waitcnt lgkmcnt(0)
	s_add_u32 s10, s10, s16
	s_addc_u32 s11, s11, s17
	s_load_dwordx2 s[10:11], s[10:11], 0x0
	s_lshl_b64 s[4:5], s[4:5], 2
	s_waitcnt lgkmcnt(0)
	s_add_u32 s16, s10, s4
	s_addc_u32 s17, s11, s5
	s_branch .LBB14_9
.LBB14_8:
	s_mov_b64 s[16:17], 0
.LBB14_9:
	s_lshl_b64 s[4:5], s[8:9], 3
	s_add_u32 s4, s6, s4
	s_addc_u32 s5, s7, s5
	s_add_i32 s3, s12, -1
	s_ashr_i32 s6, s3, 31
	s_lshr_b32 s6, s6, 25
	s_add_i32 s3, s3, s6
	s_ashr_i32 s3, s3, 7
	s_add_i32 s7, s3, 1
	v_cvt_f32_u32_e32 v1, s7
	v_and_b32_e32 v124, 0x3ff, v0
	v_bfe_u32 v125, v0, 10, 10
	s_load_dwordx2 s[20:21], s[4:5], 0x0
	v_rcp_iflag_f32_e32 v1, v1
	s_not_b32 s3, s3
	s_load_dword s34, s[0:1], 0x18
	v_and_b32_e32 v134, 3, v124
	v_mul_f32_e32 v0, 0x4f7ffffe, v1
	v_cvt_u32_f32_e32 v0, v0
	v_lshl_add_u32 v1, v125, 5, v124
	v_lshrrev_b32_e32 v4, 2, v1
	v_cmp_le_i32_e64 s[8:9], s14, v134
	v_readfirstlane_b32 s4, v0
	s_mul_i32 s3, s3, s4
	s_mul_hi_u32 s3, s4, s3
	s_add_i32 s4, s4, s3
	s_mul_hi_u32 s3, s2, s4
	s_mul_i32 s4, s3, s7
	s_sub_i32 s4, s2, s4
	s_add_i32 s5, s3, 1
	s_sub_i32 s6, s4, s7
	s_cmp_ge_u32 s4, s7
	s_cselect_b32 s3, s5, s3
	s_cselect_b32 s4, s6, s4
	s_add_i32 s5, s3, 1
	s_cmp_ge_u32 s4, s7
	s_cselect_b32 s6, s5, s3
	s_mul_i32 s3, s6, s7
	s_sub_i32 s2, s2, s3
	s_lshl_b32 s29, s2, 7
	v_add_u32_e32 v80, s29, v4
	s_add_i32 s31, s14, -1
	v_cmp_le_i32_e32 vcc, s12, v80
	v_min_i32_e32 v0, s31, v134
	v_cmp_eq_f32_e64 s[26:27], s15, 0
	v_mov_b32_e32 v6, 0x7f7fffff
	s_or_b64 s[2:3], s[8:9], vcc
	v_ashrrev_i32_e32 v1, 31, v0
	v_cndmask_b32_e64 v5, 0, v6, s[2:3]
	s_or_b64 s[2:3], s[26:27], s[2:3]
	v_lshl_add_u64 v[2:3], v[0:1], 2, s[22:23]
	s_xor_b64 s[4:5], s[2:3], -1
	s_and_saveexec_b64 s[2:3], s[4:5]
	s_cbranch_execz .LBB14_11
; %bb.10:
	s_waitcnt lgkmcnt(0)
	v_mad_i64_i32 v[8:9], s[4:5], v80, s34, 0
	v_lshl_add_u64 v[8:9], v[8:9], 2, v[2:3]
	flat_load_dword v5, v[8:9]
	s_waitcnt vmcnt(0) lgkmcnt(0)
	v_mul_f32_e32 v5, s15, v5
.LBB14_11:
	s_or_b64 exec, exec, s[2:3]
	v_add_u32_e32 v82, 64, v80
	v_cmp_le_i32_e64 s[2:3], s12, v82
	s_or_b64 s[4:5], s[8:9], s[2:3]
	v_cndmask_b32_e64 v6, 0, v6, s[4:5]
	s_or_b64 s[4:5], s[26:27], s[4:5]
	s_xor_b64 s[10:11], s[4:5], -1
	s_and_saveexec_b64 s[4:5], s[10:11]
	s_cbranch_execz .LBB14_13
; %bb.12:
	s_waitcnt lgkmcnt(0)
	v_mad_i64_i32 v[6:7], s[10:11], v82, s34, 0
	v_lshl_add_u64 v[2:3], v[6:7], 2, v[2:3]
	flat_load_dword v2, v[2:3]
	s_waitcnt vmcnt(0) lgkmcnt(0)
	v_mul_f32_e32 v6, s15, v2
.LBB14_13:
	s_or_b64 exec, exec, s[4:5]
	s_lshl_b32 s30, s6, 7
	s_load_dword s35, s[0:1], 0x30
	v_add_u32_e32 v84, s30, v4
	v_cmp_le_i32_e64 s[4:5], s13, v84
	v_mov_b32_e32 v2, 0x7f7fffff
	s_or_b64 s[6:7], s[8:9], s[4:5]
	v_cndmask_b32_e64 v7, 0, v2, s[6:7]
	s_or_b64 s[6:7], s[26:27], s[6:7]
	v_lshl_add_u64 v[0:1], v[0:1], 2, s[24:25]
	s_xor_b64 s[10:11], s[6:7], -1
	s_and_saveexec_b64 s[6:7], s[10:11]
	s_cbranch_execz .LBB14_15
; %bb.14:
	s_waitcnt lgkmcnt(0)
	v_mad_i64_i32 v[8:9], s[10:11], v84, s35, 0
	v_lshl_add_u64 v[8:9], v[8:9], 2, v[0:1]
	flat_load_dword v3, v[8:9]
	s_waitcnt vmcnt(0) lgkmcnt(0)
	v_mul_f32_e32 v7, s15, v3
.LBB14_15:
	s_or_b64 exec, exec, s[6:7]
	v_add_u32_e32 v86, 64, v84
	v_cmp_le_i32_e64 s[6:7], s13, v86
	s_or_b64 s[8:9], s[8:9], s[6:7]
	v_cndmask_b32_e64 v8, 0, v2, s[8:9]
	s_or_b64 s[8:9], s[26:27], s[8:9]
	s_xor_b64 s[10:11], s[8:9], -1
	s_and_saveexec_b64 s[8:9], s[10:11]
	s_cbranch_execz .LBB14_17
; %bb.16:
	s_waitcnt lgkmcnt(0)
	v_mad_i64_i32 v[2:3], s[10:11], v86, s35, 0
	v_lshl_add_u64 v[0:1], v[2:3], 2, v[0:1]
	flat_load_dword v0, v[0:1]
	s_waitcnt vmcnt(0) lgkmcnt(0)
	v_mul_f32_e32 v8, s15, v0
.LBB14_17:
	s_or_b64 exec, exec, s[8:9]
	v_or_b32_e32 v0, 4, v134
	v_cmp_le_i32_e64 s[8:9], s14, v0
	v_min_i32_e32 v0, s31, v0
	v_mov_b32_e32 v9, 0x7f7fffff
	s_or_b64 s[10:11], s[8:9], vcc
	v_ashrrev_i32_e32 v1, 31, v0
	v_cndmask_b32_e64 v81, 0, v9, s[10:11]
	s_or_b64 s[10:11], s[26:27], s[10:11]
	v_lshl_add_u64 v[2:3], v[0:1], 2, s[22:23]
	s_xor_b64 s[36:37], s[10:11], -1
	s_and_saveexec_b64 s[10:11], s[36:37]
	s_cbranch_execz .LBB14_19
; %bb.18:
	s_waitcnt lgkmcnt(0)
	v_mad_i64_i32 v[10:11], s[36:37], v80, s34, 0
	v_lshl_add_u64 v[10:11], v[10:11], 2, v[2:3]
	flat_load_dword v10, v[10:11]
	s_waitcnt vmcnt(0) lgkmcnt(0)
	v_mul_f32_e32 v81, s15, v10
.LBB14_19:
	s_or_b64 exec, exec, s[10:11]
	s_or_b64 s[10:11], s[8:9], s[2:3]
	v_cndmask_b32_e64 v83, 0, v9, s[10:11]
	s_or_b64 s[10:11], s[26:27], s[10:11]
	s_xor_b64 s[36:37], s[10:11], -1
	s_and_saveexec_b64 s[10:11], s[36:37]
	s_cbranch_execz .LBB14_21
; %bb.20:
	s_waitcnt lgkmcnt(0)
	v_mad_i64_i32 v[10:11], s[36:37], v82, s34, 0
	v_lshl_add_u64 v[2:3], v[10:11], 2, v[2:3]
	flat_load_dword v2, v[2:3]
	s_waitcnt vmcnt(0) lgkmcnt(0)
	v_mul_f32_e32 v83, s15, v2
.LBB14_21:
	s_or_b64 exec, exec, s[10:11]
	v_mov_b32_e32 v2, 0x7f7fffff
	s_or_b64 s[10:11], s[8:9], s[4:5]
	v_cndmask_b32_e64 v85, 0, v2, s[10:11]
	s_or_b64 s[10:11], s[26:27], s[10:11]
	v_lshl_add_u64 v[0:1], v[0:1], 2, s[24:25]
	s_xor_b64 s[36:37], s[10:11], -1
	s_and_saveexec_b64 s[10:11], s[36:37]
	s_cbranch_execz .LBB14_23
; %bb.22:
	s_waitcnt lgkmcnt(0)
	v_mad_i64_i32 v[10:11], s[36:37], v84, s35, 0
	v_lshl_add_u64 v[10:11], v[10:11], 2, v[0:1]
	flat_load_dword v3, v[10:11]
	s_waitcnt vmcnt(0) lgkmcnt(0)
	v_mul_f32_e32 v85, s15, v3
.LBB14_23:
	s_or_b64 exec, exec, s[10:11]
	s_or_b64 s[8:9], s[8:9], s[6:7]
	v_cndmask_b32_e64 v87, 0, v2, s[8:9]
	s_or_b64 s[8:9], s[26:27], s[8:9]
	s_xor_b64 s[36:37], s[8:9], -1
	s_mov_b32 s10, 0x7f7fffff
	s_and_saveexec_b64 s[8:9], s[36:37]
	s_cbranch_execz .LBB14_25
; %bb.24:
	s_waitcnt lgkmcnt(0)
	v_mad_i64_i32 v[2:3], s[36:37], v86, s35, 0
	v_lshl_add_u64 v[0:1], v[2:3], 2, v[0:1]
	flat_load_dword v0, v[0:1]
	s_waitcnt vmcnt(0) lgkmcnt(0)
	v_mul_f32_e32 v87, s15, v0
.LBB14_25:
	s_or_b64 exec, exec, s[8:9]
	v_lshlrev_b32_e32 v0, 2, v134
	v_lshl_or_b32 v144, v4, 4, v0
	v_lshlrev_b32_e32 v135, 4, v124
	ds_write2st64_b32 v144, v5, v6 offset1:4
	ds_write2st64_b32 v144, v7, v8 offset0:16 offset1:20
	s_waitcnt lgkmcnt(0)
	s_barrier
	ds_read_b128 v[12:15], v135
	ds_read_b128 v[8:11], v135 offset:512
	ds_read_b128 v[4:7], v135 offset:1024
	;; [unrolled: 1-line block ×3, first 2 shown]
	v_lshlrev_b32_e32 v136, 4, v125
	ds_read_b128 v[76:79], v136 offset:4096
	ds_read_b128 v[72:75], v136 offset:4224
	;; [unrolled: 1-line block ×16, first 2 shown]
	s_waitcnt lgkmcnt(14)
	v_pk_add_f32 v[88:89], v[12:13], v[76:77]
	s_cmp_lt_i32 s14, 9
	v_min3_f32 v90, v88, v89, s10
	v_pk_add_f32 v[88:89], v[8:9], v[76:77]
	ds_write2st64_b32 v144, v81, v83 offset0:8 offset1:12
	ds_write2st64_b32 v144, v85, v87 offset0:24 offset1:28
	v_min3_f32 v91, v88, v89, s10
	v_pk_add_f32 v[88:89], v[4:5], v[76:77]
	v_pk_add_f32 v[76:77], v[0:1], v[76:77]
	v_min3_f32 v88, v88, v89, s10
	v_min3_f32 v89, v76, v77, s10
	v_pk_add_f32 v[76:77], v[12:13], v[72:73]
	s_waitcnt lgkmcnt(0)
	v_min3_f32 v92, v76, v77, s10
	v_pk_add_f32 v[76:77], v[8:9], v[72:73]
	s_barrier
	v_min3_f32 v93, v76, v77, s10
	v_pk_add_f32 v[76:77], v[4:5], v[72:73]
	v_pk_add_f32 v[72:73], v[0:1], v[72:73]
	v_min3_f32 v76, v76, v77, s10
	v_min3_f32 v77, v72, v73, s10
	v_pk_add_f32 v[72:73], v[12:13], v[68:69]
	s_nop 0
	v_min3_f32 v94, v72, v73, s10
	v_pk_add_f32 v[72:73], v[8:9], v[68:69]
	s_nop 0
	v_min3_f32 v95, v72, v73, s10
	v_pk_add_f32 v[72:73], v[4:5], v[68:69]
	v_pk_add_f32 v[68:69], v[0:1], v[68:69]
	v_min3_f32 v72, v72, v73, s10
	v_min3_f32 v73, v68, v69, s10
	v_pk_add_f32 v[68:69], v[12:13], v[64:65]
	s_nop 0
	v_min3_f32 v96, v68, v69, s10
	v_pk_add_f32 v[68:69], v[8:9], v[64:65]
	s_nop 0
	;; [unrolled: 10-line block ×12, first 2 shown]
	v_min3_f32 v167, v28, v29, s10
	v_pk_add_f32 v[28:29], v[4:5], v[24:25]
	v_pk_add_f32 v[24:25], v[0:1], v[24:25]
	v_min3_f32 v28, v28, v29, s10
	v_min3_f32 v29, v24, v25, s10
	v_pk_add_f32 v[24:25], v[12:13], v[20:21]
	v_pk_add_f32 v[12:13], v[12:13], v[16:17]
	v_min3_f32 v168, v24, v25, s10
	v_pk_add_f32 v[24:25], v[8:9], v[20:21]
	v_min3_f32 v12, v12, v13, s10
	v_min3_f32 v169, v24, v25, s10
	v_pk_add_f32 v[24:25], v[4:5], v[20:21]
	v_pk_add_f32 v[20:21], v[0:1], v[20:21]
	;; [unrolled: 1-line block ×4, first 2 shown]
	v_min3_f32 v4, v4, v5, s10
	v_min3_f32 v5, v0, v1, s10
	v_pk_add_f32 v[0:1], v[14:15], v[78:79]
	v_min3_f32 v24, v24, v25, s10
	v_min3_f32 v161, v0, v1, v90
	v_pk_add_f32 v[0:1], v[10:11], v[78:79]
	;; [unrolled: 3-line block ×3, first 2 shown]
	v_pk_add_f32 v[8:9], v[8:9], v[16:17]
	v_min3_f32 v159, v0, v1, v88
	v_pk_add_f32 v[0:1], v[2:3], v[78:79]
	v_min3_f32 v8, v8, v9, s10
	v_min3_f32 v158, v0, v1, v89
	v_pk_add_f32 v[0:1], v[14:15], v[74:75]
	s_nop 0
	v_min3_f32 v157, v0, v1, v92
	v_pk_add_f32 v[0:1], v[10:11], v[74:75]
	s_nop 0
	;; [unrolled: 3-line block ×60, first 2 shown]
	v_min3_f32 v95, v0, v1, v5
	s_cbranch_scc1 .LBB14_44
; %bb.26:
	v_mov_b32_e32 v0, 0x800
	v_lshl_add_u32 v166, v124, 4, v0
	v_mov_b32_e32 v0, 0x1800
	v_add_u32_e32 v162, 0x1000, v144
	v_add_u32_e32 v163, 0x1000, v136
	;; [unrolled: 1-line block ×4, first 2 shown]
	s_add_i32 s33, s14, -8
	v_mad_i64_i32 v[80:81], s[8:9], v80, s34, 0
	v_mad_i64_i32 v[82:83], s[8:9], v82, s34, 0
	v_mad_i64_i32 v[84:85], s[8:9], v84, s35, 0
	v_mad_i64_i32 v[86:87], s[8:9], v86, s35, 0
	v_lshl_add_u32 v167, v125, 4, v0
	s_mov_b32 s34, 0
	v_mov_b32_e32 v168, 0x7f7fffff
	s_branch .LBB14_28
.LBB14_27:                              ;   in Loop: Header=BB14_28 Depth=1
	s_or_b64 exec, exec, s[8:9]
	ds_read_b128 v[0:3], v135
	ds_read_b128 v[4:7], v135 offset:512
	ds_read_b128 v[8:11], v135 offset:1024
	;; [unrolled: 1-line block ×3, first 2 shown]
	ds_read_b128 v[100:103], v163
	ds_read_b128 v[104:107], v163 offset:128
	ds_read_b128 v[108:111], v163 offset:256
	;; [unrolled: 1-line block ×15, first 2 shown]
	s_waitcnt lgkmcnt(14)
	v_pk_add_f32 v[88:89], v[0:1], v[100:101]
	s_add_i32 s34, s34, 8
	v_min3_f32 v25, v88, v89, v25
	v_pk_add_f32 v[88:89], v[4:5], v[100:101]
	s_cmp_ge_i32 s34, s33
	v_min3_f32 v130, v88, v89, v28
	v_pk_add_f32 v[88:89], v[8:9], v[100:101]
	ds_write2st64_b32 v164, v169, v170 offset1:4
	ds_write2st64_b32 v165, v90, v24 offset1:4
	v_min3_f32 v88, v88, v89, v29
	v_pk_add_f32 v[28:29], v[12:13], v[100:101]
	s_waitcnt lgkmcnt(0)
	v_min3_f32 v32, v28, v29, v32
	v_pk_add_f32 v[28:29], v[0:1], v[104:105]
	s_barrier
	v_min3_f32 v33, v28, v29, v33
	v_pk_add_f32 v[28:29], v[4:5], v[104:105]
	s_nop 0
	v_min3_f32 v36, v28, v29, v36
	v_pk_add_f32 v[28:29], v[8:9], v[104:105]
	s_nop 0
	;; [unrolled: 3-line block ×51, first 2 shown]
	v_min3_f32 v92, v28, v29, v26
	v_pk_add_f32 v[28:29], v[0:1], v[20:21]
	v_pk_add_f32 v[0:1], v[0:1], v[16:17]
	v_min3_f32 v28, v28, v29, v27
	v_pk_add_f32 v[26:27], v[4:5], v[20:21]
	s_nop 0
	v_min3_f32 v29, v26, v27, v93
	v_pk_add_f32 v[26:27], v[8:9], v[20:21]
	v_pk_add_f32 v[20:21], v[12:13], v[20:21]
	v_min3_f32 v26, v26, v27, v94
	v_min3_f32 v20, v20, v21, v95
	v_min3_f32 v21, v0, v1, v96
	v_pk_add_f32 v[0:1], v[4:5], v[16:17]
	s_nop 0
	v_min3_f32 v4, v0, v1, v97
	v_pk_add_f32 v[0:1], v[8:9], v[16:17]
	s_nop 0
	v_min3_f32 v5, v0, v1, v98
	v_pk_add_f32 v[0:1], v[12:13], v[16:17]
	s_nop 0
	v_min3_f32 v8, v0, v1, v99
	v_pk_add_f32 v[0:1], v[2:3], v[102:103]
	s_nop 0
	v_min3_f32 v161, v0, v1, v25
	v_pk_add_f32 v[0:1], v[6:7], v[102:103]
	s_nop 0
	v_min3_f32 v160, v0, v1, v130
	v_pk_add_f32 v[0:1], v[10:11], v[102:103]
	s_nop 0
	v_min3_f32 v159, v0, v1, v88
	v_pk_add_f32 v[0:1], v[14:15], v[102:103]
	s_nop 0
	v_min3_f32 v158, v0, v1, v32
	v_pk_add_f32 v[0:1], v[2:3], v[106:107]
	s_nop 0
	v_min3_f32 v157, v0, v1, v33
	v_pk_add_f32 v[0:1], v[6:7], v[106:107]
	s_nop 0
	v_min3_f32 v156, v0, v1, v36
	v_pk_add_f32 v[0:1], v[10:11], v[106:107]
	s_nop 0
	v_min3_f32 v155, v0, v1, v37
	v_pk_add_f32 v[0:1], v[14:15], v[106:107]
	s_nop 0
	v_min3_f32 v154, v0, v1, v40
	v_pk_add_f32 v[0:1], v[2:3], v[110:111]
	s_nop 0
	v_min3_f32 v153, v0, v1, v41
	v_pk_add_f32 v[0:1], v[6:7], v[110:111]
	s_nop 0
	v_min3_f32 v152, v0, v1, v44
	v_pk_add_f32 v[0:1], v[10:11], v[110:111]
	s_nop 0
	v_min3_f32 v151, v0, v1, v45
	v_pk_add_f32 v[0:1], v[14:15], v[110:111]
	s_nop 0
	v_min3_f32 v150, v0, v1, v48
	v_pk_add_f32 v[0:1], v[2:3], v[114:115]
	s_nop 0
	v_min3_f32 v149, v0, v1, v49
	v_pk_add_f32 v[0:1], v[6:7], v[114:115]
	s_nop 0
	v_min3_f32 v148, v0, v1, v52
	v_pk_add_f32 v[0:1], v[10:11], v[114:115]
	s_nop 0
	v_min3_f32 v147, v0, v1, v53
	v_pk_add_f32 v[0:1], v[14:15], v[114:115]
	s_nop 0
	v_min3_f32 v146, v0, v1, v56
	v_pk_add_f32 v[0:1], v[2:3], v[118:119]
	s_nop 0
	v_min3_f32 v145, v0, v1, v57
	v_pk_add_f32 v[0:1], v[6:7], v[118:119]
	s_nop 0
	v_min3_f32 v143, v0, v1, v60
	v_pk_add_f32 v[0:1], v[10:11], v[118:119]
	s_nop 0
	v_min3_f32 v142, v0, v1, v61
	v_pk_add_f32 v[0:1], v[14:15], v[118:119]
	s_nop 0
	v_min3_f32 v141, v0, v1, v62
	v_pk_add_f32 v[0:1], v[2:3], v[122:123]
	s_nop 0
	v_min3_f32 v140, v0, v1, v63
	v_pk_add_f32 v[0:1], v[6:7], v[122:123]
	s_nop 0
	v_min3_f32 v139, v0, v1, v64
	v_pk_add_f32 v[0:1], v[10:11], v[122:123]
	s_nop 0
	v_min3_f32 v138, v0, v1, v65
	v_pk_add_f32 v[0:1], v[14:15], v[122:123]
	s_nop 0
	v_min3_f32 v137, v0, v1, v58
	v_pk_add_f32 v[0:1], v[2:3], v[128:129]
	s_nop 0
	v_min3_f32 v133, v0, v1, v59
	v_pk_add_f32 v[0:1], v[6:7], v[128:129]
	s_nop 0
	v_min3_f32 v132, v0, v1, v66
	v_pk_add_f32 v[0:1], v[10:11], v[128:129]
	s_nop 0
	v_min3_f32 v131, v0, v1, v67
	v_pk_add_f32 v[0:1], v[14:15], v[128:129]
	s_nop 0
	v_min3_f32 v130, v0, v1, v54
	v_pk_add_f32 v[0:1], v[2:3], v[174:175]
	s_nop 0
	v_min3_f32 v129, v0, v1, v55
	v_pk_add_f32 v[0:1], v[6:7], v[174:175]
	s_nop 0
	v_min3_f32 v128, v0, v1, v68
	v_pk_add_f32 v[0:1], v[10:11], v[174:175]
	s_nop 0
	v_min3_f32 v127, v0, v1, v69
	v_pk_add_f32 v[0:1], v[14:15], v[174:175]
	s_nop 0
	v_min3_f32 v126, v0, v1, v50
	v_pk_add_f32 v[0:1], v[2:3], v[178:179]
	s_nop 0
	v_min3_f32 v123, v0, v1, v51
	v_pk_add_f32 v[0:1], v[6:7], v[178:179]
	s_nop 0
	v_min3_f32 v122, v0, v1, v70
	v_pk_add_f32 v[0:1], v[10:11], v[178:179]
	s_nop 0
	v_min3_f32 v121, v0, v1, v71
	v_pk_add_f32 v[0:1], v[14:15], v[178:179]
	s_nop 0
	v_min3_f32 v120, v0, v1, v46
	v_pk_add_f32 v[0:1], v[2:3], v[182:183]
	s_nop 0
	v_min3_f32 v119, v0, v1, v47
	v_pk_add_f32 v[0:1], v[6:7], v[182:183]
	s_nop 0
	v_min3_f32 v118, v0, v1, v72
	v_pk_add_f32 v[0:1], v[10:11], v[182:183]
	s_nop 0
	v_min3_f32 v117, v0, v1, v73
	v_pk_add_f32 v[0:1], v[14:15], v[182:183]
	s_nop 0
	v_min3_f32 v116, v0, v1, v42
	v_pk_add_f32 v[0:1], v[2:3], v[186:187]
	s_nop 0
	v_min3_f32 v115, v0, v1, v43
	v_pk_add_f32 v[0:1], v[6:7], v[186:187]
	s_nop 0
	v_min3_f32 v114, v0, v1, v74
	v_pk_add_f32 v[0:1], v[10:11], v[186:187]
	s_nop 0
	v_min3_f32 v113, v0, v1, v75
	v_pk_add_f32 v[0:1], v[14:15], v[186:187]
	s_nop 0
	v_min3_f32 v112, v0, v1, v38
	v_pk_add_f32 v[0:1], v[2:3], v[190:191]
	s_nop 0
	v_min3_f32 v111, v0, v1, v39
	v_pk_add_f32 v[0:1], v[6:7], v[190:191]
	s_nop 0
	v_min3_f32 v110, v0, v1, v76
	v_pk_add_f32 v[0:1], v[10:11], v[190:191]
	s_nop 0
	v_min3_f32 v109, v0, v1, v77
	v_pk_add_f32 v[0:1], v[14:15], v[190:191]
	s_nop 0
	v_min3_f32 v108, v0, v1, v34
	v_pk_add_f32 v[0:1], v[2:3], v[194:195]
	s_nop 0
	v_min3_f32 v107, v0, v1, v35
	v_pk_add_f32 v[0:1], v[6:7], v[194:195]
	s_nop 0
	v_min3_f32 v106, v0, v1, v78
	v_pk_add_f32 v[0:1], v[10:11], v[194:195]
	s_nop 0
	v_min3_f32 v105, v0, v1, v79
	v_pk_add_f32 v[0:1], v[14:15], v[194:195]
	s_nop 0
	v_min3_f32 v104, v0, v1, v30
	v_pk_add_f32 v[0:1], v[2:3], v[198:199]
	s_nop 0
	v_min3_f32 v103, v0, v1, v31
	v_pk_add_f32 v[0:1], v[6:7], v[198:199]
	s_nop 0
	v_min3_f32 v102, v0, v1, v89
	v_pk_add_f32 v[0:1], v[10:11], v[198:199]
	s_nop 0
	v_min3_f32 v101, v0, v1, v91
	v_pk_add_f32 v[0:1], v[14:15], v[198:199]
	s_nop 0
	v_min3_f32 v100, v0, v1, v92
	v_pk_add_f32 v[0:1], v[2:3], v[22:23]
	s_nop 0
	v_min3_f32 v99, v0, v1, v28
	v_pk_add_f32 v[0:1], v[6:7], v[22:23]
	s_nop 0
	v_min3_f32 v98, v0, v1, v29
	v_pk_add_f32 v[0:1], v[10:11], v[22:23]
	s_nop 0
	v_min3_f32 v97, v0, v1, v26
	v_pk_add_f32 v[0:1], v[14:15], v[22:23]
	s_nop 0
	v_min3_f32 v96, v0, v1, v20
	v_pk_add_f32 v[0:1], v[2:3], v[18:19]
	s_nop 0
	v_min3_f32 v94, v0, v1, v21
	v_pk_add_f32 v[0:1], v[6:7], v[18:19]
	s_nop 0
	v_min3_f32 v93, v0, v1, v4
	v_pk_add_f32 v[0:1], v[10:11], v[18:19]
	s_nop 0
	v_min3_f32 v92, v0, v1, v5
	v_pk_add_f32 v[0:1], v[14:15], v[18:19]
	s_nop 0
	v_min3_f32 v95, v0, v1, v8
	s_cbranch_scc1 .LBB14_44
.LBB14_28:                              ; =>This Inner Loop Header: Depth=1
	v_add_u32_e32 v88, s34, v134
	v_add_u32_e32 v0, 8, v88
	v_cmp_le_i32_e64 s[8:9], s14, v0
	v_min_i32_e32 v0, s31, v0
	s_or_b64 s[10:11], vcc, s[8:9]
	v_ashrrev_i32_e32 v1, 31, v0
	v_cndmask_b32_e64 v89, 0, v168, s[10:11]
	s_or_b64 s[10:11], s[26:27], s[10:11]
	v_lshl_add_u64 v[2:3], v[0:1], 2, s[22:23]
	s_xor_b64 s[36:37], s[10:11], -1
	s_and_saveexec_b64 s[10:11], s[36:37]
	s_cbranch_execz .LBB14_30
; %bb.29:                               ;   in Loop: Header=BB14_28 Depth=1
	v_lshl_add_u64 v[4:5], v[80:81], 2, v[2:3]
	flat_load_dword v4, v[4:5]
	s_waitcnt vmcnt(0) lgkmcnt(0)
	v_mul_f32_e32 v89, s15, v4
.LBB14_30:                              ;   in Loop: Header=BB14_28 Depth=1
	s_or_b64 exec, exec, s[10:11]
	s_or_b64 s[10:11], s[2:3], s[8:9]
	v_cndmask_b32_e64 v90, 0, v168, s[10:11]
	s_or_b64 s[10:11], s[26:27], s[10:11]
	s_xor_b64 s[36:37], s[10:11], -1
	s_and_saveexec_b64 s[10:11], s[36:37]
	s_cbranch_execz .LBB14_32
; %bb.31:                               ;   in Loop: Header=BB14_28 Depth=1
	v_lshl_add_u64 v[2:3], v[82:83], 2, v[2:3]
	flat_load_dword v2, v[2:3]
	s_waitcnt vmcnt(0) lgkmcnt(0)
	v_mul_f32_e32 v90, s15, v2
.LBB14_32:                              ;   in Loop: Header=BB14_28 Depth=1
	s_or_b64 exec, exec, s[10:11]
	s_or_b64 s[10:11], s[4:5], s[8:9]
	v_cndmask_b32_e64 v91, 0, v168, s[10:11]
	s_or_b64 s[10:11], s[26:27], s[10:11]
	v_lshl_add_u64 v[0:1], v[0:1], 2, s[24:25]
	s_xor_b64 s[36:37], s[10:11], -1
	s_and_saveexec_b64 s[10:11], s[36:37]
	s_cbranch_execz .LBB14_34
; %bb.33:                               ;   in Loop: Header=BB14_28 Depth=1
	v_lshl_add_u64 v[2:3], v[84:85], 2, v[0:1]
	flat_load_dword v2, v[2:3]
	s_waitcnt vmcnt(0) lgkmcnt(0)
	v_mul_f32_e32 v91, s15, v2
.LBB14_34:                              ;   in Loop: Header=BB14_28 Depth=1
	s_or_b64 exec, exec, s[10:11]
	s_or_b64 s[8:9], s[6:7], s[8:9]
	v_cndmask_b32_e64 v169, 0, v168, s[8:9]
	s_or_b64 s[8:9], s[26:27], s[8:9]
	s_xor_b64 s[10:11], s[8:9], -1
	s_and_saveexec_b64 s[8:9], s[10:11]
	s_cbranch_execz .LBB14_36
; %bb.35:                               ;   in Loop: Header=BB14_28 Depth=1
	v_lshl_add_u64 v[0:1], v[86:87], 2, v[0:1]
	flat_load_dword v0, v[0:1]
	s_waitcnt vmcnt(0) lgkmcnt(0)
	v_mul_f32_e32 v169, s15, v0
.LBB14_36:                              ;   in Loop: Header=BB14_28 Depth=1
	s_or_b64 exec, exec, s[8:9]
	ds_read_b128 v[12:15], v166
	ds_read_b128 v[8:11], v166 offset:512
	ds_read_b128 v[4:7], v166 offset:1024
	;; [unrolled: 1-line block ×3, first 2 shown]
	ds_read_b128 v[76:79], v167
	ds_read_b128 v[72:75], v167 offset:128
	ds_read_b128 v[68:71], v167 offset:256
	ds_read_b128 v[64:67], v167 offset:384
	ds_read_b128 v[60:63], v167 offset:512
	ds_read_b128 v[56:59], v167 offset:640
	ds_read_b128 v[52:55], v167 offset:768
	ds_read_b128 v[48:51], v167 offset:896
	ds_read_b128 v[44:47], v167 offset:1024
	ds_read_b128 v[40:43], v167 offset:1152
	ds_read_b128 v[36:39], v167 offset:1280
	ds_read_b128 v[32:35], v167 offset:1408
	ds_read_b128 v[28:31], v167 offset:1536
	ds_read_b128 v[24:27], v167 offset:1664
	ds_read_b128 v[20:23], v167 offset:1792
	ds_read_b128 v[16:19], v167 offset:1920
	v_add_u32_e32 v88, 12, v88
	v_cmp_le_i32_e64 s[8:9], s14, v88
	v_min_i32_e32 v88, s31, v88
	s_or_b64 s[10:11], vcc, s[8:9]
	ds_write2st64_b32 v144, v89, v90 offset1:4
	ds_write2st64_b32 v162, v91, v169 offset1:4
	v_ashrrev_i32_e32 v89, 31, v88
	v_cndmask_b32_e64 v169, 0, v168, s[10:11]
	s_or_b64 s[10:11], s[26:27], s[10:11]
	v_lshl_add_u64 v[90:91], v[88:89], 2, s[22:23]
	s_xor_b64 s[36:37], s[10:11], -1
	s_waitcnt lgkmcnt(0)
	s_barrier
	s_and_saveexec_b64 s[10:11], s[36:37]
	s_cbranch_execz .LBB14_38
; %bb.37:                               ;   in Loop: Header=BB14_28 Depth=1
	v_lshl_add_u64 v[170:171], v[80:81], 2, v[90:91]
	flat_load_dword v169, v[170:171]
	s_waitcnt vmcnt(0) lgkmcnt(0)
	v_mul_f32_e32 v169, s15, v169
.LBB14_38:                              ;   in Loop: Header=BB14_28 Depth=1
	s_or_b64 exec, exec, s[10:11]
	s_or_b64 s[10:11], s[2:3], s[8:9]
	v_cndmask_b32_e64 v170, 0, v168, s[10:11]
	s_or_b64 s[10:11], s[26:27], s[10:11]
	s_xor_b64 s[36:37], s[10:11], -1
	s_and_saveexec_b64 s[10:11], s[36:37]
	s_cbranch_execz .LBB14_40
; %bb.39:                               ;   in Loop: Header=BB14_28 Depth=1
	v_lshl_add_u64 v[90:91], v[82:83], 2, v[90:91]
	flat_load_dword v90, v[90:91]
	s_waitcnt vmcnt(0) lgkmcnt(0)
	v_mul_f32_e32 v170, s15, v90
.LBB14_40:                              ;   in Loop: Header=BB14_28 Depth=1
	s_or_b64 exec, exec, s[10:11]
	s_or_b64 s[10:11], s[4:5], s[8:9]
	v_cndmask_b32_e64 v90, 0, v168, s[10:11]
	s_or_b64 s[10:11], s[26:27], s[10:11]
	v_lshl_add_u64 v[88:89], v[88:89], 2, s[24:25]
	s_xor_b64 s[36:37], s[10:11], -1
	s_and_saveexec_b64 s[10:11], s[36:37]
	s_cbranch_execz .LBB14_42
; %bb.41:                               ;   in Loop: Header=BB14_28 Depth=1
	v_lshl_add_u64 v[90:91], v[84:85], 2, v[88:89]
	flat_load_dword v90, v[90:91]
	s_waitcnt vmcnt(0) lgkmcnt(0)
	v_mul_f32_e32 v90, s15, v90
.LBB14_42:                              ;   in Loop: Header=BB14_28 Depth=1
	s_or_b64 exec, exec, s[10:11]
	v_pk_add_f32 v[172:173], v[12:13], v[76:77]
	s_or_b64 s[8:9], s[6:7], s[8:9]
	v_min3_f32 v91, v172, v173, v161
	v_pk_add_f32 v[172:173], v[8:9], v[76:77]
	s_nop 0
	v_min3_f32 v171, v172, v173, v160
	v_pk_add_f32 v[160:161], v[4:5], v[76:77]
	v_pk_add_f32 v[76:77], v[0:1], v[76:77]
	v_min3_f32 v159, v160, v161, v159
	v_min3_f32 v158, v76, v77, v158
	v_pk_add_f32 v[76:77], v[12:13], v[72:73]
	s_nop 0
	v_min3_f32 v157, v76, v77, v157
	v_pk_add_f32 v[76:77], v[8:9], v[72:73]
	s_nop 0
	v_min3_f32 v156, v76, v77, v156
	v_pk_add_f32 v[76:77], v[4:5], v[72:73]
	v_pk_add_f32 v[72:73], v[0:1], v[72:73]
	v_min3_f32 v76, v76, v77, v155
	v_min3_f32 v77, v72, v73, v154
	v_pk_add_f32 v[72:73], v[12:13], v[68:69]
	s_nop 0
	v_min3_f32 v153, v72, v73, v153
	v_pk_add_f32 v[72:73], v[8:9], v[68:69]
	s_nop 0
	v_min3_f32 v152, v72, v73, v152
	v_pk_add_f32 v[72:73], v[4:5], v[68:69]
	v_pk_add_f32 v[68:69], v[0:1], v[68:69]
	v_min3_f32 v72, v72, v73, v151
	v_min3_f32 v73, v68, v69, v150
	v_pk_add_f32 v[68:69], v[12:13], v[64:65]
	s_nop 0
	v_min3_f32 v149, v68, v69, v149
	v_pk_add_f32 v[68:69], v[8:9], v[64:65]
	s_nop 0
	v_min3_f32 v148, v68, v69, v148
	v_pk_add_f32 v[68:69], v[4:5], v[64:65]
	v_pk_add_f32 v[64:65], v[0:1], v[64:65]
	v_min3_f32 v68, v68, v69, v147
	v_min3_f32 v69, v64, v65, v146
	v_pk_add_f32 v[64:65], v[12:13], v[60:61]
	s_nop 0
	v_min3_f32 v145, v64, v65, v145
	v_pk_add_f32 v[64:65], v[8:9], v[60:61]
	s_nop 0
	v_min3_f32 v143, v64, v65, v143
	v_pk_add_f32 v[64:65], v[4:5], v[60:61]
	v_pk_add_f32 v[60:61], v[0:1], v[60:61]
	v_min3_f32 v64, v64, v65, v142
	v_min3_f32 v65, v60, v61, v141
	v_pk_add_f32 v[60:61], v[12:13], v[56:57]
	s_nop 0
	v_min3_f32 v140, v60, v61, v140
	v_pk_add_f32 v[60:61], v[8:9], v[56:57]
	s_nop 0
	v_min3_f32 v139, v60, v61, v139
	v_pk_add_f32 v[60:61], v[4:5], v[56:57]
	v_pk_add_f32 v[56:57], v[0:1], v[56:57]
	v_min3_f32 v138, v60, v61, v138
	v_min3_f32 v137, v56, v57, v137
	v_pk_add_f32 v[56:57], v[12:13], v[52:53]
	s_nop 0
	v_min3_f32 v133, v56, v57, v133
	v_pk_add_f32 v[56:57], v[8:9], v[52:53]
	s_nop 0
	v_min3_f32 v132, v56, v57, v132
	v_pk_add_f32 v[56:57], v[4:5], v[52:53]
	v_pk_add_f32 v[52:53], v[0:1], v[52:53]
	v_min3_f32 v131, v56, v57, v131
	v_min3_f32 v130, v52, v53, v130
	v_pk_add_f32 v[52:53], v[12:13], v[48:49]
	s_nop 0
	v_min3_f32 v129, v52, v53, v129
	v_pk_add_f32 v[52:53], v[8:9], v[48:49]
	s_nop 0
	v_min3_f32 v128, v52, v53, v128
	v_pk_add_f32 v[52:53], v[4:5], v[48:49]
	v_pk_add_f32 v[48:49], v[0:1], v[48:49]
	v_min3_f32 v127, v52, v53, v127
	v_min3_f32 v126, v48, v49, v126
	v_pk_add_f32 v[48:49], v[12:13], v[44:45]
	s_nop 0
	v_min3_f32 v123, v48, v49, v123
	v_pk_add_f32 v[48:49], v[8:9], v[44:45]
	s_nop 0
	v_min3_f32 v122, v48, v49, v122
	v_pk_add_f32 v[48:49], v[4:5], v[44:45]
	v_pk_add_f32 v[44:45], v[0:1], v[44:45]
	v_min3_f32 v121, v48, v49, v121
	v_min3_f32 v120, v44, v45, v120
	v_pk_add_f32 v[44:45], v[12:13], v[40:41]
	s_nop 0
	v_min3_f32 v119, v44, v45, v119
	v_pk_add_f32 v[44:45], v[8:9], v[40:41]
	s_nop 0
	v_min3_f32 v118, v44, v45, v118
	v_pk_add_f32 v[44:45], v[4:5], v[40:41]
	v_pk_add_f32 v[40:41], v[0:1], v[40:41]
	v_min3_f32 v117, v44, v45, v117
	v_min3_f32 v116, v40, v41, v116
	v_pk_add_f32 v[40:41], v[12:13], v[36:37]
	s_nop 0
	v_min3_f32 v115, v40, v41, v115
	v_pk_add_f32 v[40:41], v[8:9], v[36:37]
	s_nop 0
	v_min3_f32 v114, v40, v41, v114
	v_pk_add_f32 v[40:41], v[4:5], v[36:37]
	v_pk_add_f32 v[36:37], v[0:1], v[36:37]
	v_min3_f32 v113, v40, v41, v113
	v_min3_f32 v112, v36, v37, v112
	v_pk_add_f32 v[36:37], v[12:13], v[32:33]
	s_nop 0
	v_min3_f32 v111, v36, v37, v111
	v_pk_add_f32 v[36:37], v[8:9], v[32:33]
	s_nop 0
	v_min3_f32 v110, v36, v37, v110
	v_pk_add_f32 v[36:37], v[4:5], v[32:33]
	v_pk_add_f32 v[32:33], v[0:1], v[32:33]
	v_min3_f32 v109, v36, v37, v109
	v_min3_f32 v108, v32, v33, v108
	v_pk_add_f32 v[32:33], v[12:13], v[28:29]
	s_nop 0
	v_min3_f32 v107, v32, v33, v107
	v_pk_add_f32 v[32:33], v[8:9], v[28:29]
	s_nop 0
	v_min3_f32 v106, v32, v33, v106
	v_pk_add_f32 v[32:33], v[4:5], v[28:29]
	v_pk_add_f32 v[28:29], v[0:1], v[28:29]
	v_min3_f32 v105, v32, v33, v105
	v_min3_f32 v104, v28, v29, v104
	v_pk_add_f32 v[28:29], v[12:13], v[24:25]
	s_nop 0
	v_min3_f32 v103, v28, v29, v103
	v_pk_add_f32 v[28:29], v[8:9], v[24:25]
	s_nop 0
	v_min3_f32 v102, v28, v29, v102
	v_pk_add_f32 v[28:29], v[4:5], v[24:25]
	v_pk_add_f32 v[24:25], v[0:1], v[24:25]
	v_min3_f32 v101, v28, v29, v101
	v_min3_f32 v100, v24, v25, v100
	v_pk_add_f32 v[24:25], v[12:13], v[20:21]
	v_pk_add_f32 v[12:13], v[12:13], v[16:17]
	v_min3_f32 v99, v24, v25, v99
	v_pk_add_f32 v[24:25], v[8:9], v[20:21]
	v_pk_add_f32 v[8:9], v[8:9], v[16:17]
	;; [unrolled: 3-line block ×3, first 2 shown]
	v_pk_add_f32 v[4:5], v[4:5], v[16:17]
	v_pk_add_f32 v[0:1], v[0:1], v[16:17]
	v_min3_f32 v4, v4, v5, v92
	v_min3_f32 v5, v0, v1, v95
	v_pk_add_f32 v[0:1], v[14:15], v[78:79]
	v_min3_f32 v24, v24, v25, v97
	v_min3_f32 v25, v0, v1, v91
	;; [unrolled: 3-line block ×5, first 2 shown]
	v_pk_add_f32 v[0:1], v[14:15], v[74:75]
	s_nop 0
	v_min3_f32 v33, v0, v1, v157
	v_pk_add_f32 v[0:1], v[10:11], v[74:75]
	s_nop 0
	v_min3_f32 v36, v0, v1, v156
	;; [unrolled: 3-line block ×55, first 2 shown]
	v_pk_add_f32 v[0:1], v[2:3], v[22:23]
	v_cndmask_b32_e64 v24, 0, v168, s[8:9]
	v_min3_f32 v95, v0, v1, v20
	v_pk_add_f32 v[0:1], v[14:15], v[18:19]
	s_or_b64 s[8:9], s[26:27], s[8:9]
	v_min3_f32 v96, v0, v1, v12
	v_pk_add_f32 v[0:1], v[10:11], v[18:19]
	s_xor_b64 s[10:11], s[8:9], -1
	v_min3_f32 v97, v0, v1, v8
	v_pk_add_f32 v[0:1], v[6:7], v[18:19]
	s_nop 0
	v_min3_f32 v98, v0, v1, v4
	v_pk_add_f32 v[0:1], v[2:3], v[18:19]
	s_nop 0
	v_min3_f32 v99, v0, v1, v5
	s_and_saveexec_b64 s[8:9], s[10:11]
	s_cbranch_execz .LBB14_27
; %bb.43:                               ;   in Loop: Header=BB14_28 Depth=1
	v_lshl_add_u64 v[0:1], v[86:87], 2, v[88:89]
	flat_load_dword v0, v[0:1]
	s_waitcnt vmcnt(0) lgkmcnt(0)
	v_mul_f32_e32 v24, s15, v0
	s_branch .LBB14_27
.LBB14_44:
	s_load_dwordx2 s[2:3], s[0:1], 0x70
	s_load_dword s23, s[0:1], 0x50
	s_load_dword s22, s[0:1], 0x68
	ds_read_b128 v[16:19], v135 offset:2048
	ds_read_b128 v[12:15], v135 offset:2560
	;; [unrolled: 1-line block ×20, first 2 shown]
	s_waitcnt lgkmcnt(0)
	s_lshl_b64 s[0:1], s[2:3], 2
	s_add_u32 s14, s20, s0
	v_add_u32_e32 v80, s29, v124
	v_add_u32_e32 v124, s30, v125
	s_addc_u32 s15, s21, s1
	v_mad_i64_i32 v[82:83], s[0:1], v124, s23, 0
	v_lshl_add_u64 v[90:91], v[82:83], 2, s[16:17]
	v_mad_i64_i32 v[82:83], s[0:1], v124, s22, 0
	v_cmp_gt_i32_e64 s[2:3], s12, v80
	v_cmp_gt_i32_e64 s[10:11], s13, v124
	v_lshl_add_u64 v[88:89], v[82:83], 2, s[14:15]
	v_cndmask_b32_e64 v82, 0, 1, s[18:19]
	v_ashrrev_i32_e32 v81, 31, v80
	s_and_b64 s[6:7], s[2:3], s[10:11]
	v_cmp_ne_u32_e64 s[0:1], 1, v82
	s_and_saveexec_b64 s[4:5], s[6:7]
	s_cbranch_execz .LBB14_49
; %bb.45:
	s_and_b64 vcc, exec, s[0:1]
	s_cbranch_vccnz .LBB14_47
; %bb.46:
	v_lshl_add_u64 v[82:83], v[80:81], 2, v[90:91]
	flat_load_dword v82, v[82:83]
	s_waitcnt vmcnt(0) lgkmcnt(0)
	v_mul_f32_e32 v82, s28, v82
	s_branch .LBB14_48
.LBB14_47:
	v_mov_b32_e32 v82, 0
.LBB14_48:
	v_pk_add_f32 v[84:85], v[16:17], v[76:77]
	s_nop 0
	v_min3_f32 v83, v84, v85, v161
	v_pk_add_f32 v[84:85], v[18:19], v[78:79]
	s_nop 0
	v_min_f32_e32 v84, v84, v85
	v_min3_f32 v84, v82, v84, v83
	v_lshl_add_u64 v[82:83], v[80:81], 2, v[88:89]
	global_store_dword v[82:83], v84, off
.LBB14_49:
	s_or_b64 exec, exec, s[4:5]
	v_add_u32_e32 v82, 32, v80
	v_cmp_gt_i32_e64 s[4:5], s12, v82
	v_ashrrev_i32_e32 v83, 31, v82
	s_and_b64 s[8:9], s[4:5], s[10:11]
	s_and_saveexec_b64 s[6:7], s[8:9]
	s_cbranch_execz .LBB14_54
; %bb.50:
	s_and_b64 vcc, exec, s[0:1]
	s_cbranch_vccnz .LBB14_52
; %bb.51:
	v_lshl_add_u64 v[84:85], v[82:83], 2, v[90:91]
	flat_load_dword v84, v[84:85]
	s_waitcnt vmcnt(0) lgkmcnt(0)
	v_mul_f32_e32 v84, s28, v84
	s_branch .LBB14_53
.LBB14_52:
	v_mov_b32_e32 v84, 0
.LBB14_53:
	v_pk_add_f32 v[86:87], v[12:13], v[76:77]
	s_nop 0
	v_min3_f32 v85, v86, v87, v160
	v_pk_add_f32 v[86:87], v[14:15], v[78:79]
	s_nop 0
	v_min_f32_e32 v86, v86, v87
	v_min3_f32 v86, v84, v86, v85
	v_lshl_add_u64 v[84:85], v[82:83], 2, v[88:89]
	global_store_dword v[84:85], v86, off
.LBB14_54:
	s_or_b64 exec, exec, s[6:7]
	v_add_u32_e32 v84, 64, v80
	v_cmp_gt_i32_e64 s[6:7], s12, v84
	v_ashrrev_i32_e32 v85, 31, v84
	s_and_b64 s[18:19], s[6:7], s[10:11]
	;; [unrolled: 29-line block ×3, first 2 shown]
	s_and_saveexec_b64 s[10:11], s[18:19]
	s_cbranch_execz .LBB14_64
; %bb.60:
	s_and_b64 vcc, exec, s[0:1]
	s_cbranch_vccnz .LBB14_62
; %bb.61:
	v_lshl_add_u64 v[90:91], v[86:87], 2, v[90:91]
	flat_load_dword v90, v[90:91]
	s_waitcnt vmcnt(0) lgkmcnt(0)
	v_mul_f32_e32 v90, s28, v90
	s_branch .LBB14_63
.LBB14_62:
	v_mov_b32_e32 v90, 0
.LBB14_63:
	v_pk_add_f32 v[76:77], v[0:1], v[76:77]
	s_nop 0
	v_min3_f32 v91, v76, v77, v158
	v_pk_add_f32 v[76:77], v[2:3], v[78:79]
	s_nop 0
	v_min_f32_e32 v76, v76, v77
	v_min3_f32 v78, v90, v76, v91
	v_lshl_add_u64 v[76:77], v[86:87], 2, v[88:89]
	global_store_dword v[76:77], v78, off
.LBB14_64:
	s_or_b64 exec, exec, s[10:11]
	v_add_u32_e32 v88, 8, v124
	v_mad_i64_i32 v[76:77], s[18:19], v88, s23, 0
	v_cmp_gt_i32_e64 s[10:11], s13, v88
	v_lshl_add_u64 v[78:79], v[76:77], 2, s[16:17]
	v_mad_i64_i32 v[76:77], s[18:19], v88, s22, 0
	v_lshl_add_u64 v[76:77], v[76:77], 2, s[14:15]
	s_and_b64 s[20:21], s[2:3], s[10:11]
	s_and_saveexec_b64 s[18:19], s[20:21]
	s_cbranch_execnz .LBB14_68
; %bb.65:
	s_or_b64 exec, exec, s[18:19]
	s_and_b64 s[20:21], s[4:5], s[10:11]
	s_and_saveexec_b64 s[18:19], s[20:21]
	s_cbranch_execnz .LBB14_72
.LBB14_66:
	s_or_b64 exec, exec, s[18:19]
	s_and_b64 s[20:21], s[6:7], s[10:11]
	s_and_saveexec_b64 s[18:19], s[20:21]
	s_cbranch_execnz .LBB14_76
.LBB14_67:
	s_or_b64 exec, exec, s[18:19]
	s_and_b64 s[18:19], s[8:9], s[10:11]
	s_and_saveexec_b64 s[10:11], s[18:19]
	s_cbranch_execnz .LBB14_80
	s_branch .LBB14_84
.LBB14_68:
	s_and_b64 vcc, exec, s[0:1]
	s_cbranch_vccnz .LBB14_70
; %bb.69:
	v_lshl_add_u64 v[88:89], v[80:81], 2, v[78:79]
	flat_load_dword v88, v[88:89]
	s_waitcnt vmcnt(0) lgkmcnt(0)
	v_mul_f32_e32 v88, s28, v88
	s_branch .LBB14_71
.LBB14_70:
	v_mov_b32_e32 v88, 0
.LBB14_71:
	v_pk_add_f32 v[90:91], v[16:17], v[72:73]
	s_nop 0
	v_min3_f32 v89, v90, v91, v157
	v_pk_add_f32 v[90:91], v[18:19], v[74:75]
	s_nop 0
	v_min_f32_e32 v90, v90, v91
	v_min3_f32 v90, v88, v90, v89
	v_lshl_add_u64 v[88:89], v[80:81], 2, v[76:77]
	global_store_dword v[88:89], v90, off
	s_or_b64 exec, exec, s[18:19]
	s_and_b64 s[20:21], s[4:5], s[10:11]
	s_and_saveexec_b64 s[18:19], s[20:21]
	s_cbranch_execz .LBB14_66
.LBB14_72:
	s_and_b64 vcc, exec, s[0:1]
	s_cbranch_vccnz .LBB14_74
; %bb.73:
	v_lshl_add_u64 v[88:89], v[82:83], 2, v[78:79]
	flat_load_dword v88, v[88:89]
	s_waitcnt vmcnt(0) lgkmcnt(0)
	v_mul_f32_e32 v88, s28, v88
	s_branch .LBB14_75
.LBB14_74:
	v_mov_b32_e32 v88, 0
.LBB14_75:
	v_pk_add_f32 v[90:91], v[12:13], v[72:73]
	s_nop 0
	v_min3_f32 v89, v90, v91, v156
	v_pk_add_f32 v[90:91], v[14:15], v[74:75]
	s_nop 0
	v_min_f32_e32 v90, v90, v91
	v_min3_f32 v90, v88, v90, v89
	v_lshl_add_u64 v[88:89], v[82:83], 2, v[76:77]
	global_store_dword v[88:89], v90, off
	s_or_b64 exec, exec, s[18:19]
	s_and_b64 s[20:21], s[6:7], s[10:11]
	s_and_saveexec_b64 s[18:19], s[20:21]
	s_cbranch_execz .LBB14_67
.LBB14_76:
	s_and_b64 vcc, exec, s[0:1]
	s_cbranch_vccnz .LBB14_78
; %bb.77:
	v_lshl_add_u64 v[88:89], v[84:85], 2, v[78:79]
	flat_load_dword v88, v[88:89]
	s_waitcnt vmcnt(0) lgkmcnt(0)
	v_mul_f32_e32 v88, s28, v88
	s_branch .LBB14_79
.LBB14_78:
	v_mov_b32_e32 v88, 0
.LBB14_79:
	v_pk_add_f32 v[90:91], v[8:9], v[72:73]
	s_nop 0
	v_min3_f32 v89, v90, v91, v155
	v_pk_add_f32 v[90:91], v[10:11], v[74:75]
	s_nop 0
	v_min_f32_e32 v90, v90, v91
	v_min3_f32 v90, v88, v90, v89
	v_lshl_add_u64 v[88:89], v[84:85], 2, v[76:77]
	global_store_dword v[88:89], v90, off
	s_or_b64 exec, exec, s[18:19]
	s_and_b64 s[18:19], s[8:9], s[10:11]
	s_and_saveexec_b64 s[10:11], s[18:19]
	s_cbranch_execz .LBB14_84
.LBB14_80:
	s_and_b64 vcc, exec, s[0:1]
	s_cbranch_vccnz .LBB14_82
; %bb.81:
	v_lshl_add_u64 v[78:79], v[86:87], 2, v[78:79]
	flat_load_dword v78, v[78:79]
	s_waitcnt vmcnt(0) lgkmcnt(0)
	v_mul_f32_e32 v78, s28, v78
	s_branch .LBB14_83
.LBB14_82:
	v_mov_b32_e32 v78, 0
.LBB14_83:
	v_pk_add_f32 v[72:73], v[0:1], v[72:73]
	s_nop 0
	v_min3_f32 v79, v72, v73, v154
	v_pk_add_f32 v[72:73], v[2:3], v[74:75]
	s_nop 0
	v_min_f32_e32 v72, v72, v73
	v_min3_f32 v74, v78, v72, v79
	v_lshl_add_u64 v[72:73], v[86:87], 2, v[76:77]
	global_store_dword v[72:73], v74, off
.LBB14_84:
	s_or_b64 exec, exec, s[10:11]
	v_add_u32_e32 v76, 16, v124
	v_mad_i64_i32 v[72:73], s[18:19], v76, s23, 0
	v_cmp_gt_i32_e64 s[10:11], s13, v76
	v_lshl_add_u64 v[74:75], v[72:73], 2, s[16:17]
	v_mad_i64_i32 v[72:73], s[18:19], v76, s22, 0
	v_lshl_add_u64 v[72:73], v[72:73], 2, s[14:15]
	s_and_b64 s[20:21], s[2:3], s[10:11]
	s_and_saveexec_b64 s[18:19], s[20:21]
	s_cbranch_execnz .LBB14_88
; %bb.85:
	s_or_b64 exec, exec, s[18:19]
	s_and_b64 s[20:21], s[4:5], s[10:11]
	s_and_saveexec_b64 s[18:19], s[20:21]
	s_cbranch_execnz .LBB14_92
.LBB14_86:
	s_or_b64 exec, exec, s[18:19]
	s_and_b64 s[20:21], s[6:7], s[10:11]
	s_and_saveexec_b64 s[18:19], s[20:21]
	s_cbranch_execnz .LBB14_96
.LBB14_87:
	s_or_b64 exec, exec, s[18:19]
	s_and_b64 s[18:19], s[8:9], s[10:11]
	s_and_saveexec_b64 s[10:11], s[18:19]
	s_cbranch_execnz .LBB14_100
	s_branch .LBB14_104
.LBB14_88:
	s_and_b64 vcc, exec, s[0:1]
	s_cbranch_vccnz .LBB14_90
; %bb.89:
	v_lshl_add_u64 v[76:77], v[80:81], 2, v[74:75]
	flat_load_dword v76, v[76:77]
	s_waitcnt vmcnt(0) lgkmcnt(0)
	v_mul_f32_e32 v76, s28, v76
	s_branch .LBB14_91
.LBB14_90:
	v_mov_b32_e32 v76, 0
.LBB14_91:
	v_pk_add_f32 v[78:79], v[16:17], v[68:69]
	s_nop 0
	v_min3_f32 v77, v78, v79, v153
	v_pk_add_f32 v[78:79], v[18:19], v[70:71]
	s_nop 0
	v_min_f32_e32 v78, v78, v79
	v_min3_f32 v78, v76, v78, v77
	v_lshl_add_u64 v[76:77], v[80:81], 2, v[72:73]
	global_store_dword v[76:77], v78, off
	s_or_b64 exec, exec, s[18:19]
	s_and_b64 s[20:21], s[4:5], s[10:11]
	s_and_saveexec_b64 s[18:19], s[20:21]
	s_cbranch_execz .LBB14_86
.LBB14_92:
	s_and_b64 vcc, exec, s[0:1]
	s_cbranch_vccnz .LBB14_94
; %bb.93:
	v_lshl_add_u64 v[76:77], v[82:83], 2, v[74:75]
	flat_load_dword v76, v[76:77]
	s_waitcnt vmcnt(0) lgkmcnt(0)
	v_mul_f32_e32 v76, s28, v76
	s_branch .LBB14_95
.LBB14_94:
	v_mov_b32_e32 v76, 0
.LBB14_95:
	v_pk_add_f32 v[78:79], v[12:13], v[68:69]
	s_nop 0
	v_min3_f32 v77, v78, v79, v152
	v_pk_add_f32 v[78:79], v[14:15], v[70:71]
	s_nop 0
	v_min_f32_e32 v78, v78, v79
	v_min3_f32 v78, v76, v78, v77
	v_lshl_add_u64 v[76:77], v[82:83], 2, v[72:73]
	global_store_dword v[76:77], v78, off
	s_or_b64 exec, exec, s[18:19]
	s_and_b64 s[20:21], s[6:7], s[10:11]
	s_and_saveexec_b64 s[18:19], s[20:21]
	s_cbranch_execz .LBB14_87
.LBB14_96:
	s_and_b64 vcc, exec, s[0:1]
	s_cbranch_vccnz .LBB14_98
; %bb.97:
	v_lshl_add_u64 v[76:77], v[84:85], 2, v[74:75]
	flat_load_dword v76, v[76:77]
	s_waitcnt vmcnt(0) lgkmcnt(0)
	v_mul_f32_e32 v76, s28, v76
	s_branch .LBB14_99
.LBB14_98:
	v_mov_b32_e32 v76, 0
.LBB14_99:
	v_pk_add_f32 v[78:79], v[8:9], v[68:69]
	s_nop 0
	v_min3_f32 v77, v78, v79, v151
	v_pk_add_f32 v[78:79], v[10:11], v[70:71]
	s_nop 0
	v_min_f32_e32 v78, v78, v79
	v_min3_f32 v78, v76, v78, v77
	v_lshl_add_u64 v[76:77], v[84:85], 2, v[72:73]
	global_store_dword v[76:77], v78, off
	s_or_b64 exec, exec, s[18:19]
	s_and_b64 s[18:19], s[8:9], s[10:11]
	s_and_saveexec_b64 s[10:11], s[18:19]
	s_cbranch_execz .LBB14_104
.LBB14_100:
	s_and_b64 vcc, exec, s[0:1]
	s_cbranch_vccnz .LBB14_102
; %bb.101:
	v_lshl_add_u64 v[74:75], v[86:87], 2, v[74:75]
	flat_load_dword v74, v[74:75]
	s_waitcnt vmcnt(0) lgkmcnt(0)
	v_mul_f32_e32 v74, s28, v74
	s_branch .LBB14_103
.LBB14_102:
	v_mov_b32_e32 v74, 0
.LBB14_103:
	v_pk_add_f32 v[68:69], v[0:1], v[68:69]
	s_nop 0
	v_min3_f32 v75, v68, v69, v150
	v_pk_add_f32 v[68:69], v[2:3], v[70:71]
	s_nop 0
	v_min_f32_e32 v68, v68, v69
	v_min3_f32 v70, v74, v68, v75
	v_lshl_add_u64 v[68:69], v[86:87], 2, v[72:73]
	global_store_dword v[68:69], v70, off
.LBB14_104:
	s_or_b64 exec, exec, s[10:11]
	v_add_u32_e32 v72, 24, v124
	v_mad_i64_i32 v[68:69], s[18:19], v72, s23, 0
	v_cmp_gt_i32_e64 s[10:11], s13, v72
	v_lshl_add_u64 v[70:71], v[68:69], 2, s[16:17]
	v_mad_i64_i32 v[68:69], s[18:19], v72, s22, 0
	v_lshl_add_u64 v[68:69], v[68:69], 2, s[14:15]
	s_and_b64 s[20:21], s[2:3], s[10:11]
	s_and_saveexec_b64 s[18:19], s[20:21]
	s_cbranch_execnz .LBB14_108
; %bb.105:
	s_or_b64 exec, exec, s[18:19]
	s_and_b64 s[20:21], s[4:5], s[10:11]
	s_and_saveexec_b64 s[18:19], s[20:21]
	s_cbranch_execnz .LBB14_112
.LBB14_106:
	s_or_b64 exec, exec, s[18:19]
	s_and_b64 s[20:21], s[6:7], s[10:11]
	s_and_saveexec_b64 s[18:19], s[20:21]
	s_cbranch_execnz .LBB14_116
.LBB14_107:
	s_or_b64 exec, exec, s[18:19]
	s_and_b64 s[18:19], s[8:9], s[10:11]
	s_and_saveexec_b64 s[10:11], s[18:19]
	s_cbranch_execnz .LBB14_120
	s_branch .LBB14_124
.LBB14_108:
	s_and_b64 vcc, exec, s[0:1]
	s_cbranch_vccnz .LBB14_110
; %bb.109:
	v_lshl_add_u64 v[72:73], v[80:81], 2, v[70:71]
	flat_load_dword v72, v[72:73]
	s_waitcnt vmcnt(0) lgkmcnt(0)
	v_mul_f32_e32 v72, s28, v72
	s_branch .LBB14_111
.LBB14_110:
	v_mov_b32_e32 v72, 0
.LBB14_111:
	v_pk_add_f32 v[74:75], v[16:17], v[64:65]
	s_nop 0
	v_min3_f32 v73, v74, v75, v149
	v_pk_add_f32 v[74:75], v[18:19], v[66:67]
	s_nop 0
	v_min_f32_e32 v74, v74, v75
	v_min3_f32 v74, v72, v74, v73
	v_lshl_add_u64 v[72:73], v[80:81], 2, v[68:69]
	global_store_dword v[72:73], v74, off
	s_or_b64 exec, exec, s[18:19]
	s_and_b64 s[20:21], s[4:5], s[10:11]
	s_and_saveexec_b64 s[18:19], s[20:21]
	s_cbranch_execz .LBB14_106
.LBB14_112:
	s_and_b64 vcc, exec, s[0:1]
	s_cbranch_vccnz .LBB14_114
; %bb.113:
	v_lshl_add_u64 v[72:73], v[82:83], 2, v[70:71]
	flat_load_dword v72, v[72:73]
	s_waitcnt vmcnt(0) lgkmcnt(0)
	v_mul_f32_e32 v72, s28, v72
	s_branch .LBB14_115
.LBB14_114:
	v_mov_b32_e32 v72, 0
.LBB14_115:
	v_pk_add_f32 v[74:75], v[12:13], v[64:65]
	s_nop 0
	v_min3_f32 v73, v74, v75, v148
	v_pk_add_f32 v[74:75], v[14:15], v[66:67]
	s_nop 0
	v_min_f32_e32 v74, v74, v75
	v_min3_f32 v74, v72, v74, v73
	v_lshl_add_u64 v[72:73], v[82:83], 2, v[68:69]
	global_store_dword v[72:73], v74, off
	s_or_b64 exec, exec, s[18:19]
	s_and_b64 s[20:21], s[6:7], s[10:11]
	s_and_saveexec_b64 s[18:19], s[20:21]
	s_cbranch_execz .LBB14_107
.LBB14_116:
	s_and_b64 vcc, exec, s[0:1]
	s_cbranch_vccnz .LBB14_118
; %bb.117:
	v_lshl_add_u64 v[72:73], v[84:85], 2, v[70:71]
	flat_load_dword v72, v[72:73]
	s_waitcnt vmcnt(0) lgkmcnt(0)
	v_mul_f32_e32 v72, s28, v72
	s_branch .LBB14_119
.LBB14_118:
	v_mov_b32_e32 v72, 0
.LBB14_119:
	v_pk_add_f32 v[74:75], v[8:9], v[64:65]
	s_nop 0
	v_min3_f32 v73, v74, v75, v147
	v_pk_add_f32 v[74:75], v[10:11], v[66:67]
	s_nop 0
	v_min_f32_e32 v74, v74, v75
	v_min3_f32 v74, v72, v74, v73
	v_lshl_add_u64 v[72:73], v[84:85], 2, v[68:69]
	global_store_dword v[72:73], v74, off
	s_or_b64 exec, exec, s[18:19]
	s_and_b64 s[18:19], s[8:9], s[10:11]
	s_and_saveexec_b64 s[10:11], s[18:19]
	s_cbranch_execz .LBB14_124
.LBB14_120:
	s_and_b64 vcc, exec, s[0:1]
	s_cbranch_vccnz .LBB14_122
; %bb.121:
	v_lshl_add_u64 v[70:71], v[86:87], 2, v[70:71]
	flat_load_dword v70, v[70:71]
	s_waitcnt vmcnt(0) lgkmcnt(0)
	v_mul_f32_e32 v70, s28, v70
	s_branch .LBB14_123
.LBB14_122:
	v_mov_b32_e32 v70, 0
.LBB14_123:
	v_pk_add_f32 v[64:65], v[0:1], v[64:65]
	s_nop 0
	v_min3_f32 v71, v64, v65, v146
	v_pk_add_f32 v[64:65], v[2:3], v[66:67]
	s_nop 0
	v_min_f32_e32 v64, v64, v65
	v_min3_f32 v66, v70, v64, v71
	v_lshl_add_u64 v[64:65], v[86:87], 2, v[68:69]
	global_store_dword v[64:65], v66, off
.LBB14_124:
	s_or_b64 exec, exec, s[10:11]
	v_add_u32_e32 v68, 32, v124
	v_mad_i64_i32 v[64:65], s[18:19], v68, s23, 0
	v_cmp_gt_i32_e64 s[10:11], s13, v68
	v_lshl_add_u64 v[66:67], v[64:65], 2, s[16:17]
	v_mad_i64_i32 v[64:65], s[18:19], v68, s22, 0
	v_lshl_add_u64 v[64:65], v[64:65], 2, s[14:15]
	s_and_b64 s[20:21], s[2:3], s[10:11]
	s_and_saveexec_b64 s[18:19], s[20:21]
	s_cbranch_execnz .LBB14_128
; %bb.125:
	s_or_b64 exec, exec, s[18:19]
	s_and_b64 s[20:21], s[4:5], s[10:11]
	s_and_saveexec_b64 s[18:19], s[20:21]
	s_cbranch_execnz .LBB14_132
.LBB14_126:
	s_or_b64 exec, exec, s[18:19]
	s_and_b64 s[20:21], s[6:7], s[10:11]
	s_and_saveexec_b64 s[18:19], s[20:21]
	s_cbranch_execnz .LBB14_136
.LBB14_127:
	s_or_b64 exec, exec, s[18:19]
	s_and_b64 s[18:19], s[8:9], s[10:11]
	s_and_saveexec_b64 s[10:11], s[18:19]
	s_cbranch_execnz .LBB14_140
	s_branch .LBB14_144
.LBB14_128:
	s_and_b64 vcc, exec, s[0:1]
	s_cbranch_vccnz .LBB14_130
; %bb.129:
	v_lshl_add_u64 v[68:69], v[80:81], 2, v[66:67]
	flat_load_dword v68, v[68:69]
	s_waitcnt vmcnt(0) lgkmcnt(0)
	v_mul_f32_e32 v68, s28, v68
	s_branch .LBB14_131
.LBB14_130:
	v_mov_b32_e32 v68, 0
.LBB14_131:
	v_pk_add_f32 v[70:71], v[16:17], v[60:61]
	s_nop 0
	v_min3_f32 v69, v70, v71, v145
	v_pk_add_f32 v[70:71], v[18:19], v[62:63]
	s_nop 0
	v_min_f32_e32 v70, v70, v71
	v_min3_f32 v70, v68, v70, v69
	v_lshl_add_u64 v[68:69], v[80:81], 2, v[64:65]
	global_store_dword v[68:69], v70, off
	s_or_b64 exec, exec, s[18:19]
	s_and_b64 s[20:21], s[4:5], s[10:11]
	s_and_saveexec_b64 s[18:19], s[20:21]
	s_cbranch_execz .LBB14_126
.LBB14_132:
	s_and_b64 vcc, exec, s[0:1]
	s_cbranch_vccnz .LBB14_134
; %bb.133:
	v_lshl_add_u64 v[68:69], v[82:83], 2, v[66:67]
	flat_load_dword v68, v[68:69]
	s_waitcnt vmcnt(0) lgkmcnt(0)
	v_mul_f32_e32 v68, s28, v68
	s_branch .LBB14_135
.LBB14_134:
	v_mov_b32_e32 v68, 0
.LBB14_135:
	v_pk_add_f32 v[70:71], v[12:13], v[60:61]
	s_nop 0
	v_min3_f32 v69, v70, v71, v143
	v_pk_add_f32 v[70:71], v[14:15], v[62:63]
	s_nop 0
	v_min_f32_e32 v70, v70, v71
	v_min3_f32 v70, v68, v70, v69
	v_lshl_add_u64 v[68:69], v[82:83], 2, v[64:65]
	global_store_dword v[68:69], v70, off
	s_or_b64 exec, exec, s[18:19]
	s_and_b64 s[20:21], s[6:7], s[10:11]
	s_and_saveexec_b64 s[18:19], s[20:21]
	s_cbranch_execz .LBB14_127
.LBB14_136:
	s_and_b64 vcc, exec, s[0:1]
	s_cbranch_vccnz .LBB14_138
; %bb.137:
	v_lshl_add_u64 v[68:69], v[84:85], 2, v[66:67]
	flat_load_dword v68, v[68:69]
	s_waitcnt vmcnt(0) lgkmcnt(0)
	v_mul_f32_e32 v68, s28, v68
	s_branch .LBB14_139
.LBB14_138:
	v_mov_b32_e32 v68, 0
.LBB14_139:
	v_pk_add_f32 v[70:71], v[8:9], v[60:61]
	s_nop 0
	v_min3_f32 v69, v70, v71, v142
	v_pk_add_f32 v[70:71], v[10:11], v[62:63]
	s_nop 0
	v_min_f32_e32 v70, v70, v71
	v_min3_f32 v70, v68, v70, v69
	v_lshl_add_u64 v[68:69], v[84:85], 2, v[64:65]
	global_store_dword v[68:69], v70, off
	s_or_b64 exec, exec, s[18:19]
	s_and_b64 s[18:19], s[8:9], s[10:11]
	s_and_saveexec_b64 s[10:11], s[18:19]
	s_cbranch_execz .LBB14_144
.LBB14_140:
	s_and_b64 vcc, exec, s[0:1]
	s_cbranch_vccnz .LBB14_142
; %bb.141:
	v_lshl_add_u64 v[66:67], v[86:87], 2, v[66:67]
	flat_load_dword v66, v[66:67]
	s_waitcnt vmcnt(0) lgkmcnt(0)
	v_mul_f32_e32 v66, s28, v66
	s_branch .LBB14_143
.LBB14_142:
	v_mov_b32_e32 v66, 0
.LBB14_143:
	v_pk_add_f32 v[60:61], v[0:1], v[60:61]
	s_nop 0
	v_min3_f32 v67, v60, v61, v141
	v_pk_add_f32 v[60:61], v[2:3], v[62:63]
	s_nop 0
	v_min_f32_e32 v60, v60, v61
	v_min3_f32 v62, v66, v60, v67
	v_lshl_add_u64 v[60:61], v[86:87], 2, v[64:65]
	global_store_dword v[60:61], v62, off
.LBB14_144:
	s_or_b64 exec, exec, s[10:11]
	v_add_u32_e32 v64, 40, v124
	v_mad_i64_i32 v[60:61], s[18:19], v64, s23, 0
	v_cmp_gt_i32_e64 s[10:11], s13, v64
	v_lshl_add_u64 v[62:63], v[60:61], 2, s[16:17]
	v_mad_i64_i32 v[60:61], s[18:19], v64, s22, 0
	v_lshl_add_u64 v[60:61], v[60:61], 2, s[14:15]
	s_and_b64 s[20:21], s[2:3], s[10:11]
	s_and_saveexec_b64 s[18:19], s[20:21]
	s_cbranch_execnz .LBB14_148
; %bb.145:
	s_or_b64 exec, exec, s[18:19]
	s_and_b64 s[20:21], s[4:5], s[10:11]
	s_and_saveexec_b64 s[18:19], s[20:21]
	s_cbranch_execnz .LBB14_152
.LBB14_146:
	s_or_b64 exec, exec, s[18:19]
	s_and_b64 s[20:21], s[6:7], s[10:11]
	s_and_saveexec_b64 s[18:19], s[20:21]
	s_cbranch_execnz .LBB14_156
.LBB14_147:
	s_or_b64 exec, exec, s[18:19]
	s_and_b64 s[18:19], s[8:9], s[10:11]
	s_and_saveexec_b64 s[10:11], s[18:19]
	s_cbranch_execnz .LBB14_160
	s_branch .LBB14_164
.LBB14_148:
	s_and_b64 vcc, exec, s[0:1]
	s_cbranch_vccnz .LBB14_150
; %bb.149:
	v_lshl_add_u64 v[64:65], v[80:81], 2, v[62:63]
	flat_load_dword v64, v[64:65]
	s_waitcnt vmcnt(0) lgkmcnt(0)
	v_mul_f32_e32 v64, s28, v64
	s_branch .LBB14_151
.LBB14_150:
	v_mov_b32_e32 v64, 0
.LBB14_151:
	v_pk_add_f32 v[66:67], v[16:17], v[56:57]
	s_nop 0
	v_min3_f32 v65, v66, v67, v140
	v_pk_add_f32 v[66:67], v[18:19], v[58:59]
	s_nop 0
	v_min_f32_e32 v66, v66, v67
	v_min3_f32 v66, v64, v66, v65
	v_lshl_add_u64 v[64:65], v[80:81], 2, v[60:61]
	global_store_dword v[64:65], v66, off
	s_or_b64 exec, exec, s[18:19]
	s_and_b64 s[20:21], s[4:5], s[10:11]
	s_and_saveexec_b64 s[18:19], s[20:21]
	s_cbranch_execz .LBB14_146
.LBB14_152:
	s_and_b64 vcc, exec, s[0:1]
	s_cbranch_vccnz .LBB14_154
; %bb.153:
	v_lshl_add_u64 v[64:65], v[82:83], 2, v[62:63]
	flat_load_dword v64, v[64:65]
	s_waitcnt vmcnt(0) lgkmcnt(0)
	v_mul_f32_e32 v64, s28, v64
	s_branch .LBB14_155
.LBB14_154:
	v_mov_b32_e32 v64, 0
.LBB14_155:
	v_pk_add_f32 v[66:67], v[12:13], v[56:57]
	s_nop 0
	v_min3_f32 v65, v66, v67, v139
	v_pk_add_f32 v[66:67], v[14:15], v[58:59]
	s_nop 0
	v_min_f32_e32 v66, v66, v67
	v_min3_f32 v66, v64, v66, v65
	v_lshl_add_u64 v[64:65], v[82:83], 2, v[60:61]
	global_store_dword v[64:65], v66, off
	s_or_b64 exec, exec, s[18:19]
	s_and_b64 s[20:21], s[6:7], s[10:11]
	s_and_saveexec_b64 s[18:19], s[20:21]
	s_cbranch_execz .LBB14_147
.LBB14_156:
	s_and_b64 vcc, exec, s[0:1]
	s_cbranch_vccnz .LBB14_158
; %bb.157:
	v_lshl_add_u64 v[64:65], v[84:85], 2, v[62:63]
	flat_load_dword v64, v[64:65]
	s_waitcnt vmcnt(0) lgkmcnt(0)
	v_mul_f32_e32 v64, s28, v64
	s_branch .LBB14_159
.LBB14_158:
	v_mov_b32_e32 v64, 0
.LBB14_159:
	v_pk_add_f32 v[66:67], v[8:9], v[56:57]
	s_nop 0
	v_min3_f32 v65, v66, v67, v138
	v_pk_add_f32 v[66:67], v[10:11], v[58:59]
	s_nop 0
	v_min_f32_e32 v66, v66, v67
	v_min3_f32 v66, v64, v66, v65
	v_lshl_add_u64 v[64:65], v[84:85], 2, v[60:61]
	global_store_dword v[64:65], v66, off
	s_or_b64 exec, exec, s[18:19]
	s_and_b64 s[18:19], s[8:9], s[10:11]
	s_and_saveexec_b64 s[10:11], s[18:19]
	s_cbranch_execz .LBB14_164
.LBB14_160:
	s_and_b64 vcc, exec, s[0:1]
	s_cbranch_vccnz .LBB14_162
; %bb.161:
	v_lshl_add_u64 v[62:63], v[86:87], 2, v[62:63]
	flat_load_dword v62, v[62:63]
	s_waitcnt vmcnt(0) lgkmcnt(0)
	v_mul_f32_e32 v62, s28, v62
	s_branch .LBB14_163
.LBB14_162:
	v_mov_b32_e32 v62, 0
.LBB14_163:
	v_pk_add_f32 v[56:57], v[0:1], v[56:57]
	s_nop 0
	v_min3_f32 v63, v56, v57, v137
	v_pk_add_f32 v[56:57], v[2:3], v[58:59]
	s_nop 0
	v_min_f32_e32 v56, v56, v57
	v_min3_f32 v58, v62, v56, v63
	v_lshl_add_u64 v[56:57], v[86:87], 2, v[60:61]
	global_store_dword v[56:57], v58, off
.LBB14_164:
	s_or_b64 exec, exec, s[10:11]
	v_add_u32_e32 v60, 48, v124
	v_mad_i64_i32 v[56:57], s[18:19], v60, s23, 0
	v_cmp_gt_i32_e64 s[10:11], s13, v60
	v_lshl_add_u64 v[58:59], v[56:57], 2, s[16:17]
	v_mad_i64_i32 v[56:57], s[18:19], v60, s22, 0
	v_lshl_add_u64 v[56:57], v[56:57], 2, s[14:15]
	s_and_b64 s[20:21], s[2:3], s[10:11]
	s_and_saveexec_b64 s[18:19], s[20:21]
	s_cbranch_execnz .LBB14_168
; %bb.165:
	s_or_b64 exec, exec, s[18:19]
	s_and_b64 s[20:21], s[4:5], s[10:11]
	s_and_saveexec_b64 s[18:19], s[20:21]
	s_cbranch_execnz .LBB14_172
.LBB14_166:
	s_or_b64 exec, exec, s[18:19]
	s_and_b64 s[20:21], s[6:7], s[10:11]
	s_and_saveexec_b64 s[18:19], s[20:21]
	s_cbranch_execnz .LBB14_176
.LBB14_167:
	s_or_b64 exec, exec, s[18:19]
	s_and_b64 s[18:19], s[8:9], s[10:11]
	s_and_saveexec_b64 s[10:11], s[18:19]
	s_cbranch_execnz .LBB14_180
	s_branch .LBB14_184
.LBB14_168:
	s_and_b64 vcc, exec, s[0:1]
	s_cbranch_vccnz .LBB14_170
; %bb.169:
	v_lshl_add_u64 v[60:61], v[80:81], 2, v[58:59]
	flat_load_dword v60, v[60:61]
	s_waitcnt vmcnt(0) lgkmcnt(0)
	v_mul_f32_e32 v60, s28, v60
	s_branch .LBB14_171
.LBB14_170:
	v_mov_b32_e32 v60, 0
.LBB14_171:
	v_pk_add_f32 v[62:63], v[16:17], v[52:53]
	s_nop 0
	v_min3_f32 v61, v62, v63, v133
	v_pk_add_f32 v[62:63], v[18:19], v[54:55]
	s_nop 0
	v_min_f32_e32 v62, v62, v63
	v_min3_f32 v62, v60, v62, v61
	v_lshl_add_u64 v[60:61], v[80:81], 2, v[56:57]
	global_store_dword v[60:61], v62, off
	s_or_b64 exec, exec, s[18:19]
	s_and_b64 s[20:21], s[4:5], s[10:11]
	s_and_saveexec_b64 s[18:19], s[20:21]
	s_cbranch_execz .LBB14_166
.LBB14_172:
	s_and_b64 vcc, exec, s[0:1]
	s_cbranch_vccnz .LBB14_174
; %bb.173:
	v_lshl_add_u64 v[60:61], v[82:83], 2, v[58:59]
	flat_load_dword v60, v[60:61]
	s_waitcnt vmcnt(0) lgkmcnt(0)
	v_mul_f32_e32 v60, s28, v60
	s_branch .LBB14_175
.LBB14_174:
	v_mov_b32_e32 v60, 0
.LBB14_175:
	v_pk_add_f32 v[62:63], v[12:13], v[52:53]
	s_nop 0
	v_min3_f32 v61, v62, v63, v132
	v_pk_add_f32 v[62:63], v[14:15], v[54:55]
	s_nop 0
	v_min_f32_e32 v62, v62, v63
	v_min3_f32 v62, v60, v62, v61
	v_lshl_add_u64 v[60:61], v[82:83], 2, v[56:57]
	global_store_dword v[60:61], v62, off
	s_or_b64 exec, exec, s[18:19]
	s_and_b64 s[20:21], s[6:7], s[10:11]
	s_and_saveexec_b64 s[18:19], s[20:21]
	s_cbranch_execz .LBB14_167
.LBB14_176:
	s_and_b64 vcc, exec, s[0:1]
	s_cbranch_vccnz .LBB14_178
; %bb.177:
	v_lshl_add_u64 v[60:61], v[84:85], 2, v[58:59]
	flat_load_dword v60, v[60:61]
	s_waitcnt vmcnt(0) lgkmcnt(0)
	v_mul_f32_e32 v60, s28, v60
	s_branch .LBB14_179
.LBB14_178:
	v_mov_b32_e32 v60, 0
.LBB14_179:
	v_pk_add_f32 v[62:63], v[8:9], v[52:53]
	s_nop 0
	v_min3_f32 v61, v62, v63, v131
	v_pk_add_f32 v[62:63], v[10:11], v[54:55]
	s_nop 0
	v_min_f32_e32 v62, v62, v63
	v_min3_f32 v62, v60, v62, v61
	v_lshl_add_u64 v[60:61], v[84:85], 2, v[56:57]
	global_store_dword v[60:61], v62, off
	s_or_b64 exec, exec, s[18:19]
	s_and_b64 s[18:19], s[8:9], s[10:11]
	s_and_saveexec_b64 s[10:11], s[18:19]
	s_cbranch_execz .LBB14_184
.LBB14_180:
	s_and_b64 vcc, exec, s[0:1]
	s_cbranch_vccnz .LBB14_182
; %bb.181:
	v_lshl_add_u64 v[58:59], v[86:87], 2, v[58:59]
	flat_load_dword v58, v[58:59]
	s_waitcnt vmcnt(0) lgkmcnt(0)
	v_mul_f32_e32 v58, s28, v58
	s_branch .LBB14_183
.LBB14_182:
	v_mov_b32_e32 v58, 0
.LBB14_183:
	v_pk_add_f32 v[52:53], v[0:1], v[52:53]
	s_nop 0
	v_min3_f32 v59, v52, v53, v130
	v_pk_add_f32 v[52:53], v[2:3], v[54:55]
	s_nop 0
	v_min_f32_e32 v52, v52, v53
	v_min3_f32 v54, v58, v52, v59
	v_lshl_add_u64 v[52:53], v[86:87], 2, v[56:57]
	global_store_dword v[52:53], v54, off
.LBB14_184:
	s_or_b64 exec, exec, s[10:11]
	v_add_u32_e32 v56, 56, v124
	v_mad_i64_i32 v[52:53], s[18:19], v56, s23, 0
	v_cmp_gt_i32_e64 s[10:11], s13, v56
	v_lshl_add_u64 v[54:55], v[52:53], 2, s[16:17]
	v_mad_i64_i32 v[52:53], s[18:19], v56, s22, 0
	v_lshl_add_u64 v[52:53], v[52:53], 2, s[14:15]
	s_and_b64 s[20:21], s[2:3], s[10:11]
	s_and_saveexec_b64 s[18:19], s[20:21]
	s_cbranch_execnz .LBB14_188
; %bb.185:
	s_or_b64 exec, exec, s[18:19]
	s_and_b64 s[20:21], s[4:5], s[10:11]
	s_and_saveexec_b64 s[18:19], s[20:21]
	s_cbranch_execnz .LBB14_192
.LBB14_186:
	s_or_b64 exec, exec, s[18:19]
	s_and_b64 s[20:21], s[6:7], s[10:11]
	s_and_saveexec_b64 s[18:19], s[20:21]
	s_cbranch_execnz .LBB14_196
.LBB14_187:
	s_or_b64 exec, exec, s[18:19]
	s_and_b64 s[18:19], s[8:9], s[10:11]
	s_and_saveexec_b64 s[10:11], s[18:19]
	s_cbranch_execnz .LBB14_200
	s_branch .LBB14_204
.LBB14_188:
	s_and_b64 vcc, exec, s[0:1]
	s_cbranch_vccnz .LBB14_190
; %bb.189:
	v_lshl_add_u64 v[56:57], v[80:81], 2, v[54:55]
	flat_load_dword v56, v[56:57]
	s_waitcnt vmcnt(0) lgkmcnt(0)
	v_mul_f32_e32 v56, s28, v56
	s_branch .LBB14_191
.LBB14_190:
	v_mov_b32_e32 v56, 0
.LBB14_191:
	v_pk_add_f32 v[58:59], v[16:17], v[48:49]
	s_nop 0
	v_min3_f32 v57, v58, v59, v129
	v_pk_add_f32 v[58:59], v[18:19], v[50:51]
	s_nop 0
	v_min_f32_e32 v58, v58, v59
	v_min3_f32 v58, v56, v58, v57
	v_lshl_add_u64 v[56:57], v[80:81], 2, v[52:53]
	global_store_dword v[56:57], v58, off
	s_or_b64 exec, exec, s[18:19]
	s_and_b64 s[20:21], s[4:5], s[10:11]
	s_and_saveexec_b64 s[18:19], s[20:21]
	s_cbranch_execz .LBB14_186
.LBB14_192:
	s_and_b64 vcc, exec, s[0:1]
	s_cbranch_vccnz .LBB14_194
; %bb.193:
	v_lshl_add_u64 v[56:57], v[82:83], 2, v[54:55]
	flat_load_dword v56, v[56:57]
	s_waitcnt vmcnt(0) lgkmcnt(0)
	v_mul_f32_e32 v56, s28, v56
	s_branch .LBB14_195
.LBB14_194:
	v_mov_b32_e32 v56, 0
.LBB14_195:
	v_pk_add_f32 v[58:59], v[12:13], v[48:49]
	s_nop 0
	v_min3_f32 v57, v58, v59, v128
	v_pk_add_f32 v[58:59], v[14:15], v[50:51]
	s_nop 0
	v_min_f32_e32 v58, v58, v59
	v_min3_f32 v58, v56, v58, v57
	v_lshl_add_u64 v[56:57], v[82:83], 2, v[52:53]
	global_store_dword v[56:57], v58, off
	s_or_b64 exec, exec, s[18:19]
	s_and_b64 s[20:21], s[6:7], s[10:11]
	s_and_saveexec_b64 s[18:19], s[20:21]
	s_cbranch_execz .LBB14_187
.LBB14_196:
	s_and_b64 vcc, exec, s[0:1]
	s_cbranch_vccnz .LBB14_198
; %bb.197:
	v_lshl_add_u64 v[56:57], v[84:85], 2, v[54:55]
	flat_load_dword v56, v[56:57]
	s_waitcnt vmcnt(0) lgkmcnt(0)
	v_mul_f32_e32 v56, s28, v56
	s_branch .LBB14_199
.LBB14_198:
	v_mov_b32_e32 v56, 0
.LBB14_199:
	v_pk_add_f32 v[58:59], v[8:9], v[48:49]
	s_nop 0
	v_min3_f32 v57, v58, v59, v127
	v_pk_add_f32 v[58:59], v[10:11], v[50:51]
	s_nop 0
	v_min_f32_e32 v58, v58, v59
	v_min3_f32 v58, v56, v58, v57
	v_lshl_add_u64 v[56:57], v[84:85], 2, v[52:53]
	global_store_dword v[56:57], v58, off
	s_or_b64 exec, exec, s[18:19]
	s_and_b64 s[18:19], s[8:9], s[10:11]
	s_and_saveexec_b64 s[10:11], s[18:19]
	s_cbranch_execz .LBB14_204
.LBB14_200:
	s_and_b64 vcc, exec, s[0:1]
	s_cbranch_vccnz .LBB14_202
; %bb.201:
	v_lshl_add_u64 v[54:55], v[86:87], 2, v[54:55]
	flat_load_dword v54, v[54:55]
	s_waitcnt vmcnt(0) lgkmcnt(0)
	v_mul_f32_e32 v54, s28, v54
	s_branch .LBB14_203
.LBB14_202:
	v_mov_b32_e32 v54, 0
.LBB14_203:
	v_pk_add_f32 v[48:49], v[0:1], v[48:49]
	s_nop 0
	v_min3_f32 v55, v48, v49, v126
	v_pk_add_f32 v[48:49], v[2:3], v[50:51]
	s_nop 0
	v_min_f32_e32 v48, v48, v49
	v_min3_f32 v50, v54, v48, v55
	v_lshl_add_u64 v[48:49], v[86:87], 2, v[52:53]
	global_store_dword v[48:49], v50, off
.LBB14_204:
	s_or_b64 exec, exec, s[10:11]
	v_add_u32_e32 v52, 64, v124
	v_mad_i64_i32 v[48:49], s[18:19], v52, s23, 0
	v_cmp_gt_i32_e64 s[10:11], s13, v52
	v_lshl_add_u64 v[50:51], v[48:49], 2, s[16:17]
	v_mad_i64_i32 v[48:49], s[18:19], v52, s22, 0
	v_lshl_add_u64 v[48:49], v[48:49], 2, s[14:15]
	s_and_b64 s[20:21], s[2:3], s[10:11]
	s_and_saveexec_b64 s[18:19], s[20:21]
	s_cbranch_execnz .LBB14_208
; %bb.205:
	s_or_b64 exec, exec, s[18:19]
	s_and_b64 s[20:21], s[4:5], s[10:11]
	s_and_saveexec_b64 s[18:19], s[20:21]
	s_cbranch_execnz .LBB14_212
.LBB14_206:
	s_or_b64 exec, exec, s[18:19]
	s_and_b64 s[20:21], s[6:7], s[10:11]
	s_and_saveexec_b64 s[18:19], s[20:21]
	s_cbranch_execnz .LBB14_216
.LBB14_207:
	s_or_b64 exec, exec, s[18:19]
	s_and_b64 s[18:19], s[8:9], s[10:11]
	s_and_saveexec_b64 s[10:11], s[18:19]
	s_cbranch_execnz .LBB14_220
	s_branch .LBB14_224
.LBB14_208:
	s_and_b64 vcc, exec, s[0:1]
	s_cbranch_vccnz .LBB14_210
; %bb.209:
	v_lshl_add_u64 v[52:53], v[80:81], 2, v[50:51]
	flat_load_dword v52, v[52:53]
	s_waitcnt vmcnt(0) lgkmcnt(0)
	v_mul_f32_e32 v52, s28, v52
	s_branch .LBB14_211
.LBB14_210:
	v_mov_b32_e32 v52, 0
.LBB14_211:
	v_pk_add_f32 v[54:55], v[16:17], v[44:45]
	s_nop 0
	v_min3_f32 v53, v54, v55, v123
	v_pk_add_f32 v[54:55], v[18:19], v[46:47]
	s_nop 0
	v_min_f32_e32 v54, v54, v55
	v_min3_f32 v54, v52, v54, v53
	v_lshl_add_u64 v[52:53], v[80:81], 2, v[48:49]
	global_store_dword v[52:53], v54, off
	s_or_b64 exec, exec, s[18:19]
	s_and_b64 s[20:21], s[4:5], s[10:11]
	s_and_saveexec_b64 s[18:19], s[20:21]
	s_cbranch_execz .LBB14_206
.LBB14_212:
	s_and_b64 vcc, exec, s[0:1]
	s_cbranch_vccnz .LBB14_214
; %bb.213:
	v_lshl_add_u64 v[52:53], v[82:83], 2, v[50:51]
	flat_load_dword v52, v[52:53]
	s_waitcnt vmcnt(0) lgkmcnt(0)
	v_mul_f32_e32 v52, s28, v52
	s_branch .LBB14_215
.LBB14_214:
	v_mov_b32_e32 v52, 0
.LBB14_215:
	v_pk_add_f32 v[54:55], v[12:13], v[44:45]
	s_nop 0
	v_min3_f32 v53, v54, v55, v122
	v_pk_add_f32 v[54:55], v[14:15], v[46:47]
	s_nop 0
	v_min_f32_e32 v54, v54, v55
	v_min3_f32 v54, v52, v54, v53
	v_lshl_add_u64 v[52:53], v[82:83], 2, v[48:49]
	global_store_dword v[52:53], v54, off
	s_or_b64 exec, exec, s[18:19]
	s_and_b64 s[20:21], s[6:7], s[10:11]
	s_and_saveexec_b64 s[18:19], s[20:21]
	s_cbranch_execz .LBB14_207
.LBB14_216:
	s_and_b64 vcc, exec, s[0:1]
	s_cbranch_vccnz .LBB14_218
; %bb.217:
	v_lshl_add_u64 v[52:53], v[84:85], 2, v[50:51]
	flat_load_dword v52, v[52:53]
	s_waitcnt vmcnt(0) lgkmcnt(0)
	v_mul_f32_e32 v52, s28, v52
	s_branch .LBB14_219
.LBB14_218:
	v_mov_b32_e32 v52, 0
.LBB14_219:
	v_pk_add_f32 v[54:55], v[8:9], v[44:45]
	s_nop 0
	v_min3_f32 v53, v54, v55, v121
	v_pk_add_f32 v[54:55], v[10:11], v[46:47]
	s_nop 0
	v_min_f32_e32 v54, v54, v55
	v_min3_f32 v54, v52, v54, v53
	v_lshl_add_u64 v[52:53], v[84:85], 2, v[48:49]
	global_store_dword v[52:53], v54, off
	s_or_b64 exec, exec, s[18:19]
	s_and_b64 s[18:19], s[8:9], s[10:11]
	s_and_saveexec_b64 s[10:11], s[18:19]
	s_cbranch_execz .LBB14_224
.LBB14_220:
	s_and_b64 vcc, exec, s[0:1]
	s_cbranch_vccnz .LBB14_222
; %bb.221:
	v_lshl_add_u64 v[50:51], v[86:87], 2, v[50:51]
	flat_load_dword v50, v[50:51]
	s_waitcnt vmcnt(0) lgkmcnt(0)
	v_mul_f32_e32 v50, s28, v50
	s_branch .LBB14_223
.LBB14_222:
	v_mov_b32_e32 v50, 0
.LBB14_223:
	v_pk_add_f32 v[44:45], v[0:1], v[44:45]
	s_nop 0
	v_min3_f32 v51, v44, v45, v120
	v_pk_add_f32 v[44:45], v[2:3], v[46:47]
	s_nop 0
	v_min_f32_e32 v44, v44, v45
	v_min3_f32 v46, v50, v44, v51
	v_lshl_add_u64 v[44:45], v[86:87], 2, v[48:49]
	global_store_dword v[44:45], v46, off
.LBB14_224:
	s_or_b64 exec, exec, s[10:11]
	v_add_u32_e32 v48, 0x48, v124
	v_mad_i64_i32 v[44:45], s[18:19], v48, s23, 0
	v_cmp_gt_i32_e64 s[10:11], s13, v48
	v_lshl_add_u64 v[46:47], v[44:45], 2, s[16:17]
	v_mad_i64_i32 v[44:45], s[18:19], v48, s22, 0
	v_lshl_add_u64 v[44:45], v[44:45], 2, s[14:15]
	s_and_b64 s[20:21], s[2:3], s[10:11]
	s_and_saveexec_b64 s[18:19], s[20:21]
	s_cbranch_execnz .LBB14_228
; %bb.225:
	s_or_b64 exec, exec, s[18:19]
	s_and_b64 s[20:21], s[4:5], s[10:11]
	s_and_saveexec_b64 s[18:19], s[20:21]
	s_cbranch_execnz .LBB14_232
.LBB14_226:
	s_or_b64 exec, exec, s[18:19]
	s_and_b64 s[20:21], s[6:7], s[10:11]
	s_and_saveexec_b64 s[18:19], s[20:21]
	s_cbranch_execnz .LBB14_236
.LBB14_227:
	s_or_b64 exec, exec, s[18:19]
	s_and_b64 s[18:19], s[8:9], s[10:11]
	s_and_saveexec_b64 s[10:11], s[18:19]
	s_cbranch_execnz .LBB14_240
	s_branch .LBB14_244
.LBB14_228:
	s_and_b64 vcc, exec, s[0:1]
	s_cbranch_vccnz .LBB14_230
; %bb.229:
	v_lshl_add_u64 v[48:49], v[80:81], 2, v[46:47]
	flat_load_dword v48, v[48:49]
	s_waitcnt vmcnt(0) lgkmcnt(0)
	v_mul_f32_e32 v48, s28, v48
	s_branch .LBB14_231
.LBB14_230:
	v_mov_b32_e32 v48, 0
.LBB14_231:
	v_pk_add_f32 v[50:51], v[16:17], v[40:41]
	s_nop 0
	v_min3_f32 v49, v50, v51, v119
	v_pk_add_f32 v[50:51], v[18:19], v[42:43]
	s_nop 0
	v_min_f32_e32 v50, v50, v51
	v_min3_f32 v50, v48, v50, v49
	v_lshl_add_u64 v[48:49], v[80:81], 2, v[44:45]
	global_store_dword v[48:49], v50, off
	s_or_b64 exec, exec, s[18:19]
	s_and_b64 s[20:21], s[4:5], s[10:11]
	s_and_saveexec_b64 s[18:19], s[20:21]
	s_cbranch_execz .LBB14_226
.LBB14_232:
	s_and_b64 vcc, exec, s[0:1]
	s_cbranch_vccnz .LBB14_234
; %bb.233:
	v_lshl_add_u64 v[48:49], v[82:83], 2, v[46:47]
	flat_load_dword v48, v[48:49]
	s_waitcnt vmcnt(0) lgkmcnt(0)
	v_mul_f32_e32 v48, s28, v48
	s_branch .LBB14_235
.LBB14_234:
	v_mov_b32_e32 v48, 0
.LBB14_235:
	v_pk_add_f32 v[50:51], v[12:13], v[40:41]
	s_nop 0
	v_min3_f32 v49, v50, v51, v118
	v_pk_add_f32 v[50:51], v[14:15], v[42:43]
	s_nop 0
	v_min_f32_e32 v50, v50, v51
	v_min3_f32 v50, v48, v50, v49
	v_lshl_add_u64 v[48:49], v[82:83], 2, v[44:45]
	global_store_dword v[48:49], v50, off
	s_or_b64 exec, exec, s[18:19]
	s_and_b64 s[20:21], s[6:7], s[10:11]
	s_and_saveexec_b64 s[18:19], s[20:21]
	s_cbranch_execz .LBB14_227
.LBB14_236:
	s_and_b64 vcc, exec, s[0:1]
	s_cbranch_vccnz .LBB14_238
; %bb.237:
	v_lshl_add_u64 v[48:49], v[84:85], 2, v[46:47]
	flat_load_dword v48, v[48:49]
	s_waitcnt vmcnt(0) lgkmcnt(0)
	v_mul_f32_e32 v48, s28, v48
	s_branch .LBB14_239
.LBB14_238:
	v_mov_b32_e32 v48, 0
.LBB14_239:
	v_pk_add_f32 v[50:51], v[8:9], v[40:41]
	s_nop 0
	v_min3_f32 v49, v50, v51, v117
	v_pk_add_f32 v[50:51], v[10:11], v[42:43]
	s_nop 0
	v_min_f32_e32 v50, v50, v51
	v_min3_f32 v50, v48, v50, v49
	v_lshl_add_u64 v[48:49], v[84:85], 2, v[44:45]
	global_store_dword v[48:49], v50, off
	s_or_b64 exec, exec, s[18:19]
	s_and_b64 s[18:19], s[8:9], s[10:11]
	s_and_saveexec_b64 s[10:11], s[18:19]
	s_cbranch_execz .LBB14_244
.LBB14_240:
	s_and_b64 vcc, exec, s[0:1]
	s_cbranch_vccnz .LBB14_242
; %bb.241:
	v_lshl_add_u64 v[46:47], v[86:87], 2, v[46:47]
	flat_load_dword v46, v[46:47]
	s_waitcnt vmcnt(0) lgkmcnt(0)
	v_mul_f32_e32 v46, s28, v46
	s_branch .LBB14_243
.LBB14_242:
	v_mov_b32_e32 v46, 0
.LBB14_243:
	v_pk_add_f32 v[40:41], v[0:1], v[40:41]
	s_nop 0
	v_min3_f32 v47, v40, v41, v116
	v_pk_add_f32 v[40:41], v[2:3], v[42:43]
	s_nop 0
	v_min_f32_e32 v40, v40, v41
	v_min3_f32 v42, v46, v40, v47
	v_lshl_add_u64 v[40:41], v[86:87], 2, v[44:45]
	global_store_dword v[40:41], v42, off
.LBB14_244:
	s_or_b64 exec, exec, s[10:11]
	v_add_u32_e32 v44, 0x50, v124
	v_mad_i64_i32 v[40:41], s[18:19], v44, s23, 0
	v_cmp_gt_i32_e64 s[10:11], s13, v44
	v_lshl_add_u64 v[42:43], v[40:41], 2, s[16:17]
	v_mad_i64_i32 v[40:41], s[18:19], v44, s22, 0
	v_lshl_add_u64 v[40:41], v[40:41], 2, s[14:15]
	s_and_b64 s[20:21], s[2:3], s[10:11]
	s_and_saveexec_b64 s[18:19], s[20:21]
	s_cbranch_execnz .LBB14_248
; %bb.245:
	s_or_b64 exec, exec, s[18:19]
	s_and_b64 s[20:21], s[4:5], s[10:11]
	s_and_saveexec_b64 s[18:19], s[20:21]
	s_cbranch_execnz .LBB14_252
.LBB14_246:
	s_or_b64 exec, exec, s[18:19]
	s_and_b64 s[20:21], s[6:7], s[10:11]
	s_and_saveexec_b64 s[18:19], s[20:21]
	s_cbranch_execnz .LBB14_256
.LBB14_247:
	s_or_b64 exec, exec, s[18:19]
	s_and_b64 s[18:19], s[8:9], s[10:11]
	s_and_saveexec_b64 s[10:11], s[18:19]
	s_cbranch_execnz .LBB14_260
	s_branch .LBB14_264
.LBB14_248:
	s_and_b64 vcc, exec, s[0:1]
	s_cbranch_vccnz .LBB14_250
; %bb.249:
	v_lshl_add_u64 v[44:45], v[80:81], 2, v[42:43]
	flat_load_dword v44, v[44:45]
	s_waitcnt vmcnt(0) lgkmcnt(0)
	v_mul_f32_e32 v44, s28, v44
	s_branch .LBB14_251
.LBB14_250:
	v_mov_b32_e32 v44, 0
.LBB14_251:
	v_pk_add_f32 v[46:47], v[16:17], v[36:37]
	s_nop 0
	v_min3_f32 v45, v46, v47, v115
	v_pk_add_f32 v[46:47], v[18:19], v[38:39]
	s_nop 0
	v_min_f32_e32 v46, v46, v47
	v_min3_f32 v46, v44, v46, v45
	v_lshl_add_u64 v[44:45], v[80:81], 2, v[40:41]
	global_store_dword v[44:45], v46, off
	s_or_b64 exec, exec, s[18:19]
	s_and_b64 s[20:21], s[4:5], s[10:11]
	s_and_saveexec_b64 s[18:19], s[20:21]
	s_cbranch_execz .LBB14_246
.LBB14_252:
	s_and_b64 vcc, exec, s[0:1]
	s_cbranch_vccnz .LBB14_254
; %bb.253:
	v_lshl_add_u64 v[44:45], v[82:83], 2, v[42:43]
	flat_load_dword v44, v[44:45]
	s_waitcnt vmcnt(0) lgkmcnt(0)
	v_mul_f32_e32 v44, s28, v44
	s_branch .LBB14_255
.LBB14_254:
	v_mov_b32_e32 v44, 0
.LBB14_255:
	v_pk_add_f32 v[46:47], v[12:13], v[36:37]
	s_nop 0
	v_min3_f32 v45, v46, v47, v114
	v_pk_add_f32 v[46:47], v[14:15], v[38:39]
	s_nop 0
	v_min_f32_e32 v46, v46, v47
	v_min3_f32 v46, v44, v46, v45
	v_lshl_add_u64 v[44:45], v[82:83], 2, v[40:41]
	global_store_dword v[44:45], v46, off
	s_or_b64 exec, exec, s[18:19]
	s_and_b64 s[20:21], s[6:7], s[10:11]
	s_and_saveexec_b64 s[18:19], s[20:21]
	s_cbranch_execz .LBB14_247
.LBB14_256:
	s_and_b64 vcc, exec, s[0:1]
	s_cbranch_vccnz .LBB14_258
; %bb.257:
	v_lshl_add_u64 v[44:45], v[84:85], 2, v[42:43]
	flat_load_dword v44, v[44:45]
	s_waitcnt vmcnt(0) lgkmcnt(0)
	v_mul_f32_e32 v44, s28, v44
	s_branch .LBB14_259
.LBB14_258:
	v_mov_b32_e32 v44, 0
.LBB14_259:
	v_pk_add_f32 v[46:47], v[8:9], v[36:37]
	s_nop 0
	v_min3_f32 v45, v46, v47, v113
	v_pk_add_f32 v[46:47], v[10:11], v[38:39]
	s_nop 0
	v_min_f32_e32 v46, v46, v47
	v_min3_f32 v46, v44, v46, v45
	v_lshl_add_u64 v[44:45], v[84:85], 2, v[40:41]
	global_store_dword v[44:45], v46, off
	s_or_b64 exec, exec, s[18:19]
	s_and_b64 s[18:19], s[8:9], s[10:11]
	s_and_saveexec_b64 s[10:11], s[18:19]
	s_cbranch_execz .LBB14_264
.LBB14_260:
	s_and_b64 vcc, exec, s[0:1]
	s_cbranch_vccnz .LBB14_262
; %bb.261:
	v_lshl_add_u64 v[42:43], v[86:87], 2, v[42:43]
	flat_load_dword v42, v[42:43]
	s_waitcnt vmcnt(0) lgkmcnt(0)
	v_mul_f32_e32 v42, s28, v42
	s_branch .LBB14_263
.LBB14_262:
	v_mov_b32_e32 v42, 0
.LBB14_263:
	v_pk_add_f32 v[36:37], v[0:1], v[36:37]
	s_nop 0
	v_min3_f32 v43, v36, v37, v112
	v_pk_add_f32 v[36:37], v[2:3], v[38:39]
	s_nop 0
	v_min_f32_e32 v36, v36, v37
	v_min3_f32 v38, v42, v36, v43
	v_lshl_add_u64 v[36:37], v[86:87], 2, v[40:41]
	global_store_dword v[36:37], v38, off
.LBB14_264:
	s_or_b64 exec, exec, s[10:11]
	v_add_u32_e32 v40, 0x58, v124
	v_mad_i64_i32 v[36:37], s[18:19], v40, s23, 0
	v_cmp_gt_i32_e64 s[10:11], s13, v40
	v_lshl_add_u64 v[38:39], v[36:37], 2, s[16:17]
	v_mad_i64_i32 v[36:37], s[18:19], v40, s22, 0
	v_lshl_add_u64 v[36:37], v[36:37], 2, s[14:15]
	s_and_b64 s[20:21], s[2:3], s[10:11]
	s_and_saveexec_b64 s[18:19], s[20:21]
	s_cbranch_execnz .LBB14_268
; %bb.265:
	s_or_b64 exec, exec, s[18:19]
	s_and_b64 s[20:21], s[4:5], s[10:11]
	s_and_saveexec_b64 s[18:19], s[20:21]
	s_cbranch_execnz .LBB14_272
.LBB14_266:
	s_or_b64 exec, exec, s[18:19]
	s_and_b64 s[20:21], s[6:7], s[10:11]
	s_and_saveexec_b64 s[18:19], s[20:21]
	s_cbranch_execnz .LBB14_276
.LBB14_267:
	s_or_b64 exec, exec, s[18:19]
	s_and_b64 s[18:19], s[8:9], s[10:11]
	s_and_saveexec_b64 s[10:11], s[18:19]
	s_cbranch_execnz .LBB14_280
	s_branch .LBB14_284
.LBB14_268:
	s_and_b64 vcc, exec, s[0:1]
	s_cbranch_vccnz .LBB14_270
; %bb.269:
	v_lshl_add_u64 v[40:41], v[80:81], 2, v[38:39]
	flat_load_dword v40, v[40:41]
	s_waitcnt vmcnt(0) lgkmcnt(0)
	v_mul_f32_e32 v40, s28, v40
	s_branch .LBB14_271
.LBB14_270:
	v_mov_b32_e32 v40, 0
.LBB14_271:
	v_pk_add_f32 v[42:43], v[16:17], v[32:33]
	s_nop 0
	v_min3_f32 v41, v42, v43, v111
	v_pk_add_f32 v[42:43], v[18:19], v[34:35]
	s_nop 0
	v_min_f32_e32 v42, v42, v43
	v_min3_f32 v42, v40, v42, v41
	v_lshl_add_u64 v[40:41], v[80:81], 2, v[36:37]
	global_store_dword v[40:41], v42, off
	s_or_b64 exec, exec, s[18:19]
	s_and_b64 s[20:21], s[4:5], s[10:11]
	s_and_saveexec_b64 s[18:19], s[20:21]
	s_cbranch_execz .LBB14_266
.LBB14_272:
	s_and_b64 vcc, exec, s[0:1]
	s_cbranch_vccnz .LBB14_274
; %bb.273:
	v_lshl_add_u64 v[40:41], v[82:83], 2, v[38:39]
	flat_load_dword v40, v[40:41]
	s_waitcnt vmcnt(0) lgkmcnt(0)
	v_mul_f32_e32 v40, s28, v40
	s_branch .LBB14_275
.LBB14_274:
	v_mov_b32_e32 v40, 0
.LBB14_275:
	v_pk_add_f32 v[42:43], v[12:13], v[32:33]
	s_nop 0
	v_min3_f32 v41, v42, v43, v110
	v_pk_add_f32 v[42:43], v[14:15], v[34:35]
	s_nop 0
	v_min_f32_e32 v42, v42, v43
	v_min3_f32 v42, v40, v42, v41
	v_lshl_add_u64 v[40:41], v[82:83], 2, v[36:37]
	global_store_dword v[40:41], v42, off
	s_or_b64 exec, exec, s[18:19]
	s_and_b64 s[20:21], s[6:7], s[10:11]
	s_and_saveexec_b64 s[18:19], s[20:21]
	s_cbranch_execz .LBB14_267
.LBB14_276:
	s_and_b64 vcc, exec, s[0:1]
	s_cbranch_vccnz .LBB14_278
; %bb.277:
	v_lshl_add_u64 v[40:41], v[84:85], 2, v[38:39]
	flat_load_dword v40, v[40:41]
	s_waitcnt vmcnt(0) lgkmcnt(0)
	v_mul_f32_e32 v40, s28, v40
	s_branch .LBB14_279
.LBB14_278:
	v_mov_b32_e32 v40, 0
.LBB14_279:
	v_pk_add_f32 v[42:43], v[8:9], v[32:33]
	s_nop 0
	v_min3_f32 v41, v42, v43, v109
	v_pk_add_f32 v[42:43], v[10:11], v[34:35]
	s_nop 0
	v_min_f32_e32 v42, v42, v43
	v_min3_f32 v42, v40, v42, v41
	v_lshl_add_u64 v[40:41], v[84:85], 2, v[36:37]
	global_store_dword v[40:41], v42, off
	s_or_b64 exec, exec, s[18:19]
	s_and_b64 s[18:19], s[8:9], s[10:11]
	s_and_saveexec_b64 s[10:11], s[18:19]
	s_cbranch_execz .LBB14_284
.LBB14_280:
	s_and_b64 vcc, exec, s[0:1]
	s_cbranch_vccnz .LBB14_282
; %bb.281:
	v_lshl_add_u64 v[38:39], v[86:87], 2, v[38:39]
	flat_load_dword v38, v[38:39]
	s_waitcnt vmcnt(0) lgkmcnt(0)
	v_mul_f32_e32 v38, s28, v38
	s_branch .LBB14_283
.LBB14_282:
	v_mov_b32_e32 v38, 0
.LBB14_283:
	v_pk_add_f32 v[32:33], v[0:1], v[32:33]
	s_nop 0
	v_min3_f32 v39, v32, v33, v108
	v_pk_add_f32 v[32:33], v[2:3], v[34:35]
	s_nop 0
	v_min_f32_e32 v32, v32, v33
	v_min3_f32 v34, v38, v32, v39
	v_lshl_add_u64 v[32:33], v[86:87], 2, v[36:37]
	global_store_dword v[32:33], v34, off
.LBB14_284:
	s_or_b64 exec, exec, s[10:11]
	v_add_u32_e32 v36, 0x60, v124
	v_mad_i64_i32 v[32:33], s[18:19], v36, s23, 0
	v_cmp_gt_i32_e64 s[10:11], s13, v36
	v_lshl_add_u64 v[34:35], v[32:33], 2, s[16:17]
	v_mad_i64_i32 v[32:33], s[18:19], v36, s22, 0
	v_lshl_add_u64 v[32:33], v[32:33], 2, s[14:15]
	s_and_b64 s[20:21], s[2:3], s[10:11]
	s_and_saveexec_b64 s[18:19], s[20:21]
	s_cbranch_execnz .LBB14_288
; %bb.285:
	s_or_b64 exec, exec, s[18:19]
	s_and_b64 s[20:21], s[4:5], s[10:11]
	s_and_saveexec_b64 s[18:19], s[20:21]
	s_cbranch_execnz .LBB14_292
.LBB14_286:
	s_or_b64 exec, exec, s[18:19]
	s_and_b64 s[20:21], s[6:7], s[10:11]
	s_and_saveexec_b64 s[18:19], s[20:21]
	s_cbranch_execnz .LBB14_296
.LBB14_287:
	s_or_b64 exec, exec, s[18:19]
	s_and_b64 s[18:19], s[8:9], s[10:11]
	s_and_saveexec_b64 s[10:11], s[18:19]
	s_cbranch_execnz .LBB14_300
	s_branch .LBB14_304
.LBB14_288:
	s_and_b64 vcc, exec, s[0:1]
	s_cbranch_vccnz .LBB14_290
; %bb.289:
	v_lshl_add_u64 v[36:37], v[80:81], 2, v[34:35]
	flat_load_dword v36, v[36:37]
	s_waitcnt vmcnt(0) lgkmcnt(0)
	v_mul_f32_e32 v36, s28, v36
	s_branch .LBB14_291
.LBB14_290:
	v_mov_b32_e32 v36, 0
.LBB14_291:
	v_pk_add_f32 v[38:39], v[16:17], v[28:29]
	s_nop 0
	v_min3_f32 v37, v38, v39, v107
	v_pk_add_f32 v[38:39], v[18:19], v[30:31]
	s_nop 0
	v_min_f32_e32 v38, v38, v39
	v_min3_f32 v38, v36, v38, v37
	v_lshl_add_u64 v[36:37], v[80:81], 2, v[32:33]
	global_store_dword v[36:37], v38, off
	s_or_b64 exec, exec, s[18:19]
	s_and_b64 s[20:21], s[4:5], s[10:11]
	s_and_saveexec_b64 s[18:19], s[20:21]
	s_cbranch_execz .LBB14_286
.LBB14_292:
	s_and_b64 vcc, exec, s[0:1]
	s_cbranch_vccnz .LBB14_294
; %bb.293:
	v_lshl_add_u64 v[36:37], v[82:83], 2, v[34:35]
	flat_load_dword v36, v[36:37]
	s_waitcnt vmcnt(0) lgkmcnt(0)
	v_mul_f32_e32 v36, s28, v36
	s_branch .LBB14_295
.LBB14_294:
	v_mov_b32_e32 v36, 0
.LBB14_295:
	v_pk_add_f32 v[38:39], v[12:13], v[28:29]
	s_nop 0
	v_min3_f32 v37, v38, v39, v106
	v_pk_add_f32 v[38:39], v[14:15], v[30:31]
	s_nop 0
	v_min_f32_e32 v38, v38, v39
	v_min3_f32 v38, v36, v38, v37
	v_lshl_add_u64 v[36:37], v[82:83], 2, v[32:33]
	global_store_dword v[36:37], v38, off
	s_or_b64 exec, exec, s[18:19]
	s_and_b64 s[20:21], s[6:7], s[10:11]
	s_and_saveexec_b64 s[18:19], s[20:21]
	s_cbranch_execz .LBB14_287
.LBB14_296:
	s_and_b64 vcc, exec, s[0:1]
	s_cbranch_vccnz .LBB14_298
; %bb.297:
	v_lshl_add_u64 v[36:37], v[84:85], 2, v[34:35]
	flat_load_dword v36, v[36:37]
	s_waitcnt vmcnt(0) lgkmcnt(0)
	v_mul_f32_e32 v36, s28, v36
	s_branch .LBB14_299
.LBB14_298:
	v_mov_b32_e32 v36, 0
.LBB14_299:
	v_pk_add_f32 v[38:39], v[8:9], v[28:29]
	s_nop 0
	v_min3_f32 v37, v38, v39, v105
	v_pk_add_f32 v[38:39], v[10:11], v[30:31]
	s_nop 0
	v_min_f32_e32 v38, v38, v39
	v_min3_f32 v38, v36, v38, v37
	v_lshl_add_u64 v[36:37], v[84:85], 2, v[32:33]
	global_store_dword v[36:37], v38, off
	s_or_b64 exec, exec, s[18:19]
	s_and_b64 s[18:19], s[8:9], s[10:11]
	s_and_saveexec_b64 s[10:11], s[18:19]
	s_cbranch_execz .LBB14_304
.LBB14_300:
	s_and_b64 vcc, exec, s[0:1]
	s_cbranch_vccnz .LBB14_302
; %bb.301:
	v_lshl_add_u64 v[34:35], v[86:87], 2, v[34:35]
	flat_load_dword v34, v[34:35]
	s_waitcnt vmcnt(0) lgkmcnt(0)
	v_mul_f32_e32 v34, s28, v34
	s_branch .LBB14_303
.LBB14_302:
	v_mov_b32_e32 v34, 0
.LBB14_303:
	v_pk_add_f32 v[28:29], v[0:1], v[28:29]
	s_nop 0
	v_min3_f32 v35, v28, v29, v104
	v_pk_add_f32 v[28:29], v[2:3], v[30:31]
	s_nop 0
	v_min_f32_e32 v28, v28, v29
	v_min3_f32 v30, v34, v28, v35
	v_lshl_add_u64 v[28:29], v[86:87], 2, v[32:33]
	global_store_dword v[28:29], v30, off
.LBB14_304:
	s_or_b64 exec, exec, s[10:11]
	v_add_u32_e32 v32, 0x68, v124
	v_mad_i64_i32 v[28:29], s[18:19], v32, s23, 0
	v_cmp_gt_i32_e64 s[10:11], s13, v32
	v_lshl_add_u64 v[30:31], v[28:29], 2, s[16:17]
	v_mad_i64_i32 v[28:29], s[18:19], v32, s22, 0
	v_lshl_add_u64 v[28:29], v[28:29], 2, s[14:15]
	s_and_b64 s[20:21], s[2:3], s[10:11]
	s_and_saveexec_b64 s[18:19], s[20:21]
	s_cbranch_execnz .LBB14_308
; %bb.305:
	s_or_b64 exec, exec, s[18:19]
	s_and_b64 s[20:21], s[4:5], s[10:11]
	s_and_saveexec_b64 s[18:19], s[20:21]
	s_cbranch_execnz .LBB14_312
.LBB14_306:
	s_or_b64 exec, exec, s[18:19]
	s_and_b64 s[20:21], s[6:7], s[10:11]
	s_and_saveexec_b64 s[18:19], s[20:21]
	s_cbranch_execnz .LBB14_316
.LBB14_307:
	s_or_b64 exec, exec, s[18:19]
	s_and_b64 s[18:19], s[8:9], s[10:11]
	s_and_saveexec_b64 s[10:11], s[18:19]
	s_cbranch_execnz .LBB14_320
	s_branch .LBB14_324
.LBB14_308:
	s_and_b64 vcc, exec, s[0:1]
	s_cbranch_vccnz .LBB14_310
; %bb.309:
	v_lshl_add_u64 v[32:33], v[80:81], 2, v[30:31]
	flat_load_dword v32, v[32:33]
	s_waitcnt vmcnt(0) lgkmcnt(0)
	v_mul_f32_e32 v32, s28, v32
	s_branch .LBB14_311
.LBB14_310:
	v_mov_b32_e32 v32, 0
.LBB14_311:
	v_pk_add_f32 v[34:35], v[16:17], v[24:25]
	s_nop 0
	v_min3_f32 v33, v34, v35, v103
	v_pk_add_f32 v[34:35], v[18:19], v[26:27]
	s_nop 0
	v_min_f32_e32 v34, v34, v35
	v_min3_f32 v34, v32, v34, v33
	v_lshl_add_u64 v[32:33], v[80:81], 2, v[28:29]
	global_store_dword v[32:33], v34, off
	s_or_b64 exec, exec, s[18:19]
	s_and_b64 s[20:21], s[4:5], s[10:11]
	s_and_saveexec_b64 s[18:19], s[20:21]
	s_cbranch_execz .LBB14_306
.LBB14_312:
	s_and_b64 vcc, exec, s[0:1]
	s_cbranch_vccnz .LBB14_314
; %bb.313:
	v_lshl_add_u64 v[32:33], v[82:83], 2, v[30:31]
	flat_load_dword v32, v[32:33]
	s_waitcnt vmcnt(0) lgkmcnt(0)
	v_mul_f32_e32 v32, s28, v32
	s_branch .LBB14_315
.LBB14_314:
	v_mov_b32_e32 v32, 0
.LBB14_315:
	v_pk_add_f32 v[34:35], v[12:13], v[24:25]
	s_nop 0
	v_min3_f32 v33, v34, v35, v102
	v_pk_add_f32 v[34:35], v[14:15], v[26:27]
	s_nop 0
	v_min_f32_e32 v34, v34, v35
	v_min3_f32 v34, v32, v34, v33
	v_lshl_add_u64 v[32:33], v[82:83], 2, v[28:29]
	global_store_dword v[32:33], v34, off
	s_or_b64 exec, exec, s[18:19]
	s_and_b64 s[20:21], s[6:7], s[10:11]
	s_and_saveexec_b64 s[18:19], s[20:21]
	s_cbranch_execz .LBB14_307
.LBB14_316:
	s_and_b64 vcc, exec, s[0:1]
	s_cbranch_vccnz .LBB14_318
; %bb.317:
	v_lshl_add_u64 v[32:33], v[84:85], 2, v[30:31]
	flat_load_dword v32, v[32:33]
	s_waitcnt vmcnt(0) lgkmcnt(0)
	v_mul_f32_e32 v32, s28, v32
	s_branch .LBB14_319
.LBB14_318:
	v_mov_b32_e32 v32, 0
.LBB14_319:
	v_pk_add_f32 v[34:35], v[8:9], v[24:25]
	s_nop 0
	v_min3_f32 v33, v34, v35, v101
	v_pk_add_f32 v[34:35], v[10:11], v[26:27]
	s_nop 0
	v_min_f32_e32 v34, v34, v35
	v_min3_f32 v34, v32, v34, v33
	v_lshl_add_u64 v[32:33], v[84:85], 2, v[28:29]
	global_store_dword v[32:33], v34, off
	s_or_b64 exec, exec, s[18:19]
	s_and_b64 s[18:19], s[8:9], s[10:11]
	s_and_saveexec_b64 s[10:11], s[18:19]
	s_cbranch_execz .LBB14_324
.LBB14_320:
	s_and_b64 vcc, exec, s[0:1]
	s_cbranch_vccnz .LBB14_322
; %bb.321:
	v_lshl_add_u64 v[30:31], v[86:87], 2, v[30:31]
	flat_load_dword v30, v[30:31]
	s_waitcnt vmcnt(0) lgkmcnt(0)
	v_mul_f32_e32 v30, s28, v30
	s_branch .LBB14_323
.LBB14_322:
	v_mov_b32_e32 v30, 0
.LBB14_323:
	v_pk_add_f32 v[24:25], v[0:1], v[24:25]
	s_nop 0
	v_min3_f32 v31, v24, v25, v100
	v_pk_add_f32 v[24:25], v[2:3], v[26:27]
	s_nop 0
	v_min_f32_e32 v24, v24, v25
	v_min3_f32 v26, v30, v24, v31
	v_lshl_add_u64 v[24:25], v[86:87], 2, v[28:29]
	global_store_dword v[24:25], v26, off
.LBB14_324:
	s_or_b64 exec, exec, s[10:11]
	v_add_u32_e32 v28, 0x70, v124
	v_mad_i64_i32 v[24:25], s[18:19], v28, s23, 0
	v_cmp_gt_i32_e64 s[10:11], s13, v28
	v_lshl_add_u64 v[26:27], v[24:25], 2, s[16:17]
	v_mad_i64_i32 v[24:25], s[18:19], v28, s22, 0
	v_lshl_add_u64 v[24:25], v[24:25], 2, s[14:15]
	s_and_b64 s[20:21], s[2:3], s[10:11]
	s_and_saveexec_b64 s[18:19], s[20:21]
	s_cbranch_execnz .LBB14_328
; %bb.325:
	s_or_b64 exec, exec, s[18:19]
	s_and_b64 s[20:21], s[4:5], s[10:11]
	s_and_saveexec_b64 s[18:19], s[20:21]
	s_cbranch_execnz .LBB14_332
.LBB14_326:
	s_or_b64 exec, exec, s[18:19]
	s_and_b64 s[20:21], s[6:7], s[10:11]
	s_and_saveexec_b64 s[18:19], s[20:21]
	s_cbranch_execnz .LBB14_336
.LBB14_327:
	s_or_b64 exec, exec, s[18:19]
	s_and_b64 s[18:19], s[8:9], s[10:11]
	s_and_saveexec_b64 s[10:11], s[18:19]
	s_cbranch_execnz .LBB14_340
	s_branch .LBB14_344
.LBB14_328:
	s_and_b64 vcc, exec, s[0:1]
	s_cbranch_vccnz .LBB14_330
; %bb.329:
	v_lshl_add_u64 v[28:29], v[80:81], 2, v[26:27]
	flat_load_dword v28, v[28:29]
	s_waitcnt vmcnt(0) lgkmcnt(0)
	v_mul_f32_e32 v28, s28, v28
	s_branch .LBB14_331
.LBB14_330:
	v_mov_b32_e32 v28, 0
.LBB14_331:
	v_pk_add_f32 v[30:31], v[16:17], v[20:21]
	s_nop 0
	v_min3_f32 v29, v30, v31, v99
	v_pk_add_f32 v[30:31], v[18:19], v[22:23]
	s_nop 0
	v_min_f32_e32 v30, v30, v31
	v_min3_f32 v30, v28, v30, v29
	v_lshl_add_u64 v[28:29], v[80:81], 2, v[24:25]
	global_store_dword v[28:29], v30, off
	s_or_b64 exec, exec, s[18:19]
	s_and_b64 s[20:21], s[4:5], s[10:11]
	s_and_saveexec_b64 s[18:19], s[20:21]
	s_cbranch_execz .LBB14_326
.LBB14_332:
	s_and_b64 vcc, exec, s[0:1]
	s_cbranch_vccnz .LBB14_334
; %bb.333:
	v_lshl_add_u64 v[28:29], v[82:83], 2, v[26:27]
	flat_load_dword v28, v[28:29]
	s_waitcnt vmcnt(0) lgkmcnt(0)
	v_mul_f32_e32 v28, s28, v28
	s_branch .LBB14_335
.LBB14_334:
	v_mov_b32_e32 v28, 0
.LBB14_335:
	v_pk_add_f32 v[30:31], v[12:13], v[20:21]
	s_nop 0
	v_min3_f32 v29, v30, v31, v98
	v_pk_add_f32 v[30:31], v[14:15], v[22:23]
	s_nop 0
	v_min_f32_e32 v30, v30, v31
	v_min3_f32 v30, v28, v30, v29
	v_lshl_add_u64 v[28:29], v[82:83], 2, v[24:25]
	global_store_dword v[28:29], v30, off
	s_or_b64 exec, exec, s[18:19]
	s_and_b64 s[20:21], s[6:7], s[10:11]
	s_and_saveexec_b64 s[18:19], s[20:21]
	s_cbranch_execz .LBB14_327
.LBB14_336:
	s_and_b64 vcc, exec, s[0:1]
	s_cbranch_vccnz .LBB14_338
; %bb.337:
	v_lshl_add_u64 v[28:29], v[84:85], 2, v[26:27]
	flat_load_dword v28, v[28:29]
	s_waitcnt vmcnt(0) lgkmcnt(0)
	v_mul_f32_e32 v28, s28, v28
	s_branch .LBB14_339
.LBB14_338:
	v_mov_b32_e32 v28, 0
.LBB14_339:
	v_pk_add_f32 v[30:31], v[8:9], v[20:21]
	s_nop 0
	v_min3_f32 v29, v30, v31, v97
	v_pk_add_f32 v[30:31], v[10:11], v[22:23]
	s_nop 0
	v_min_f32_e32 v30, v30, v31
	v_min3_f32 v30, v28, v30, v29
	v_lshl_add_u64 v[28:29], v[84:85], 2, v[24:25]
	global_store_dword v[28:29], v30, off
	s_or_b64 exec, exec, s[18:19]
	s_and_b64 s[18:19], s[8:9], s[10:11]
	s_and_saveexec_b64 s[10:11], s[18:19]
	s_cbranch_execz .LBB14_344
.LBB14_340:
	s_and_b64 vcc, exec, s[0:1]
	s_cbranch_vccnz .LBB14_342
; %bb.341:
	v_lshl_add_u64 v[26:27], v[86:87], 2, v[26:27]
	flat_load_dword v26, v[26:27]
	s_waitcnt vmcnt(0) lgkmcnt(0)
	v_mul_f32_e32 v26, s28, v26
	s_branch .LBB14_343
.LBB14_342:
	v_mov_b32_e32 v26, 0
.LBB14_343:
	v_pk_add_f32 v[20:21], v[0:1], v[20:21]
	s_nop 0
	v_min3_f32 v27, v20, v21, v96
	v_pk_add_f32 v[20:21], v[2:3], v[22:23]
	s_nop 0
	v_min_f32_e32 v20, v20, v21
	v_min3_f32 v22, v26, v20, v27
	v_lshl_add_u64 v[20:21], v[86:87], 2, v[24:25]
	global_store_dword v[20:21], v22, off
.LBB14_344:
	s_or_b64 exec, exec, s[10:11]
	v_add_u32_e32 v24, 0x78, v124
	v_cmp_gt_i32_e64 s[10:11], s13, v24
	v_mad_i64_i32 v[20:21], s[12:13], v24, s23, 0
	v_lshl_add_u64 v[22:23], v[20:21], 2, s[16:17]
	v_mad_i64_i32 v[20:21], s[12:13], v24, s22, 0
	v_lshl_add_u64 v[20:21], v[20:21], 2, s[14:15]
	s_and_b64 s[12:13], s[2:3], s[10:11]
	s_and_saveexec_b64 s[2:3], s[12:13]
	s_cbranch_execnz .LBB14_349
; %bb.345:
	s_or_b64 exec, exec, s[2:3]
	s_and_b64 s[4:5], s[4:5], s[10:11]
	s_and_saveexec_b64 s[2:3], s[4:5]
	s_cbranch_execnz .LBB14_353
.LBB14_346:
	s_or_b64 exec, exec, s[2:3]
	s_and_b64 s[4:5], s[6:7], s[10:11]
	s_and_saveexec_b64 s[2:3], s[4:5]
	s_cbranch_execnz .LBB14_357
.LBB14_347:
	s_or_b64 exec, exec, s[2:3]
	s_and_b64 s[2:3], s[8:9], s[10:11]
	s_and_saveexec_b64 s[4:5], s[2:3]
	s_cbranch_execnz .LBB14_361
.LBB14_348:
	s_endpgm
.LBB14_349:
	s_and_b64 vcc, exec, s[0:1]
	s_cbranch_vccnz .LBB14_351
; %bb.350:
	v_lshl_add_u64 v[24:25], v[80:81], 2, v[22:23]
	flat_load_dword v24, v[24:25]
	s_waitcnt vmcnt(0) lgkmcnt(0)
	v_mul_f32_e32 v24, s28, v24
	s_branch .LBB14_352
.LBB14_351:
	v_mov_b32_e32 v24, 0
.LBB14_352:
	v_pk_add_f32 v[16:17], v[16:17], v[4:5]
	s_nop 0
	v_min3_f32 v25, v16, v17, v94
	v_pk_add_f32 v[16:17], v[18:19], v[6:7]
	s_nop 0
	v_min_f32_e32 v16, v16, v17
	v_min3_f32 v18, v24, v16, v25
	v_lshl_add_u64 v[16:17], v[80:81], 2, v[20:21]
	global_store_dword v[16:17], v18, off
	s_or_b64 exec, exec, s[2:3]
	s_and_b64 s[4:5], s[4:5], s[10:11]
	s_and_saveexec_b64 s[2:3], s[4:5]
	s_cbranch_execz .LBB14_346
.LBB14_353:
	s_and_b64 vcc, exec, s[0:1]
	s_cbranch_vccnz .LBB14_355
; %bb.354:
	v_lshl_add_u64 v[16:17], v[82:83], 2, v[22:23]
	flat_load_dword v16, v[16:17]
	s_waitcnt vmcnt(0) lgkmcnt(0)
	v_mul_f32_e32 v16, s28, v16
	s_branch .LBB14_356
.LBB14_355:
	v_mov_b32_e32 v16, 0
.LBB14_356:
	v_pk_add_f32 v[12:13], v[12:13], v[4:5]
	s_nop 0
	v_min3_f32 v17, v12, v13, v93
	v_pk_add_f32 v[12:13], v[14:15], v[6:7]
	s_nop 0
	v_min_f32_e32 v12, v12, v13
	v_min3_f32 v14, v16, v12, v17
	v_lshl_add_u64 v[12:13], v[82:83], 2, v[20:21]
	global_store_dword v[12:13], v14, off
	s_or_b64 exec, exec, s[2:3]
	s_and_b64 s[4:5], s[6:7], s[10:11]
	s_and_saveexec_b64 s[2:3], s[4:5]
	s_cbranch_execz .LBB14_347
.LBB14_357:
	s_and_b64 vcc, exec, s[0:1]
	s_cbranch_vccnz .LBB14_359
; %bb.358:
	v_lshl_add_u64 v[12:13], v[84:85], 2, v[22:23]
	flat_load_dword v12, v[12:13]
	s_waitcnt vmcnt(0) lgkmcnt(0)
	v_mul_f32_e32 v12, s28, v12
	s_branch .LBB14_360
.LBB14_359:
	v_mov_b32_e32 v12, 0
.LBB14_360:
	v_pk_add_f32 v[8:9], v[8:9], v[4:5]
	s_nop 0
	v_min3_f32 v13, v8, v9, v92
	v_pk_add_f32 v[8:9], v[10:11], v[6:7]
	s_nop 0
	v_min_f32_e32 v8, v8, v9
	v_min3_f32 v10, v12, v8, v13
	v_lshl_add_u64 v[8:9], v[84:85], 2, v[20:21]
	global_store_dword v[8:9], v10, off
	s_or_b64 exec, exec, s[2:3]
	s_and_b64 s[2:3], s[8:9], s[10:11]
	s_and_saveexec_b64 s[4:5], s[2:3]
	s_cbranch_execz .LBB14_348
.LBB14_361:
	s_and_b64 vcc, exec, s[0:1]
	s_cbranch_vccnz .LBB14_363
; %bb.362:
	v_lshl_add_u64 v[8:9], v[86:87], 2, v[22:23]
	flat_load_dword v8, v[8:9]
	s_waitcnt vmcnt(0) lgkmcnt(0)
	v_mul_f32_e32 v8, s28, v8
	s_branch .LBB14_364
.LBB14_363:
	v_mov_b32_e32 v8, 0
.LBB14_364:
	v_pk_add_f32 v[0:1], v[0:1], v[4:5]
	s_nop 0
	v_min3_f32 v4, v0, v1, v95
	v_pk_add_f32 v[0:1], v[2:3], v[6:7]
	s_nop 0
	v_min_f32_e32 v0, v0, v1
	v_min3_f32 v2, v8, v0, v4
	v_lshl_add_u64 v[0:1], v[86:87], 2, v[20:21]
	global_store_dword v[0:1], v2, off
	s_endpgm
	.section	.rodata,"a",@progbits
	.p2align	6, 0x0
	.amdhsa_kernel _ZN12_GLOBAL__N_120geam_min_plus_kernelIf15HIP_vector_typeIfLj2EEfLi32ELi8ELi128ELi128ELi4ELi4ELi64ELi4ELi64ELc84ELc78ELb0ELb1ELb1EfKPKfKPfEEviiiT16_PT17_ilSA_ilS8_SA_ilPT18_ili26rocblas_geam_ex_operation_
		.amdhsa_group_segment_fixed_size 8192
		.amdhsa_private_segment_fixed_size 0
		.amdhsa_kernarg_size 128
		.amdhsa_user_sgpr_count 2
		.amdhsa_user_sgpr_dispatch_ptr 0
		.amdhsa_user_sgpr_queue_ptr 0
		.amdhsa_user_sgpr_kernarg_segment_ptr 1
		.amdhsa_user_sgpr_dispatch_id 0
		.amdhsa_user_sgpr_kernarg_preload_length 0
		.amdhsa_user_sgpr_kernarg_preload_offset 0
		.amdhsa_user_sgpr_private_segment_size 0
		.amdhsa_uses_dynamic_stack 0
		.amdhsa_enable_private_segment 0
		.amdhsa_system_sgpr_workgroup_id_x 1
		.amdhsa_system_sgpr_workgroup_id_y 0
		.amdhsa_system_sgpr_workgroup_id_z 1
		.amdhsa_system_sgpr_workgroup_info 0
		.amdhsa_system_vgpr_workitem_id 1
		.amdhsa_next_free_vgpr 200
		.amdhsa_next_free_sgpr 38
		.amdhsa_accum_offset 200
		.amdhsa_reserve_vcc 1
		.amdhsa_float_round_mode_32 0
		.amdhsa_float_round_mode_16_64 0
		.amdhsa_float_denorm_mode_32 3
		.amdhsa_float_denorm_mode_16_64 3
		.amdhsa_dx10_clamp 1
		.amdhsa_ieee_mode 1
		.amdhsa_fp16_overflow 0
		.amdhsa_tg_split 0
		.amdhsa_exception_fp_ieee_invalid_op 0
		.amdhsa_exception_fp_denorm_src 0
		.amdhsa_exception_fp_ieee_div_zero 0
		.amdhsa_exception_fp_ieee_overflow 0
		.amdhsa_exception_fp_ieee_underflow 0
		.amdhsa_exception_fp_ieee_inexact 0
		.amdhsa_exception_int_div_zero 0
	.end_amdhsa_kernel
	.section	.text._ZN12_GLOBAL__N_120geam_min_plus_kernelIf15HIP_vector_typeIfLj2EEfLi32ELi8ELi128ELi128ELi4ELi4ELi64ELi4ELi64ELc84ELc78ELb0ELb1ELb1EfKPKfKPfEEviiiT16_PT17_ilSA_ilS8_SA_ilPT18_ili26rocblas_geam_ex_operation_,"axG",@progbits,_ZN12_GLOBAL__N_120geam_min_plus_kernelIf15HIP_vector_typeIfLj2EEfLi32ELi8ELi128ELi128ELi4ELi4ELi64ELi4ELi64ELc84ELc78ELb0ELb1ELb1EfKPKfKPfEEviiiT16_PT17_ilSA_ilS8_SA_ilPT18_ili26rocblas_geam_ex_operation_,comdat
.Lfunc_end14:
	.size	_ZN12_GLOBAL__N_120geam_min_plus_kernelIf15HIP_vector_typeIfLj2EEfLi32ELi8ELi128ELi128ELi4ELi4ELi64ELi4ELi64ELc84ELc78ELb0ELb1ELb1EfKPKfKPfEEviiiT16_PT17_ilSA_ilS8_SA_ilPT18_ili26rocblas_geam_ex_operation_, .Lfunc_end14-_ZN12_GLOBAL__N_120geam_min_plus_kernelIf15HIP_vector_typeIfLj2EEfLi32ELi8ELi128ELi128ELi4ELi4ELi64ELi4ELi64ELc84ELc78ELb0ELb1ELb1EfKPKfKPfEEviiiT16_PT17_ilSA_ilS8_SA_ilPT18_ili26rocblas_geam_ex_operation_
                                        ; -- End function
	.section	.AMDGPU.csdata,"",@progbits
; Kernel info:
; codeLenInByte = 18948
; NumSgprs: 44
; NumVgprs: 200
; NumAgprs: 0
; TotalNumVgprs: 200
; ScratchSize: 0
; MemoryBound: 0
; FloatMode: 240
; IeeeMode: 1
; LDSByteSize: 8192 bytes/workgroup (compile time only)
; SGPRBlocks: 5
; VGPRBlocks: 24
; NumSGPRsForWavesPerEU: 44
; NumVGPRsForWavesPerEU: 200
; AccumOffset: 200
; Occupancy: 2
; WaveLimiterHint : 1
; COMPUTE_PGM_RSRC2:SCRATCH_EN: 0
; COMPUTE_PGM_RSRC2:USER_SGPR: 2
; COMPUTE_PGM_RSRC2:TRAP_HANDLER: 0
; COMPUTE_PGM_RSRC2:TGID_X_EN: 1
; COMPUTE_PGM_RSRC2:TGID_Y_EN: 0
; COMPUTE_PGM_RSRC2:TGID_Z_EN: 1
; COMPUTE_PGM_RSRC2:TIDIG_COMP_CNT: 1
; COMPUTE_PGM_RSRC3_GFX90A:ACCUM_OFFSET: 49
; COMPUTE_PGM_RSRC3_GFX90A:TG_SPLIT: 0
	.section	.text._ZN12_GLOBAL__N_120geam_min_plus_kernelIf15HIP_vector_typeIfLj2EEfLi8ELi32ELi64ELi256ELi4ELi64ELi4ELi64ELi4ELc78ELc84ELb0ELb0ELb1EPKfKS4_KPfEEviiiT16_PT17_ilSA_ilS8_SA_ilPT18_ili26rocblas_geam_ex_operation_,"axG",@progbits,_ZN12_GLOBAL__N_120geam_min_plus_kernelIf15HIP_vector_typeIfLj2EEfLi8ELi32ELi64ELi256ELi4ELi64ELi4ELi64ELi4ELc78ELc84ELb0ELb0ELb1EPKfKS4_KPfEEviiiT16_PT17_ilSA_ilS8_SA_ilPT18_ili26rocblas_geam_ex_operation_,comdat
	.globl	_ZN12_GLOBAL__N_120geam_min_plus_kernelIf15HIP_vector_typeIfLj2EEfLi8ELi32ELi64ELi256ELi4ELi64ELi4ELi64ELi4ELc78ELc84ELb0ELb0ELb1EPKfKS4_KPfEEviiiT16_PT17_ilSA_ilS8_SA_ilPT18_ili26rocblas_geam_ex_operation_ ; -- Begin function _ZN12_GLOBAL__N_120geam_min_plus_kernelIf15HIP_vector_typeIfLj2EEfLi8ELi32ELi64ELi256ELi4ELi64ELi4ELi64ELi4ELc78ELc84ELb0ELb0ELb1EPKfKS4_KPfEEviiiT16_PT17_ilSA_ilS8_SA_ilPT18_ili26rocblas_geam_ex_operation_
	.p2align	8
	.type	_ZN12_GLOBAL__N_120geam_min_plus_kernelIf15HIP_vector_typeIfLj2EEfLi8ELi32ELi64ELi256ELi4ELi64ELi4ELi64ELi4ELc78ELc84ELb0ELb0ELb1EPKfKS4_KPfEEviiiT16_PT17_ilSA_ilS8_SA_ilPT18_ili26rocblas_geam_ex_operation_,@function
_ZN12_GLOBAL__N_120geam_min_plus_kernelIf15HIP_vector_typeIfLj2EEfLi8ELi32ELi64ELi256ELi4ELi64ELi4ELi64ELi4ELc78ELc84ELb0ELb0ELb1EPKfKS4_KPfEEviiiT16_PT17_ilSA_ilS8_SA_ilPT18_ili26rocblas_geam_ex_operation_: ; @_ZN12_GLOBAL__N_120geam_min_plus_kernelIf15HIP_vector_typeIfLj2EEfLi8ELi32ELi64ELi256ELi4ELi64ELi4ELi64ELi4ELc78ELc84ELb0ELb0ELb1EPKfKS4_KPfEEviiiT16_PT17_ilSA_ilS8_SA_ilPT18_ili26rocblas_geam_ex_operation_
; %bb.0:
	s_load_dwordx4 s[12:15], s[0:1], 0x10
	s_load_dwordx4 s[4:7], s[0:1], 0x28
	s_mov_b32 s26, s3
	s_mov_b32 s27, 0
	s_lshl_b64 s[18:19], s[26:27], 2
	s_waitcnt lgkmcnt(0)
	s_add_u32 s12, s12, s18
	s_load_dwordx4 s[8:11], s[0:1], 0x40
	s_addc_u32 s13, s13, s19
	s_load_dword s16, s[12:13], 0x0
	s_load_dwordx2 s[22:23], s[0:1], 0x50
	s_mov_b64 s[20:21], 0
	s_waitcnt lgkmcnt(0)
	s_add_u32 s10, s10, s18
	v_cmp_eq_f32_e64 s[24:25], s16, 0
	s_addc_u32 s11, s11, s19
	v_cmp_neq_f32_e64 s[12:13], s16, 0
	s_mov_b64 s[18:19], 0
	s_and_b64 vcc, exec, s[24:25]
	s_cbranch_vccnz .LBB15_2
; %bb.1:
	s_lshl_b64 s[20:21], s[26:27], 3
	s_add_u32 s14, s14, s20
	s_addc_u32 s15, s15, s21
	s_load_dwordx2 s[14:15], s[14:15], 0x0
	s_lshl_b64 s[4:5], s[4:5], 2
	s_waitcnt lgkmcnt(0)
	s_add_u32 s20, s14, s4
	s_addc_u32 s21, s15, s5
.LBB15_2:
	s_load_dword s28, s[10:11], 0x0
	v_cndmask_b32_e64 v1, 0, 1, s[12:13]
	v_cmp_ne_u32_e64 s[4:5], 1, v1
	s_andn2_b64 vcc, exec, s[12:13]
	s_cbranch_vccnz .LBB15_4
; %bb.3:
	s_lshl_b64 s[10:11], s[26:27], 3
	s_add_u32 s6, s6, s10
	s_addc_u32 s7, s7, s11
	s_load_dwordx2 s[6:7], s[6:7], 0x0
	s_lshl_b64 s[8:9], s[8:9], 2
	s_waitcnt lgkmcnt(0)
	s_add_u32 s18, s6, s8
	s_addc_u32 s19, s7, s9
.LBB15_4:
	s_load_dwordx4 s[12:15], s[0:1], 0x60
	s_waitcnt lgkmcnt(0)
	v_cmp_eq_f32_e64 s[6:7], s28, 0
	s_and_b64 s[8:9], exec, s[6:7]
	s_mov_b64 vcc, s[8:9]
	s_cbranch_vccnz .LBB15_6
; %bb.5:
	s_lshl_b64 s[6:7], s[26:27], 3
	s_add_u32 s6, s22, s6
	s_addc_u32 s7, s23, s7
	s_load_dwordx2 s[6:7], s[6:7], 0x0
	s_lshl_b64 s[10:11], s[12:13], 2
	s_waitcnt lgkmcnt(0)
	s_add_u32 s10, s6, s10
	s_addc_u32 s11, s7, s11
	s_branch .LBB15_7
.LBB15_6:
	s_mov_b64 s[10:11], 0
.LBB15_7:
	s_load_dword s22, s[0:1], 0x20
	s_load_dword s3, s[0:1], 0x0
	s_lshl_b64 s[6:7], s[26:27], 3
	v_and_b32_e32 v80, 0x3ff, v0
	v_bfe_u32 v81, v0, 10, 10
	s_waitcnt lgkmcnt(0)
	s_ashr_i32 s23, s22, 31
	s_add_u32 s6, s14, s6
	s_addc_u32 s7, s15, s7
	s_add_i32 s3, s3, -1
	s_ashr_i32 s12, s3, 31
	s_lshr_b32 s12, s12, 26
	s_add_i32 s3, s3, s12
	s_ashr_i32 s3, s3, 6
	s_add_i32 s14, s3, 1
	v_cvt_f32_u32_e32 v1, s14
	s_load_dwordx2 s[12:13], s[6:7], 0x0
	s_not_b32 s3, s3
	v_lshl_add_u32 v2, v81, 3, v80
	v_rcp_iflag_f32_e32 v0, v1
	v_cndmask_b32_e64 v1, 0, 1, s[24:25]
	v_and_b32_e32 v57, 63, v2
	v_lshrrev_b32_e32 v56, 6, v2
	v_mul_f32_e32 v0, 0x4f7ffffe, v0
	v_cvt_u32_f32_e32 v0, v0
	s_nop 0
	v_readfirstlane_b32 s6, v0
	s_mul_i32 s3, s3, s6
	s_mul_hi_u32 s3, s6, s3
	s_add_i32 s6, s6, s3
	s_mul_hi_u32 s3, s2, s6
	s_mul_i32 s6, s3, s14
	s_sub_i32 s6, s2, s6
	s_add_i32 s7, s3, 1
	s_sub_i32 s15, s6, s14
	s_cmp_ge_u32 s6, s14
	s_cselect_b32 s3, s7, s3
	s_cselect_b32 s6, s15, s6
	s_add_i32 s7, s3, 1
	s_cmp_ge_u32 s6, s14
	s_cselect_b32 s17, s7, s3
	s_mul_i32 s3, s17, s14
	s_sub_i32 s14, s2, s3
	v_cmp_ne_u32_e64 s[6:7], 1, v1
	s_andn2_b64 vcc, exec, s[24:25]
	s_lshl_b32 s24, s14, 6
	s_cbranch_vccnz .LBB15_10
; %bb.8:
	v_mov_b32_e32 v1, 0
	s_mov_b32 s25, 0
	v_or_b32_e32 v4, s24, v57
	v_ashrrev_i32_e32 v5, 31, v4
	s_cbranch_execz .LBB15_11
; %bb.9:
	v_mov_b32_e32 v9, s25
	s_branch .LBB15_12
.LBB15_10:
                                        ; implicit-def: $sgpr25
                                        ; implicit-def: $vgpr0_vgpr1
	v_or_b32_e32 v4, s24, v57
	v_ashrrev_i32_e32 v5, 31, v4
.LBB15_11:
	v_mad_i64_i32 v[0:1], s[14:15], s22, v56, 0
	v_lshl_add_u64 v[0:1], v[0:1], 2, s[20:21]
	v_lshl_add_u64 v[0:1], v[4:5], 2, v[0:1]
	flat_load_dword v0, v[0:1]
	v_mov_b32_e32 v1, 0
	s_waitcnt vmcnt(0) lgkmcnt(0)
	v_mul_f32_e32 v9, s16, v0
.LBB15_12:
	s_load_dword s14, s[0:1], 0x38
	s_lshl_b32 s25, s17, 8
	v_or_b32_e32 v2, s25, v57
	s_and_b64 vcc, exec, s[4:5]
	s_waitcnt lgkmcnt(0)
	s_ashr_i32 s15, s14, 31
	v_mul_lo_u32 v3, v1, s14
	v_mul_lo_u32 v6, v56, s15
	v_mad_u64_u32 v[0:1], s[26:27], v56, s14, 0
	v_add3_u32 v1, v1, v6, v3
	v_lshl_add_u64 v[6:7], v[0:1], 2, s[18:19]
	v_ashrrev_i32_e32 v3, 31, v2
	s_cbranch_vccnz .LBB15_17
; %bb.13:
	v_lshl_add_u64 v[0:1], v[2:3], 2, v[6:7]
	flat_load_dword v10, v[0:1]
	flat_load_dword v11, v[0:1] offset:256
	s_waitcnt vmcnt(0) lgkmcnt(0)
	v_pk_mul_f32 v[0:1], s[16:17], v[10:11] op_sel_hi:[0,1]
	s_and_b64 vcc, exec, s[4:5]
	s_cbranch_vccnz .LBB15_18
.LBB15_14:
	v_lshl_add_u64 v[6:7], v[2:3], 2, v[6:7]
	flat_load_dword v10, v[6:7] offset:512
	flat_load_dword v11, v[6:7] offset:768
	s_waitcnt vmcnt(0) lgkmcnt(0)
	v_pk_mul_f32 v[6:7], s[16:17], v[10:11] op_sel_hi:[0,1]
	s_and_b64 vcc, exec, s[6:7]
	v_add_u32_e32 v8, 4, v56
	s_cbranch_vccnz .LBB15_19
.LBB15_15:
	v_mov_b32_e32 v11, 0
	s_mov_b32 s17, 0
	s_cbranch_execz .LBB15_20
; %bb.16:
	v_mov_b32_e32 v62, s17
	s_branch .LBB15_21
.LBB15_17:
	v_mov_b32_e32 v0, 0
	v_mov_b32_e32 v1, 0
	s_and_b64 vcc, exec, s[4:5]
	s_cbranch_vccz .LBB15_14
.LBB15_18:
	v_mov_b32_e32 v6, 0
	v_mov_b32_e32 v7, 0
	s_and_b64 vcc, exec, s[6:7]
	v_add_u32_e32 v8, 4, v56
	s_cbranch_vccz .LBB15_15
.LBB15_19:
                                        ; implicit-def: $sgpr17
                                        ; implicit-def: $vgpr10_vgpr11
.LBB15_20:
	v_mad_i64_i32 v[10:11], s[6:7], s22, v8, 0
	v_lshl_add_u64 v[10:11], v[10:11], 2, s[20:21]
	v_lshl_add_u64 v[4:5], v[4:5], 2, v[10:11]
	flat_load_dword v4, v[4:5]
	v_mov_b32_e32 v11, 0
	s_waitcnt vmcnt(0) lgkmcnt(0)
	v_mul_f32_e32 v62, s16, v4
.LBB15_21:
	v_mul_lo_u32 v10, v11, s14
	v_mul_lo_u32 v11, v8, s15
	v_mad_u64_u32 v[4:5], s[6:7], v8, s14, 0
	v_add3_u32 v5, v5, v11, v10
	s_and_b64 vcc, exec, s[4:5]
	v_lshl_add_u64 v[4:5], v[4:5], 2, s[18:19]
	s_cbranch_vccnz .LBB15_24
; %bb.22:
	v_lshl_add_u64 v[10:11], v[2:3], 2, v[4:5]
	flat_load_dword v12, v[10:11]
	flat_load_dword v13, v[10:11] offset:256
	s_waitcnt vmcnt(0) lgkmcnt(0)
	v_pk_mul_f32 v[58:59], s[16:17], v[12:13] op_sel_hi:[0,1]
	s_and_b64 vcc, exec, s[4:5]
	s_cbranch_vccnz .LBB15_25
.LBB15_23:
	v_lshl_add_u64 v[2:3], v[2:3], 2, v[4:5]
	flat_load_dword v4, v[2:3] offset:512
	flat_load_dword v5, v[2:3] offset:768
	s_waitcnt vmcnt(0) lgkmcnt(0)
	v_pk_mul_f32 v[60:61], s[16:17], v[4:5] op_sel_hi:[0,1]
	s_branch .LBB15_26
.LBB15_24:
	v_mov_b32_e32 v58, 0
	v_mov_b32_e32 v59, 0
	s_and_b64 vcc, exec, s[4:5]
	s_cbranch_vccz .LBB15_23
.LBB15_25:
	v_mov_b32_e32 v60, 0
	v_mov_b32_e32 v61, 0
.LBB15_26:
	v_lshlrev_b32_e32 v2, 2, v56
	v_lshl_add_u32 v84, v57, 4, v2
	v_lshlrev_b32_e32 v82, 4, v80
	v_lshlrev_b32_e32 v83, 4, v81
	ds_write_b32 v84, v9 offset:8192
	ds_write2st64_b32 v84, v0, v1 offset1:4
	ds_write2st64_b32 v84, v6, v7 offset0:8 offset1:12
	s_waitcnt lgkmcnt(0)
	s_barrier
	ds_read_b128 v[12:15], v82 offset:8192
	ds_read_b128 v[20:23], v82 offset:8320
	;; [unrolled: 1-line block ×8, first 2 shown]
	ds_read_b128 v[52:55], v83
	ds_read_b128 v[48:51], v83 offset:512
	ds_read_b128 v[44:47], v83 offset:1024
	;; [unrolled: 1-line block ×5, first 2 shown]
	s_waitcnt lgkmcnt(5)
	v_pk_add_f32 v[64:65], v[12:13], v[52:53]
	s_mov_b32 s6, 0x7f7fffff
	v_min3_f32 v63, v64, v65, s6
	v_pk_add_f32 v[64:65], v[20:21], v[52:53]
	s_load_dword s26, s[0:1], 0x8
	v_min3_f32 v66, v64, v65, s6
	v_pk_add_f32 v[64:65], v[24:25], v[52:53]
	s_waitcnt lgkmcnt(0)
	s_cmp_lt_i32 s26, 9
	v_min3_f32 v67, v64, v65, s6
	v_pk_add_f32 v[64:65], v[28:29], v[52:53]
	s_nop 0
	v_min3_f32 v68, v64, v65, s6
	v_pk_add_f32 v[64:65], v[16:17], v[52:53]
	s_nop 0
	v_min3_f32 v69, v64, v65, s6
	v_pk_add_f32 v[64:65], v[8:9], v[52:53]
	s_nop 0
	v_min3_f32 v70, v64, v65, s6
	v_pk_add_f32 v[64:65], v[4:5], v[52:53]
	v_pk_add_f32 v[52:53], v[0:1], v[52:53]
	v_min3_f32 v64, v64, v65, s6
	v_min3_f32 v65, v52, v53, s6
	v_pk_add_f32 v[52:53], v[12:13], v[48:49]
	s_nop 0
	v_min3_f32 v71, v52, v53, s6
	v_pk_add_f32 v[52:53], v[20:21], v[48:49]
	s_nop 0
	v_min3_f32 v72, v52, v53, s6
	v_pk_add_f32 v[52:53], v[24:25], v[48:49]
	s_nop 0
	v_min3_f32 v73, v52, v53, s6
	v_pk_add_f32 v[52:53], v[28:29], v[48:49]
	s_nop 0
	v_min3_f32 v74, v52, v53, s6
	v_pk_add_f32 v[52:53], v[16:17], v[48:49]
	s_nop 0
	v_min3_f32 v75, v52, v53, s6
	v_pk_add_f32 v[52:53], v[8:9], v[48:49]
	s_nop 0
	v_min3_f32 v76, v52, v53, s6
	v_pk_add_f32 v[52:53], v[4:5], v[48:49]
	v_pk_add_f32 v[48:49], v[0:1], v[48:49]
	v_min3_f32 v77, v52, v53, s6
	v_min3_f32 v78, v48, v49, s6
	v_pk_add_f32 v[48:49], v[12:13], v[44:45]
	s_nop 0
	v_min3_f32 v79, v48, v49, s6
	v_pk_add_f32 v[48:49], v[20:21], v[44:45]
	s_nop 0
	v_min3_f32 v89, v48, v49, s6
	v_pk_add_f32 v[48:49], v[24:25], v[44:45]
	s_nop 0
	;; [unrolled: 22-line block ×5, first 2 shown]
	v_min3_f32 v110, v36, v37, s6
	v_pk_add_f32 v[36:37], v[28:29], v[32:33]
	s_nop 0
	v_min3_f32 v111, v36, v37, s6
	v_pk_add_f32 v[36:37], v[16:17], v[32:33]
	s_nop 0
	;; [unrolled: 3-line block ×10, first 2 shown]
	v_min3_f32 v86, v36, v37, v64
	v_pk_add_f32 v[36:37], v[4:5], v[32:33]
	v_pk_add_f32 v[32:33], v[0:1], v[32:33]
	v_min3_f32 v63, v36, v37, s6
	v_min3_f32 v64, v32, v33, s6
	v_pk_add_f32 v[32:33], v[2:3], v[54:55]
	ds_read_b128 v[52:55], v83 offset:3072
	v_min3_f32 v148, v32, v33, v65
	v_pk_add_f32 v[32:33], v[14:15], v[50:51]
	s_nop 0
	v_min3_f32 v149, v32, v33, v71
	v_pk_add_f32 v[32:33], v[22:23], v[50:51]
	s_nop 0
	;; [unrolled: 3-line block ×7, first 2 shown]
	v_min3_f32 v141, v32, v33, v77
	v_pk_add_f32 v[32:33], v[2:3], v[50:51]
	ds_read_b128 v[48:51], v83 offset:3584
	v_min3_f32 v145, v32, v33, v78
	v_pk_add_f32 v[32:33], v[14:15], v[46:47]
	s_waitcnt lgkmcnt(1)
	v_pk_add_f32 v[36:37], v[12:13], v[52:53]
	v_min3_f32 v144, v32, v33, v79
	v_pk_add_f32 v[32:33], v[22:23], v[46:47]
	v_min3_f32 v65, v36, v37, s6
	v_min3_f32 v140, v32, v33, v89
	v_pk_add_f32 v[32:33], v[26:27], v[46:47]
	v_pk_add_f32 v[36:37], v[20:21], v[52:53]
	v_min3_f32 v139, v32, v33, v90
	v_pk_add_f32 v[32:33], v[30:31], v[46:47]
	v_min3_f32 v66, v36, v37, s6
	v_min3_f32 v136, v32, v33, v91
	v_pk_add_f32 v[32:33], v[18:19], v[46:47]
	v_pk_add_f32 v[36:37], v[16:17], v[52:53]
	v_min3_f32 v135, v32, v33, v92
	v_pk_add_f32 v[32:33], v[10:11], v[46:47]
	s_waitcnt lgkmcnt(0)
	v_pk_add_f32 v[12:13], v[12:13], v[48:49]
	v_min3_f32 v134, v32, v33, v93
	v_pk_add_f32 v[32:33], v[6:7], v[46:47]
	v_pk_add_f32 v[16:17], v[16:17], v[48:49]
	v_min3_f32 v133, v32, v33, v94
	v_pk_add_f32 v[32:33], v[24:25], v[52:53]
	v_min3_f32 v16, v16, v17, s6
	v_min3_f32 v67, v32, v33, s6
	v_pk_add_f32 v[32:33], v[28:29], v[52:53]
	ds_write_b32 v84, v62 offset:9216
	ds_write2st64_b32 v84, v58, v59 offset0:16 offset1:20
	ds_write2st64_b32 v84, v60, v61 offset0:24 offset1:28
	v_min3_f32 v68, v32, v33, s6
	v_pk_add_f32 v[32:33], v[2:3], v[46:47]
	v_min3_f32 v46, v36, v37, s6
	v_min3_f32 v132, v32, v33, v95
	v_pk_add_f32 v[32:33], v[14:15], v[42:43]
	v_pk_add_f32 v[36:37], v[8:9], v[52:53]
	v_min3_f32 v131, v32, v33, v96
	v_pk_add_f32 v[32:33], v[22:23], v[42:43]
	v_min3_f32 v36, v36, v37, s6
	v_min3_f32 v130, v32, v33, v97
	v_pk_add_f32 v[32:33], v[26:27], v[42:43]
	v_pk_add_f32 v[8:9], v[8:9], v[48:49]
	;; [unrolled: 6-line block ×3, first 2 shown]
	v_min3_f32 v127, v32, v33, v100
	v_pk_add_f32 v[32:33], v[10:11], v[42:43]
	s_waitcnt lgkmcnt(0)
	v_min3_f32 v126, v32, v33, v101
	v_pk_add_f32 v[32:33], v[6:7], v[42:43]
	s_barrier
	v_min3_f32 v125, v32, v33, v44
	v_pk_add_f32 v[32:33], v[4:5], v[52:53]
	v_pk_add_f32 v[4:5], v[4:5], v[48:49]
	v_min3_f32 v37, v32, v33, s6
	v_pk_add_f32 v[32:33], v[0:1], v[52:53]
	v_pk_add_f32 v[0:1], v[0:1], v[48:49]
	v_min3_f32 v44, v32, v33, s6
	v_pk_add_f32 v[32:33], v[2:3], v[42:43]
	v_min3_f32 v4, v4, v5, s6
	v_min3_f32 v124, v32, v33, v45
	v_pk_add_f32 v[32:33], v[14:15], v[38:39]
	v_min3_f32 v5, v0, v1, s6
	v_min3_f32 v123, v32, v33, v102
	v_pk_add_f32 v[32:33], v[22:23], v[38:39]
	v_pk_add_f32 v[0:1], v[2:3], v[54:55]
	v_min3_f32 v122, v32, v33, v103
	v_pk_add_f32 v[32:33], v[26:27], v[38:39]
	v_min3_f32 v99, v0, v1, v44
	v_min3_f32 v121, v32, v33, v104
	v_pk_add_f32 v[32:33], v[30:31], v[38:39]
	v_pk_add_f32 v[0:1], v[14:15], v[50:51]
	v_min3_f32 v120, v32, v33, v105
	v_pk_add_f32 v[32:33], v[18:19], v[38:39]
	s_nop 0
	v_min3_f32 v119, v32, v33, v106
	v_pk_add_f32 v[32:33], v[10:11], v[38:39]
	s_nop 0
	;; [unrolled: 3-line block ×3, first 2 shown]
	v_min3_f32 v117, v32, v33, v40
	v_pk_add_f32 v[32:33], v[2:3], v[38:39]
	v_min3_f32 v38, v12, v13, s6
	v_pk_add_f32 v[12:13], v[20:21], v[48:49]
	v_min3_f32 v100, v0, v1, v38
	v_min3_f32 v20, v12, v13, s6
	v_pk_add_f32 v[12:13], v[14:15], v[34:35]
	v_pk_add_f32 v[0:1], v[22:23], v[50:51]
	v_min3_f32 v116, v12, v13, v108
	v_pk_add_f32 v[12:13], v[22:23], v[34:35]
	v_min3_f32 v108, v8, v9, v65
	v_min3_f32 v113, v12, v13, v109
	v_pk_add_f32 v[12:13], v[26:27], v[34:35]
	;; [unrolled: 6-line block ×5, first 2 shown]
	v_min3_f32 v98, v0, v1, v21
	v_min3_f32 v24, v12, v13, s6
	v_pk_add_f32 v[0:1], v[30:31], v[50:51]
	v_pk_add_f32 v[8:9], v[30:31], v[54:55]
	v_min3_f32 v94, v0, v1, v24
	v_pk_add_f32 v[0:1], v[18:19], v[50:51]
	v_min3_f32 v103, v8, v9, v68
	;; [unrolled: 2-line block ×5, first 2 shown]
	v_pk_add_f32 v[0:1], v[6:7], v[50:51]
	v_pk_add_f32 v[12:13], v[2:3], v[34:35]
	v_min3_f32 v101, v8, v9, v36
	v_pk_add_f32 v[8:9], v[6:7], v[54:55]
	v_min3_f32 v93, v0, v1, v4
	;; [unrolled: 2-line block ×3, first 2 shown]
	v_min3_f32 v107, v12, v13, v64
	v_min3_f32 v102, v8, v9, v37
	;; [unrolled: 1-line block ×3, first 2 shown]
	s_cbranch_scc1 .LBB15_44
; %bb.27:
	v_mov_b32_e32 v0, 0x2400
	v_lshl_add_u32 v153, v80, 4, v0
	v_mov_b32_e32 v0, 0x1000
	v_add_u32_e32 v2, 12, v56
	v_lshl_add_u32 v154, v81, 4, v0
	v_mad_i64_i32 v[0:1], s[6:7], v2, s22, 0
	v_lshlrev_b64 v[64:65], 2, v[0:1]
	v_lshl_or_b32 v0, s2, 6, v57
	s_lshl_b32 s2, s3, 6
	v_subrev_u32_e32 v0, s2, v0
	v_ashrrev_i32_e32 v1, 31, v0
	v_lshl_add_u64 v[66:67], v[0:1], 2, s[20:21]
	v_mad_i64_i32 v[0:1], s[6:7], v2, s14, 0
	v_lshlrev_b64 v[68:69], 2, v[0:1]
	v_add_u32_e32 v0, s25, v57
	v_ashrrev_i32_e32 v1, 31, v0
	v_add_u32_e32 v2, 8, v56
	v_lshl_add_u64 v[70:71], v[0:1], 2, s[18:19]
	s_lshl_b64 s[6:7], s[14:15], 5
	v_mad_i64_i32 v[0:1], s[14:15], v2, s14, 0
	v_lshlrev_b64 v[72:73], 2, v[0:1]
	v_mad_i64_i32 v[0:1], s[14:15], v2, s22, 0
	v_or_b32_e32 v89, 0x2000, v84
	v_add_u32_e32 v90, 0x2000, v82
	v_add_u32_e32 v91, 0x2400, v84
	v_or_b32_e32 v137, 0x1000, v84
	s_add_i32 s26, s26, -8
	s_mov_b32 s17, s16
	s_lshl_b64 s[2:3], s[22:23], 5
	v_lshlrev_b64 v[74:75], 2, v[0:1]
	s_mov_b32 s14, 0
	s_branch .LBB15_30
.LBB15_28:                              ;   in Loop: Header=BB15_30 Depth=1
	flat_load_dword v0, v[78:79] offset:512
	flat_load_dword v1, v[78:79] offset:768
	s_waitcnt vmcnt(0) lgkmcnt(0)
	v_pk_mul_f32 v[36:37], s[16:17], v[0:1]
.LBB15_29:                              ;   in Loop: Header=BB15_30 Depth=1
	ds_read_b128 v[0:3], v90
	ds_read_b128 v[4:7], v90 offset:128
	ds_read_b128 v[8:11], v90 offset:256
	;; [unrolled: 1-line block ×7, first 2 shown]
	ds_read_b128 v[126:129], v83
	ds_read_b128 v[130:133], v83 offset:512
	ds_read_b128 v[156:159], v83 offset:1024
	;; [unrolled: 1-line block ×7, first 2 shown]
	s_waitcnt lgkmcnt(7)
	v_pk_add_f32 v[78:79], v[0:1], v[126:127]
	s_add_i32 s14, s14, 8
	v_min3_f32 v134, v78, v79, v40
	v_pk_add_f32 v[78:79], v[4:5], v[126:127]
	v_lshl_add_u64 v[66:67], v[66:67], 0, s[2:3]
	v_min3_f32 v78, v78, v79, v41
	v_pk_add_f32 v[40:41], v[8:9], v[126:127]
	s_cmp_ge_i32 s14, s26
	v_min3_f32 v44, v40, v41, v44
	v_pk_add_f32 v[40:41], v[12:13], v[126:127]
	v_lshl_add_u64 v[70:71], v[70:71], 0, s[6:7]
	v_min3_f32 v45, v40, v41, v45
	v_pk_add_f32 v[40:41], v[16:17], v[126:127]
	ds_write_b32 v91, v155
	ds_write2st64_b32 v137, v76, v77 offset1:4
	ds_write2st64_b32 v137, v36, v37 offset0:8 offset1:12
	v_min3_f32 v48, v40, v41, v48
	v_pk_add_f32 v[40:41], v[20:21], v[126:127]
	s_waitcnt lgkmcnt(0)
	v_min3_f32 v49, v40, v41, v49
	v_pk_add_f32 v[40:41], v[24:25], v[126:127]
	s_barrier
	v_min3_f32 v52, v40, v41, v52
	v_pk_add_f32 v[40:41], v[28:29], v[126:127]
	s_nop 0
	v_min3_f32 v53, v40, v41, v53
	v_pk_add_f32 v[40:41], v[0:1], v[130:131]
	s_nop 0
	;; [unrolled: 3-line block ×41, first 2 shown]
	v_min3_f32 v42, v40, v41, v42
	v_pk_add_f32 v[40:41], v[0:1], v[172:173]
	v_pk_add_f32 v[0:1], v[0:1], v[32:33]
	v_min3_f32 v43, v40, v41, v43
	v_min3_f32 v39, v0, v1, v39
	v_pk_add_f32 v[0:1], v[4:5], v[32:33]
	v_pk_add_f32 v[40:41], v[4:5], v[172:173]
	v_min3_f32 v4, v0, v1, v119
	v_pk_add_f32 v[0:1], v[8:9], v[32:33]
	v_min3_f32 v160, v40, v41, v113
	v_min3_f32 v5, v0, v1, v120
	v_pk_add_f32 v[0:1], v[12:13], v[32:33]
	v_pk_add_f32 v[40:41], v[8:9], v[172:173]
	v_min3_f32 v8, v0, v1, v121
	v_pk_add_f32 v[0:1], v[16:17], v[32:33]
	v_min3_f32 v161, v40, v41, v114
	v_min3_f32 v9, v0, v1, v122
	v_pk_add_f32 v[0:1], v[20:21], v[32:33]
	v_pk_add_f32 v[40:41], v[12:13], v[172:173]
	v_min3_f32 v12, v0, v1, v123
	v_pk_add_f32 v[0:1], v[24:25], v[32:33]
	v_min3_f32 v164, v40, v41, v115
	v_min3_f32 v13, v0, v1, v124
	v_pk_add_f32 v[0:1], v[28:29], v[32:33]
	v_pk_add_f32 v[40:41], v[16:17], v[172:173]
	v_min3_f32 v16, v0, v1, v125
	v_pk_add_f32 v[0:1], v[2:3], v[128:129]
	v_min3_f32 v165, v40, v41, v116
	v_min3_f32 v88, v0, v1, v134
	v_pk_add_f32 v[0:1], v[6:7], v[128:129]
	v_pk_add_f32 v[40:41], v[20:21], v[172:173]
	v_min3_f32 v151, v0, v1, v78
	v_pk_add_f32 v[0:1], v[10:11], v[128:129]
	v_min3_f32 v168, v40, v41, v117
	v_min3_f32 v152, v0, v1, v44
	v_pk_add_f32 v[0:1], v[14:15], v[128:129]
	v_pk_add_f32 v[40:41], v[24:25], v[172:173]
	v_min3_f32 v87, v0, v1, v45
	v_pk_add_f32 v[0:1], v[18:19], v[128:129]
	v_min3_f32 v169, v40, v41, v118
	v_min3_f32 v150, v0, v1, v48
	v_pk_add_f32 v[0:1], v[22:23], v[128:129]
	v_pk_add_f32 v[40:41], v[28:29], v[172:173]
	v_min3_f32 v85, v0, v1, v49
	v_pk_add_f32 v[0:1], v[26:27], v[128:129]
	v_min3_f32 v38, v40, v41, v38
	v_min3_f32 v86, v0, v1, v52
	v_pk_add_f32 v[0:1], v[30:31], v[128:129]
	s_nop 0
	v_min3_f32 v148, v0, v1, v53
	v_pk_add_f32 v[0:1], v[2:3], v[132:133]
	s_nop 0
	;; [unrolled: 3-line block ×57, first 2 shown]
	v_min3_f32 v96, v0, v1, v16
	s_cbranch_scc1 .LBB15_44
.LBB15_30:                              ; =>This Inner Loop Header: Depth=1
	s_and_b64 vcc, exec, s[4:5]
	s_cbranch_vccnz .LBB15_34
; %bb.31:                               ;   in Loop: Header=BB15_30 Depth=1
	v_lshl_add_u64 v[0:1], v[66:67], 0, v[74:75]
	flat_load_dword v0, v[0:1]
	s_waitcnt vmcnt(0) lgkmcnt(0)
	v_mul_f32_e32 v155, s16, v0
	s_and_b64 vcc, exec, s[4:5]
	v_lshl_add_u64 v[0:1], v[70:71], 0, v[72:73]
	s_cbranch_vccnz .LBB15_35
.LBB15_32:                              ;   in Loop: Header=BB15_30 Depth=1
	flat_load_dword v2, v[0:1]
	flat_load_dword v3, v[0:1] offset:256
	s_waitcnt vmcnt(0) lgkmcnt(0)
	v_pk_mul_f32 v[76:77], s[16:17], v[2:3]
	s_and_b64 vcc, exec, s[4:5]
	s_cbranch_vccnz .LBB15_36
.LBB15_33:                              ;   in Loop: Header=BB15_30 Depth=1
	flat_load_dword v2, v[0:1] offset:512
	flat_load_dword v3, v[0:1] offset:768
	s_waitcnt vmcnt(0) lgkmcnt(0)
	v_pk_mul_f32 v[78:79], s[16:17], v[2:3]
	s_branch .LBB15_37
.LBB15_34:                              ;   in Loop: Header=BB15_30 Depth=1
	v_mov_b32_e32 v155, 0
	s_and_b64 vcc, exec, s[4:5]
	v_lshl_add_u64 v[0:1], v[70:71], 0, v[72:73]
	s_cbranch_vccz .LBB15_32
.LBB15_35:                              ;   in Loop: Header=BB15_30 Depth=1
	v_mov_b32_e32 v76, 0
	v_mov_b32_e32 v77, 0
	s_and_b64 vcc, exec, s[4:5]
	s_cbranch_vccz .LBB15_33
.LBB15_36:                              ;   in Loop: Header=BB15_30 Depth=1
	v_mov_b32_e32 v78, 0
	v_mov_b32_e32 v79, 0
.LBB15_37:                              ;   in Loop: Header=BB15_30 Depth=1
	ds_read_b128 v[28:31], v153
	ds_read_b128 v[24:27], v153 offset:128
	ds_read_b128 v[20:23], v153 offset:256
	;; [unrolled: 1-line block ×7, first 2 shown]
	ds_read_b128 v[60:63], v154
	ds_read_b128 v[56:59], v154 offset:512
	ds_read_b128 v[52:55], v154 offset:1024
	;; [unrolled: 1-line block ×7, first 2 shown]
	s_and_b64 vcc, exec, s[4:5]
	ds_write_b32 v89, v155
	ds_write2st64_b32 v84, v76, v77 offset1:4
	ds_write2st64_b32 v84, v78, v79 offset0:8 offset1:12
	s_waitcnt lgkmcnt(0)
	s_barrier
	s_cbranch_vccnz .LBB15_40
; %bb.38:                               ;   in Loop: Header=BB15_30 Depth=1
	v_lshl_add_u64 v[76:77], v[66:67], 0, v[64:65]
	flat_load_dword v76, v[76:77]
	s_waitcnt vmcnt(0) lgkmcnt(0)
	v_mul_f32_e32 v155, s16, v76
	s_and_b64 vcc, exec, s[4:5]
	v_lshl_add_u64 v[78:79], v[70:71], 0, v[68:69]
	s_cbranch_vccnz .LBB15_41
.LBB15_39:                              ;   in Loop: Header=BB15_30 Depth=1
	flat_load_dword v76, v[78:79]
	flat_load_dword v77, v[78:79] offset:256
	s_waitcnt vmcnt(0) lgkmcnt(0)
	v_pk_mul_f32 v[76:77], s[16:17], v[76:77]
	s_branch .LBB15_42
.LBB15_40:                              ;   in Loop: Header=BB15_30 Depth=1
	v_mov_b32_e32 v155, 0
	s_and_b64 vcc, exec, s[4:5]
	v_lshl_add_u64 v[78:79], v[70:71], 0, v[68:69]
	s_cbranch_vccz .LBB15_39
.LBB15_41:                              ;   in Loop: Header=BB15_30 Depth=1
	v_mov_b32_e32 v76, 0
	v_mov_b32_e32 v77, 0
.LBB15_42:                              ;   in Loop: Header=BB15_30 Depth=1
	v_pk_add_f32 v[156:157], v[28:29], v[60:61]
	s_and_b64 vcc, exec, s[4:5]
	v_min3_f32 v88, v156, v157, v88
	v_pk_add_f32 v[156:157], v[24:25], v[60:61]
	s_nop 0
	v_min3_f32 v158, v156, v157, v151
	v_pk_add_f32 v[156:157], v[20:21], v[60:61]
	s_nop 0
	v_min3_f32 v152, v156, v157, v152
	v_pk_add_f32 v[156:157], v[16:17], v[60:61]
	s_nop 0
	v_min3_f32 v87, v156, v157, v87
	v_pk_add_f32 v[156:157], v[12:13], v[60:61]
	s_nop 0
	v_min3_f32 v156, v156, v157, v150
	v_pk_add_f32 v[150:151], v[8:9], v[60:61]
	s_nop 0
	v_min3_f32 v85, v150, v151, v85
	v_pk_add_f32 v[150:151], v[4:5], v[60:61]
	v_pk_add_f32 v[60:61], v[0:1], v[60:61]
	v_min3_f32 v86, v150, v151, v86
	v_min3_f32 v148, v60, v61, v148
	v_pk_add_f32 v[60:61], v[28:29], v[56:57]
	s_nop 0
	v_min3_f32 v149, v60, v61, v149
	v_pk_add_f32 v[60:61], v[24:25], v[56:57]
	s_nop 0
	v_min3_f32 v146, v60, v61, v146
	v_pk_add_f32 v[60:61], v[20:21], v[56:57]
	s_nop 0
	v_min3_f32 v147, v60, v61, v147
	v_pk_add_f32 v[60:61], v[16:17], v[56:57]
	s_nop 0
	v_min3_f32 v142, v60, v61, v142
	v_pk_add_f32 v[60:61], v[12:13], v[56:57]
	s_nop 0
	v_min3_f32 v143, v60, v61, v143
	v_pk_add_f32 v[60:61], v[8:9], v[56:57]
	s_nop 0
	v_min3_f32 v138, v60, v61, v138
	v_pk_add_f32 v[60:61], v[4:5], v[56:57]
	v_pk_add_f32 v[56:57], v[0:1], v[56:57]
	v_min3_f32 v141, v60, v61, v141
	v_min3_f32 v145, v56, v57, v145
	v_pk_add_f32 v[56:57], v[28:29], v[52:53]
	s_nop 0
	;; [unrolled: 22-line block ×5, first 2 shown]
	v_min3_f32 v116, v44, v45, v116
	v_pk_add_f32 v[44:45], v[24:25], v[40:41]
	s_nop 0
	v_min3_f32 v113, v44, v45, v113
	v_pk_add_f32 v[44:45], v[20:21], v[40:41]
	s_nop 0
	;; [unrolled: 3-line block ×5, first 2 shown]
	v_min3_f32 v150, v44, v45, v109
	v_pk_add_f32 v[44:45], v[4:5], v[40:41]
	v_pk_add_f32 v[40:41], v[0:1], v[40:41]
	v_min3_f32 v151, v44, v45, v110
	v_min3_f32 v157, v40, v41, v107
	v_pk_add_f32 v[40:41], v[28:29], v[36:37]
	v_pk_add_f32 v[28:29], v[28:29], v[32:33]
	v_min3_f32 v159, v40, v41, v108
	v_pk_add_f32 v[40:41], v[24:25], v[36:37]
	v_pk_add_f32 v[24:25], v[24:25], v[32:33]
	v_min3_f32 v160, v40, v41, v105
	v_pk_add_f32 v[40:41], v[20:21], v[36:37]
	v_min3_f32 v24, v24, v25, v97
	v_min3_f32 v161, v40, v41, v106
	v_pk_add_f32 v[40:41], v[16:17], v[36:37]
	v_pk_add_f32 v[16:17], v[16:17], v[32:33]
	v_min3_f32 v162, v40, v41, v103
	v_pk_add_f32 v[40:41], v[12:13], v[36:37]
	v_min3_f32 v16, v16, v17, v94
	v_min3_f32 v163, v40, v41, v104
	v_pk_add_f32 v[40:41], v[8:9], v[36:37]
	v_pk_add_f32 v[8:9], v[8:9], v[32:33]
	v_min3_f32 v164, v40, v41, v101
	v_pk_add_f32 v[40:41], v[4:5], v[36:37]
	v_pk_add_f32 v[36:37], v[0:1], v[36:37]
	;; [unrolled: 1-line block ×4, first 2 shown]
	v_min3_f32 v4, v4, v5, v93
	v_min3_f32 v5, v0, v1, v96
	v_pk_add_f32 v[0:1], v[30:31], v[62:63]
	v_min3_f32 v165, v40, v41, v102
	v_min3_f32 v40, v0, v1, v88
	v_pk_add_f32 v[0:1], v[26:27], v[62:63]
	;; [unrolled: 3-line block ×3, first 2 shown]
	v_pk_add_f32 v[12:13], v[12:13], v[32:33]
	v_min3_f32 v44, v0, v1, v152
	v_pk_add_f32 v[0:1], v[18:19], v[62:63]
	v_min3_f32 v12, v12, v13, v95
	v_min3_f32 v45, v0, v1, v87
	v_pk_add_f32 v[0:1], v[14:15], v[62:63]
	v_pk_add_f32 v[20:21], v[20:21], v[32:33]
	v_min3_f32 v48, v0, v1, v156
	v_pk_add_f32 v[0:1], v[10:11], v[62:63]
	v_min3_f32 v20, v20, v21, v98
	v_min3_f32 v49, v0, v1, v85
	v_pk_add_f32 v[0:1], v[6:7], v[62:63]
	v_min3_f32 v36, v36, v37, v99
	;; [unrolled: 3-line block ×3, first 2 shown]
	v_min3_f32 v53, v0, v1, v148
	v_pk_add_f32 v[0:1], v[30:31], v[58:59]
	s_nop 0
	v_min3_f32 v56, v0, v1, v149
	v_pk_add_f32 v[0:1], v[26:27], v[58:59]
	s_nop 0
	v_min3_f32 v57, v0, v1, v146
	v_pk_add_f32 v[0:1], v[22:23], v[58:59]
	s_nop 0
	v_min3_f32 v60, v0, v1, v147
	v_pk_add_f32 v[0:1], v[18:19], v[58:59]
	s_nop 0
	v_min3_f32 v61, v0, v1, v142
	v_pk_add_f32 v[0:1], v[14:15], v[58:59]
	s_nop 0
	v_min3_f32 v62, v0, v1, v143
	v_pk_add_f32 v[0:1], v[10:11], v[58:59]
	s_nop 0
	v_min3_f32 v63, v0, v1, v138
	v_pk_add_f32 v[0:1], v[6:7], v[58:59]
	s_nop 0
	v_min3_f32 v85, v0, v1, v141
	v_pk_add_f32 v[0:1], v[2:3], v[58:59]
	s_nop 0
	v_min3_f32 v58, v0, v1, v145
	v_pk_add_f32 v[0:1], v[30:31], v[54:55]
	s_nop 0
	v_min3_f32 v59, v0, v1, v144
	v_pk_add_f32 v[0:1], v[26:27], v[54:55]
	s_nop 0
	v_min3_f32 v86, v0, v1, v140
	v_pk_add_f32 v[0:1], v[22:23], v[54:55]
	s_nop 0
	v_min3_f32 v87, v0, v1, v139
	v_pk_add_f32 v[0:1], v[18:19], v[54:55]
	s_nop 0
	v_min3_f32 v88, v0, v1, v136
	v_pk_add_f32 v[0:1], v[14:15], v[54:55]
	s_nop 0
	v_min3_f32 v92, v0, v1, v135
	v_pk_add_f32 v[0:1], v[10:11], v[54:55]
	s_nop 0
	v_min3_f32 v93, v0, v1, v134
	v_pk_add_f32 v[0:1], v[6:7], v[54:55]
	s_nop 0
	v_min3_f32 v94, v0, v1, v133
	v_pk_add_f32 v[0:1], v[2:3], v[54:55]
	s_nop 0
	v_min3_f32 v54, v0, v1, v132
	v_pk_add_f32 v[0:1], v[30:31], v[50:51]
	s_nop 0
	v_min3_f32 v55, v0, v1, v131
	v_pk_add_f32 v[0:1], v[26:27], v[50:51]
	s_nop 0
	v_min3_f32 v95, v0, v1, v130
	v_pk_add_f32 v[0:1], v[22:23], v[50:51]
	s_nop 0
	v_min3_f32 v96, v0, v1, v129
	v_pk_add_f32 v[0:1], v[18:19], v[50:51]
	s_nop 0
	v_min3_f32 v97, v0, v1, v128
	v_pk_add_f32 v[0:1], v[14:15], v[50:51]
	s_nop 0
	v_min3_f32 v98, v0, v1, v127
	v_pk_add_f32 v[0:1], v[10:11], v[50:51]
	s_nop 0
	v_min3_f32 v99, v0, v1, v126
	v_pk_add_f32 v[0:1], v[6:7], v[50:51]
	s_nop 0
	v_min3_f32 v100, v0, v1, v125
	v_pk_add_f32 v[0:1], v[2:3], v[50:51]
	s_nop 0
	v_min3_f32 v50, v0, v1, v124
	v_pk_add_f32 v[0:1], v[30:31], v[46:47]
	s_nop 0
	v_min3_f32 v51, v0, v1, v123
	v_pk_add_f32 v[0:1], v[26:27], v[46:47]
	s_nop 0
	v_min3_f32 v101, v0, v1, v122
	v_pk_add_f32 v[0:1], v[22:23], v[46:47]
	s_nop 0
	v_min3_f32 v102, v0, v1, v121
	v_pk_add_f32 v[0:1], v[18:19], v[46:47]
	s_nop 0
	v_min3_f32 v103, v0, v1, v120
	v_pk_add_f32 v[0:1], v[14:15], v[46:47]
	s_nop 0
	v_min3_f32 v104, v0, v1, v119
	v_pk_add_f32 v[0:1], v[10:11], v[46:47]
	s_nop 0
	v_min3_f32 v105, v0, v1, v118
	v_pk_add_f32 v[0:1], v[6:7], v[46:47]
	s_nop 0
	v_min3_f32 v106, v0, v1, v117
	v_pk_add_f32 v[0:1], v[2:3], v[46:47]
	s_nop 0
	v_min3_f32 v46, v0, v1, v115
	v_pk_add_f32 v[0:1], v[30:31], v[42:43]
	s_nop 0
	v_min3_f32 v47, v0, v1, v116
	v_pk_add_f32 v[0:1], v[26:27], v[42:43]
	s_nop 0
	v_min3_f32 v107, v0, v1, v113
	v_pk_add_f32 v[0:1], v[22:23], v[42:43]
	s_nop 0
	v_min3_f32 v108, v0, v1, v114
	v_pk_add_f32 v[0:1], v[18:19], v[42:43]
	s_nop 0
	v_min3_f32 v109, v0, v1, v111
	v_pk_add_f32 v[0:1], v[14:15], v[42:43]
	s_nop 0
	v_min3_f32 v110, v0, v1, v112
	v_pk_add_f32 v[0:1], v[10:11], v[42:43]
	s_nop 0
	v_min3_f32 v111, v0, v1, v150
	v_pk_add_f32 v[0:1], v[6:7], v[42:43]
	s_nop 0
	v_min3_f32 v112, v0, v1, v151
	v_pk_add_f32 v[0:1], v[2:3], v[42:43]
	s_nop 0
	v_min3_f32 v42, v0, v1, v157
	v_pk_add_f32 v[0:1], v[30:31], v[38:39]
	s_nop 0
	v_min3_f32 v43, v0, v1, v159
	v_pk_add_f32 v[0:1], v[26:27], v[38:39]
	s_nop 0
	v_min3_f32 v113, v0, v1, v160
	v_pk_add_f32 v[0:1], v[22:23], v[38:39]
	s_nop 0
	v_min3_f32 v114, v0, v1, v161
	v_pk_add_f32 v[0:1], v[18:19], v[38:39]
	s_nop 0
	v_min3_f32 v115, v0, v1, v162
	v_pk_add_f32 v[0:1], v[14:15], v[38:39]
	s_nop 0
	v_min3_f32 v116, v0, v1, v163
	v_pk_add_f32 v[0:1], v[10:11], v[38:39]
	s_nop 0
	v_min3_f32 v117, v0, v1, v164
	v_pk_add_f32 v[0:1], v[6:7], v[38:39]
	s_nop 0
	v_min3_f32 v118, v0, v1, v165
	v_pk_add_f32 v[0:1], v[2:3], v[38:39]
	s_nop 0
	v_min3_f32 v38, v0, v1, v36
	v_pk_add_f32 v[0:1], v[30:31], v[34:35]
	s_nop 0
	v_min3_f32 v39, v0, v1, v28
	v_pk_add_f32 v[0:1], v[26:27], v[34:35]
	s_nop 0
	v_min3_f32 v119, v0, v1, v24
	v_pk_add_f32 v[0:1], v[22:23], v[34:35]
	s_nop 0
	v_min3_f32 v120, v0, v1, v20
	v_pk_add_f32 v[0:1], v[18:19], v[34:35]
	s_nop 0
	v_min3_f32 v121, v0, v1, v16
	v_pk_add_f32 v[0:1], v[14:15], v[34:35]
	s_nop 0
	v_min3_f32 v122, v0, v1, v12
	v_pk_add_f32 v[0:1], v[10:11], v[34:35]
	s_nop 0
	v_min3_f32 v123, v0, v1, v8
	v_pk_add_f32 v[0:1], v[6:7], v[34:35]
	s_nop 0
	v_min3_f32 v124, v0, v1, v4
	v_pk_add_f32 v[0:1], v[2:3], v[34:35]
	s_nop 0
	v_min3_f32 v125, v0, v1, v5
	s_cbranch_vccz .LBB15_28
; %bb.43:                               ;   in Loop: Header=BB15_30 Depth=1
	v_mov_b32_e32 v36, 0
	v_mov_b32_e32 v37, 0
	s_branch .LBB15_29
.LBB15_44:
	s_load_dwordx2 s[2:3], s[0:1], 0x78
	ds_read_b128 v[32:35], v82 offset:9216
	ds_read_b128 v[60:63], v83 offset:4096
	s_load_dword s4, s[0:1], 0x58
	s_load_dword s5, s[0:1], 0x70
	v_add_u32_e32 v68, s24, v80
	v_add_u32_e32 v137, s25, v81
	s_waitcnt lgkmcnt(0)
	s_lshl_b64 s[0:1], s[2:3], 2
	v_pk_add_f32 v[0:1], v[32:33], v[60:61]
	s_add_u32 s0, s12, s0
	v_min3_f32 v2, v0, v1, v88
	v_pk_add_f32 v[0:1], v[34:35], v[62:63]
	s_addc_u32 s1, s13, s1
	v_min3_f32 v2, v0, v1, v2
	v_add_u32_e32 v64, 8, v68
	v_mad_i64_i32 v[0:1], s[2:3], v137, s5, 0
	v_ashrrev_i32_e32 v69, 31, v68
	v_ashrrev_i32_e32 v65, 31, v64
	v_lshl_add_u64 v[88:89], v[0:1], 2, s[0:1]
	v_mad_i64_i32 v[0:1], s[2:3], v137, s4, 0
	v_max_f32_e32 v2, v2, v2
	s_mov_b64 vcc, s[8:9]
	s_cbranch_vccz .LBB15_46
; %bb.45:
	v_min_f32_e32 v3, 0, v2
	v_lshl_add_u64 v[4:5], v[68:69], 2, v[88:89]
	s_mov_b32 s6, 0
	global_store_dword v[4:5], v3, off
	s_mov_b64 s[2:3], 0
	s_branch .LBB15_47
.LBB15_46:
	s_mov_b64 s[2:3], -1
                                        ; implicit-def: $sgpr6
.LBB15_47:
	ds_read_b128 v[28:31], v82 offset:9344
	ds_read_b128 v[24:27], v82 offset:9472
	v_lshl_add_u64 v[90:91], v[0:1], 2, s[10:11]
	s_andn2_b64 vcc, exec, s[2:3]
	v_lshlrev_b64 v[72:73], 2, v[68:69]
	s_cbranch_vccnz .LBB15_49
; %bb.48:
	v_lshl_add_u64 v[0:1], v[90:91], 0, v[72:73]
	flat_load_dword v3, v[0:1]
	v_lshl_add_u64 v[0:1], v[88:89], 0, v[72:73]
	s_waitcnt vmcnt(0) lgkmcnt(0)
	v_mul_f32_e32 v3, s28, v3
	v_min_f32_e32 v2, v3, v2
	global_store_dword v[0:1], v2, off
	v_lshl_add_u64 v[0:1], v[64:65], 2, v[90:91]
	flat_load_dword v0, v[0:1]
	s_waitcnt vmcnt(0) lgkmcnt(0)
	v_mul_f32_e32 v70, s28, v0
	s_branch .LBB15_50
.LBB15_49:
	v_mov_b32_e32 v70, s6
.LBB15_50:
	ds_read_b128 v[16:19], v82 offset:9728
	ds_read_b128 v[12:15], v82 offset:9856
	;; [unrolled: 1-line block ×12, first 2 shown]
	s_waitcnt lgkmcnt(13)
	v_pk_add_f32 v[66:67], v[28:29], v[60:61]
	s_mov_b64 vcc, s[8:9]
	v_min3_f32 v71, v66, v67, v151
	s_waitcnt lgkmcnt(12)
	v_pk_add_f32 v[66:67], v[24:25], v[60:61]
	s_nop 0
	v_min3_f32 v74, v66, v67, v152
	v_pk_add_f32 v[66:67], v[30:31], v[62:63]
	s_nop 0
	v_min_f32_e32 v76, v66, v67
	v_pk_add_f32 v[66:67], v[26:27], v[62:63]
	v_min3_f32 v76, v70, v76, v71
	v_min3_f32 v77, v66, v67, v74
	v_add_u32_e32 v74, 16, v68
	v_add_u32_e32 v66, 24, v68
	v_lshl_add_u64 v[70:71], v[64:65], 2, v[88:89]
	v_ashrrev_i32_e32 v75, 31, v74
	v_ashrrev_i32_e32 v67, 31, v66
	global_store_dword v[70:71], v76, off
	v_max_f32_e32 v70, v77, v77
	s_cbranch_vccz .LBB15_53
; %bb.51:
	v_min_f32_e32 v71, 0, v70
	v_lshl_add_u64 v[76:77], v[74:75], 2, v[88:89]
	s_mov_b32 s6, 0
	global_store_dword v[76:77], v71, off
	v_lshlrev_b64 v[78:79], 2, v[74:75]
	s_cbranch_execz .LBB15_54
; %bb.52:
	v_mov_b32_e32 v76, s6
	s_branch .LBB15_55
.LBB15_53:
                                        ; implicit-def: $sgpr6
	v_lshlrev_b64 v[78:79], 2, v[74:75]
.LBB15_54:
	v_lshl_add_u64 v[76:77], v[90:91], 0, v[78:79]
	flat_load_dword v71, v[76:77]
	v_lshl_add_u64 v[76:77], v[88:89], 0, v[78:79]
	s_waitcnt vmcnt(0) lgkmcnt(0)
	v_mul_f32_e32 v71, s28, v71
	v_min_f32_e32 v70, v71, v70
	global_store_dword v[76:77], v70, off
	v_lshl_add_u64 v[70:71], v[66:67], 2, v[90:91]
	flat_load_dword v70, v[70:71]
	s_waitcnt vmcnt(0) lgkmcnt(0)
	v_mul_f32_e32 v76, s28, v70
.LBB15_55:
	s_waitcnt lgkmcnt(1)
	v_pk_add_f32 v[70:71], v[20:21], v[60:61]
	s_mov_b64 vcc, s[8:9]
	v_min3_f32 v77, v70, v71, v87
	v_pk_add_f32 v[70:71], v[16:17], v[60:61]
	s_nop 0
	v_min3_f32 v80, v70, v71, v150
	v_pk_add_f32 v[70:71], v[22:23], v[62:63]
	s_nop 0
	v_min_f32_e32 v82, v70, v71
	v_pk_add_f32 v[70:71], v[18:19], v[62:63]
	v_min3_f32 v82, v76, v82, v77
	v_min3_f32 v83, v70, v71, v80
	v_add_u32_e32 v80, 32, v68
	v_add_u32_e32 v70, 40, v68
	v_lshl_add_u64 v[76:77], v[66:67], 2, v[88:89]
	v_ashrrev_i32_e32 v81, 31, v80
	v_ashrrev_i32_e32 v71, 31, v70
	global_store_dword v[76:77], v82, off
	v_max_f32_e32 v76, v83, v83
	s_cbranch_vccz .LBB15_58
; %bb.56:
	v_min_f32_e32 v77, 0, v76
	v_lshl_add_u64 v[82:83], v[80:81], 2, v[88:89]
	s_mov_b32 s6, 0
	global_store_dword v[82:83], v77, off
	v_lshlrev_b64 v[82:83], 2, v[80:81]
	s_cbranch_execz .LBB15_59
; %bb.57:
	v_mov_b32_e32 v87, s6
	s_branch .LBB15_60
.LBB15_58:
                                        ; implicit-def: $sgpr6
	v_lshlrev_b64 v[82:83], 2, v[80:81]
.LBB15_59:
	v_lshl_add_u64 v[150:151], v[90:91], 0, v[82:83]
	flat_load_dword v77, v[150:151]
	v_lshl_add_u64 v[150:151], v[88:89], 0, v[82:83]
	s_waitcnt vmcnt(0) lgkmcnt(0)
	v_mul_f32_e32 v77, s28, v77
	v_min_f32_e32 v76, v77, v76
	global_store_dword v[150:151], v76, off
	v_lshl_add_u64 v[76:77], v[70:71], 2, v[90:91]
	flat_load_dword v76, v[76:77]
	s_waitcnt vmcnt(0) lgkmcnt(0)
	v_mul_f32_e32 v87, s28, v76
.LBB15_60:
	v_pk_add_f32 v[76:77], v[12:13], v[60:61]
	s_mov_b64 vcc, s[8:9]
	v_min3_f32 v150, v76, v77, v85
	v_pk_add_f32 v[76:77], v[8:9], v[60:61]
	s_nop 0
	v_min3_f32 v84, v76, v77, v86
	v_pk_add_f32 v[76:77], v[14:15], v[62:63]
	s_nop 0
	v_min_f32_e32 v86, v76, v77
	v_pk_add_f32 v[76:77], v[10:11], v[62:63]
	v_min3_f32 v150, v87, v86, v150
	v_min3_f32 v151, v76, v77, v84
	v_add_u32_e32 v84, 48, v68
	v_add_u32_e32 v76, 56, v68
	v_lshl_add_u64 v[86:87], v[70:71], 2, v[88:89]
	v_ashrrev_i32_e32 v85, 31, v84
	v_ashrrev_i32_e32 v77, 31, v76
	global_store_dword v[86:87], v150, off
	v_max_f32_e32 v150, v151, v151
	s_cbranch_vccz .LBB15_63
; %bb.61:
	v_min_f32_e32 v151, 0, v150
	v_lshl_add_u64 v[86:87], v[84:85], 2, v[88:89]
	s_mov_b32 s6, 0
	global_store_dword v[86:87], v151, off
	v_lshlrev_b64 v[86:87], 2, v[84:85]
	s_cbranch_execz .LBB15_64
; %bb.62:
	v_mov_b32_e32 v90, s6
	s_branch .LBB15_65
.LBB15_63:
                                        ; implicit-def: $sgpr6
	v_lshlrev_b64 v[86:87], 2, v[84:85]
.LBB15_64:
	v_lshl_add_u64 v[152:153], v[90:91], 0, v[86:87]
	flat_load_dword v151, v[152:153]
	v_lshl_add_u64 v[152:153], v[88:89], 0, v[86:87]
	v_lshl_add_u64 v[90:91], v[76:77], 2, v[90:91]
	s_waitcnt vmcnt(0) lgkmcnt(0)
	v_mul_f32_e32 v151, s28, v151
	v_min_f32_e32 v150, v151, v150
	global_store_dword v[152:153], v150, off
	flat_load_dword v90, v[90:91]
	s_waitcnt vmcnt(0) lgkmcnt(0)
	v_mul_f32_e32 v90, s28, v90
.LBB15_65:
	v_pk_add_f32 v[60:61], v[0:1], v[60:61]
	s_mov_b64 vcc, s[8:9]
	v_min3_f32 v91, v60, v61, v148
	v_pk_add_f32 v[60:61], v[32:33], v[56:57]
	s_nop 0
	v_min3_f32 v148, v60, v61, v149
	v_pk_add_f32 v[60:61], v[2:3], v[62:63]
	s_nop 0
	v_min_f32_e32 v62, v60, v61
	v_pk_add_f32 v[60:61], v[34:35], v[58:59]
	v_min3_f32 v62, v90, v62, v91
	v_min3_f32 v148, v60, v61, v148
	v_lshl_add_u64 v[60:61], v[76:77], 2, v[88:89]
	global_store_dword v[60:61], v62, off
	v_add_u32_e32 v62, 32, v137
	v_mad_i64_i32 v[60:61], s[2:3], v62, s5, 0
	v_lshl_add_u64 v[60:61], v[60:61], 2, s[0:1]
	v_mad_i64_i32 v[62:63], s[2:3], v62, s4, 0
	v_max_f32_e32 v88, v148, v148
	s_cbranch_vccz .LBB15_68
; %bb.66:
	v_min_f32_e32 v89, 0, v88
	v_lshl_add_u64 v[90:91], v[68:69], 2, v[60:61]
	s_mov_b32 s6, 0
	global_store_dword v[90:91], v89, off
	v_lshl_add_u64 v[62:63], v[62:63], 2, s[10:11]
	s_cbranch_execz .LBB15_69
; %bb.67:
	v_mov_b32_e32 v88, s6
	s_branch .LBB15_70
.LBB15_68:
                                        ; implicit-def: $sgpr6
	v_lshl_add_u64 v[62:63], v[62:63], 2, s[10:11]
.LBB15_69:
	v_lshl_add_u64 v[90:91], v[62:63], 0, v[72:73]
	flat_load_dword v89, v[90:91]
	v_lshl_add_u64 v[90:91], v[60:61], 0, v[72:73]
	s_waitcnt vmcnt(0) lgkmcnt(0)
	v_mul_f32_e32 v89, s28, v89
	v_min_f32_e32 v88, v89, v88
	global_store_dword v[90:91], v88, off
	v_lshl_add_u64 v[88:89], v[64:65], 2, v[62:63]
	flat_load_dword v88, v[88:89]
	s_waitcnt vmcnt(0) lgkmcnt(0)
	v_mul_f32_e32 v88, s28, v88
.LBB15_70:
	v_pk_add_f32 v[90:91], v[28:29], v[56:57]
	s_mov_b64 vcc, s[8:9]
	v_min3_f32 v89, v90, v91, v146
	v_pk_add_f32 v[90:91], v[24:25], v[56:57]
	s_nop 0
	v_min3_f32 v146, v90, v91, v147
	v_pk_add_f32 v[90:91], v[30:31], v[58:59]
	s_nop 0
	v_min_f32_e32 v147, v90, v91
	v_pk_add_f32 v[90:91], v[26:27], v[58:59]
	s_nop 0
	v_min3_f32 v90, v90, v91, v146
	v_min3_f32 v91, v88, v147, v89
	v_lshl_add_u64 v[88:89], v[64:65], 2, v[60:61]
	global_store_dword v[88:89], v91, off
	v_max_f32_e32 v88, v90, v90
	s_cbranch_vccz .LBB15_73
; %bb.71:
	v_min_f32_e32 v89, 0, v88
	v_lshl_add_u64 v[90:91], v[74:75], 2, v[60:61]
	s_mov_b32 s6, 0
	global_store_dword v[90:91], v89, off
	s_cbranch_execz .LBB15_74
; %bb.72:
	v_mov_b32_e32 v88, s6
	s_branch .LBB15_75
.LBB15_73:
                                        ; implicit-def: $sgpr6
.LBB15_74:
	v_lshl_add_u64 v[90:91], v[62:63], 0, v[78:79]
	flat_load_dword v89, v[90:91]
	v_lshl_add_u64 v[90:91], v[60:61], 0, v[78:79]
	s_waitcnt vmcnt(0) lgkmcnt(0)
	v_mul_f32_e32 v89, s28, v89
	v_min_f32_e32 v88, v89, v88
	global_store_dword v[90:91], v88, off
	v_lshl_add_u64 v[88:89], v[66:67], 2, v[62:63]
	flat_load_dword v88, v[88:89]
	s_waitcnt vmcnt(0) lgkmcnt(0)
	v_mul_f32_e32 v88, s28, v88
.LBB15_75:
	v_pk_add_f32 v[90:91], v[20:21], v[56:57]
	s_mov_b64 vcc, s[8:9]
	v_min3_f32 v89, v90, v91, v142
	v_pk_add_f32 v[90:91], v[16:17], v[56:57]
	s_nop 0
	v_min3_f32 v142, v90, v91, v143
	v_pk_add_f32 v[90:91], v[22:23], v[58:59]
	s_nop 0
	v_min_f32_e32 v143, v90, v91
	v_pk_add_f32 v[90:91], v[18:19], v[58:59]
	s_nop 0
	v_min3_f32 v90, v90, v91, v142
	v_min3_f32 v91, v88, v143, v89
	v_lshl_add_u64 v[88:89], v[66:67], 2, v[60:61]
	global_store_dword v[88:89], v91, off
	v_max_f32_e32 v88, v90, v90
	s_cbranch_vccz .LBB15_78
; %bb.76:
	v_min_f32_e32 v89, 0, v88
	v_lshl_add_u64 v[90:91], v[80:81], 2, v[60:61]
	s_mov_b32 s6, 0
	global_store_dword v[90:91], v89, off
	s_cbranch_execz .LBB15_79
; %bb.77:
	v_mov_b32_e32 v88, s6
	s_branch .LBB15_80
.LBB15_78:
                                        ; implicit-def: $sgpr6
.LBB15_79:
	v_lshl_add_u64 v[90:91], v[62:63], 0, v[82:83]
	flat_load_dword v89, v[90:91]
	v_lshl_add_u64 v[90:91], v[60:61], 0, v[82:83]
	s_waitcnt vmcnt(0) lgkmcnt(0)
	v_mul_f32_e32 v89, s28, v89
	v_min_f32_e32 v88, v89, v88
	global_store_dword v[90:91], v88, off
	v_lshl_add_u64 v[88:89], v[70:71], 2, v[62:63]
	flat_load_dword v88, v[88:89]
	s_waitcnt vmcnt(0) lgkmcnt(0)
	v_mul_f32_e32 v88, s28, v88
.LBB15_80:
	v_pk_add_f32 v[90:91], v[12:13], v[56:57]
	s_mov_b64 vcc, s[8:9]
	v_min3_f32 v89, v90, v91, v138
	v_pk_add_f32 v[90:91], v[8:9], v[56:57]
	s_nop 0
	v_min3_f32 v138, v90, v91, v141
	v_pk_add_f32 v[90:91], v[14:15], v[58:59]
	s_nop 0
	v_min_f32_e32 v141, v90, v91
	v_pk_add_f32 v[90:91], v[10:11], v[58:59]
	s_nop 0
	v_min3_f32 v90, v90, v91, v138
	v_min3_f32 v91, v88, v141, v89
	v_lshl_add_u64 v[88:89], v[70:71], 2, v[60:61]
	global_store_dword v[88:89], v91, off
	v_max_f32_e32 v88, v90, v90
	s_cbranch_vccz .LBB15_83
; %bb.81:
	v_min_f32_e32 v89, 0, v88
	v_lshl_add_u64 v[90:91], v[84:85], 2, v[60:61]
	s_mov_b32 s6, 0
	global_store_dword v[90:91], v89, off
	s_cbranch_execz .LBB15_84
; %bb.82:
	v_mov_b32_e32 v62, s6
	s_branch .LBB15_85
.LBB15_83:
                                        ; implicit-def: $sgpr6
.LBB15_84:
	v_lshl_add_u64 v[90:91], v[62:63], 0, v[86:87]
	flat_load_dword v89, v[90:91]
	v_lshl_add_u64 v[90:91], v[60:61], 0, v[86:87]
	v_lshl_add_u64 v[62:63], v[76:77], 2, v[62:63]
	s_waitcnt vmcnt(0) lgkmcnt(0)
	v_mul_f32_e32 v89, s28, v89
	v_min_f32_e32 v88, v89, v88
	global_store_dword v[90:91], v88, off
	flat_load_dword v62, v[62:63]
	s_waitcnt vmcnt(0) lgkmcnt(0)
	v_mul_f32_e32 v62, s28, v62
.LBB15_85:
	v_pk_add_f32 v[56:57], v[0:1], v[56:57]
	s_mov_b64 vcc, s[8:9]
	v_min3_f32 v63, v56, v57, v145
	v_pk_add_f32 v[56:57], v[32:33], v[52:53]
	s_nop 0
	v_min3_f32 v88, v56, v57, v144
	v_pk_add_f32 v[56:57], v[2:3], v[58:59]
	s_nop 0
	v_min_f32_e32 v58, v56, v57
	v_pk_add_f32 v[56:57], v[34:35], v[54:55]
	v_min3_f32 v58, v62, v58, v63
	v_min3_f32 v88, v56, v57, v88
	v_lshl_add_u64 v[56:57], v[76:77], 2, v[60:61]
	global_store_dword v[56:57], v58, off
	v_add_u32_e32 v58, 64, v137
	v_mad_i64_i32 v[56:57], s[2:3], v58, s5, 0
	v_lshl_add_u64 v[56:57], v[56:57], 2, s[0:1]
	v_mad_i64_i32 v[58:59], s[2:3], v58, s4, 0
	v_max_f32_e32 v60, v88, v88
	s_cbranch_vccz .LBB15_88
; %bb.86:
	v_min_f32_e32 v61, 0, v60
	v_lshl_add_u64 v[62:63], v[68:69], 2, v[56:57]
	s_mov_b32 s6, 0
	global_store_dword v[62:63], v61, off
	v_lshl_add_u64 v[58:59], v[58:59], 2, s[10:11]
	s_cbranch_execz .LBB15_89
; %bb.87:
	v_mov_b32_e32 v60, s6
	s_branch .LBB15_90
.LBB15_88:
                                        ; implicit-def: $sgpr6
	v_lshl_add_u64 v[58:59], v[58:59], 2, s[10:11]
.LBB15_89:
	v_lshl_add_u64 v[62:63], v[58:59], 0, v[72:73]
	flat_load_dword v61, v[62:63]
	v_lshl_add_u64 v[62:63], v[56:57], 0, v[72:73]
	s_waitcnt vmcnt(0) lgkmcnt(0)
	v_mul_f32_e32 v61, s28, v61
	v_min_f32_e32 v60, v61, v60
	global_store_dword v[62:63], v60, off
	v_lshl_add_u64 v[60:61], v[64:65], 2, v[58:59]
	flat_load_dword v60, v[60:61]
	s_waitcnt vmcnt(0) lgkmcnt(0)
	v_mul_f32_e32 v60, s28, v60
.LBB15_90:
	v_pk_add_f32 v[62:63], v[28:29], v[52:53]
	s_mov_b64 vcc, s[8:9]
	v_min3_f32 v61, v62, v63, v140
	v_pk_add_f32 v[62:63], v[24:25], v[52:53]
	s_nop 0
	v_min3_f32 v88, v62, v63, v139
	v_pk_add_f32 v[62:63], v[30:31], v[54:55]
	s_nop 0
	v_min_f32_e32 v89, v62, v63
	v_pk_add_f32 v[62:63], v[26:27], v[54:55]
	s_nop 0
	v_min3_f32 v62, v62, v63, v88
	v_min3_f32 v63, v60, v89, v61
	v_lshl_add_u64 v[60:61], v[64:65], 2, v[56:57]
	global_store_dword v[60:61], v63, off
	v_max_f32_e32 v60, v62, v62
	s_cbranch_vccz .LBB15_93
; %bb.91:
	v_min_f32_e32 v61, 0, v60
	v_lshl_add_u64 v[62:63], v[74:75], 2, v[56:57]
	s_mov_b32 s6, 0
	global_store_dword v[62:63], v61, off
	s_cbranch_execz .LBB15_94
; %bb.92:
	v_mov_b32_e32 v60, s6
	s_branch .LBB15_95
.LBB15_93:
                                        ; implicit-def: $sgpr6
.LBB15_94:
	v_lshl_add_u64 v[62:63], v[58:59], 0, v[78:79]
	flat_load_dword v61, v[62:63]
	v_lshl_add_u64 v[62:63], v[56:57], 0, v[78:79]
	s_waitcnt vmcnt(0) lgkmcnt(0)
	v_mul_f32_e32 v61, s28, v61
	v_min_f32_e32 v60, v61, v60
	global_store_dword v[62:63], v60, off
	v_lshl_add_u64 v[60:61], v[66:67], 2, v[58:59]
	flat_load_dword v60, v[60:61]
	s_waitcnt vmcnt(0) lgkmcnt(0)
	v_mul_f32_e32 v60, s28, v60
.LBB15_95:
	v_pk_add_f32 v[62:63], v[20:21], v[52:53]
	s_mov_b64 vcc, s[8:9]
	v_min3_f32 v61, v62, v63, v136
	v_pk_add_f32 v[62:63], v[16:17], v[52:53]
	s_nop 0
	v_min3_f32 v88, v62, v63, v135
	v_pk_add_f32 v[62:63], v[22:23], v[54:55]
	s_nop 0
	v_min_f32_e32 v89, v62, v63
	v_pk_add_f32 v[62:63], v[18:19], v[54:55]
	s_nop 0
	v_min3_f32 v62, v62, v63, v88
	v_min3_f32 v63, v60, v89, v61
	v_lshl_add_u64 v[60:61], v[66:67], 2, v[56:57]
	global_store_dword v[60:61], v63, off
	v_max_f32_e32 v60, v62, v62
	s_cbranch_vccz .LBB15_98
; %bb.96:
	v_min_f32_e32 v61, 0, v60
	v_lshl_add_u64 v[62:63], v[80:81], 2, v[56:57]
	s_mov_b32 s6, 0
	global_store_dword v[62:63], v61, off
	s_cbranch_execz .LBB15_99
; %bb.97:
	v_mov_b32_e32 v60, s6
	s_branch .LBB15_100
.LBB15_98:
                                        ; implicit-def: $sgpr6
.LBB15_99:
	v_lshl_add_u64 v[62:63], v[58:59], 0, v[82:83]
	flat_load_dword v61, v[62:63]
	v_lshl_add_u64 v[62:63], v[56:57], 0, v[82:83]
	s_waitcnt vmcnt(0) lgkmcnt(0)
	v_mul_f32_e32 v61, s28, v61
	v_min_f32_e32 v60, v61, v60
	global_store_dword v[62:63], v60, off
	v_lshl_add_u64 v[60:61], v[70:71], 2, v[58:59]
	flat_load_dword v60, v[60:61]
	s_waitcnt vmcnt(0) lgkmcnt(0)
	v_mul_f32_e32 v60, s28, v60
.LBB15_100:
	v_pk_add_f32 v[62:63], v[12:13], v[52:53]
	s_mov_b64 vcc, s[8:9]
	v_min3_f32 v61, v62, v63, v134
	v_pk_add_f32 v[62:63], v[8:9], v[52:53]
	s_nop 0
	v_min3_f32 v88, v62, v63, v133
	v_pk_add_f32 v[62:63], v[14:15], v[54:55]
	s_nop 0
	v_min_f32_e32 v89, v62, v63
	v_pk_add_f32 v[62:63], v[10:11], v[54:55]
	s_nop 0
	v_min3_f32 v62, v62, v63, v88
	v_min3_f32 v63, v60, v89, v61
	v_lshl_add_u64 v[60:61], v[70:71], 2, v[56:57]
	global_store_dword v[60:61], v63, off
	v_max_f32_e32 v60, v62, v62
	s_cbranch_vccz .LBB15_103
; %bb.101:
	v_min_f32_e32 v61, 0, v60
	v_lshl_add_u64 v[62:63], v[84:85], 2, v[56:57]
	s_mov_b32 s6, 0
	global_store_dword v[62:63], v61, off
	s_cbranch_execz .LBB15_104
; %bb.102:
	v_mov_b32_e32 v58, s6
	s_branch .LBB15_105
.LBB15_103:
                                        ; implicit-def: $sgpr6
.LBB15_104:
	v_lshl_add_u64 v[62:63], v[58:59], 0, v[86:87]
	flat_load_dword v61, v[62:63]
	v_lshl_add_u64 v[62:63], v[56:57], 0, v[86:87]
	v_lshl_add_u64 v[58:59], v[76:77], 2, v[58:59]
	s_waitcnt vmcnt(0) lgkmcnt(0)
	v_mul_f32_e32 v61, s28, v61
	v_min_f32_e32 v60, v61, v60
	global_store_dword v[62:63], v60, off
	flat_load_dword v58, v[58:59]
	s_waitcnt vmcnt(0) lgkmcnt(0)
	v_mul_f32_e32 v58, s28, v58
.LBB15_105:
	v_pk_add_f32 v[52:53], v[0:1], v[52:53]
	s_mov_b64 vcc, s[8:9]
	v_min3_f32 v59, v52, v53, v132
	v_pk_add_f32 v[52:53], v[32:33], v[48:49]
	s_nop 0
	v_min3_f32 v60, v52, v53, v131
	v_pk_add_f32 v[52:53], v[2:3], v[54:55]
	s_nop 0
	v_min_f32_e32 v54, v52, v53
	v_pk_add_f32 v[52:53], v[34:35], v[50:51]
	v_min3_f32 v54, v58, v54, v59
	v_min3_f32 v60, v52, v53, v60
	v_lshl_add_u64 v[52:53], v[76:77], 2, v[56:57]
	global_store_dword v[52:53], v54, off
	v_add_u32_e32 v54, 0x60, v137
	v_mad_i64_i32 v[52:53], s[2:3], v54, s5, 0
	v_lshl_add_u64 v[52:53], v[52:53], 2, s[0:1]
	v_mad_i64_i32 v[54:55], s[2:3], v54, s4, 0
	v_max_f32_e32 v56, v60, v60
	s_cbranch_vccz .LBB15_108
; %bb.106:
	v_min_f32_e32 v57, 0, v56
	v_lshl_add_u64 v[58:59], v[68:69], 2, v[52:53]
	s_mov_b32 s6, 0
	global_store_dword v[58:59], v57, off
	v_lshl_add_u64 v[54:55], v[54:55], 2, s[10:11]
	s_cbranch_execz .LBB15_109
; %bb.107:
	v_mov_b32_e32 v56, s6
	s_branch .LBB15_110
.LBB15_108:
                                        ; implicit-def: $sgpr6
	v_lshl_add_u64 v[54:55], v[54:55], 2, s[10:11]
.LBB15_109:
	v_lshl_add_u64 v[58:59], v[54:55], 0, v[72:73]
	flat_load_dword v57, v[58:59]
	v_lshl_add_u64 v[58:59], v[52:53], 0, v[72:73]
	s_waitcnt vmcnt(0) lgkmcnt(0)
	v_mul_f32_e32 v57, s28, v57
	v_min_f32_e32 v56, v57, v56
	global_store_dword v[58:59], v56, off
	v_lshl_add_u64 v[56:57], v[64:65], 2, v[54:55]
	flat_load_dword v56, v[56:57]
	s_waitcnt vmcnt(0) lgkmcnt(0)
	v_mul_f32_e32 v56, s28, v56
.LBB15_110:
	v_pk_add_f32 v[58:59], v[28:29], v[48:49]
	s_mov_b64 vcc, s[8:9]
	v_min3_f32 v57, v58, v59, v130
	v_pk_add_f32 v[58:59], v[24:25], v[48:49]
	s_nop 0
	v_min3_f32 v60, v58, v59, v129
	v_pk_add_f32 v[58:59], v[30:31], v[50:51]
	s_nop 0
	v_min_f32_e32 v61, v58, v59
	v_pk_add_f32 v[58:59], v[26:27], v[50:51]
	s_nop 0
	v_min3_f32 v58, v58, v59, v60
	v_min3_f32 v59, v56, v61, v57
	v_lshl_add_u64 v[56:57], v[64:65], 2, v[52:53]
	global_store_dword v[56:57], v59, off
	v_max_f32_e32 v56, v58, v58
	s_cbranch_vccz .LBB15_113
; %bb.111:
	v_min_f32_e32 v57, 0, v56
	v_lshl_add_u64 v[58:59], v[74:75], 2, v[52:53]
	s_mov_b32 s6, 0
	global_store_dword v[58:59], v57, off
	s_cbranch_execz .LBB15_114
; %bb.112:
	v_mov_b32_e32 v56, s6
	s_branch .LBB15_115
.LBB15_113:
                                        ; implicit-def: $sgpr6
.LBB15_114:
	v_lshl_add_u64 v[58:59], v[54:55], 0, v[78:79]
	flat_load_dword v57, v[58:59]
	v_lshl_add_u64 v[58:59], v[52:53], 0, v[78:79]
	s_waitcnt vmcnt(0) lgkmcnt(0)
	v_mul_f32_e32 v57, s28, v57
	v_min_f32_e32 v56, v57, v56
	global_store_dword v[58:59], v56, off
	v_lshl_add_u64 v[56:57], v[66:67], 2, v[54:55]
	flat_load_dword v56, v[56:57]
	s_waitcnt vmcnt(0) lgkmcnt(0)
	v_mul_f32_e32 v56, s28, v56
.LBB15_115:
	v_pk_add_f32 v[58:59], v[20:21], v[48:49]
	s_mov_b64 vcc, s[8:9]
	v_min3_f32 v57, v58, v59, v128
	v_pk_add_f32 v[58:59], v[16:17], v[48:49]
	s_nop 0
	v_min3_f32 v60, v58, v59, v127
	v_pk_add_f32 v[58:59], v[22:23], v[50:51]
	s_nop 0
	v_min_f32_e32 v61, v58, v59
	v_pk_add_f32 v[58:59], v[18:19], v[50:51]
	s_nop 0
	v_min3_f32 v58, v58, v59, v60
	v_min3_f32 v59, v56, v61, v57
	v_lshl_add_u64 v[56:57], v[66:67], 2, v[52:53]
	global_store_dword v[56:57], v59, off
	v_max_f32_e32 v56, v58, v58
	s_cbranch_vccz .LBB15_118
; %bb.116:
	v_min_f32_e32 v57, 0, v56
	v_lshl_add_u64 v[58:59], v[80:81], 2, v[52:53]
	s_mov_b32 s6, 0
	global_store_dword v[58:59], v57, off
	s_cbranch_execz .LBB15_119
; %bb.117:
	v_mov_b32_e32 v56, s6
	s_branch .LBB15_120
.LBB15_118:
                                        ; implicit-def: $sgpr6
.LBB15_119:
	v_lshl_add_u64 v[58:59], v[54:55], 0, v[82:83]
	flat_load_dword v57, v[58:59]
	v_lshl_add_u64 v[58:59], v[52:53], 0, v[82:83]
	s_waitcnt vmcnt(0) lgkmcnt(0)
	v_mul_f32_e32 v57, s28, v57
	v_min_f32_e32 v56, v57, v56
	global_store_dword v[58:59], v56, off
	v_lshl_add_u64 v[56:57], v[70:71], 2, v[54:55]
	flat_load_dword v56, v[56:57]
	s_waitcnt vmcnt(0) lgkmcnt(0)
	v_mul_f32_e32 v56, s28, v56
.LBB15_120:
	v_pk_add_f32 v[58:59], v[12:13], v[48:49]
	s_mov_b64 vcc, s[8:9]
	v_min3_f32 v57, v58, v59, v126
	v_pk_add_f32 v[58:59], v[8:9], v[48:49]
	s_nop 0
	v_min3_f32 v60, v58, v59, v125
	v_pk_add_f32 v[58:59], v[14:15], v[50:51]
	s_nop 0
	v_min_f32_e32 v61, v58, v59
	v_pk_add_f32 v[58:59], v[10:11], v[50:51]
	s_nop 0
	v_min3_f32 v58, v58, v59, v60
	v_min3_f32 v59, v56, v61, v57
	v_lshl_add_u64 v[56:57], v[70:71], 2, v[52:53]
	global_store_dword v[56:57], v59, off
	v_max_f32_e32 v56, v58, v58
	s_cbranch_vccz .LBB15_123
; %bb.121:
	v_min_f32_e32 v57, 0, v56
	v_lshl_add_u64 v[58:59], v[84:85], 2, v[52:53]
	s_mov_b32 s6, 0
	global_store_dword v[58:59], v57, off
	s_cbranch_execz .LBB15_124
; %bb.122:
	v_mov_b32_e32 v54, s6
	s_branch .LBB15_125
.LBB15_123:
                                        ; implicit-def: $sgpr6
.LBB15_124:
	v_lshl_add_u64 v[58:59], v[54:55], 0, v[86:87]
	flat_load_dword v57, v[58:59]
	v_lshl_add_u64 v[58:59], v[52:53], 0, v[86:87]
	v_lshl_add_u64 v[54:55], v[76:77], 2, v[54:55]
	s_waitcnt vmcnt(0) lgkmcnt(0)
	v_mul_f32_e32 v57, s28, v57
	v_min_f32_e32 v56, v57, v56
	global_store_dword v[58:59], v56, off
	flat_load_dword v54, v[54:55]
	s_waitcnt vmcnt(0) lgkmcnt(0)
	v_mul_f32_e32 v54, s28, v54
.LBB15_125:
	v_pk_add_f32 v[48:49], v[0:1], v[48:49]
	s_mov_b64 vcc, s[8:9]
	v_min3_f32 v55, v48, v49, v124
	v_pk_add_f32 v[48:49], v[32:33], v[44:45]
	s_nop 0
	v_min3_f32 v56, v48, v49, v123
	v_pk_add_f32 v[48:49], v[2:3], v[50:51]
	s_nop 0
	v_min_f32_e32 v50, v48, v49
	v_pk_add_f32 v[48:49], v[34:35], v[46:47]
	v_min3_f32 v50, v54, v50, v55
	v_min3_f32 v56, v48, v49, v56
	v_lshl_add_u64 v[48:49], v[76:77], 2, v[52:53]
	global_store_dword v[48:49], v50, off
	v_add_u32_e32 v50, 0x80, v137
	v_mad_i64_i32 v[48:49], s[2:3], v50, s5, 0
	v_lshl_add_u64 v[48:49], v[48:49], 2, s[0:1]
	v_mad_i64_i32 v[50:51], s[2:3], v50, s4, 0
	v_max_f32_e32 v52, v56, v56
	s_cbranch_vccz .LBB15_128
; %bb.126:
	v_min_f32_e32 v53, 0, v52
	v_lshl_add_u64 v[54:55], v[68:69], 2, v[48:49]
	s_mov_b32 s6, 0
	global_store_dword v[54:55], v53, off
	v_lshl_add_u64 v[50:51], v[50:51], 2, s[10:11]
	s_cbranch_execz .LBB15_129
; %bb.127:
	v_mov_b32_e32 v52, s6
	s_branch .LBB15_130
.LBB15_128:
                                        ; implicit-def: $sgpr6
	v_lshl_add_u64 v[50:51], v[50:51], 2, s[10:11]
.LBB15_129:
	v_lshl_add_u64 v[54:55], v[50:51], 0, v[72:73]
	flat_load_dword v53, v[54:55]
	v_lshl_add_u64 v[54:55], v[48:49], 0, v[72:73]
	s_waitcnt vmcnt(0) lgkmcnt(0)
	v_mul_f32_e32 v53, s28, v53
	v_min_f32_e32 v52, v53, v52
	global_store_dword v[54:55], v52, off
	v_lshl_add_u64 v[52:53], v[64:65], 2, v[50:51]
	flat_load_dword v52, v[52:53]
	s_waitcnt vmcnt(0) lgkmcnt(0)
	v_mul_f32_e32 v52, s28, v52
.LBB15_130:
	v_pk_add_f32 v[54:55], v[28:29], v[44:45]
	s_mov_b64 vcc, s[8:9]
	v_min3_f32 v53, v54, v55, v122
	v_pk_add_f32 v[54:55], v[24:25], v[44:45]
	s_nop 0
	v_min3_f32 v56, v54, v55, v121
	v_pk_add_f32 v[54:55], v[30:31], v[46:47]
	s_nop 0
	v_min_f32_e32 v57, v54, v55
	v_pk_add_f32 v[54:55], v[26:27], v[46:47]
	s_nop 0
	v_min3_f32 v54, v54, v55, v56
	v_min3_f32 v55, v52, v57, v53
	v_lshl_add_u64 v[52:53], v[64:65], 2, v[48:49]
	global_store_dword v[52:53], v55, off
	v_max_f32_e32 v52, v54, v54
	s_cbranch_vccz .LBB15_133
; %bb.131:
	v_min_f32_e32 v53, 0, v52
	v_lshl_add_u64 v[54:55], v[74:75], 2, v[48:49]
	s_mov_b32 s6, 0
	global_store_dword v[54:55], v53, off
	s_cbranch_execz .LBB15_134
; %bb.132:
	v_mov_b32_e32 v52, s6
	s_branch .LBB15_135
.LBB15_133:
                                        ; implicit-def: $sgpr6
.LBB15_134:
	v_lshl_add_u64 v[54:55], v[50:51], 0, v[78:79]
	flat_load_dword v53, v[54:55]
	v_lshl_add_u64 v[54:55], v[48:49], 0, v[78:79]
	s_waitcnt vmcnt(0) lgkmcnt(0)
	v_mul_f32_e32 v53, s28, v53
	v_min_f32_e32 v52, v53, v52
	global_store_dword v[54:55], v52, off
	v_lshl_add_u64 v[52:53], v[66:67], 2, v[50:51]
	flat_load_dword v52, v[52:53]
	s_waitcnt vmcnt(0) lgkmcnt(0)
	v_mul_f32_e32 v52, s28, v52
.LBB15_135:
	v_pk_add_f32 v[54:55], v[20:21], v[44:45]
	s_mov_b64 vcc, s[8:9]
	v_min3_f32 v53, v54, v55, v120
	v_pk_add_f32 v[54:55], v[16:17], v[44:45]
	s_nop 0
	v_min3_f32 v56, v54, v55, v119
	v_pk_add_f32 v[54:55], v[22:23], v[46:47]
	s_nop 0
	v_min_f32_e32 v57, v54, v55
	v_pk_add_f32 v[54:55], v[18:19], v[46:47]
	s_nop 0
	v_min3_f32 v54, v54, v55, v56
	v_min3_f32 v55, v52, v57, v53
	v_lshl_add_u64 v[52:53], v[66:67], 2, v[48:49]
	global_store_dword v[52:53], v55, off
	v_max_f32_e32 v52, v54, v54
	s_cbranch_vccz .LBB15_138
; %bb.136:
	v_min_f32_e32 v53, 0, v52
	v_lshl_add_u64 v[54:55], v[80:81], 2, v[48:49]
	s_mov_b32 s6, 0
	global_store_dword v[54:55], v53, off
	s_cbranch_execz .LBB15_139
; %bb.137:
	v_mov_b32_e32 v52, s6
	s_branch .LBB15_140
.LBB15_138:
                                        ; implicit-def: $sgpr6
.LBB15_139:
	v_lshl_add_u64 v[54:55], v[50:51], 0, v[82:83]
	flat_load_dword v53, v[54:55]
	v_lshl_add_u64 v[54:55], v[48:49], 0, v[82:83]
	s_waitcnt vmcnt(0) lgkmcnt(0)
	v_mul_f32_e32 v53, s28, v53
	v_min_f32_e32 v52, v53, v52
	global_store_dword v[54:55], v52, off
	v_lshl_add_u64 v[52:53], v[70:71], 2, v[50:51]
	flat_load_dword v52, v[52:53]
	s_waitcnt vmcnt(0) lgkmcnt(0)
	v_mul_f32_e32 v52, s28, v52
.LBB15_140:
	v_pk_add_f32 v[54:55], v[12:13], v[44:45]
	s_mov_b64 vcc, s[8:9]
	v_min3_f32 v53, v54, v55, v118
	v_pk_add_f32 v[54:55], v[8:9], v[44:45]
	s_nop 0
	v_min3_f32 v56, v54, v55, v117
	v_pk_add_f32 v[54:55], v[14:15], v[46:47]
	s_nop 0
	v_min_f32_e32 v57, v54, v55
	v_pk_add_f32 v[54:55], v[10:11], v[46:47]
	s_nop 0
	v_min3_f32 v54, v54, v55, v56
	v_min3_f32 v55, v52, v57, v53
	v_lshl_add_u64 v[52:53], v[70:71], 2, v[48:49]
	global_store_dword v[52:53], v55, off
	v_max_f32_e32 v52, v54, v54
	s_cbranch_vccz .LBB15_143
; %bb.141:
	v_min_f32_e32 v53, 0, v52
	v_lshl_add_u64 v[54:55], v[84:85], 2, v[48:49]
	s_mov_b32 s6, 0
	global_store_dword v[54:55], v53, off
	s_cbranch_execz .LBB15_144
; %bb.142:
	v_mov_b32_e32 v50, s6
	s_branch .LBB15_145
.LBB15_143:
                                        ; implicit-def: $sgpr6
.LBB15_144:
	v_lshl_add_u64 v[54:55], v[50:51], 0, v[86:87]
	flat_load_dword v53, v[54:55]
	v_lshl_add_u64 v[54:55], v[48:49], 0, v[86:87]
	v_lshl_add_u64 v[50:51], v[76:77], 2, v[50:51]
	s_waitcnt vmcnt(0) lgkmcnt(0)
	v_mul_f32_e32 v53, s28, v53
	v_min_f32_e32 v52, v53, v52
	global_store_dword v[54:55], v52, off
	flat_load_dword v50, v[50:51]
	s_waitcnt vmcnt(0) lgkmcnt(0)
	v_mul_f32_e32 v50, s28, v50
.LBB15_145:
	v_pk_add_f32 v[44:45], v[0:1], v[44:45]
	s_mov_b64 vcc, s[8:9]
	v_min3_f32 v51, v44, v45, v115
	v_pk_add_f32 v[44:45], v[32:33], v[40:41]
	s_nop 0
	v_min3_f32 v52, v44, v45, v116
	v_pk_add_f32 v[44:45], v[2:3], v[46:47]
	s_nop 0
	v_min_f32_e32 v46, v44, v45
	v_pk_add_f32 v[44:45], v[34:35], v[42:43]
	v_min3_f32 v46, v50, v46, v51
	v_min3_f32 v52, v44, v45, v52
	v_lshl_add_u64 v[44:45], v[76:77], 2, v[48:49]
	global_store_dword v[44:45], v46, off
	v_add_u32_e32 v46, 0xa0, v137
	v_mad_i64_i32 v[44:45], s[2:3], v46, s5, 0
	v_lshl_add_u64 v[44:45], v[44:45], 2, s[0:1]
	v_mad_i64_i32 v[46:47], s[2:3], v46, s4, 0
	v_max_f32_e32 v48, v52, v52
	s_cbranch_vccz .LBB15_148
; %bb.146:
	v_min_f32_e32 v49, 0, v48
	v_lshl_add_u64 v[50:51], v[68:69], 2, v[44:45]
	s_mov_b32 s6, 0
	global_store_dword v[50:51], v49, off
	v_lshl_add_u64 v[46:47], v[46:47], 2, s[10:11]
	s_cbranch_execz .LBB15_149
; %bb.147:
	v_mov_b32_e32 v48, s6
	s_branch .LBB15_150
.LBB15_148:
                                        ; implicit-def: $sgpr6
	v_lshl_add_u64 v[46:47], v[46:47], 2, s[10:11]
.LBB15_149:
	v_lshl_add_u64 v[50:51], v[46:47], 0, v[72:73]
	flat_load_dword v49, v[50:51]
	v_lshl_add_u64 v[50:51], v[44:45], 0, v[72:73]
	s_waitcnt vmcnt(0) lgkmcnt(0)
	v_mul_f32_e32 v49, s28, v49
	v_min_f32_e32 v48, v49, v48
	global_store_dword v[50:51], v48, off
	v_lshl_add_u64 v[48:49], v[64:65], 2, v[46:47]
	flat_load_dword v48, v[48:49]
	s_waitcnt vmcnt(0) lgkmcnt(0)
	v_mul_f32_e32 v48, s28, v48
.LBB15_150:
	v_pk_add_f32 v[50:51], v[28:29], v[40:41]
	s_mov_b64 vcc, s[8:9]
	v_min3_f32 v49, v50, v51, v113
	v_pk_add_f32 v[50:51], v[24:25], v[40:41]
	s_nop 0
	v_min3_f32 v52, v50, v51, v114
	v_pk_add_f32 v[50:51], v[30:31], v[42:43]
	s_nop 0
	v_min_f32_e32 v53, v50, v51
	v_pk_add_f32 v[50:51], v[26:27], v[42:43]
	s_nop 0
	v_min3_f32 v50, v50, v51, v52
	v_min3_f32 v51, v48, v53, v49
	v_lshl_add_u64 v[48:49], v[64:65], 2, v[44:45]
	global_store_dword v[48:49], v51, off
	v_max_f32_e32 v48, v50, v50
	s_cbranch_vccz .LBB15_153
; %bb.151:
	v_min_f32_e32 v49, 0, v48
	v_lshl_add_u64 v[50:51], v[74:75], 2, v[44:45]
	s_mov_b32 s6, 0
	global_store_dword v[50:51], v49, off
	s_cbranch_execz .LBB15_154
; %bb.152:
	v_mov_b32_e32 v48, s6
	s_branch .LBB15_155
.LBB15_153:
                                        ; implicit-def: $sgpr6
.LBB15_154:
	v_lshl_add_u64 v[50:51], v[46:47], 0, v[78:79]
	flat_load_dword v49, v[50:51]
	v_lshl_add_u64 v[50:51], v[44:45], 0, v[78:79]
	s_waitcnt vmcnt(0) lgkmcnt(0)
	v_mul_f32_e32 v49, s28, v49
	v_min_f32_e32 v48, v49, v48
	global_store_dword v[50:51], v48, off
	v_lshl_add_u64 v[48:49], v[66:67], 2, v[46:47]
	flat_load_dword v48, v[48:49]
	s_waitcnt vmcnt(0) lgkmcnt(0)
	v_mul_f32_e32 v48, s28, v48
.LBB15_155:
	v_pk_add_f32 v[50:51], v[20:21], v[40:41]
	s_mov_b64 vcc, s[8:9]
	v_min3_f32 v49, v50, v51, v111
	v_pk_add_f32 v[50:51], v[16:17], v[40:41]
	s_nop 0
	v_min3_f32 v52, v50, v51, v112
	v_pk_add_f32 v[50:51], v[22:23], v[42:43]
	s_nop 0
	v_min_f32_e32 v53, v50, v51
	v_pk_add_f32 v[50:51], v[18:19], v[42:43]
	s_nop 0
	v_min3_f32 v50, v50, v51, v52
	v_min3_f32 v51, v48, v53, v49
	v_lshl_add_u64 v[48:49], v[66:67], 2, v[44:45]
	global_store_dword v[48:49], v51, off
	v_max_f32_e32 v48, v50, v50
	s_cbranch_vccz .LBB15_158
; %bb.156:
	v_min_f32_e32 v49, 0, v48
	v_lshl_add_u64 v[50:51], v[80:81], 2, v[44:45]
	s_mov_b32 s6, 0
	global_store_dword v[50:51], v49, off
	s_cbranch_execz .LBB15_159
; %bb.157:
	v_mov_b32_e32 v48, s6
	s_branch .LBB15_160
.LBB15_158:
                                        ; implicit-def: $sgpr6
.LBB15_159:
	v_lshl_add_u64 v[50:51], v[46:47], 0, v[82:83]
	flat_load_dword v49, v[50:51]
	v_lshl_add_u64 v[50:51], v[44:45], 0, v[82:83]
	s_waitcnt vmcnt(0) lgkmcnt(0)
	v_mul_f32_e32 v49, s28, v49
	v_min_f32_e32 v48, v49, v48
	global_store_dword v[50:51], v48, off
	v_lshl_add_u64 v[48:49], v[70:71], 2, v[46:47]
	flat_load_dword v48, v[48:49]
	s_waitcnt vmcnt(0) lgkmcnt(0)
	v_mul_f32_e32 v48, s28, v48
.LBB15_160:
	v_pk_add_f32 v[50:51], v[12:13], v[40:41]
	s_mov_b64 vcc, s[8:9]
	v_min3_f32 v49, v50, v51, v109
	v_pk_add_f32 v[50:51], v[8:9], v[40:41]
	s_nop 0
	v_min3_f32 v52, v50, v51, v110
	v_pk_add_f32 v[50:51], v[14:15], v[42:43]
	s_nop 0
	v_min_f32_e32 v53, v50, v51
	v_pk_add_f32 v[50:51], v[10:11], v[42:43]
	s_nop 0
	v_min3_f32 v50, v50, v51, v52
	v_min3_f32 v51, v48, v53, v49
	v_lshl_add_u64 v[48:49], v[70:71], 2, v[44:45]
	global_store_dword v[48:49], v51, off
	v_max_f32_e32 v48, v50, v50
	s_cbranch_vccz .LBB15_163
; %bb.161:
	v_min_f32_e32 v49, 0, v48
	v_lshl_add_u64 v[50:51], v[84:85], 2, v[44:45]
	s_mov_b32 s6, 0
	global_store_dword v[50:51], v49, off
	s_cbranch_execz .LBB15_164
; %bb.162:
	v_mov_b32_e32 v46, s6
	s_branch .LBB15_165
.LBB15_163:
                                        ; implicit-def: $sgpr6
.LBB15_164:
	v_lshl_add_u64 v[50:51], v[46:47], 0, v[86:87]
	flat_load_dword v49, v[50:51]
	v_lshl_add_u64 v[50:51], v[44:45], 0, v[86:87]
	v_lshl_add_u64 v[46:47], v[76:77], 2, v[46:47]
	s_waitcnt vmcnt(0) lgkmcnt(0)
	v_mul_f32_e32 v49, s28, v49
	v_min_f32_e32 v48, v49, v48
	global_store_dword v[50:51], v48, off
	flat_load_dword v46, v[46:47]
	s_waitcnt vmcnt(0) lgkmcnt(0)
	v_mul_f32_e32 v46, s28, v46
.LBB15_165:
	v_pk_add_f32 v[40:41], v[0:1], v[40:41]
	s_mov_b64 vcc, s[8:9]
	v_min3_f32 v47, v40, v41, v107
	v_pk_add_f32 v[40:41], v[32:33], v[36:37]
	s_nop 0
	v_min3_f32 v48, v40, v41, v108
	v_pk_add_f32 v[40:41], v[2:3], v[42:43]
	s_nop 0
	v_min_f32_e32 v42, v40, v41
	v_pk_add_f32 v[40:41], v[34:35], v[38:39]
	v_min3_f32 v42, v46, v42, v47
	v_min3_f32 v48, v40, v41, v48
	v_lshl_add_u64 v[40:41], v[76:77], 2, v[44:45]
	global_store_dword v[40:41], v42, off
	v_add_u32_e32 v42, 0xc0, v137
	v_mad_i64_i32 v[40:41], s[2:3], v42, s5, 0
	v_lshl_add_u64 v[40:41], v[40:41], 2, s[0:1]
	v_mad_i64_i32 v[42:43], s[2:3], v42, s4, 0
	v_max_f32_e32 v44, v48, v48
	s_cbranch_vccz .LBB15_168
; %bb.166:
	v_min_f32_e32 v45, 0, v44
	v_lshl_add_u64 v[46:47], v[68:69], 2, v[40:41]
	s_mov_b32 s6, 0
	global_store_dword v[46:47], v45, off
	v_lshl_add_u64 v[42:43], v[42:43], 2, s[10:11]
	s_cbranch_execz .LBB15_169
; %bb.167:
	v_mov_b32_e32 v44, s6
	s_branch .LBB15_170
.LBB15_168:
                                        ; implicit-def: $sgpr6
	v_lshl_add_u64 v[42:43], v[42:43], 2, s[10:11]
.LBB15_169:
	v_lshl_add_u64 v[46:47], v[42:43], 0, v[72:73]
	flat_load_dword v45, v[46:47]
	v_lshl_add_u64 v[46:47], v[40:41], 0, v[72:73]
	s_waitcnt vmcnt(0) lgkmcnt(0)
	v_mul_f32_e32 v45, s28, v45
	v_min_f32_e32 v44, v45, v44
	global_store_dword v[46:47], v44, off
	v_lshl_add_u64 v[44:45], v[64:65], 2, v[42:43]
	flat_load_dword v44, v[44:45]
	s_waitcnt vmcnt(0) lgkmcnt(0)
	v_mul_f32_e32 v44, s28, v44
.LBB15_170:
	v_pk_add_f32 v[46:47], v[28:29], v[36:37]
	s_mov_b64 vcc, s[8:9]
	v_min3_f32 v45, v46, v47, v105
	v_pk_add_f32 v[46:47], v[24:25], v[36:37]
	s_nop 0
	v_min3_f32 v48, v46, v47, v106
	v_pk_add_f32 v[46:47], v[30:31], v[38:39]
	s_nop 0
	v_min_f32_e32 v49, v46, v47
	v_pk_add_f32 v[46:47], v[26:27], v[38:39]
	s_nop 0
	v_min3_f32 v46, v46, v47, v48
	v_min3_f32 v47, v44, v49, v45
	v_lshl_add_u64 v[44:45], v[64:65], 2, v[40:41]
	global_store_dword v[44:45], v47, off
	v_max_f32_e32 v44, v46, v46
	s_cbranch_vccz .LBB15_173
; %bb.171:
	v_min_f32_e32 v45, 0, v44
	v_lshl_add_u64 v[46:47], v[74:75], 2, v[40:41]
	s_mov_b32 s6, 0
	global_store_dword v[46:47], v45, off
	s_cbranch_execz .LBB15_174
; %bb.172:
	v_mov_b32_e32 v44, s6
	s_branch .LBB15_175
.LBB15_173:
                                        ; implicit-def: $sgpr6
.LBB15_174:
	v_lshl_add_u64 v[46:47], v[42:43], 0, v[78:79]
	flat_load_dword v45, v[46:47]
	v_lshl_add_u64 v[46:47], v[40:41], 0, v[78:79]
	s_waitcnt vmcnt(0) lgkmcnt(0)
	v_mul_f32_e32 v45, s28, v45
	v_min_f32_e32 v44, v45, v44
	global_store_dword v[46:47], v44, off
	v_lshl_add_u64 v[44:45], v[66:67], 2, v[42:43]
	flat_load_dword v44, v[44:45]
	s_waitcnt vmcnt(0) lgkmcnt(0)
	v_mul_f32_e32 v44, s28, v44
.LBB15_175:
	v_pk_add_f32 v[46:47], v[20:21], v[36:37]
	s_mov_b64 vcc, s[8:9]
	v_min3_f32 v45, v46, v47, v103
	v_pk_add_f32 v[46:47], v[16:17], v[36:37]
	s_nop 0
	v_min3_f32 v48, v46, v47, v104
	v_pk_add_f32 v[46:47], v[22:23], v[38:39]
	s_nop 0
	v_min_f32_e32 v49, v46, v47
	v_pk_add_f32 v[46:47], v[18:19], v[38:39]
	s_nop 0
	v_min3_f32 v46, v46, v47, v48
	v_min3_f32 v47, v44, v49, v45
	v_lshl_add_u64 v[44:45], v[66:67], 2, v[40:41]
	global_store_dword v[44:45], v47, off
	v_max_f32_e32 v44, v46, v46
	s_cbranch_vccz .LBB15_178
; %bb.176:
	v_min_f32_e32 v45, 0, v44
	v_lshl_add_u64 v[46:47], v[80:81], 2, v[40:41]
	s_mov_b32 s6, 0
	global_store_dword v[46:47], v45, off
	s_cbranch_execz .LBB15_179
; %bb.177:
	v_mov_b32_e32 v44, s6
	s_branch .LBB15_180
.LBB15_178:
                                        ; implicit-def: $sgpr6
.LBB15_179:
	v_lshl_add_u64 v[46:47], v[42:43], 0, v[82:83]
	flat_load_dword v45, v[46:47]
	v_lshl_add_u64 v[46:47], v[40:41], 0, v[82:83]
	s_waitcnt vmcnt(0) lgkmcnt(0)
	v_mul_f32_e32 v45, s28, v45
	v_min_f32_e32 v44, v45, v44
	global_store_dword v[46:47], v44, off
	v_lshl_add_u64 v[44:45], v[70:71], 2, v[42:43]
	flat_load_dword v44, v[44:45]
	s_waitcnt vmcnt(0) lgkmcnt(0)
	v_mul_f32_e32 v44, s28, v44
.LBB15_180:
	v_pk_add_f32 v[46:47], v[12:13], v[36:37]
	s_mov_b64 vcc, s[8:9]
	v_min3_f32 v45, v46, v47, v101
	v_pk_add_f32 v[46:47], v[8:9], v[36:37]
	s_nop 0
	v_min3_f32 v48, v46, v47, v102
	v_pk_add_f32 v[46:47], v[14:15], v[38:39]
	s_nop 0
	v_min_f32_e32 v49, v46, v47
	v_pk_add_f32 v[46:47], v[10:11], v[38:39]
	s_nop 0
	v_min3_f32 v46, v46, v47, v48
	v_min3_f32 v47, v44, v49, v45
	v_lshl_add_u64 v[44:45], v[70:71], 2, v[40:41]
	global_store_dword v[44:45], v47, off
	v_max_f32_e32 v44, v46, v46
	s_cbranch_vccz .LBB15_183
; %bb.181:
	v_min_f32_e32 v45, 0, v44
	v_lshl_add_u64 v[46:47], v[84:85], 2, v[40:41]
	s_mov_b32 s6, 0
	global_store_dword v[46:47], v45, off
	s_cbranch_execz .LBB15_184
; %bb.182:
	v_mov_b32_e32 v42, s6
	s_branch .LBB15_185
.LBB15_183:
                                        ; implicit-def: $sgpr6
.LBB15_184:
	v_lshl_add_u64 v[46:47], v[42:43], 0, v[86:87]
	flat_load_dword v45, v[46:47]
	v_lshl_add_u64 v[46:47], v[40:41], 0, v[86:87]
	v_lshl_add_u64 v[42:43], v[76:77], 2, v[42:43]
	s_waitcnt vmcnt(0) lgkmcnt(0)
	v_mul_f32_e32 v45, s28, v45
	v_min_f32_e32 v44, v45, v44
	global_store_dword v[46:47], v44, off
	flat_load_dword v42, v[42:43]
	s_waitcnt vmcnt(0) lgkmcnt(0)
	v_mul_f32_e32 v42, s28, v42
.LBB15_185:
	v_pk_add_f32 v[36:37], v[0:1], v[36:37]
	s_waitcnt lgkmcnt(0)
	v_pk_add_f32 v[32:33], v[32:33], v[4:5]
	v_min3_f32 v36, v36, v37, v99
	v_min3_f32 v37, v32, v33, v100
	v_pk_add_f32 v[32:33], v[2:3], v[38:39]
	s_mov_b64 vcc, s[8:9]
	v_min_f32_e32 v38, v32, v33
	v_pk_add_f32 v[32:33], v[34:35], v[6:7]
	v_min3_f32 v34, v42, v38, v36
	v_min3_f32 v37, v32, v33, v37
	v_lshl_add_u64 v[32:33], v[76:77], 2, v[40:41]
	global_store_dword v[32:33], v34, off
	v_add_u32_e32 v34, 0xe0, v137
	v_mad_i64_i32 v[32:33], s[2:3], v34, s5, 0
	v_lshl_add_u64 v[32:33], v[32:33], 2, s[0:1]
	v_mad_i64_i32 v[34:35], s[0:1], v34, s4, 0
	v_max_f32_e32 v36, v37, v37
	s_cbranch_vccz .LBB15_188
; %bb.186:
	v_min_f32_e32 v37, 0, v36
	v_lshl_add_u64 v[38:39], v[68:69], 2, v[32:33]
	s_mov_b32 s2, 0
	global_store_dword v[38:39], v37, off
	v_lshl_add_u64 v[34:35], v[34:35], 2, s[10:11]
	s_cbranch_execz .LBB15_189
; %bb.187:
	v_mov_b32_e32 v36, s2
	s_branch .LBB15_190
.LBB15_188:
                                        ; implicit-def: $sgpr2
	v_lshl_add_u64 v[34:35], v[34:35], 2, s[10:11]
.LBB15_189:
	v_lshl_add_u64 v[38:39], v[34:35], 0, v[72:73]
	flat_load_dword v37, v[38:39]
	v_lshl_add_u64 v[38:39], v[32:33], 0, v[72:73]
	s_waitcnt vmcnt(0) lgkmcnt(0)
	v_mul_f32_e32 v37, s28, v37
	v_min_f32_e32 v36, v37, v36
	global_store_dword v[38:39], v36, off
	v_lshl_add_u64 v[36:37], v[64:65], 2, v[34:35]
	flat_load_dword v36, v[36:37]
	s_waitcnt vmcnt(0) lgkmcnt(0)
	v_mul_f32_e32 v36, s28, v36
.LBB15_190:
	v_pk_add_f32 v[28:29], v[28:29], v[4:5]
	v_pk_add_f32 v[24:25], v[24:25], v[4:5]
	v_min3_f32 v28, v28, v29, v97
	v_min3_f32 v29, v24, v25, v98
	v_pk_add_f32 v[24:25], v[30:31], v[6:7]
	s_mov_b64 vcc, s[8:9]
	v_min_f32_e32 v30, v24, v25
	v_pk_add_f32 v[24:25], v[26:27], v[6:7]
	v_min3_f32 v27, v36, v30, v28
	v_min3_f32 v26, v24, v25, v29
	v_lshl_add_u64 v[24:25], v[64:65], 2, v[32:33]
	global_store_dword v[24:25], v27, off
	v_max_f32_e32 v24, v26, v26
	s_cbranch_vccz .LBB15_193
; %bb.191:
	v_min_f32_e32 v25, 0, v24
	v_lshl_add_u64 v[26:27], v[74:75], 2, v[32:33]
	s_mov_b32 s2, 0
	global_store_dword v[26:27], v25, off
	s_cbranch_execz .LBB15_194
; %bb.192:
	v_mov_b32_e32 v24, s2
	s_branch .LBB15_195
.LBB15_193:
                                        ; implicit-def: $sgpr2
.LBB15_194:
	v_lshl_add_u64 v[26:27], v[34:35], 0, v[78:79]
	flat_load_dword v25, v[26:27]
	v_lshl_add_u64 v[26:27], v[32:33], 0, v[78:79]
	s_waitcnt vmcnt(0) lgkmcnt(0)
	v_mul_f32_e32 v25, s28, v25
	v_min_f32_e32 v24, v25, v24
	global_store_dword v[26:27], v24, off
	v_lshl_add_u64 v[24:25], v[66:67], 2, v[34:35]
	flat_load_dword v24, v[24:25]
	s_waitcnt vmcnt(0) lgkmcnt(0)
	v_mul_f32_e32 v24, s28, v24
.LBB15_195:
	v_pk_add_f32 v[20:21], v[20:21], v[4:5]
	v_pk_add_f32 v[16:17], v[16:17], v[4:5]
	v_min3_f32 v20, v20, v21, v94
	v_min3_f32 v21, v16, v17, v95
	v_pk_add_f32 v[16:17], v[22:23], v[6:7]
	s_mov_b64 vcc, s[8:9]
	v_min_f32_e32 v22, v16, v17
	v_pk_add_f32 v[16:17], v[18:19], v[6:7]
	v_min3_f32 v19, v24, v22, v20
	v_min3_f32 v18, v16, v17, v21
	v_lshl_add_u64 v[16:17], v[66:67], 2, v[32:33]
	global_store_dword v[16:17], v19, off
	v_max_f32_e32 v16, v18, v18
	s_cbranch_vccz .LBB15_198
; %bb.196:
	v_min_f32_e32 v17, 0, v16
	v_lshl_add_u64 v[18:19], v[80:81], 2, v[32:33]
	s_mov_b32 s2, 0
	global_store_dword v[18:19], v17, off
	s_cbranch_execz .LBB15_199
; %bb.197:
	v_mov_b32_e32 v16, s2
	s_branch .LBB15_200
.LBB15_198:
                                        ; implicit-def: $sgpr2
.LBB15_199:
	v_lshl_add_u64 v[18:19], v[34:35], 0, v[82:83]
	flat_load_dword v17, v[18:19]
	v_lshl_add_u64 v[18:19], v[32:33], 0, v[82:83]
	s_waitcnt vmcnt(0) lgkmcnt(0)
	v_mul_f32_e32 v17, s28, v17
	v_min_f32_e32 v16, v17, v16
	global_store_dword v[18:19], v16, off
	v_lshl_add_u64 v[16:17], v[70:71], 2, v[34:35]
	flat_load_dword v16, v[16:17]
	s_waitcnt vmcnt(0) lgkmcnt(0)
	v_mul_f32_e32 v16, s28, v16
.LBB15_200:
	v_pk_add_f32 v[12:13], v[12:13], v[4:5]
	v_pk_add_f32 v[8:9], v[8:9], v[4:5]
	v_min3_f32 v12, v12, v13, v92
	v_min3_f32 v13, v8, v9, v93
	v_pk_add_f32 v[8:9], v[14:15], v[6:7]
	s_mov_b64 vcc, s[8:9]
	v_min_f32_e32 v14, v8, v9
	v_pk_add_f32 v[8:9], v[10:11], v[6:7]
	v_min3_f32 v11, v16, v14, v12
	v_min3_f32 v10, v8, v9, v13
	v_lshl_add_u64 v[8:9], v[70:71], 2, v[32:33]
	global_store_dword v[8:9], v11, off
	v_max_f32_e32 v8, v10, v10
	s_cbranch_vccz .LBB15_203
; %bb.201:
	v_min_f32_e32 v9, 0, v8
	v_lshl_add_u64 v[10:11], v[84:85], 2, v[32:33]
	s_mov_b32 s2, 0
	global_store_dword v[10:11], v9, off
	s_cbranch_execz .LBB15_204
; %bb.202:
	v_mov_b32_e32 v8, s2
	s_branch .LBB15_205
.LBB15_203:
                                        ; implicit-def: $sgpr2
.LBB15_204:
	v_lshl_add_u64 v[10:11], v[34:35], 0, v[86:87]
	flat_load_dword v9, v[10:11]
	v_lshl_add_u64 v[10:11], v[32:33], 0, v[86:87]
	s_waitcnt vmcnt(0) lgkmcnt(0)
	v_mul_f32_e32 v9, s28, v9
	v_min_f32_e32 v8, v9, v8
	global_store_dword v[10:11], v8, off
	v_lshl_add_u64 v[8:9], v[76:77], 2, v[34:35]
	flat_load_dword v8, v[8:9]
	s_waitcnt vmcnt(0) lgkmcnt(0)
	v_mul_f32_e32 v8, s28, v8
.LBB15_205:
	v_pk_add_f32 v[2:3], v[2:3], v[6:7]
	v_pk_add_f32 v[0:1], v[0:1], v[4:5]
	v_min_f32_e32 v2, v2, v3
	v_min3_f32 v0, v0, v1, v96
	v_min3_f32 v2, v8, v2, v0
	v_lshl_add_u64 v[0:1], v[76:77], 2, v[32:33]
	global_store_dword v[0:1], v2, off
	s_endpgm
	.section	.rodata,"a",@progbits
	.p2align	6, 0x0
	.amdhsa_kernel _ZN12_GLOBAL__N_120geam_min_plus_kernelIf15HIP_vector_typeIfLj2EEfLi8ELi32ELi64ELi256ELi4ELi64ELi4ELi64ELi4ELc78ELc84ELb0ELb0ELb1EPKfKS4_KPfEEviiiT16_PT17_ilSA_ilS8_SA_ilPT18_ili26rocblas_geam_ex_operation_
		.amdhsa_group_segment_fixed_size 10240
		.amdhsa_private_segment_fixed_size 0
		.amdhsa_kernarg_size 136
		.amdhsa_user_sgpr_count 2
		.amdhsa_user_sgpr_dispatch_ptr 0
		.amdhsa_user_sgpr_queue_ptr 0
		.amdhsa_user_sgpr_kernarg_segment_ptr 1
		.amdhsa_user_sgpr_dispatch_id 0
		.amdhsa_user_sgpr_kernarg_preload_length 0
		.amdhsa_user_sgpr_kernarg_preload_offset 0
		.amdhsa_user_sgpr_private_segment_size 0
		.amdhsa_uses_dynamic_stack 0
		.amdhsa_enable_private_segment 0
		.amdhsa_system_sgpr_workgroup_id_x 1
		.amdhsa_system_sgpr_workgroup_id_y 0
		.amdhsa_system_sgpr_workgroup_id_z 1
		.amdhsa_system_sgpr_workgroup_info 0
		.amdhsa_system_vgpr_workitem_id 1
		.amdhsa_next_free_vgpr 176
		.amdhsa_next_free_sgpr 29
		.amdhsa_accum_offset 176
		.amdhsa_reserve_vcc 1
		.amdhsa_float_round_mode_32 0
		.amdhsa_float_round_mode_16_64 0
		.amdhsa_float_denorm_mode_32 3
		.amdhsa_float_denorm_mode_16_64 3
		.amdhsa_dx10_clamp 1
		.amdhsa_ieee_mode 1
		.amdhsa_fp16_overflow 0
		.amdhsa_tg_split 0
		.amdhsa_exception_fp_ieee_invalid_op 0
		.amdhsa_exception_fp_denorm_src 0
		.amdhsa_exception_fp_ieee_div_zero 0
		.amdhsa_exception_fp_ieee_overflow 0
		.amdhsa_exception_fp_ieee_underflow 0
		.amdhsa_exception_fp_ieee_inexact 0
		.amdhsa_exception_int_div_zero 0
	.end_amdhsa_kernel
	.section	.text._ZN12_GLOBAL__N_120geam_min_plus_kernelIf15HIP_vector_typeIfLj2EEfLi8ELi32ELi64ELi256ELi4ELi64ELi4ELi64ELi4ELc78ELc84ELb0ELb0ELb1EPKfKS4_KPfEEviiiT16_PT17_ilSA_ilS8_SA_ilPT18_ili26rocblas_geam_ex_operation_,"axG",@progbits,_ZN12_GLOBAL__N_120geam_min_plus_kernelIf15HIP_vector_typeIfLj2EEfLi8ELi32ELi64ELi256ELi4ELi64ELi4ELi64ELi4ELc78ELc84ELb0ELb0ELb1EPKfKS4_KPfEEviiiT16_PT17_ilSA_ilS8_SA_ilPT18_ili26rocblas_geam_ex_operation_,comdat
.Lfunc_end15:
	.size	_ZN12_GLOBAL__N_120geam_min_plus_kernelIf15HIP_vector_typeIfLj2EEfLi8ELi32ELi64ELi256ELi4ELi64ELi4ELi64ELi4ELc78ELc84ELb0ELb0ELb1EPKfKS4_KPfEEviiiT16_PT17_ilSA_ilS8_SA_ilPT18_ili26rocblas_geam_ex_operation_, .Lfunc_end15-_ZN12_GLOBAL__N_120geam_min_plus_kernelIf15HIP_vector_typeIfLj2EEfLi8ELi32ELi64ELi256ELi4ELi64ELi4ELi64ELi4ELc78ELc84ELb0ELb0ELb1EPKfKS4_KPfEEviiiT16_PT17_ilSA_ilS8_SA_ilPT18_ili26rocblas_geam_ex_operation_
                                        ; -- End function
	.section	.AMDGPU.csdata,"",@progbits
; Kernel info:
; codeLenInByte = 16616
; NumSgprs: 35
; NumVgprs: 176
; NumAgprs: 0
; TotalNumVgprs: 176
; ScratchSize: 0
; MemoryBound: 0
; FloatMode: 240
; IeeeMode: 1
; LDSByteSize: 10240 bytes/workgroup (compile time only)
; SGPRBlocks: 4
; VGPRBlocks: 21
; NumSGPRsForWavesPerEU: 35
; NumVGPRsForWavesPerEU: 176
; AccumOffset: 176
; Occupancy: 2
; WaveLimiterHint : 1
; COMPUTE_PGM_RSRC2:SCRATCH_EN: 0
; COMPUTE_PGM_RSRC2:USER_SGPR: 2
; COMPUTE_PGM_RSRC2:TRAP_HANDLER: 0
; COMPUTE_PGM_RSRC2:TGID_X_EN: 1
; COMPUTE_PGM_RSRC2:TGID_Y_EN: 0
; COMPUTE_PGM_RSRC2:TGID_Z_EN: 1
; COMPUTE_PGM_RSRC2:TIDIG_COMP_CNT: 1
; COMPUTE_PGM_RSRC3_GFX90A:ACCUM_OFFSET: 43
; COMPUTE_PGM_RSRC3_GFX90A:TG_SPLIT: 0
	.section	.text._ZN12_GLOBAL__N_120geam_min_plus_kernelIf15HIP_vector_typeIfLj2EEfLi8ELi32ELi64ELi256ELi4ELi64ELi4ELi64ELi4ELc78ELc84ELb1ELb0ELb1EfKPKfKPfEEviiiT16_PT17_ilSA_ilS8_SA_ilPT18_ili26rocblas_geam_ex_operation_,"axG",@progbits,_ZN12_GLOBAL__N_120geam_min_plus_kernelIf15HIP_vector_typeIfLj2EEfLi8ELi32ELi64ELi256ELi4ELi64ELi4ELi64ELi4ELc78ELc84ELb1ELb0ELb1EfKPKfKPfEEviiiT16_PT17_ilSA_ilS8_SA_ilPT18_ili26rocblas_geam_ex_operation_,comdat
	.globl	_ZN12_GLOBAL__N_120geam_min_plus_kernelIf15HIP_vector_typeIfLj2EEfLi8ELi32ELi64ELi256ELi4ELi64ELi4ELi64ELi4ELc78ELc84ELb1ELb0ELb1EfKPKfKPfEEviiiT16_PT17_ilSA_ilS8_SA_ilPT18_ili26rocblas_geam_ex_operation_ ; -- Begin function _ZN12_GLOBAL__N_120geam_min_plus_kernelIf15HIP_vector_typeIfLj2EEfLi8ELi32ELi64ELi256ELi4ELi64ELi4ELi64ELi4ELc78ELc84ELb1ELb0ELb1EfKPKfKPfEEviiiT16_PT17_ilSA_ilS8_SA_ilPT18_ili26rocblas_geam_ex_operation_
	.p2align	8
	.type	_ZN12_GLOBAL__N_120geam_min_plus_kernelIf15HIP_vector_typeIfLj2EEfLi8ELi32ELi64ELi256ELi4ELi64ELi4ELi64ELi4ELc78ELc84ELb1ELb0ELb1EfKPKfKPfEEviiiT16_PT17_ilSA_ilS8_SA_ilPT18_ili26rocblas_geam_ex_operation_,@function
_ZN12_GLOBAL__N_120geam_min_plus_kernelIf15HIP_vector_typeIfLj2EEfLi8ELi32ELi64ELi256ELi4ELi64ELi4ELi64ELi4ELc78ELc84ELb1ELb0ELb1EfKPKfKPfEEviiiT16_PT17_ilSA_ilS8_SA_ilPT18_ili26rocblas_geam_ex_operation_: ; @_ZN12_GLOBAL__N_120geam_min_plus_kernelIf15HIP_vector_typeIfLj2EEfLi8ELi32ELi64ELi256ELi4ELi64ELi4ELi64ELi4ELc78ELc84ELb1ELb0ELb1EfKPKfKPfEEviiiT16_PT17_ilSA_ilS8_SA_ilPT18_ili26rocblas_geam_ex_operation_
; %bb.0:
	s_load_dwordx2 s[12:13], s[0:1], 0x8
	s_load_dwordx4 s[4:7], s[0:1], 0x20
	s_mov_b32 s18, s3
	s_mov_b32 s19, 0
	s_waitcnt lgkmcnt(0)
	v_cmp_eq_f32_e64 s[8:9], s13, 0
	s_and_b64 vcc, exec, s[8:9]
	s_cbranch_vccnz .LBB16_3
; %bb.1:
	s_load_dwordx2 s[10:11], s[0:1], 0x10
	s_lshl_b64 s[14:15], s[18:19], 3
	s_waitcnt lgkmcnt(0)
	s_add_u32 s10, s10, s14
	s_addc_u32 s11, s11, s15
	s_load_dwordx2 s[10:11], s[10:11], 0x0
	s_lshl_b64 s[4:5], s[4:5], 2
	s_waitcnt lgkmcnt(0)
	s_add_u32 s14, s10, s4
	s_addc_u32 s15, s11, s5
	s_andn2_b64 vcc, exec, s[8:9]
	s_cbranch_vccnz .LBB16_4
.LBB16_2:
	s_mov_b64 s[16:17], 0
	s_cbranch_execz .LBB16_5
	s_branch .LBB16_6
.LBB16_3:
	s_mov_b64 s[14:15], 0
	s_andn2_b64 vcc, exec, s[8:9]
	s_cbranch_vccz .LBB16_2
.LBB16_4:
                                        ; implicit-def: $sgpr16_sgpr17
.LBB16_5:
	s_lshl_b64 s[8:9], s[18:19], 3
	s_add_u32 s6, s6, s8
	s_load_dwordx2 s[4:5], s[0:1], 0x38
	s_addc_u32 s7, s7, s9
	s_load_dwordx2 s[6:7], s[6:7], 0x0
	s_waitcnt lgkmcnt(0)
	s_lshl_b64 s[4:5], s[4:5], 2
	s_add_u32 s16, s6, s4
	s_addc_u32 s17, s7, s5
.LBB16_6:
	s_load_dword s13, s[0:1], 0x40
	s_load_dwordx4 s[8:11], s[0:1], 0x58
	s_waitcnt lgkmcnt(0)
	v_cmp_eq_f32_e64 s[4:5], s13, 0
	s_and_b64 s[4:5], exec, s[4:5]
	s_mov_b64 vcc, s[4:5]
	s_cbranch_vccnz .LBB16_8
; %bb.7:
	s_load_dwordx2 s[6:7], s[0:1], 0x48
	s_lshl_b64 s[20:21], s[18:19], 3
	s_waitcnt lgkmcnt(0)
	s_add_u32 s6, s6, s20
	s_addc_u32 s7, s7, s21
	s_load_dwordx2 s[6:7], s[6:7], 0x0
	s_lshl_b64 s[8:9], s[8:9], 2
	s_waitcnt lgkmcnt(0)
	s_add_u32 s6, s6, s8
	s_addc_u32 s7, s7, s9
	s_branch .LBB16_9
.LBB16_8:
	s_mov_b64 s[6:7], 0
.LBB16_9:
	s_load_dword s3, s[0:1], 0x0
	s_lshl_b64 s[8:9], s[18:19], 3
	s_add_u32 s8, s10, s8
	s_addc_u32 s9, s11, s9
	s_load_dword s18, s[0:1], 0x18
	s_load_dword s20, s[0:1], 0x30
	s_waitcnt lgkmcnt(0)
	s_add_i32 s3, s3, -1
	s_ashr_i32 s10, s3, 31
	s_lshr_b32 s10, s10, 26
	s_add_i32 s3, s3, s10
	s_ashr_i32 s3, s3, 6
	s_add_i32 s10, s3, 1
	v_cvt_f32_u32_e32 v1, s10
	s_not_b32 s3, s3
	v_and_b32_e32 v76, 0x3ff, v0
	v_bfe_u32 v77, v0, 10, 10
	v_rcp_iflag_f32_e32 v1, v1
	v_lshl_add_u32 v0, v77, 3, v76
	v_and_b32_e32 v8, 63, v0
	v_lshrrev_b32_e32 v60, 6, v0
	v_mul_f32_e32 v1, 0x4f7ffffe, v1
	v_cvt_u32_f32_e32 v1, v1
	v_lshlrev_b32_e32 v79, 4, v76
	v_lshlrev_b32_e32 v78, 4, v77
	v_readfirstlane_b32 s11, v1
	s_mul_i32 s3, s3, s11
	s_mul_hi_u32 s3, s11, s3
	s_add_i32 s11, s11, s3
	s_mul_hi_u32 s3, s2, s11
	s_mul_i32 s11, s3, s10
	s_sub_i32 s11, s2, s11
	s_add_i32 s19, s3, 1
	s_sub_i32 s21, s11, s10
	s_cmp_ge_u32 s11, s10
	s_cselect_b32 s3, s19, s3
	s_cselect_b32 s11, s21, s11
	s_add_i32 s19, s3, 1
	s_cmp_ge_u32 s11, s10
	s_cselect_b32 s3, s19, s3
	s_mul_i32 s10, s3, s10
	s_sub_i32 s2, s2, s10
	s_lshl_b32 s23, s3, 8
	s_lshl_b32 s22, s2, 6
	v_or_b32_e32 v58, s23, v8
	v_or_b32_e32 v56, s22, v8
	v_mad_i64_i32 v[4:5], s[2:3], s20, v60, 0
	v_ashrrev_i32_e32 v59, 31, v58
	v_mad_i64_i32 v[0:1], s[2:3], s18, v60, 0
	v_ashrrev_i32_e32 v57, 31, v56
	v_lshl_add_u64 v[4:5], v[4:5], 2, s[16:17]
	v_lshlrev_b64 v[6:7], 2, v[58:59]
	v_lshl_add_u64 v[0:1], v[0:1], 2, s[14:15]
	v_lshlrev_b64 v[2:3], 2, v[56:57]
	v_lshl_add_u64 v[4:5], v[4:5], 0, v[6:7]
	v_lshl_add_u64 v[0:1], v[0:1], 0, v[2:3]
	flat_load_dword v9, v[4:5]
	flat_load_dword v10, v[4:5] offset:256
	flat_load_dword v11, v[4:5] offset:512
	;; [unrolled: 1-line block ×3, first 2 shown]
	flat_load_dword v13, v[0:1]
	v_add_u32_e32 v4, 4, v60
	v_lshlrev_b32_e32 v0, 2, v60
	s_load_dwordx2 s[2:3], s[8:9], 0x0
	v_lshl_add_u32 v80, v8, 4, v0
	v_mad_i64_i32 v[0:1], s[8:9], s18, v4, 0
	v_mad_i64_i32 v[4:5], s[8:9], s20, v4, 0
	v_lshl_add_u64 v[0:1], v[0:1], 2, s[14:15]
	v_lshl_add_u64 v[4:5], v[4:5], 2, s[16:17]
	v_lshl_add_u64 v[4:5], v[4:5], 0, v[6:7]
	v_lshl_add_u64 v[0:1], v[0:1], 0, v[2:3]
	flat_load_dword v61, v[4:5]
	flat_load_dword v63, v[4:5] offset:256
	flat_load_dword v62, v[4:5] offset:512
	;; [unrolled: 1-line block ×3, first 2 shown]
	flat_load_dword v65, v[0:1]
	s_mov_b32 s10, 0x7f7fffff
	s_cmp_lt_i32 s12, 9
	s_waitcnt vmcnt(0) lgkmcnt(0)
	ds_write2st64_b32 v80, v9, v10 offset1:4
	ds_write2st64_b32 v80, v11, v12 offset0:8 offset1:12
	ds_write_b32 v80, v13 offset:8192
	s_waitcnt lgkmcnt(0)
	s_barrier
	ds_read_b128 v[28:31], v79 offset:8192
	ds_read_b128 v[24:27], v79 offset:8320
	;; [unrolled: 1-line block ×8, first 2 shown]
	ds_read_b128 v[52:55], v78
	ds_read_b128 v[48:51], v78 offset:512
	ds_read_b128 v[44:47], v78 offset:1024
	;; [unrolled: 1-line block ×5, first 2 shown]
	s_waitcnt lgkmcnt(5)
	v_pk_add_f32 v[66:67], v[28:29], v[52:53]
	v_pk_add_f32 v[68:69], v[24:25], v[52:53]
	;; [unrolled: 1-line block ×4, first 2 shown]
	s_waitcnt lgkmcnt(4)
	v_pk_add_f32 v[86:87], v[28:29], v[48:49]
	v_pk_add_f32 v[88:89], v[24:25], v[48:49]
	;; [unrolled: 1-line block ×8, first 2 shown]
	v_min3_f32 v66, v66, v67, s10
	v_min3_f32 v67, v68, v69, s10
	;; [unrolled: 1-line block ×5, first 2 shown]
	s_waitcnt lgkmcnt(3)
	v_pk_add_f32 v[48:49], v[28:29], v[44:45]
	v_pk_add_f32 v[70:71], v[20:21], v[52:53]
	;; [unrolled: 1-line block ×5, first 2 shown]
	v_min3_f32 v85, v48, v49, s10
	v_pk_add_f32 v[48:49], v[24:25], v[44:45]
	v_min3_f32 v52, v52, v53, s10
	v_min3_f32 v53, v86, v87, s10
	;; [unrolled: 1-line block ×3, first 2 shown]
	v_pk_add_f32 v[48:49], v[20:21], v[44:45]
	v_min3_f32 v73, v88, v89, s10
	v_min3_f32 v89, v48, v49, s10
	v_pk_add_f32 v[48:49], v[16:17], v[44:45]
	v_min3_f32 v68, v70, v71, s10
	v_min3_f32 v70, v74, v75, s10
	;; [unrolled: 1-line block ×4, first 2 shown]
	v_pk_add_f32 v[48:49], v[12:13], v[44:45]
	v_min3_f32 v75, v92, v93, s10
	v_min3_f32 v91, v48, v49, s10
	v_pk_add_f32 v[48:49], v[8:9], v[44:45]
	v_min3_f32 v81, v94, v95, s10
	v_min3_f32 v92, v48, v49, s10
	v_pk_add_f32 v[48:49], v[4:5], v[44:45]
	v_pk_add_f32 v[44:45], v[0:1], v[44:45]
	v_min3_f32 v71, v82, v83, s10
	v_min3_f32 v94, v44, v45, s10
	s_waitcnt lgkmcnt(2)
	v_pk_add_f32 v[44:45], v[28:29], v[40:41]
	v_min3_f32 v82, v96, v97, s10
	v_min3_f32 v95, v44, v45, s10
	v_pk_add_f32 v[44:45], v[24:25], v[40:41]
	v_min3_f32 v83, v98, v99, s10
	v_min3_f32 v96, v44, v45, s10
	;; [unrolled: 3-line block ×3, first 2 shown]
	v_pk_add_f32 v[44:45], v[16:17], v[40:41]
	s_nop 0
	v_min3_f32 v98, v44, v45, s10
	v_pk_add_f32 v[44:45], v[12:13], v[40:41]
	s_nop 0
	v_min3_f32 v99, v44, v45, s10
	;; [unrolled: 3-line block ×3, first 2 shown]
	v_pk_add_f32 v[44:45], v[4:5], v[40:41]
	v_pk_add_f32 v[40:41], v[0:1], v[40:41]
	v_min3_f32 v44, v44, v45, s10
	v_min3_f32 v45, v40, v41, s10
	s_waitcnt lgkmcnt(1)
	v_pk_add_f32 v[40:41], v[28:29], v[36:37]
	s_nop 0
	v_min3_f32 v101, v40, v41, s10
	v_pk_add_f32 v[40:41], v[24:25], v[36:37]
	s_nop 0
	v_min3_f32 v102, v40, v41, s10
	;; [unrolled: 3-line block ×6, first 2 shown]
	v_pk_add_f32 v[40:41], v[4:5], v[36:37]
	v_pk_add_f32 v[36:37], v[0:1], v[36:37]
	v_min3_f32 v107, v40, v41, s10
	v_min3_f32 v108, v36, v37, s10
	s_waitcnt lgkmcnt(0)
	v_pk_add_f32 v[36:37], v[28:29], v[32:33]
	v_pk_add_f32 v[40:41], v[4:5], v[32:33]
	v_min3_f32 v109, v36, v37, s10
	v_pk_add_f32 v[36:37], v[24:25], v[32:33]
	v_min3_f32 v40, v40, v41, s10
	v_min3_f32 v110, v36, v37, s10
	v_pk_add_f32 v[36:37], v[20:21], v[32:33]
	s_nop 0
	v_min3_f32 v111, v36, v37, s10
	v_pk_add_f32 v[36:37], v[16:17], v[32:33]
	s_nop 0
	;; [unrolled: 3-line block ×10, first 2 shown]
	v_min3_f32 v66, v36, v37, s10
	v_pk_add_f32 v[36:37], v[8:9], v[32:33]
	v_pk_add_f32 v[32:33], v[0:1], v[32:33]
	v_min3_f32 v67, v36, v37, s10
	v_min3_f32 v41, v32, v33, s10
	v_pk_add_f32 v[32:33], v[30:31], v[50:51]
	v_pk_add_f32 v[36:37], v[2:3], v[54:55]
	v_min3_f32 v148, v32, v33, v53
	v_pk_add_f32 v[32:33], v[26:27], v[50:51]
	v_min3_f32 v147, v36, v37, v52
	v_min3_f32 v145, v32, v33, v73
	v_pk_add_f32 v[32:33], v[22:23], v[50:51]
	ds_read_b128 v[52:55], v78 offset:3584
	v_min3_f32 v146, v32, v33, v74
	v_pk_add_f32 v[32:33], v[18:19], v[50:51]
	s_nop 0
	v_min3_f32 v143, v32, v33, v75
	v_pk_add_f32 v[32:33], v[14:15], v[50:51]
	s_nop 0
	;; [unrolled: 3-line block ×4, first 2 shown]
	v_min3_f32 v142, v32, v33, v83
	v_pk_add_f32 v[32:33], v[2:3], v[50:51]
	ds_read_b128 v[48:51], v78 offset:3072
	v_min3_f32 v139, v32, v33, v84
	v_pk_add_f32 v[32:33], v[30:31], v[46:47]
	ds_write_b32 v80, v65 offset:9216
	ds_write2st64_b32 v80, v61, v63 offset0:16 offset1:20
	ds_write2st64_b32 v80, v62, v64 offset0:24 offset1:28
	v_min3_f32 v140, v32, v33, v85
	v_pk_add_f32 v[32:33], v[26:27], v[46:47]
	s_waitcnt lgkmcnt(3)
	v_pk_add_f32 v[36:37], v[20:21], v[48:49]
	v_min3_f32 v137, v32, v33, v86
	v_pk_add_f32 v[32:33], v[22:23], v[46:47]
	v_pk_add_f32 v[20:21], v[20:21], v[52:53]
	v_min3_f32 v138, v32, v33, v89
	v_pk_add_f32 v[32:33], v[18:19], v[46:47]
	v_min3_f32 v20, v20, v21, s10
	v_min3_f32 v133, v32, v33, v90
	v_pk_add_f32 v[32:33], v[14:15], v[46:47]
	s_waitcnt lgkmcnt(0)
	v_min3_f32 v135, v32, v33, v91
	v_pk_add_f32 v[32:33], v[10:11], v[46:47]
	s_barrier
	v_min3_f32 v129, v32, v33, v92
	v_pk_add_f32 v[32:33], v[6:7], v[46:47]
	s_nop 0
	v_min3_f32 v130, v32, v33, v93
	v_pk_add_f32 v[32:33], v[28:29], v[48:49]
	v_pk_add_f32 v[28:29], v[28:29], v[52:53]
	v_min3_f32 v68, v32, v33, s10
	v_pk_add_f32 v[32:33], v[24:25], v[48:49]
	v_min3_f32 v28, v28, v29, s10
	v_min3_f32 v69, v32, v33, s10
	v_pk_add_f32 v[32:33], v[2:3], v[46:47]
	v_min3_f32 v46, v36, v37, s10
	v_min3_f32 v134, v32, v33, v94
	v_pk_add_f32 v[32:33], v[30:31], v[42:43]
	v_pk_add_f32 v[36:37], v[16:17], v[48:49]
	v_min3_f32 v136, v32, v33, v95
	v_pk_add_f32 v[32:33], v[26:27], v[42:43]
	v_min3_f32 v47, v36, v37, s10
	v_min3_f32 v131, v32, v33, v96
	v_pk_add_f32 v[32:33], v[22:23], v[42:43]
	v_pk_add_f32 v[36:37], v[4:5], v[48:49]
	v_min3_f32 v132, v32, v33, v97
	v_pk_add_f32 v[32:33], v[18:19], v[42:43]
	v_pk_add_f32 v[4:5], v[4:5], v[52:53]
	;; [unrolled: 3-line block ×4, first 2 shown]
	v_min3_f32 v125, v32, v33, v100
	v_pk_add_f32 v[32:33], v[6:7], v[42:43]
	v_min3_f32 v4, v4, v5, s10
	v_min3_f32 v126, v32, v33, v44
	v_pk_add_f32 v[32:33], v[12:13], v[48:49]
	v_min3_f32 v29, v24, v25, s10
	v_min3_f32 v44, v32, v33, s10
	v_pk_add_f32 v[32:33], v[8:9], v[48:49]
	v_min3_f32 v21, v16, v17, s10
	v_min3_f32 v70, v32, v33, s10
	v_pk_add_f32 v[32:33], v[2:3], v[42:43]
	v_min3_f32 v42, v36, v37, s10
	v_min3_f32 v123, v32, v33, v45
	v_pk_add_f32 v[32:33], v[30:31], v[38:39]
	v_pk_add_f32 v[36:37], v[0:1], v[48:49]
	v_min3_f32 v124, v32, v33, v101
	v_pk_add_f32 v[32:33], v[26:27], v[38:39]
	v_pk_add_f32 v[0:1], v[0:1], v[52:53]
	v_min3_f32 v121, v32, v33, v102
	v_pk_add_f32 v[32:33], v[22:23], v[38:39]
	v_min3_f32 v5, v0, v1, s10
	v_min3_f32 v122, v32, v33, v103
	v_pk_add_f32 v[32:33], v[18:19], v[38:39]
	v_pk_add_f32 v[0:1], v[30:31], v[54:55]
	v_min3_f32 v119, v32, v33, v104
	v_pk_add_f32 v[32:33], v[14:15], v[38:39]
	v_pk_add_f32 v[16:17], v[30:31], v[50:51]
	v_min3_f32 v120, v32, v33, v105
	v_pk_add_f32 v[32:33], v[10:11], v[38:39]
	v_min3_f32 v100, v0, v1, v28
	v_min3_f32 v117, v32, v33, v106
	v_pk_add_f32 v[32:33], v[6:7], v[38:39]
	v_pk_add_f32 v[0:1], v[26:27], v[54:55]
	v_min3_f32 v118, v32, v33, v107
	v_pk_add_f32 v[32:33], v[2:3], v[38:39]
	v_min3_f32 v96, v0, v1, v29
	;; [unrolled: 6-line block ×3, first 2 shown]
	v_pk_add_f32 v[16:17], v[26:27], v[50:51]
	v_min3_f32 v113, v32, v33, v110
	v_pk_add_f32 v[32:33], v[22:23], v[34:35]
	v_min3_f32 v105, v16, v17, v69
	v_pk_add_f32 v[16:17], v[22:23], v[50:51]
	v_pk_add_f32 v[12:13], v[12:13], v[52:53]
	v_min3_f32 v97, v0, v1, v20
	v_pk_add_f32 v[0:1], v[18:19], v[54:55]
	v_min3_f32 v114, v32, v33, v111
	;; [unrolled: 2-line block ×8, first 2 shown]
	v_min3_f32 v95, v0, v1, v12
	v_pk_add_f32 v[0:1], v[10:11], v[54:55]
	v_min3_f32 v112, v32, v33, v66
	v_pk_add_f32 v[32:33], v[10:11], v[34:35]
	;; [unrolled: 2-line block ×4, first 2 shown]
	v_min3_f32 v36, v36, v37, s10
	v_min3_f32 v108, v32, v33, v67
	v_pk_add_f32 v[32:33], v[6:7], v[34:35]
	v_pk_add_f32 v[24:25], v[2:3], v[34:35]
	v_min3_f32 v101, v16, v17, v70
	v_pk_add_f32 v[16:17], v[6:7], v[50:51]
	v_pk_add_f32 v[8:9], v[2:3], v[50:51]
	v_min3_f32 v93, v0, v1, v4
	v_pk_add_f32 v[0:1], v[2:3], v[54:55]
	v_min3_f32 v110, v32, v33, v40
	v_min3_f32 v107, v24, v25, v41
	;; [unrolled: 1-line block ×5, first 2 shown]
	s_cbranch_scc1 .LBB16_12
; %bb.10:
	v_mov_b32_e32 v0, 0x2400
	v_lshl_add_u32 v85, v76, 4, v0
	v_mov_b32_e32 v0, 0x1000
	v_add_u32_e32 v2, 8, v60
	v_lshl_add_u32 v86, v77, 4, v0
	v_mad_i64_i32 v[0:1], s[8:9], v2, s20, 0
	v_add_u32_e32 v3, 12, v60
	v_lshlrev_b64 v[68:69], 2, v[0:1]
	v_mad_i64_i32 v[0:1], s[10:11], v3, s18, 0
	v_lshl_add_u64 v[64:65], v[56:57], 2, s[14:15]
	v_lshlrev_b64 v[70:71], 2, v[0:1]
	v_mad_i64_i32 v[0:1], s[14:15], v3, s20, 0
	s_ashr_i32 s19, s18, 31
	s_ashr_i32 s21, s20, 31
	v_lshlrev_b64 v[72:73], 2, v[0:1]
	v_mad_i64_i32 v[0:1], s[14:15], v2, s18, 0
	v_or_b32_e32 v81, 0x2000, v80
	v_add_u32_e32 v82, 0x2000, v79
	v_add_u32_e32 v83, 0x2400, v80
	v_or_b32_e32 v84, 0x1000, v80
	s_add_i32 s12, s12, -8
	v_lshl_add_u64 v[66:67], v[58:59], 2, s[16:17]
	s_lshl_b64 s[8:9], s[20:21], 5
	s_lshl_b64 s[10:11], s[18:19], 5
	v_lshlrev_b64 v[74:75], 2, v[0:1]
	s_mov_b32 s14, 0
.LBB16_11:                              ; =>This Inner Loop Header: Depth=1
	v_lshl_add_u64 v[0:1], v[64:65], 0, v[74:75]
	flat_load_dword v155, v[0:1]
	v_lshl_add_u64 v[0:1], v[66:67], 0, v[68:69]
	flat_load_dword v89, v[0:1]
	flat_load_dword v90, v[0:1] offset:256
	flat_load_dword v91, v[0:1] offset:512
	;; [unrolled: 1-line block ×3, first 2 shown]
	ds_read_b128 v[28:31], v85
	ds_read_b128 v[24:27], v85 offset:128
	ds_read_b128 v[20:23], v85 offset:256
	;; [unrolled: 1-line block ×7, first 2 shown]
	ds_read_b128 v[60:63], v86
	ds_read_b128 v[56:59], v86 offset:512
	ds_read_b128 v[52:55], v86 offset:1024
	;; [unrolled: 1-line block ×7, first 2 shown]
	s_waitcnt lgkmcnt(0)
	v_pk_add_f32 v[156:157], v[28:29], v[60:61]
	s_add_i32 s14, s14, 8
	v_min3_f32 v88, v156, v157, v88
	v_pk_add_f32 v[156:157], v[24:25], v[60:61]
	s_cmp_ge_i32 s14, s12
	v_min3_f32 v158, v156, v157, v152
	v_pk_add_f32 v[156:157], v[20:21], v[60:61]
	s_waitcnt vmcnt(0)
	ds_write_b32 v81, v155
	ds_write2st64_b32 v80, v89, v90 offset1:4
	ds_write2st64_b32 v80, v91, v154 offset0:8 offset1:12
	v_min3_f32 v156, v156, v157, v153
	v_pk_add_f32 v[152:153], v[16:17], v[60:61]
	s_waitcnt lgkmcnt(0)
	v_min3_f32 v157, v152, v153, v150
	v_pk_add_f32 v[152:153], v[12:13], v[60:61]
	s_barrier
	v_min3_f32 v152, v152, v153, v151
	v_pk_add_f32 v[150:151], v[8:9], v[60:61]
	s_nop 0
	v_min3_f32 v149, v150, v151, v149
	v_pk_add_f32 v[150:151], v[4:5], v[60:61]
	v_pk_add_f32 v[60:61], v[0:1], v[60:61]
	v_min3_f32 v150, v150, v151, v87
	v_min3_f32 v147, v60, v61, v147
	v_pk_add_f32 v[60:61], v[28:29], v[56:57]
	s_nop 0
	v_min3_f32 v148, v60, v61, v148
	v_pk_add_f32 v[60:61], v[24:25], v[56:57]
	s_nop 0
	v_min3_f32 v151, v60, v61, v145
	v_pk_add_f32 v[60:61], v[20:21], v[56:57]
	s_nop 0
	v_min3_f32 v153, v60, v61, v146
	v_pk_add_f32 v[60:61], v[16:17], v[56:57]
	s_nop 0
	v_min3_f32 v159, v60, v61, v143
	v_pk_add_f32 v[60:61], v[12:13], v[56:57]
	s_nop 0
	v_min3_f32 v146, v60, v61, v144
	v_pk_add_f32 v[60:61], v[8:9], v[56:57]
	s_nop 0
	v_min3_f32 v145, v60, v61, v141
	v_pk_add_f32 v[60:61], v[4:5], v[56:57]
	v_pk_add_f32 v[56:57], v[0:1], v[56:57]
	v_min3_f32 v144, v60, v61, v142
	v_min3_f32 v143, v56, v57, v139
	v_pk_add_f32 v[56:57], v[28:29], v[52:53]
	s_nop 0
	v_min3_f32 v142, v56, v57, v140
	v_pk_add_f32 v[56:57], v[24:25], v[52:53]
	s_nop 0
	v_min3_f32 v141, v56, v57, v137
	v_pk_add_f32 v[56:57], v[20:21], v[52:53]
	s_nop 0
	v_min3_f32 v140, v56, v57, v138
	v_pk_add_f32 v[56:57], v[16:17], v[52:53]
	s_nop 0
	v_min3_f32 v139, v56, v57, v133
	v_pk_add_f32 v[56:57], v[12:13], v[52:53]
	s_nop 0
	;; [unrolled: 22-line block ×5, first 2 shown]
	v_min3_f32 v60, v44, v45, v112
	v_pk_add_f32 v[44:45], v[8:9], v[40:41]
	s_nop 0
	v_min3_f32 v57, v44, v45, v108
	v_pk_add_f32 v[44:45], v[4:5], v[40:41]
	v_pk_add_f32 v[40:41], v[0:1], v[40:41]
	v_min3_f32 v56, v44, v45, v110
	v_min3_f32 v53, v40, v41, v107
	v_pk_add_f32 v[40:41], v[28:29], v[36:37]
	v_pk_add_f32 v[28:29], v[28:29], v[32:33]
	v_min3_f32 v52, v40, v41, v109
	v_pk_add_f32 v[40:41], v[24:25], v[36:37]
	v_pk_add_f32 v[24:25], v[24:25], v[32:33]
	;; [unrolled: 3-line block ×6, first 2 shown]
	v_pk_add_f32 v[36:37], v[0:1], v[36:37]
	v_pk_add_f32 v[8:9], v[8:9], v[32:33]
	;; [unrolled: 1-line block ×5, first 2 shown]
	v_min3_f32 v0, v0, v1, v98
	v_min3_f32 v98, v32, v33, v88
	v_pk_add_f32 v[32:33], v[26:27], v[62:63]
	v_min3_f32 v20, v20, v21, v97
	v_min3_f32 v97, v32, v33, v158
	v_pk_add_f32 v[32:33], v[22:23], v[62:63]
	;; [unrolled: 3-line block ×11, first 2 shown]
	s_nop 0
	v_min3_f32 v102, v32, v33, v159
	v_pk_add_f32 v[32:33], v[14:15], v[58:59]
	s_nop 0
	v_min3_f32 v103, v32, v33, v146
	v_pk_add_f32 v[32:33], v[10:11], v[58:59]
	;; [unrolled: 3-line block ×37, first 2 shown]
	v_pk_add_f32 v[30:31], v[30:31], v[34:35]
	v_min3_f32 v152, v32, v33, v52
	v_pk_add_f32 v[32:33], v[26:27], v[38:39]
	v_pk_add_f32 v[26:27], v[26:27], v[34:35]
	v_min3_f32 v153, v32, v33, v49
	v_pk_add_f32 v[32:33], v[22:23], v[38:39]
	;; [unrolled: 3-line block ×7, first 2 shown]
	v_pk_add_f32 v[2:3], v[2:3], v[34:35]
	v_min3_f32 v161, v32, v33, v36
	v_min3_f32 v169, v2, v3, v0
	v_lshl_add_u64 v[0:1], v[64:65], 0, v[70:71]
	flat_load_dword v89, v[0:1]
	v_lshl_add_u64 v[0:1], v[66:67], 0, v[72:73]
	v_min3_f32 v162, v30, v31, v28
	v_min3_f32 v163, v26, v27, v24
	;; [unrolled: 1-line block ×7, first 2 shown]
	flat_load_dword v90, v[0:1]
	flat_load_dword v91, v[0:1] offset:256
	flat_load_dword v154, v[0:1] offset:512
	;; [unrolled: 1-line block ×3, first 2 shown]
	ds_read_b128 v[28:31], v82
	ds_read_b128 v[24:27], v82 offset:128
	ds_read_b128 v[20:23], v82 offset:256
	;; [unrolled: 1-line block ×7, first 2 shown]
	ds_read_b128 v[60:63], v78
	ds_read_b128 v[56:59], v78 offset:512
	ds_read_b128 v[52:55], v78 offset:1024
	;; [unrolled: 1-line block ×7, first 2 shown]
	s_waitcnt lgkmcnt(0)
	v_pk_add_f32 v[118:119], v[28:29], v[60:61]
	v_lshl_add_u64 v[66:67], v[66:67], 0, s[8:9]
	v_min3_f32 v170, v118, v119, v98
	v_pk_add_f32 v[118:119], v[24:25], v[60:61]
	v_lshl_add_u64 v[64:65], v[64:65], 0, s[10:11]
	v_min3_f32 v171, v118, v119, v97
	v_pk_add_f32 v[118:119], v[20:21], v[60:61]
	s_waitcnt vmcnt(0)
	ds_write_b32 v83, v89
	ds_write2st64_b32 v84, v90, v91 offset1:4
	ds_write2st64_b32 v84, v154, v155 offset0:8 offset1:12
	v_min3_f32 v172, v118, v119, v96
	v_pk_add_f32 v[96:97], v[16:17], v[60:61]
	s_waitcnt lgkmcnt(0)
	v_min3_f32 v173, v96, v97, v95
	v_pk_add_f32 v[96:97], v[12:13], v[60:61]
	s_barrier
	v_min3_f32 v174, v96, v97, v94
	v_pk_add_f32 v[94:95], v[8:9], v[60:61]
	s_nop 0
	v_min3_f32 v175, v94, v95, v93
	v_pk_add_f32 v[94:95], v[4:5], v[60:61]
	v_pk_add_f32 v[60:61], v[0:1], v[60:61]
	v_min3_f32 v176, v94, v95, v92
	v_min3_f32 v177, v60, v61, v88
	v_pk_add_f32 v[60:61], v[28:29], v[56:57]
	s_nop 0
	v_min3_f32 v142, v60, v61, v99
	v_pk_add_f32 v[60:61], v[24:25], v[56:57]
	s_nop 0
	v_min3_f32 v140, v60, v61, v100
	v_pk_add_f32 v[60:61], v[20:21], v[56:57]
	s_nop 0
	v_min3_f32 v138, v60, v61, v101
	v_pk_add_f32 v[60:61], v[16:17], v[56:57]
	s_nop 0
	v_min3_f32 v136, v60, v61, v102
	v_pk_add_f32 v[60:61], v[12:13], v[56:57]
	s_nop 0
	v_min3_f32 v134, v60, v61, v103
	v_pk_add_f32 v[60:61], v[8:9], v[56:57]
	s_nop 0
	v_min3_f32 v123, v60, v61, v104
	v_pk_add_f32 v[60:61], v[4:5], v[56:57]
	v_pk_add_f32 v[56:57], v[0:1], v[56:57]
	v_min3_f32 v122, v60, v61, v105
	v_min3_f32 v121, v56, v57, v106
	v_pk_add_f32 v[56:57], v[28:29], v[52:53]
	s_nop 0
	v_min3_f32 v120, v56, v57, v107
	v_pk_add_f32 v[56:57], v[24:25], v[52:53]
	s_nop 0
	v_min3_f32 v119, v56, v57, v108
	v_pk_add_f32 v[56:57], v[20:21], v[52:53]
	s_nop 0
	v_min3_f32 v118, v56, v57, v109
	v_pk_add_f32 v[56:57], v[16:17], v[52:53]
	s_nop 0
	v_min3_f32 v117, v56, v57, v110
	v_pk_add_f32 v[56:57], v[12:13], v[52:53]
	s_nop 0
	;; [unrolled: 22-line block ×3, first 2 shown]
	v_min3_f32 v106, v52, v53, v128
	v_pk_add_f32 v[52:53], v[8:9], v[48:49]
	s_nop 0
	v_min3_f32 v105, v52, v53, v127
	v_pk_add_f32 v[52:53], v[4:5], v[48:49]
	v_pk_add_f32 v[48:49], v[0:1], v[48:49]
	v_min3_f32 v104, v52, v53, v126
	v_min3_f32 v103, v48, v49, v125
	v_pk_add_f32 v[48:49], v[28:29], v[44:45]
	s_nop 0
	v_min3_f32 v102, v48, v49, v124
	v_pk_add_f32 v[48:49], v[24:25], v[44:45]
	v_pk_add_f32 v[124:125], v[4:5], v[36:37]
	v_min3_f32 v101, v48, v49, v133
	v_pk_add_f32 v[48:49], v[20:21], v[44:45]
	s_nop 0
	v_min3_f32 v100, v48, v49, v135
	v_pk_add_f32 v[48:49], v[16:17], v[44:45]
	s_nop 0
	v_min3_f32 v99, v48, v49, v137
	v_pk_add_f32 v[48:49], v[12:13], v[44:45]
	s_nop 0
	v_min3_f32 v98, v48, v49, v139
	v_pk_add_f32 v[48:49], v[8:9], v[44:45]
	s_nop 0
	v_min3_f32 v97, v48, v49, v141
	v_pk_add_f32 v[48:49], v[4:5], v[44:45]
	v_pk_add_f32 v[44:45], v[0:1], v[44:45]
	v_min3_f32 v96, v48, v49, v143
	v_min3_f32 v95, v44, v45, v144
	v_pk_add_f32 v[44:45], v[28:29], v[40:41]
	s_nop 0
	v_min3_f32 v94, v44, v45, v145
	v_pk_add_f32 v[44:45], v[24:25], v[40:41]
	s_nop 0
	;; [unrolled: 3-line block ×6, first 2 shown]
	v_min3_f32 v57, v44, v45, v149
	v_pk_add_f32 v[44:45], v[4:5], v[40:41]
	v_pk_add_f32 v[40:41], v[0:1], v[40:41]
	v_min3_f32 v56, v44, v45, v150
	v_min3_f32 v53, v40, v41, v151
	v_pk_add_f32 v[40:41], v[28:29], v[36:37]
	v_pk_add_f32 v[28:29], v[28:29], v[32:33]
	v_min3_f32 v52, v40, v41, v152
	v_pk_add_f32 v[40:41], v[24:25], v[36:37]
	v_pk_add_f32 v[24:25], v[24:25], v[32:33]
	;; [unrolled: 3-line block ×6, first 2 shown]
	v_pk_add_f32 v[8:9], v[8:9], v[32:33]
	v_pk_add_f32 v[4:5], v[4:5], v[32:33]
	;; [unrolled: 1-line block ×4, first 2 shown]
	v_min3_f32 v41, v40, v41, v159
	v_min3_f32 v88, v32, v33, v170
	v_pk_add_f32 v[32:33], v[26:27], v[62:63]
	v_min3_f32 v40, v124, v125, v160
	v_min3_f32 v152, v32, v33, v171
	v_pk_add_f32 v[32:33], v[22:23], v[62:63]
	;; [unrolled: 3-line block ×11, first 2 shown]
	s_nop 0
	v_min3_f32 v143, v32, v33, v136
	v_pk_add_f32 v[32:33], v[14:15], v[58:59]
	s_nop 0
	v_min3_f32 v144, v32, v33, v134
	v_pk_add_f32 v[32:33], v[10:11], v[58:59]
	;; [unrolled: 3-line block ×37, first 2 shown]
	v_pk_add_f32 v[30:31], v[30:31], v[34:35]
	v_min3_f32 v109, v32, v33, v52
	v_pk_add_f32 v[32:33], v[26:27], v[38:39]
	v_pk_add_f32 v[26:27], v[26:27], v[34:35]
	v_min3_f32 v105, v32, v33, v49
	v_pk_add_f32 v[32:33], v[22:23], v[38:39]
	;; [unrolled: 3-line block ×7, first 2 shown]
	v_pk_add_f32 v[2:3], v[2:3], v[34:35]
	v_min3_f32 v99, v32, v33, v36
	v_min3_f32 v100, v30, v31, v28
	;; [unrolled: 1-line block ×9, first 2 shown]
	s_cbranch_scc0 .LBB16_11
.LBB16_12:
	s_load_dwordx2 s[10:11], s[0:1], 0x70
	ds_read_b128 v[32:35], v79 offset:9216
	ds_read_b128 v[60:63], v78 offset:4096
	s_load_dword s8, s[0:1], 0x50
	s_load_dword s9, s[0:1], 0x68
	v_add_u32_e32 v68, s22, v76
	v_add_u32_e32 v154, s23, v77
	s_waitcnt lgkmcnt(0)
	s_lshl_b64 s[0:1], s[10:11], 2
	v_pk_add_f32 v[0:1], v[32:33], v[60:61]
	s_add_u32 s0, s2, s0
	v_min3_f32 v2, v0, v1, v88
	v_pk_add_f32 v[0:1], v[34:35], v[62:63]
	s_addc_u32 s1, s3, s1
	v_min3_f32 v2, v0, v1, v2
	v_add_u32_e32 v64, 8, v68
	v_mad_i64_i32 v[0:1], s[2:3], v154, s9, 0
	v_ashrrev_i32_e32 v69, 31, v68
	v_ashrrev_i32_e32 v65, 31, v64
	v_lshl_add_u64 v[88:89], v[0:1], 2, s[0:1]
	v_mad_i64_i32 v[0:1], s[2:3], v154, s8, 0
	v_max_f32_e32 v2, v2, v2
	s_mov_b64 vcc, s[4:5]
	s_cbranch_vccz .LBB16_14
; %bb.13:
	v_min_f32_e32 v3, 0, v2
	v_lshl_add_u64 v[4:5], v[68:69], 2, v[88:89]
	s_mov_b32 s10, 0
	global_store_dword v[4:5], v3, off
	s_mov_b64 s[2:3], 0
	s_branch .LBB16_15
.LBB16_14:
	s_mov_b64 s[2:3], -1
                                        ; implicit-def: $sgpr10
.LBB16_15:
	ds_read_b128 v[28:31], v79 offset:9344
	ds_read_b128 v[24:27], v79 offset:9472
	v_lshl_add_u64 v[90:91], v[0:1], 2, s[6:7]
	s_andn2_b64 vcc, exec, s[2:3]
	v_lshlrev_b64 v[72:73], 2, v[68:69]
	s_cbranch_vccnz .LBB16_17
; %bb.16:
	v_lshl_add_u64 v[0:1], v[90:91], 0, v[72:73]
	flat_load_dword v3, v[0:1]
	v_lshl_add_u64 v[0:1], v[88:89], 0, v[72:73]
	s_waitcnt vmcnt(0) lgkmcnt(0)
	v_mul_f32_e32 v3, s13, v3
	v_min_f32_e32 v2, v3, v2
	global_store_dword v[0:1], v2, off
	v_lshl_add_u64 v[0:1], v[64:65], 2, v[90:91]
	flat_load_dword v0, v[0:1]
	s_waitcnt vmcnt(0) lgkmcnt(0)
	v_mul_f32_e32 v70, s13, v0
	s_branch .LBB16_18
.LBB16_17:
	v_mov_b32_e32 v70, s10
.LBB16_18:
	ds_read_b128 v[16:19], v79 offset:9728
	ds_read_b128 v[12:15], v79 offset:9856
	;; [unrolled: 1-line block ×12, first 2 shown]
	s_waitcnt lgkmcnt(13)
	v_pk_add_f32 v[66:67], v[28:29], v[60:61]
	s_mov_b64 vcc, s[4:5]
	v_min3_f32 v71, v66, v67, v152
	s_waitcnt lgkmcnt(12)
	v_pk_add_f32 v[66:67], v[24:25], v[60:61]
	s_nop 0
	v_min3_f32 v74, v66, v67, v153
	v_pk_add_f32 v[66:67], v[30:31], v[62:63]
	s_nop 0
	v_min_f32_e32 v76, v66, v67
	v_pk_add_f32 v[66:67], v[26:27], v[62:63]
	v_min3_f32 v76, v70, v76, v71
	v_min3_f32 v77, v66, v67, v74
	v_add_u32_e32 v74, 16, v68
	v_add_u32_e32 v66, 24, v68
	v_lshl_add_u64 v[70:71], v[64:65], 2, v[88:89]
	v_ashrrev_i32_e32 v75, 31, v74
	v_ashrrev_i32_e32 v67, 31, v66
	global_store_dword v[70:71], v76, off
	v_max_f32_e32 v70, v77, v77
	s_cbranch_vccz .LBB16_21
; %bb.19:
	v_min_f32_e32 v71, 0, v70
	v_lshl_add_u64 v[76:77], v[74:75], 2, v[88:89]
	s_mov_b32 s10, 0
	global_store_dword v[76:77], v71, off
	v_lshlrev_b64 v[78:79], 2, v[74:75]
	s_cbranch_execz .LBB16_22
; %bb.20:
	v_mov_b32_e32 v76, s10
	s_branch .LBB16_23
.LBB16_21:
                                        ; implicit-def: $sgpr10
	v_lshlrev_b64 v[78:79], 2, v[74:75]
.LBB16_22:
	v_lshl_add_u64 v[76:77], v[90:91], 0, v[78:79]
	flat_load_dword v71, v[76:77]
	v_lshl_add_u64 v[76:77], v[88:89], 0, v[78:79]
	s_waitcnt vmcnt(0) lgkmcnt(0)
	v_mul_f32_e32 v71, s13, v71
	v_min_f32_e32 v70, v71, v70
	global_store_dword v[76:77], v70, off
	v_lshl_add_u64 v[70:71], v[66:67], 2, v[90:91]
	flat_load_dword v70, v[70:71]
	s_waitcnt vmcnt(0) lgkmcnt(0)
	v_mul_f32_e32 v76, s13, v70
.LBB16_23:
	s_waitcnt lgkmcnt(1)
	v_pk_add_f32 v[70:71], v[20:21], v[60:61]
	s_mov_b64 vcc, s[4:5]
	v_min3_f32 v77, v70, v71, v150
	v_pk_add_f32 v[70:71], v[16:17], v[60:61]
	s_nop 0
	v_min3_f32 v80, v70, v71, v151
	v_pk_add_f32 v[70:71], v[22:23], v[62:63]
	s_nop 0
	v_min_f32_e32 v82, v70, v71
	v_pk_add_f32 v[70:71], v[18:19], v[62:63]
	v_min3_f32 v82, v76, v82, v77
	v_min3_f32 v83, v70, v71, v80
	v_add_u32_e32 v80, 32, v68
	v_add_u32_e32 v70, 40, v68
	v_lshl_add_u64 v[76:77], v[66:67], 2, v[88:89]
	v_ashrrev_i32_e32 v81, 31, v80
	v_ashrrev_i32_e32 v71, 31, v70
	global_store_dword v[76:77], v82, off
	v_max_f32_e32 v76, v83, v83
	s_cbranch_vccz .LBB16_26
; %bb.24:
	v_min_f32_e32 v77, 0, v76
	v_lshl_add_u64 v[82:83], v[80:81], 2, v[88:89]
	s_mov_b32 s10, 0
	global_store_dword v[82:83], v77, off
	v_lshlrev_b64 v[82:83], 2, v[80:81]
	s_cbranch_execz .LBB16_27
; %bb.25:
	v_mov_b32_e32 v86, s10
	s_branch .LBB16_28
.LBB16_26:
                                        ; implicit-def: $sgpr10
	v_lshlrev_b64 v[82:83], 2, v[80:81]
.LBB16_27:
	v_lshl_add_u64 v[84:85], v[90:91], 0, v[82:83]
	flat_load_dword v77, v[84:85]
	v_lshl_add_u64 v[84:85], v[88:89], 0, v[82:83]
	s_waitcnt vmcnt(0) lgkmcnt(0)
	v_mul_f32_e32 v77, s13, v77
	v_min_f32_e32 v76, v77, v76
	global_store_dword v[84:85], v76, off
	v_lshl_add_u64 v[76:77], v[70:71], 2, v[90:91]
	flat_load_dword v76, v[76:77]
	s_waitcnt vmcnt(0) lgkmcnt(0)
	v_mul_f32_e32 v86, s13, v76
.LBB16_28:
	v_pk_add_f32 v[76:77], v[12:13], v[60:61]
	s_mov_b64 vcc, s[4:5]
	v_min3_f32 v149, v76, v77, v149
	v_pk_add_f32 v[76:77], v[8:9], v[60:61]
	s_nop 0
	v_min3_f32 v84, v76, v77, v87
	v_pk_add_f32 v[76:77], v[14:15], v[62:63]
	s_nop 0
	v_min_f32_e32 v87, v76, v77
	v_pk_add_f32 v[76:77], v[10:11], v[62:63]
	v_min3_f32 v149, v86, v87, v149
	v_min3_f32 v150, v76, v77, v84
	v_add_u32_e32 v84, 48, v68
	v_add_u32_e32 v76, 56, v68
	v_lshl_add_u64 v[86:87], v[70:71], 2, v[88:89]
	v_ashrrev_i32_e32 v85, 31, v84
	v_ashrrev_i32_e32 v77, 31, v76
	global_store_dword v[86:87], v149, off
	v_max_f32_e32 v149, v150, v150
	s_cbranch_vccz .LBB16_31
; %bb.29:
	v_min_f32_e32 v150, 0, v149
	v_lshl_add_u64 v[86:87], v[84:85], 2, v[88:89]
	s_mov_b32 s10, 0
	global_store_dword v[86:87], v150, off
	v_lshlrev_b64 v[86:87], 2, v[84:85]
	s_cbranch_execz .LBB16_32
; %bb.30:
	v_mov_b32_e32 v90, s10
	s_branch .LBB16_33
.LBB16_31:
                                        ; implicit-def: $sgpr10
	v_lshlrev_b64 v[86:87], 2, v[84:85]
.LBB16_32:
	v_lshl_add_u64 v[150:151], v[90:91], 0, v[86:87]
	flat_load_dword v152, v[150:151]
	v_lshl_add_u64 v[150:151], v[88:89], 0, v[86:87]
	v_lshl_add_u64 v[90:91], v[76:77], 2, v[90:91]
	s_waitcnt vmcnt(0) lgkmcnt(0)
	v_mul_f32_e32 v152, s13, v152
	v_min_f32_e32 v149, v152, v149
	global_store_dword v[150:151], v149, off
	flat_load_dword v90, v[90:91]
	s_waitcnt vmcnt(0) lgkmcnt(0)
	v_mul_f32_e32 v90, s13, v90
.LBB16_33:
	v_pk_add_f32 v[60:61], v[0:1], v[60:61]
	s_mov_b64 vcc, s[4:5]
	v_min3_f32 v91, v60, v61, v147
	v_pk_add_f32 v[60:61], v[32:33], v[56:57]
	s_nop 0
	v_min3_f32 v147, v60, v61, v148
	v_pk_add_f32 v[60:61], v[2:3], v[62:63]
	s_nop 0
	v_min_f32_e32 v62, v60, v61
	v_pk_add_f32 v[60:61], v[34:35], v[58:59]
	v_min3_f32 v62, v90, v62, v91
	v_min3_f32 v147, v60, v61, v147
	v_lshl_add_u64 v[60:61], v[76:77], 2, v[88:89]
	global_store_dword v[60:61], v62, off
	v_add_u32_e32 v62, 32, v154
	v_mad_i64_i32 v[60:61], s[2:3], v62, s9, 0
	v_lshl_add_u64 v[60:61], v[60:61], 2, s[0:1]
	v_mad_i64_i32 v[62:63], s[2:3], v62, s8, 0
	v_max_f32_e32 v88, v147, v147
	s_cbranch_vccz .LBB16_36
; %bb.34:
	v_min_f32_e32 v89, 0, v88
	v_lshl_add_u64 v[90:91], v[68:69], 2, v[60:61]
	s_mov_b32 s10, 0
	global_store_dword v[90:91], v89, off
	v_lshl_add_u64 v[62:63], v[62:63], 2, s[6:7]
	s_cbranch_execz .LBB16_37
; %bb.35:
	v_mov_b32_e32 v88, s10
	s_branch .LBB16_38
.LBB16_36:
                                        ; implicit-def: $sgpr10
	v_lshl_add_u64 v[62:63], v[62:63], 2, s[6:7]
.LBB16_37:
	v_lshl_add_u64 v[90:91], v[62:63], 0, v[72:73]
	flat_load_dword v89, v[90:91]
	v_lshl_add_u64 v[90:91], v[60:61], 0, v[72:73]
	s_waitcnt vmcnt(0) lgkmcnt(0)
	v_mul_f32_e32 v89, s13, v89
	v_min_f32_e32 v88, v89, v88
	global_store_dword v[90:91], v88, off
	v_lshl_add_u64 v[88:89], v[64:65], 2, v[62:63]
	flat_load_dword v88, v[88:89]
	s_waitcnt vmcnt(0) lgkmcnt(0)
	v_mul_f32_e32 v88, s13, v88
.LBB16_38:
	v_pk_add_f32 v[90:91], v[28:29], v[56:57]
	s_mov_b64 vcc, s[4:5]
	v_min3_f32 v89, v90, v91, v145
	v_pk_add_f32 v[90:91], v[24:25], v[56:57]
	s_nop 0
	v_min3_f32 v145, v90, v91, v146
	v_pk_add_f32 v[90:91], v[30:31], v[58:59]
	s_nop 0
	v_min_f32_e32 v146, v90, v91
	v_pk_add_f32 v[90:91], v[26:27], v[58:59]
	s_nop 0
	v_min3_f32 v90, v90, v91, v145
	v_min3_f32 v91, v88, v146, v89
	v_lshl_add_u64 v[88:89], v[64:65], 2, v[60:61]
	global_store_dword v[88:89], v91, off
	v_max_f32_e32 v88, v90, v90
	s_cbranch_vccz .LBB16_41
; %bb.39:
	v_min_f32_e32 v89, 0, v88
	v_lshl_add_u64 v[90:91], v[74:75], 2, v[60:61]
	s_mov_b32 s10, 0
	global_store_dword v[90:91], v89, off
	s_cbranch_execz .LBB16_42
; %bb.40:
	v_mov_b32_e32 v88, s10
	s_branch .LBB16_43
.LBB16_41:
                                        ; implicit-def: $sgpr10
.LBB16_42:
	v_lshl_add_u64 v[90:91], v[62:63], 0, v[78:79]
	flat_load_dword v89, v[90:91]
	v_lshl_add_u64 v[90:91], v[60:61], 0, v[78:79]
	s_waitcnt vmcnt(0) lgkmcnt(0)
	v_mul_f32_e32 v89, s13, v89
	v_min_f32_e32 v88, v89, v88
	global_store_dword v[90:91], v88, off
	v_lshl_add_u64 v[88:89], v[66:67], 2, v[62:63]
	flat_load_dword v88, v[88:89]
	s_waitcnt vmcnt(0) lgkmcnt(0)
	v_mul_f32_e32 v88, s13, v88
.LBB16_43:
	v_pk_add_f32 v[90:91], v[20:21], v[56:57]
	s_mov_b64 vcc, s[4:5]
	v_min3_f32 v89, v90, v91, v143
	v_pk_add_f32 v[90:91], v[16:17], v[56:57]
	s_nop 0
	v_min3_f32 v143, v90, v91, v144
	v_pk_add_f32 v[90:91], v[22:23], v[58:59]
	s_nop 0
	v_min_f32_e32 v144, v90, v91
	v_pk_add_f32 v[90:91], v[18:19], v[58:59]
	s_nop 0
	v_min3_f32 v90, v90, v91, v143
	v_min3_f32 v91, v88, v144, v89
	v_lshl_add_u64 v[88:89], v[66:67], 2, v[60:61]
	global_store_dword v[88:89], v91, off
	v_max_f32_e32 v88, v90, v90
	s_cbranch_vccz .LBB16_46
; %bb.44:
	v_min_f32_e32 v89, 0, v88
	v_lshl_add_u64 v[90:91], v[80:81], 2, v[60:61]
	s_mov_b32 s10, 0
	global_store_dword v[90:91], v89, off
	s_cbranch_execz .LBB16_47
; %bb.45:
	v_mov_b32_e32 v88, s10
	s_branch .LBB16_48
.LBB16_46:
                                        ; implicit-def: $sgpr10
.LBB16_47:
	v_lshl_add_u64 v[90:91], v[62:63], 0, v[82:83]
	flat_load_dword v89, v[90:91]
	v_lshl_add_u64 v[90:91], v[60:61], 0, v[82:83]
	s_waitcnt vmcnt(0) lgkmcnt(0)
	v_mul_f32_e32 v89, s13, v89
	v_min_f32_e32 v88, v89, v88
	global_store_dword v[90:91], v88, off
	v_lshl_add_u64 v[88:89], v[70:71], 2, v[62:63]
	flat_load_dword v88, v[88:89]
	s_waitcnt vmcnt(0) lgkmcnt(0)
	v_mul_f32_e32 v88, s13, v88
.LBB16_48:
	v_pk_add_f32 v[90:91], v[12:13], v[56:57]
	s_mov_b64 vcc, s[4:5]
	v_min3_f32 v89, v90, v91, v141
	v_pk_add_f32 v[90:91], v[8:9], v[56:57]
	s_nop 0
	v_min3_f32 v141, v90, v91, v142
	v_pk_add_f32 v[90:91], v[14:15], v[58:59]
	s_nop 0
	v_min_f32_e32 v142, v90, v91
	v_pk_add_f32 v[90:91], v[10:11], v[58:59]
	s_nop 0
	v_min3_f32 v90, v90, v91, v141
	v_min3_f32 v91, v88, v142, v89
	v_lshl_add_u64 v[88:89], v[70:71], 2, v[60:61]
	global_store_dword v[88:89], v91, off
	v_max_f32_e32 v88, v90, v90
	s_cbranch_vccz .LBB16_51
; %bb.49:
	v_min_f32_e32 v89, 0, v88
	v_lshl_add_u64 v[90:91], v[84:85], 2, v[60:61]
	s_mov_b32 s10, 0
	global_store_dword v[90:91], v89, off
	s_cbranch_execz .LBB16_52
; %bb.50:
	v_mov_b32_e32 v62, s10
	s_branch .LBB16_53
.LBB16_51:
                                        ; implicit-def: $sgpr10
.LBB16_52:
	v_lshl_add_u64 v[90:91], v[62:63], 0, v[86:87]
	flat_load_dword v89, v[90:91]
	v_lshl_add_u64 v[90:91], v[60:61], 0, v[86:87]
	v_lshl_add_u64 v[62:63], v[76:77], 2, v[62:63]
	s_waitcnt vmcnt(0) lgkmcnt(0)
	v_mul_f32_e32 v89, s13, v89
	v_min_f32_e32 v88, v89, v88
	global_store_dword v[90:91], v88, off
	flat_load_dword v62, v[62:63]
	s_waitcnt vmcnt(0) lgkmcnt(0)
	v_mul_f32_e32 v62, s13, v62
.LBB16_53:
	v_pk_add_f32 v[56:57], v[0:1], v[56:57]
	s_mov_b64 vcc, s[4:5]
	v_min3_f32 v63, v56, v57, v139
	v_pk_add_f32 v[56:57], v[32:33], v[52:53]
	s_nop 0
	v_min3_f32 v88, v56, v57, v140
	v_pk_add_f32 v[56:57], v[2:3], v[58:59]
	s_nop 0
	v_min_f32_e32 v58, v56, v57
	v_pk_add_f32 v[56:57], v[34:35], v[54:55]
	v_min3_f32 v58, v62, v58, v63
	v_min3_f32 v88, v56, v57, v88
	v_lshl_add_u64 v[56:57], v[76:77], 2, v[60:61]
	global_store_dword v[56:57], v58, off
	v_add_u32_e32 v58, 64, v154
	v_mad_i64_i32 v[56:57], s[2:3], v58, s9, 0
	v_lshl_add_u64 v[56:57], v[56:57], 2, s[0:1]
	v_mad_i64_i32 v[58:59], s[2:3], v58, s8, 0
	v_max_f32_e32 v60, v88, v88
	s_cbranch_vccz .LBB16_56
; %bb.54:
	v_min_f32_e32 v61, 0, v60
	v_lshl_add_u64 v[62:63], v[68:69], 2, v[56:57]
	s_mov_b32 s10, 0
	global_store_dword v[62:63], v61, off
	v_lshl_add_u64 v[58:59], v[58:59], 2, s[6:7]
	s_cbranch_execz .LBB16_57
; %bb.55:
	v_mov_b32_e32 v60, s10
	s_branch .LBB16_58
.LBB16_56:
                                        ; implicit-def: $sgpr10
	v_lshl_add_u64 v[58:59], v[58:59], 2, s[6:7]
.LBB16_57:
	v_lshl_add_u64 v[62:63], v[58:59], 0, v[72:73]
	flat_load_dword v61, v[62:63]
	v_lshl_add_u64 v[62:63], v[56:57], 0, v[72:73]
	s_waitcnt vmcnt(0) lgkmcnt(0)
	v_mul_f32_e32 v61, s13, v61
	v_min_f32_e32 v60, v61, v60
	global_store_dword v[62:63], v60, off
	v_lshl_add_u64 v[60:61], v[64:65], 2, v[58:59]
	flat_load_dword v60, v[60:61]
	s_waitcnt vmcnt(0) lgkmcnt(0)
	v_mul_f32_e32 v60, s13, v60
.LBB16_58:
	v_pk_add_f32 v[62:63], v[28:29], v[52:53]
	s_mov_b64 vcc, s[4:5]
	v_min3_f32 v61, v62, v63, v137
	v_pk_add_f32 v[62:63], v[24:25], v[52:53]
	s_nop 0
	v_min3_f32 v88, v62, v63, v138
	v_pk_add_f32 v[62:63], v[30:31], v[54:55]
	s_nop 0
	v_min_f32_e32 v89, v62, v63
	v_pk_add_f32 v[62:63], v[26:27], v[54:55]
	s_nop 0
	v_min3_f32 v62, v62, v63, v88
	v_min3_f32 v63, v60, v89, v61
	v_lshl_add_u64 v[60:61], v[64:65], 2, v[56:57]
	global_store_dword v[60:61], v63, off
	v_max_f32_e32 v60, v62, v62
	s_cbranch_vccz .LBB16_61
; %bb.59:
	v_min_f32_e32 v61, 0, v60
	v_lshl_add_u64 v[62:63], v[74:75], 2, v[56:57]
	s_mov_b32 s10, 0
	global_store_dword v[62:63], v61, off
	s_cbranch_execz .LBB16_62
; %bb.60:
	v_mov_b32_e32 v60, s10
	s_branch .LBB16_63
.LBB16_61:
                                        ; implicit-def: $sgpr10
.LBB16_62:
	v_lshl_add_u64 v[62:63], v[58:59], 0, v[78:79]
	flat_load_dword v61, v[62:63]
	v_lshl_add_u64 v[62:63], v[56:57], 0, v[78:79]
	s_waitcnt vmcnt(0) lgkmcnt(0)
	v_mul_f32_e32 v61, s13, v61
	v_min_f32_e32 v60, v61, v60
	global_store_dword v[62:63], v60, off
	v_lshl_add_u64 v[60:61], v[66:67], 2, v[58:59]
	flat_load_dword v60, v[60:61]
	s_waitcnt vmcnt(0) lgkmcnt(0)
	v_mul_f32_e32 v60, s13, v60
.LBB16_63:
	v_pk_add_f32 v[62:63], v[20:21], v[52:53]
	s_mov_b64 vcc, s[4:5]
	v_min3_f32 v61, v62, v63, v133
	v_pk_add_f32 v[62:63], v[16:17], v[52:53]
	s_nop 0
	v_min3_f32 v88, v62, v63, v135
	v_pk_add_f32 v[62:63], v[22:23], v[54:55]
	s_nop 0
	v_min_f32_e32 v89, v62, v63
	v_pk_add_f32 v[62:63], v[18:19], v[54:55]
	s_nop 0
	v_min3_f32 v62, v62, v63, v88
	v_min3_f32 v63, v60, v89, v61
	v_lshl_add_u64 v[60:61], v[66:67], 2, v[56:57]
	global_store_dword v[60:61], v63, off
	v_max_f32_e32 v60, v62, v62
	s_cbranch_vccz .LBB16_66
; %bb.64:
	v_min_f32_e32 v61, 0, v60
	v_lshl_add_u64 v[62:63], v[80:81], 2, v[56:57]
	s_mov_b32 s10, 0
	global_store_dword v[62:63], v61, off
	s_cbranch_execz .LBB16_67
; %bb.65:
	v_mov_b32_e32 v60, s10
	s_branch .LBB16_68
.LBB16_66:
                                        ; implicit-def: $sgpr10
.LBB16_67:
	v_lshl_add_u64 v[62:63], v[58:59], 0, v[82:83]
	flat_load_dword v61, v[62:63]
	v_lshl_add_u64 v[62:63], v[56:57], 0, v[82:83]
	s_waitcnt vmcnt(0) lgkmcnt(0)
	v_mul_f32_e32 v61, s13, v61
	v_min_f32_e32 v60, v61, v60
	global_store_dword v[62:63], v60, off
	v_lshl_add_u64 v[60:61], v[70:71], 2, v[58:59]
	flat_load_dword v60, v[60:61]
	s_waitcnt vmcnt(0) lgkmcnt(0)
	v_mul_f32_e32 v60, s13, v60
.LBB16_68:
	v_pk_add_f32 v[62:63], v[12:13], v[52:53]
	s_mov_b64 vcc, s[4:5]
	v_min3_f32 v61, v62, v63, v129
	v_pk_add_f32 v[62:63], v[8:9], v[52:53]
	s_nop 0
	v_min3_f32 v88, v62, v63, v130
	v_pk_add_f32 v[62:63], v[14:15], v[54:55]
	s_nop 0
	v_min_f32_e32 v89, v62, v63
	v_pk_add_f32 v[62:63], v[10:11], v[54:55]
	s_nop 0
	v_min3_f32 v62, v62, v63, v88
	v_min3_f32 v63, v60, v89, v61
	v_lshl_add_u64 v[60:61], v[70:71], 2, v[56:57]
	global_store_dword v[60:61], v63, off
	v_max_f32_e32 v60, v62, v62
	s_cbranch_vccz .LBB16_71
; %bb.69:
	v_min_f32_e32 v61, 0, v60
	v_lshl_add_u64 v[62:63], v[84:85], 2, v[56:57]
	s_mov_b32 s10, 0
	global_store_dword v[62:63], v61, off
	s_cbranch_execz .LBB16_72
; %bb.70:
	v_mov_b32_e32 v58, s10
	s_branch .LBB16_73
.LBB16_71:
                                        ; implicit-def: $sgpr10
.LBB16_72:
	v_lshl_add_u64 v[62:63], v[58:59], 0, v[86:87]
	flat_load_dword v61, v[62:63]
	v_lshl_add_u64 v[62:63], v[56:57], 0, v[86:87]
	v_lshl_add_u64 v[58:59], v[76:77], 2, v[58:59]
	s_waitcnt vmcnt(0) lgkmcnt(0)
	v_mul_f32_e32 v61, s13, v61
	v_min_f32_e32 v60, v61, v60
	global_store_dword v[62:63], v60, off
	flat_load_dword v58, v[58:59]
	s_waitcnt vmcnt(0) lgkmcnt(0)
	v_mul_f32_e32 v58, s13, v58
.LBB16_73:
	v_pk_add_f32 v[52:53], v[0:1], v[52:53]
	s_mov_b64 vcc, s[4:5]
	v_min3_f32 v59, v52, v53, v134
	v_pk_add_f32 v[52:53], v[32:33], v[48:49]
	s_nop 0
	v_min3_f32 v60, v52, v53, v136
	v_pk_add_f32 v[52:53], v[2:3], v[54:55]
	s_nop 0
	v_min_f32_e32 v54, v52, v53
	v_pk_add_f32 v[52:53], v[34:35], v[50:51]
	v_min3_f32 v54, v58, v54, v59
	v_min3_f32 v60, v52, v53, v60
	v_lshl_add_u64 v[52:53], v[76:77], 2, v[56:57]
	global_store_dword v[52:53], v54, off
	v_add_u32_e32 v54, 0x60, v154
	v_mad_i64_i32 v[52:53], s[2:3], v54, s9, 0
	v_lshl_add_u64 v[52:53], v[52:53], 2, s[0:1]
	v_mad_i64_i32 v[54:55], s[2:3], v54, s8, 0
	v_max_f32_e32 v56, v60, v60
	s_cbranch_vccz .LBB16_76
; %bb.74:
	v_min_f32_e32 v57, 0, v56
	v_lshl_add_u64 v[58:59], v[68:69], 2, v[52:53]
	s_mov_b32 s10, 0
	global_store_dword v[58:59], v57, off
	v_lshl_add_u64 v[54:55], v[54:55], 2, s[6:7]
	s_cbranch_execz .LBB16_77
; %bb.75:
	v_mov_b32_e32 v56, s10
	s_branch .LBB16_78
.LBB16_76:
                                        ; implicit-def: $sgpr10
	v_lshl_add_u64 v[54:55], v[54:55], 2, s[6:7]
.LBB16_77:
	v_lshl_add_u64 v[58:59], v[54:55], 0, v[72:73]
	flat_load_dword v57, v[58:59]
	v_lshl_add_u64 v[58:59], v[52:53], 0, v[72:73]
	s_waitcnt vmcnt(0) lgkmcnt(0)
	v_mul_f32_e32 v57, s13, v57
	v_min_f32_e32 v56, v57, v56
	global_store_dword v[58:59], v56, off
	v_lshl_add_u64 v[56:57], v[64:65], 2, v[54:55]
	flat_load_dword v56, v[56:57]
	s_waitcnt vmcnt(0) lgkmcnt(0)
	v_mul_f32_e32 v56, s13, v56
.LBB16_78:
	v_pk_add_f32 v[58:59], v[28:29], v[48:49]
	s_mov_b64 vcc, s[4:5]
	v_min3_f32 v57, v58, v59, v131
	v_pk_add_f32 v[58:59], v[24:25], v[48:49]
	s_nop 0
	v_min3_f32 v60, v58, v59, v132
	v_pk_add_f32 v[58:59], v[30:31], v[50:51]
	s_nop 0
	v_min_f32_e32 v61, v58, v59
	v_pk_add_f32 v[58:59], v[26:27], v[50:51]
	s_nop 0
	v_min3_f32 v58, v58, v59, v60
	v_min3_f32 v59, v56, v61, v57
	v_lshl_add_u64 v[56:57], v[64:65], 2, v[52:53]
	global_store_dword v[56:57], v59, off
	v_max_f32_e32 v56, v58, v58
	s_cbranch_vccz .LBB16_81
; %bb.79:
	v_min_f32_e32 v57, 0, v56
	v_lshl_add_u64 v[58:59], v[74:75], 2, v[52:53]
	s_mov_b32 s10, 0
	global_store_dword v[58:59], v57, off
	s_cbranch_execz .LBB16_82
; %bb.80:
	v_mov_b32_e32 v56, s10
	s_branch .LBB16_83
.LBB16_81:
                                        ; implicit-def: $sgpr10
.LBB16_82:
	v_lshl_add_u64 v[58:59], v[54:55], 0, v[78:79]
	flat_load_dword v57, v[58:59]
	v_lshl_add_u64 v[58:59], v[52:53], 0, v[78:79]
	s_waitcnt vmcnt(0) lgkmcnt(0)
	v_mul_f32_e32 v57, s13, v57
	v_min_f32_e32 v56, v57, v56
	global_store_dword v[58:59], v56, off
	v_lshl_add_u64 v[56:57], v[66:67], 2, v[54:55]
	flat_load_dword v56, v[56:57]
	s_waitcnt vmcnt(0) lgkmcnt(0)
	v_mul_f32_e32 v56, s13, v56
.LBB16_83:
	v_pk_add_f32 v[58:59], v[20:21], v[48:49]
	s_mov_b64 vcc, s[4:5]
	v_min3_f32 v57, v58, v59, v127
	v_pk_add_f32 v[58:59], v[16:17], v[48:49]
	s_nop 0
	v_min3_f32 v60, v58, v59, v128
	v_pk_add_f32 v[58:59], v[22:23], v[50:51]
	s_nop 0
	v_min_f32_e32 v61, v58, v59
	v_pk_add_f32 v[58:59], v[18:19], v[50:51]
	s_nop 0
	v_min3_f32 v58, v58, v59, v60
	v_min3_f32 v59, v56, v61, v57
	v_lshl_add_u64 v[56:57], v[66:67], 2, v[52:53]
	global_store_dword v[56:57], v59, off
	v_max_f32_e32 v56, v58, v58
	s_cbranch_vccz .LBB16_86
; %bb.84:
	v_min_f32_e32 v57, 0, v56
	v_lshl_add_u64 v[58:59], v[80:81], 2, v[52:53]
	s_mov_b32 s10, 0
	global_store_dword v[58:59], v57, off
	s_cbranch_execz .LBB16_87
; %bb.85:
	v_mov_b32_e32 v56, s10
	s_branch .LBB16_88
.LBB16_86:
                                        ; implicit-def: $sgpr10
.LBB16_87:
	v_lshl_add_u64 v[58:59], v[54:55], 0, v[82:83]
	flat_load_dword v57, v[58:59]
	v_lshl_add_u64 v[58:59], v[52:53], 0, v[82:83]
	s_waitcnt vmcnt(0) lgkmcnt(0)
	v_mul_f32_e32 v57, s13, v57
	v_min_f32_e32 v56, v57, v56
	global_store_dword v[58:59], v56, off
	v_lshl_add_u64 v[56:57], v[70:71], 2, v[54:55]
	flat_load_dword v56, v[56:57]
	s_waitcnt vmcnt(0) lgkmcnt(0)
	v_mul_f32_e32 v56, s13, v56
.LBB16_88:
	v_pk_add_f32 v[58:59], v[12:13], v[48:49]
	s_mov_b64 vcc, s[4:5]
	v_min3_f32 v57, v58, v59, v125
	v_pk_add_f32 v[58:59], v[8:9], v[48:49]
	s_nop 0
	v_min3_f32 v60, v58, v59, v126
	v_pk_add_f32 v[58:59], v[14:15], v[50:51]
	s_nop 0
	v_min_f32_e32 v61, v58, v59
	v_pk_add_f32 v[58:59], v[10:11], v[50:51]
	s_nop 0
	v_min3_f32 v58, v58, v59, v60
	v_min3_f32 v59, v56, v61, v57
	v_lshl_add_u64 v[56:57], v[70:71], 2, v[52:53]
	global_store_dword v[56:57], v59, off
	v_max_f32_e32 v56, v58, v58
	s_cbranch_vccz .LBB16_91
; %bb.89:
	v_min_f32_e32 v57, 0, v56
	v_lshl_add_u64 v[58:59], v[84:85], 2, v[52:53]
	s_mov_b32 s10, 0
	global_store_dword v[58:59], v57, off
	s_cbranch_execz .LBB16_92
; %bb.90:
	v_mov_b32_e32 v54, s10
	s_branch .LBB16_93
.LBB16_91:
                                        ; implicit-def: $sgpr10
.LBB16_92:
	v_lshl_add_u64 v[58:59], v[54:55], 0, v[86:87]
	flat_load_dword v57, v[58:59]
	v_lshl_add_u64 v[58:59], v[52:53], 0, v[86:87]
	v_lshl_add_u64 v[54:55], v[76:77], 2, v[54:55]
	s_waitcnt vmcnt(0) lgkmcnt(0)
	v_mul_f32_e32 v57, s13, v57
	v_min_f32_e32 v56, v57, v56
	global_store_dword v[58:59], v56, off
	flat_load_dword v54, v[54:55]
	s_waitcnt vmcnt(0) lgkmcnt(0)
	v_mul_f32_e32 v54, s13, v54
.LBB16_93:
	v_pk_add_f32 v[48:49], v[0:1], v[48:49]
	s_mov_b64 vcc, s[4:5]
	v_min3_f32 v55, v48, v49, v123
	v_pk_add_f32 v[48:49], v[32:33], v[44:45]
	s_nop 0
	v_min3_f32 v56, v48, v49, v124
	v_pk_add_f32 v[48:49], v[2:3], v[50:51]
	s_nop 0
	v_min_f32_e32 v50, v48, v49
	v_pk_add_f32 v[48:49], v[34:35], v[46:47]
	v_min3_f32 v50, v54, v50, v55
	v_min3_f32 v56, v48, v49, v56
	v_lshl_add_u64 v[48:49], v[76:77], 2, v[52:53]
	global_store_dword v[48:49], v50, off
	v_add_u32_e32 v50, 0x80, v154
	v_mad_i64_i32 v[48:49], s[2:3], v50, s9, 0
	v_lshl_add_u64 v[48:49], v[48:49], 2, s[0:1]
	v_mad_i64_i32 v[50:51], s[2:3], v50, s8, 0
	v_max_f32_e32 v52, v56, v56
	s_cbranch_vccz .LBB16_96
; %bb.94:
	v_min_f32_e32 v53, 0, v52
	v_lshl_add_u64 v[54:55], v[68:69], 2, v[48:49]
	s_mov_b32 s10, 0
	global_store_dword v[54:55], v53, off
	v_lshl_add_u64 v[50:51], v[50:51], 2, s[6:7]
	s_cbranch_execz .LBB16_97
; %bb.95:
	v_mov_b32_e32 v52, s10
	s_branch .LBB16_98
.LBB16_96:
                                        ; implicit-def: $sgpr10
	v_lshl_add_u64 v[50:51], v[50:51], 2, s[6:7]
.LBB16_97:
	v_lshl_add_u64 v[54:55], v[50:51], 0, v[72:73]
	flat_load_dword v53, v[54:55]
	v_lshl_add_u64 v[54:55], v[48:49], 0, v[72:73]
	s_waitcnt vmcnt(0) lgkmcnt(0)
	v_mul_f32_e32 v53, s13, v53
	v_min_f32_e32 v52, v53, v52
	global_store_dword v[54:55], v52, off
	v_lshl_add_u64 v[52:53], v[64:65], 2, v[50:51]
	flat_load_dword v52, v[52:53]
	s_waitcnt vmcnt(0) lgkmcnt(0)
	v_mul_f32_e32 v52, s13, v52
.LBB16_98:
	v_pk_add_f32 v[54:55], v[28:29], v[44:45]
	s_mov_b64 vcc, s[4:5]
	v_min3_f32 v53, v54, v55, v121
	v_pk_add_f32 v[54:55], v[24:25], v[44:45]
	s_nop 0
	v_min3_f32 v56, v54, v55, v122
	v_pk_add_f32 v[54:55], v[30:31], v[46:47]
	s_nop 0
	v_min_f32_e32 v57, v54, v55
	v_pk_add_f32 v[54:55], v[26:27], v[46:47]
	s_nop 0
	v_min3_f32 v54, v54, v55, v56
	v_min3_f32 v55, v52, v57, v53
	v_lshl_add_u64 v[52:53], v[64:65], 2, v[48:49]
	global_store_dword v[52:53], v55, off
	v_max_f32_e32 v52, v54, v54
	s_cbranch_vccz .LBB16_101
; %bb.99:
	v_min_f32_e32 v53, 0, v52
	v_lshl_add_u64 v[54:55], v[74:75], 2, v[48:49]
	s_mov_b32 s10, 0
	global_store_dword v[54:55], v53, off
	s_cbranch_execz .LBB16_102
; %bb.100:
	v_mov_b32_e32 v52, s10
	s_branch .LBB16_103
.LBB16_101:
                                        ; implicit-def: $sgpr10
.LBB16_102:
	v_lshl_add_u64 v[54:55], v[50:51], 0, v[78:79]
	flat_load_dword v53, v[54:55]
	v_lshl_add_u64 v[54:55], v[48:49], 0, v[78:79]
	s_waitcnt vmcnt(0) lgkmcnt(0)
	v_mul_f32_e32 v53, s13, v53
	v_min_f32_e32 v52, v53, v52
	global_store_dword v[54:55], v52, off
	v_lshl_add_u64 v[52:53], v[66:67], 2, v[50:51]
	flat_load_dword v52, v[52:53]
	s_waitcnt vmcnt(0) lgkmcnt(0)
	v_mul_f32_e32 v52, s13, v52
.LBB16_103:
	v_pk_add_f32 v[54:55], v[20:21], v[44:45]
	s_mov_b64 vcc, s[4:5]
	v_min3_f32 v53, v54, v55, v119
	v_pk_add_f32 v[54:55], v[16:17], v[44:45]
	s_nop 0
	v_min3_f32 v56, v54, v55, v120
	v_pk_add_f32 v[54:55], v[22:23], v[46:47]
	s_nop 0
	v_min_f32_e32 v57, v54, v55
	v_pk_add_f32 v[54:55], v[18:19], v[46:47]
	s_nop 0
	v_min3_f32 v54, v54, v55, v56
	v_min3_f32 v55, v52, v57, v53
	v_lshl_add_u64 v[52:53], v[66:67], 2, v[48:49]
	global_store_dword v[52:53], v55, off
	v_max_f32_e32 v52, v54, v54
	s_cbranch_vccz .LBB16_106
; %bb.104:
	v_min_f32_e32 v53, 0, v52
	v_lshl_add_u64 v[54:55], v[80:81], 2, v[48:49]
	s_mov_b32 s10, 0
	global_store_dword v[54:55], v53, off
	s_cbranch_execz .LBB16_107
; %bb.105:
	v_mov_b32_e32 v52, s10
	s_branch .LBB16_108
.LBB16_106:
                                        ; implicit-def: $sgpr10
.LBB16_107:
	v_lshl_add_u64 v[54:55], v[50:51], 0, v[82:83]
	flat_load_dword v53, v[54:55]
	v_lshl_add_u64 v[54:55], v[48:49], 0, v[82:83]
	s_waitcnt vmcnt(0) lgkmcnt(0)
	v_mul_f32_e32 v53, s13, v53
	v_min_f32_e32 v52, v53, v52
	global_store_dword v[54:55], v52, off
	v_lshl_add_u64 v[52:53], v[70:71], 2, v[50:51]
	flat_load_dword v52, v[52:53]
	s_waitcnt vmcnt(0) lgkmcnt(0)
	v_mul_f32_e32 v52, s13, v52
.LBB16_108:
	v_pk_add_f32 v[54:55], v[12:13], v[44:45]
	s_mov_b64 vcc, s[4:5]
	v_min3_f32 v53, v54, v55, v117
	v_pk_add_f32 v[54:55], v[8:9], v[44:45]
	s_nop 0
	v_min3_f32 v56, v54, v55, v118
	v_pk_add_f32 v[54:55], v[14:15], v[46:47]
	s_nop 0
	v_min_f32_e32 v57, v54, v55
	v_pk_add_f32 v[54:55], v[10:11], v[46:47]
	s_nop 0
	v_min3_f32 v54, v54, v55, v56
	v_min3_f32 v55, v52, v57, v53
	v_lshl_add_u64 v[52:53], v[70:71], 2, v[48:49]
	global_store_dword v[52:53], v55, off
	v_max_f32_e32 v52, v54, v54
	s_cbranch_vccz .LBB16_111
; %bb.109:
	v_min_f32_e32 v53, 0, v52
	v_lshl_add_u64 v[54:55], v[84:85], 2, v[48:49]
	s_mov_b32 s10, 0
	global_store_dword v[54:55], v53, off
	s_cbranch_execz .LBB16_112
; %bb.110:
	v_mov_b32_e32 v50, s10
	s_branch .LBB16_113
.LBB16_111:
                                        ; implicit-def: $sgpr10
.LBB16_112:
	v_lshl_add_u64 v[54:55], v[50:51], 0, v[86:87]
	flat_load_dword v53, v[54:55]
	v_lshl_add_u64 v[54:55], v[48:49], 0, v[86:87]
	v_lshl_add_u64 v[50:51], v[76:77], 2, v[50:51]
	s_waitcnt vmcnt(0) lgkmcnt(0)
	v_mul_f32_e32 v53, s13, v53
	v_min_f32_e32 v52, v53, v52
	global_store_dword v[54:55], v52, off
	flat_load_dword v50, v[50:51]
	s_waitcnt vmcnt(0) lgkmcnt(0)
	v_mul_f32_e32 v50, s13, v50
.LBB16_113:
	v_pk_add_f32 v[44:45], v[0:1], v[44:45]
	s_mov_b64 vcc, s[4:5]
	v_min3_f32 v51, v44, v45, v115
	v_pk_add_f32 v[44:45], v[32:33], v[40:41]
	s_nop 0
	v_min3_f32 v52, v44, v45, v116
	v_pk_add_f32 v[44:45], v[2:3], v[46:47]
	s_nop 0
	v_min_f32_e32 v46, v44, v45
	v_pk_add_f32 v[44:45], v[34:35], v[42:43]
	v_min3_f32 v46, v50, v46, v51
	v_min3_f32 v52, v44, v45, v52
	v_lshl_add_u64 v[44:45], v[76:77], 2, v[48:49]
	global_store_dword v[44:45], v46, off
	v_add_u32_e32 v46, 0xa0, v154
	v_mad_i64_i32 v[44:45], s[2:3], v46, s9, 0
	v_lshl_add_u64 v[44:45], v[44:45], 2, s[0:1]
	v_mad_i64_i32 v[46:47], s[2:3], v46, s8, 0
	v_max_f32_e32 v48, v52, v52
	s_cbranch_vccz .LBB16_116
; %bb.114:
	v_min_f32_e32 v49, 0, v48
	v_lshl_add_u64 v[50:51], v[68:69], 2, v[44:45]
	s_mov_b32 s10, 0
	global_store_dword v[50:51], v49, off
	v_lshl_add_u64 v[46:47], v[46:47], 2, s[6:7]
	s_cbranch_execz .LBB16_117
; %bb.115:
	v_mov_b32_e32 v48, s10
	s_branch .LBB16_118
.LBB16_116:
                                        ; implicit-def: $sgpr10
	v_lshl_add_u64 v[46:47], v[46:47], 2, s[6:7]
.LBB16_117:
	v_lshl_add_u64 v[50:51], v[46:47], 0, v[72:73]
	flat_load_dword v49, v[50:51]
	v_lshl_add_u64 v[50:51], v[44:45], 0, v[72:73]
	s_waitcnt vmcnt(0) lgkmcnt(0)
	v_mul_f32_e32 v49, s13, v49
	v_min_f32_e32 v48, v49, v48
	global_store_dword v[50:51], v48, off
	v_lshl_add_u64 v[48:49], v[64:65], 2, v[46:47]
	flat_load_dword v48, v[48:49]
	s_waitcnt vmcnt(0) lgkmcnt(0)
	v_mul_f32_e32 v48, s13, v48
.LBB16_118:
	v_pk_add_f32 v[50:51], v[28:29], v[40:41]
	s_mov_b64 vcc, s[4:5]
	v_min3_f32 v49, v50, v51, v113
	v_pk_add_f32 v[50:51], v[24:25], v[40:41]
	s_nop 0
	v_min3_f32 v52, v50, v51, v114
	v_pk_add_f32 v[50:51], v[30:31], v[42:43]
	s_nop 0
	v_min_f32_e32 v53, v50, v51
	v_pk_add_f32 v[50:51], v[26:27], v[42:43]
	s_nop 0
	v_min3_f32 v50, v50, v51, v52
	v_min3_f32 v51, v48, v53, v49
	v_lshl_add_u64 v[48:49], v[64:65], 2, v[44:45]
	global_store_dword v[48:49], v51, off
	v_max_f32_e32 v48, v50, v50
	s_cbranch_vccz .LBB16_121
; %bb.119:
	v_min_f32_e32 v49, 0, v48
	v_lshl_add_u64 v[50:51], v[74:75], 2, v[44:45]
	s_mov_b32 s10, 0
	global_store_dword v[50:51], v49, off
	s_cbranch_execz .LBB16_122
; %bb.120:
	v_mov_b32_e32 v48, s10
	s_branch .LBB16_123
.LBB16_121:
                                        ; implicit-def: $sgpr10
.LBB16_122:
	v_lshl_add_u64 v[50:51], v[46:47], 0, v[78:79]
	flat_load_dword v49, v[50:51]
	v_lshl_add_u64 v[50:51], v[44:45], 0, v[78:79]
	s_waitcnt vmcnt(0) lgkmcnt(0)
	v_mul_f32_e32 v49, s13, v49
	v_min_f32_e32 v48, v49, v48
	global_store_dword v[50:51], v48, off
	v_lshl_add_u64 v[48:49], v[66:67], 2, v[46:47]
	flat_load_dword v48, v[48:49]
	s_waitcnt vmcnt(0) lgkmcnt(0)
	v_mul_f32_e32 v48, s13, v48
.LBB16_123:
	v_pk_add_f32 v[50:51], v[20:21], v[40:41]
	s_mov_b64 vcc, s[4:5]
	v_min3_f32 v49, v50, v51, v111
	v_pk_add_f32 v[50:51], v[16:17], v[40:41]
	s_nop 0
	v_min3_f32 v52, v50, v51, v112
	v_pk_add_f32 v[50:51], v[22:23], v[42:43]
	s_nop 0
	v_min_f32_e32 v53, v50, v51
	v_pk_add_f32 v[50:51], v[18:19], v[42:43]
	s_nop 0
	v_min3_f32 v50, v50, v51, v52
	v_min3_f32 v51, v48, v53, v49
	v_lshl_add_u64 v[48:49], v[66:67], 2, v[44:45]
	global_store_dword v[48:49], v51, off
	v_max_f32_e32 v48, v50, v50
	s_cbranch_vccz .LBB16_126
; %bb.124:
	v_min_f32_e32 v49, 0, v48
	v_lshl_add_u64 v[50:51], v[80:81], 2, v[44:45]
	s_mov_b32 s10, 0
	global_store_dword v[50:51], v49, off
	s_cbranch_execz .LBB16_127
; %bb.125:
	v_mov_b32_e32 v48, s10
	s_branch .LBB16_128
.LBB16_126:
                                        ; implicit-def: $sgpr10
.LBB16_127:
	v_lshl_add_u64 v[50:51], v[46:47], 0, v[82:83]
	flat_load_dword v49, v[50:51]
	v_lshl_add_u64 v[50:51], v[44:45], 0, v[82:83]
	s_waitcnt vmcnt(0) lgkmcnt(0)
	v_mul_f32_e32 v49, s13, v49
	v_min_f32_e32 v48, v49, v48
	global_store_dword v[50:51], v48, off
	v_lshl_add_u64 v[48:49], v[70:71], 2, v[46:47]
	flat_load_dword v48, v[48:49]
	s_waitcnt vmcnt(0) lgkmcnt(0)
	v_mul_f32_e32 v48, s13, v48
.LBB16_128:
	v_pk_add_f32 v[50:51], v[12:13], v[40:41]
	s_mov_b64 vcc, s[4:5]
	v_min3_f32 v49, v50, v51, v108
	v_pk_add_f32 v[50:51], v[8:9], v[40:41]
	s_nop 0
	v_min3_f32 v52, v50, v51, v110
	v_pk_add_f32 v[50:51], v[14:15], v[42:43]
	s_nop 0
	v_min_f32_e32 v53, v50, v51
	v_pk_add_f32 v[50:51], v[10:11], v[42:43]
	s_nop 0
	v_min3_f32 v50, v50, v51, v52
	v_min3_f32 v51, v48, v53, v49
	v_lshl_add_u64 v[48:49], v[70:71], 2, v[44:45]
	global_store_dword v[48:49], v51, off
	v_max_f32_e32 v48, v50, v50
	s_cbranch_vccz .LBB16_131
; %bb.129:
	v_min_f32_e32 v49, 0, v48
	v_lshl_add_u64 v[50:51], v[84:85], 2, v[44:45]
	s_mov_b32 s10, 0
	global_store_dword v[50:51], v49, off
	s_cbranch_execz .LBB16_132
; %bb.130:
	v_mov_b32_e32 v46, s10
	s_branch .LBB16_133
.LBB16_131:
                                        ; implicit-def: $sgpr10
.LBB16_132:
	v_lshl_add_u64 v[50:51], v[46:47], 0, v[86:87]
	flat_load_dword v49, v[50:51]
	v_lshl_add_u64 v[50:51], v[44:45], 0, v[86:87]
	v_lshl_add_u64 v[46:47], v[76:77], 2, v[46:47]
	s_waitcnt vmcnt(0) lgkmcnt(0)
	v_mul_f32_e32 v49, s13, v49
	v_min_f32_e32 v48, v49, v48
	global_store_dword v[50:51], v48, off
	flat_load_dword v46, v[46:47]
	s_waitcnt vmcnt(0) lgkmcnt(0)
	v_mul_f32_e32 v46, s13, v46
.LBB16_133:
	v_pk_add_f32 v[40:41], v[0:1], v[40:41]
	s_mov_b64 vcc, s[4:5]
	v_min3_f32 v47, v40, v41, v107
	v_pk_add_f32 v[40:41], v[32:33], v[36:37]
	s_nop 0
	v_min3_f32 v48, v40, v41, v109
	v_pk_add_f32 v[40:41], v[2:3], v[42:43]
	s_nop 0
	v_min_f32_e32 v42, v40, v41
	v_pk_add_f32 v[40:41], v[34:35], v[38:39]
	v_min3_f32 v42, v46, v42, v47
	v_min3_f32 v48, v40, v41, v48
	v_lshl_add_u64 v[40:41], v[76:77], 2, v[44:45]
	global_store_dword v[40:41], v42, off
	v_add_u32_e32 v42, 0xc0, v154
	v_mad_i64_i32 v[40:41], s[2:3], v42, s9, 0
	v_lshl_add_u64 v[40:41], v[40:41], 2, s[0:1]
	v_mad_i64_i32 v[42:43], s[2:3], v42, s8, 0
	v_max_f32_e32 v44, v48, v48
	s_cbranch_vccz .LBB16_136
; %bb.134:
	v_min_f32_e32 v45, 0, v44
	v_lshl_add_u64 v[46:47], v[68:69], 2, v[40:41]
	s_mov_b32 s10, 0
	global_store_dword v[46:47], v45, off
	v_lshl_add_u64 v[42:43], v[42:43], 2, s[6:7]
	s_cbranch_execz .LBB16_137
; %bb.135:
	v_mov_b32_e32 v44, s10
	s_branch .LBB16_138
.LBB16_136:
                                        ; implicit-def: $sgpr10
	v_lshl_add_u64 v[42:43], v[42:43], 2, s[6:7]
.LBB16_137:
	v_lshl_add_u64 v[46:47], v[42:43], 0, v[72:73]
	flat_load_dword v45, v[46:47]
	v_lshl_add_u64 v[46:47], v[40:41], 0, v[72:73]
	s_waitcnt vmcnt(0) lgkmcnt(0)
	v_mul_f32_e32 v45, s13, v45
	v_min_f32_e32 v44, v45, v44
	global_store_dword v[46:47], v44, off
	v_lshl_add_u64 v[44:45], v[64:65], 2, v[42:43]
	flat_load_dword v44, v[44:45]
	s_waitcnt vmcnt(0) lgkmcnt(0)
	v_mul_f32_e32 v44, s13, v44
.LBB16_138:
	v_pk_add_f32 v[46:47], v[28:29], v[36:37]
	s_mov_b64 vcc, s[4:5]
	v_min3_f32 v45, v46, v47, v105
	v_pk_add_f32 v[46:47], v[24:25], v[36:37]
	s_nop 0
	v_min3_f32 v48, v46, v47, v106
	v_pk_add_f32 v[46:47], v[30:31], v[38:39]
	s_nop 0
	v_min_f32_e32 v49, v46, v47
	v_pk_add_f32 v[46:47], v[26:27], v[38:39]
	s_nop 0
	v_min3_f32 v46, v46, v47, v48
	v_min3_f32 v47, v44, v49, v45
	v_lshl_add_u64 v[44:45], v[64:65], 2, v[40:41]
	global_store_dword v[44:45], v47, off
	v_max_f32_e32 v44, v46, v46
	s_cbranch_vccz .LBB16_141
; %bb.139:
	v_min_f32_e32 v45, 0, v44
	v_lshl_add_u64 v[46:47], v[74:75], 2, v[40:41]
	s_mov_b32 s10, 0
	global_store_dword v[46:47], v45, off
	s_cbranch_execz .LBB16_142
; %bb.140:
	v_mov_b32_e32 v44, s10
	s_branch .LBB16_143
.LBB16_141:
                                        ; implicit-def: $sgpr10
.LBB16_142:
	v_lshl_add_u64 v[46:47], v[42:43], 0, v[78:79]
	flat_load_dword v45, v[46:47]
	v_lshl_add_u64 v[46:47], v[40:41], 0, v[78:79]
	s_waitcnt vmcnt(0) lgkmcnt(0)
	v_mul_f32_e32 v45, s13, v45
	v_min_f32_e32 v44, v45, v44
	global_store_dword v[46:47], v44, off
	v_lshl_add_u64 v[44:45], v[66:67], 2, v[42:43]
	flat_load_dword v44, v[44:45]
	s_waitcnt vmcnt(0) lgkmcnt(0)
	v_mul_f32_e32 v44, s13, v44
.LBB16_143:
	v_pk_add_f32 v[46:47], v[20:21], v[36:37]
	s_mov_b64 vcc, s[4:5]
	v_min3_f32 v45, v46, v47, v103
	v_pk_add_f32 v[46:47], v[16:17], v[36:37]
	s_nop 0
	v_min3_f32 v48, v46, v47, v104
	v_pk_add_f32 v[46:47], v[22:23], v[38:39]
	s_nop 0
	v_min_f32_e32 v49, v46, v47
	v_pk_add_f32 v[46:47], v[18:19], v[38:39]
	s_nop 0
	v_min3_f32 v46, v46, v47, v48
	v_min3_f32 v47, v44, v49, v45
	v_lshl_add_u64 v[44:45], v[66:67], 2, v[40:41]
	global_store_dword v[44:45], v47, off
	v_max_f32_e32 v44, v46, v46
	s_cbranch_vccz .LBB16_146
; %bb.144:
	v_min_f32_e32 v45, 0, v44
	v_lshl_add_u64 v[46:47], v[80:81], 2, v[40:41]
	s_mov_b32 s10, 0
	global_store_dword v[46:47], v45, off
	s_cbranch_execz .LBB16_147
; %bb.145:
	v_mov_b32_e32 v44, s10
	s_branch .LBB16_148
.LBB16_146:
                                        ; implicit-def: $sgpr10
.LBB16_147:
	v_lshl_add_u64 v[46:47], v[42:43], 0, v[82:83]
	flat_load_dword v45, v[46:47]
	v_lshl_add_u64 v[46:47], v[40:41], 0, v[82:83]
	s_waitcnt vmcnt(0) lgkmcnt(0)
	v_mul_f32_e32 v45, s13, v45
	v_min_f32_e32 v44, v45, v44
	global_store_dword v[46:47], v44, off
	v_lshl_add_u64 v[44:45], v[70:71], 2, v[42:43]
	flat_load_dword v44, v[44:45]
	s_waitcnt vmcnt(0) lgkmcnt(0)
	v_mul_f32_e32 v44, s13, v44
.LBB16_148:
	v_pk_add_f32 v[46:47], v[12:13], v[36:37]
	s_mov_b64 vcc, s[4:5]
	v_min3_f32 v45, v46, v47, v101
	v_pk_add_f32 v[46:47], v[8:9], v[36:37]
	s_nop 0
	v_min3_f32 v48, v46, v47, v102
	v_pk_add_f32 v[46:47], v[14:15], v[38:39]
	s_nop 0
	v_min_f32_e32 v49, v46, v47
	v_pk_add_f32 v[46:47], v[10:11], v[38:39]
	s_nop 0
	v_min3_f32 v46, v46, v47, v48
	v_min3_f32 v47, v44, v49, v45
	v_lshl_add_u64 v[44:45], v[70:71], 2, v[40:41]
	global_store_dword v[44:45], v47, off
	v_max_f32_e32 v44, v46, v46
	s_cbranch_vccz .LBB16_151
; %bb.149:
	v_min_f32_e32 v45, 0, v44
	v_lshl_add_u64 v[46:47], v[84:85], 2, v[40:41]
	s_mov_b32 s10, 0
	global_store_dword v[46:47], v45, off
	s_cbranch_execz .LBB16_152
; %bb.150:
	v_mov_b32_e32 v42, s10
	s_branch .LBB16_153
.LBB16_151:
                                        ; implicit-def: $sgpr10
.LBB16_152:
	v_lshl_add_u64 v[46:47], v[42:43], 0, v[86:87]
	flat_load_dword v45, v[46:47]
	v_lshl_add_u64 v[46:47], v[40:41], 0, v[86:87]
	v_lshl_add_u64 v[42:43], v[76:77], 2, v[42:43]
	s_waitcnt vmcnt(0) lgkmcnt(0)
	v_mul_f32_e32 v45, s13, v45
	v_min_f32_e32 v44, v45, v44
	global_store_dword v[46:47], v44, off
	flat_load_dword v42, v[42:43]
	s_waitcnt vmcnt(0) lgkmcnt(0)
	v_mul_f32_e32 v42, s13, v42
.LBB16_153:
	v_pk_add_f32 v[36:37], v[0:1], v[36:37]
	s_waitcnt lgkmcnt(0)
	v_pk_add_f32 v[32:33], v[32:33], v[4:5]
	v_min3_f32 v36, v36, v37, v99
	v_min3_f32 v37, v32, v33, v100
	v_pk_add_f32 v[32:33], v[2:3], v[38:39]
	s_mov_b64 vcc, s[4:5]
	v_min_f32_e32 v38, v32, v33
	v_pk_add_f32 v[32:33], v[34:35], v[6:7]
	v_min3_f32 v34, v42, v38, v36
	v_min3_f32 v37, v32, v33, v37
	v_lshl_add_u64 v[32:33], v[76:77], 2, v[40:41]
	global_store_dword v[32:33], v34, off
	v_add_u32_e32 v34, 0xe0, v154
	v_mad_i64_i32 v[32:33], s[2:3], v34, s9, 0
	v_lshl_add_u64 v[32:33], v[32:33], 2, s[0:1]
	v_mad_i64_i32 v[34:35], s[0:1], v34, s8, 0
	v_max_f32_e32 v36, v37, v37
	s_cbranch_vccz .LBB16_156
; %bb.154:
	v_min_f32_e32 v37, 0, v36
	v_lshl_add_u64 v[38:39], v[68:69], 2, v[32:33]
	s_mov_b32 s2, 0
	global_store_dword v[38:39], v37, off
	v_lshl_add_u64 v[34:35], v[34:35], 2, s[6:7]
	s_cbranch_execz .LBB16_157
; %bb.155:
	v_mov_b32_e32 v36, s2
	s_branch .LBB16_158
.LBB16_156:
                                        ; implicit-def: $sgpr2
	v_lshl_add_u64 v[34:35], v[34:35], 2, s[6:7]
.LBB16_157:
	v_lshl_add_u64 v[38:39], v[34:35], 0, v[72:73]
	flat_load_dword v37, v[38:39]
	v_lshl_add_u64 v[38:39], v[32:33], 0, v[72:73]
	s_waitcnt vmcnt(0) lgkmcnt(0)
	v_mul_f32_e32 v37, s13, v37
	v_min_f32_e32 v36, v37, v36
	global_store_dword v[38:39], v36, off
	v_lshl_add_u64 v[36:37], v[64:65], 2, v[34:35]
	flat_load_dword v36, v[36:37]
	s_waitcnt vmcnt(0) lgkmcnt(0)
	v_mul_f32_e32 v36, s13, v36
.LBB16_158:
	v_pk_add_f32 v[28:29], v[28:29], v[4:5]
	v_pk_add_f32 v[24:25], v[24:25], v[4:5]
	v_min3_f32 v28, v28, v29, v96
	v_min3_f32 v29, v24, v25, v97
	v_pk_add_f32 v[24:25], v[30:31], v[6:7]
	s_mov_b64 vcc, s[4:5]
	v_min_f32_e32 v30, v24, v25
	v_pk_add_f32 v[24:25], v[26:27], v[6:7]
	v_min3_f32 v27, v36, v30, v28
	v_min3_f32 v26, v24, v25, v29
	v_lshl_add_u64 v[24:25], v[64:65], 2, v[32:33]
	global_store_dword v[24:25], v27, off
	v_max_f32_e32 v24, v26, v26
	s_cbranch_vccz .LBB16_161
; %bb.159:
	v_min_f32_e32 v25, 0, v24
	v_lshl_add_u64 v[26:27], v[74:75], 2, v[32:33]
	s_mov_b32 s2, 0
	global_store_dword v[26:27], v25, off
	s_cbranch_execz .LBB16_162
; %bb.160:
	v_mov_b32_e32 v24, s2
	s_branch .LBB16_163
.LBB16_161:
                                        ; implicit-def: $sgpr2
.LBB16_162:
	v_lshl_add_u64 v[26:27], v[34:35], 0, v[78:79]
	flat_load_dword v25, v[26:27]
	v_lshl_add_u64 v[26:27], v[32:33], 0, v[78:79]
	s_waitcnt vmcnt(0) lgkmcnt(0)
	v_mul_f32_e32 v25, s13, v25
	v_min_f32_e32 v24, v25, v24
	global_store_dword v[26:27], v24, off
	v_lshl_add_u64 v[24:25], v[66:67], 2, v[34:35]
	flat_load_dword v24, v[24:25]
	s_waitcnt vmcnt(0) lgkmcnt(0)
	v_mul_f32_e32 v24, s13, v24
.LBB16_163:
	v_pk_add_f32 v[20:21], v[20:21], v[4:5]
	v_pk_add_f32 v[16:17], v[16:17], v[4:5]
	v_min3_f32 v20, v20, v21, v94
	v_min3_f32 v21, v16, v17, v95
	v_pk_add_f32 v[16:17], v[22:23], v[6:7]
	s_mov_b64 vcc, s[4:5]
	v_min_f32_e32 v22, v16, v17
	v_pk_add_f32 v[16:17], v[18:19], v[6:7]
	v_min3_f32 v19, v24, v22, v20
	v_min3_f32 v18, v16, v17, v21
	v_lshl_add_u64 v[16:17], v[66:67], 2, v[32:33]
	global_store_dword v[16:17], v19, off
	v_max_f32_e32 v16, v18, v18
	s_cbranch_vccz .LBB16_166
; %bb.164:
	v_min_f32_e32 v17, 0, v16
	v_lshl_add_u64 v[18:19], v[80:81], 2, v[32:33]
	s_mov_b32 s2, 0
	global_store_dword v[18:19], v17, off
	s_cbranch_execz .LBB16_167
; %bb.165:
	v_mov_b32_e32 v16, s2
	s_branch .LBB16_168
.LBB16_166:
                                        ; implicit-def: $sgpr2
.LBB16_167:
	v_lshl_add_u64 v[18:19], v[34:35], 0, v[82:83]
	flat_load_dword v17, v[18:19]
	v_lshl_add_u64 v[18:19], v[32:33], 0, v[82:83]
	s_waitcnt vmcnt(0) lgkmcnt(0)
	v_mul_f32_e32 v17, s13, v17
	v_min_f32_e32 v16, v17, v16
	global_store_dword v[18:19], v16, off
	v_lshl_add_u64 v[16:17], v[70:71], 2, v[34:35]
	flat_load_dword v16, v[16:17]
	s_waitcnt vmcnt(0) lgkmcnt(0)
	v_mul_f32_e32 v16, s13, v16
.LBB16_168:
	;; [unrolled: 38-line block ×3, first 2 shown]
	v_pk_add_f32 v[2:3], v[2:3], v[6:7]
	v_pk_add_f32 v[0:1], v[0:1], v[4:5]
	v_min_f32_e32 v2, v2, v3
	v_min3_f32 v0, v0, v1, v98
	v_min3_f32 v2, v8, v2, v0
	v_lshl_add_u64 v[0:1], v[76:77], 2, v[32:33]
	global_store_dword v[0:1], v2, off
	s_endpgm
	.section	.rodata,"a",@progbits
	.p2align	6, 0x0
	.amdhsa_kernel _ZN12_GLOBAL__N_120geam_min_plus_kernelIf15HIP_vector_typeIfLj2EEfLi8ELi32ELi64ELi256ELi4ELi64ELi4ELi64ELi4ELc78ELc84ELb1ELb0ELb1EfKPKfKPfEEviiiT16_PT17_ilSA_ilS8_SA_ilPT18_ili26rocblas_geam_ex_operation_
		.amdhsa_group_segment_fixed_size 10240
		.amdhsa_private_segment_fixed_size 0
		.amdhsa_kernarg_size 128
		.amdhsa_user_sgpr_count 2
		.amdhsa_user_sgpr_dispatch_ptr 0
		.amdhsa_user_sgpr_queue_ptr 0
		.amdhsa_user_sgpr_kernarg_segment_ptr 1
		.amdhsa_user_sgpr_dispatch_id 0
		.amdhsa_user_sgpr_kernarg_preload_length 0
		.amdhsa_user_sgpr_kernarg_preload_offset 0
		.amdhsa_user_sgpr_private_segment_size 0
		.amdhsa_uses_dynamic_stack 0
		.amdhsa_enable_private_segment 0
		.amdhsa_system_sgpr_workgroup_id_x 1
		.amdhsa_system_sgpr_workgroup_id_y 0
		.amdhsa_system_sgpr_workgroup_id_z 1
		.amdhsa_system_sgpr_workgroup_info 0
		.amdhsa_system_vgpr_workitem_id 1
		.amdhsa_next_free_vgpr 178
		.amdhsa_next_free_sgpr 24
		.amdhsa_accum_offset 180
		.amdhsa_reserve_vcc 1
		.amdhsa_float_round_mode_32 0
		.amdhsa_float_round_mode_16_64 0
		.amdhsa_float_denorm_mode_32 3
		.amdhsa_float_denorm_mode_16_64 3
		.amdhsa_dx10_clamp 1
		.amdhsa_ieee_mode 1
		.amdhsa_fp16_overflow 0
		.amdhsa_tg_split 0
		.amdhsa_exception_fp_ieee_invalid_op 0
		.amdhsa_exception_fp_denorm_src 0
		.amdhsa_exception_fp_ieee_div_zero 0
		.amdhsa_exception_fp_ieee_overflow 0
		.amdhsa_exception_fp_ieee_underflow 0
		.amdhsa_exception_fp_ieee_inexact 0
		.amdhsa_exception_int_div_zero 0
	.end_amdhsa_kernel
	.section	.text._ZN12_GLOBAL__N_120geam_min_plus_kernelIf15HIP_vector_typeIfLj2EEfLi8ELi32ELi64ELi256ELi4ELi64ELi4ELi64ELi4ELc78ELc84ELb1ELb0ELb1EfKPKfKPfEEviiiT16_PT17_ilSA_ilS8_SA_ilPT18_ili26rocblas_geam_ex_operation_,"axG",@progbits,_ZN12_GLOBAL__N_120geam_min_plus_kernelIf15HIP_vector_typeIfLj2EEfLi8ELi32ELi64ELi256ELi4ELi64ELi4ELi64ELi4ELc78ELc84ELb1ELb0ELb1EfKPKfKPfEEviiiT16_PT17_ilSA_ilS8_SA_ilPT18_ili26rocblas_geam_ex_operation_,comdat
.Lfunc_end16:
	.size	_ZN12_GLOBAL__N_120geam_min_plus_kernelIf15HIP_vector_typeIfLj2EEfLi8ELi32ELi64ELi256ELi4ELi64ELi4ELi64ELi4ELc78ELc84ELb1ELb0ELb1EfKPKfKPfEEviiiT16_PT17_ilSA_ilS8_SA_ilPT18_ili26rocblas_geam_ex_operation_, .Lfunc_end16-_ZN12_GLOBAL__N_120geam_min_plus_kernelIf15HIP_vector_typeIfLj2EEfLi8ELi32ELi64ELi256ELi4ELi64ELi4ELi64ELi4ELc78ELc84ELb1ELb0ELb1EfKPKfKPfEEviiiT16_PT17_ilSA_ilS8_SA_ilPT18_ili26rocblas_geam_ex_operation_
                                        ; -- End function
	.section	.AMDGPU.csdata,"",@progbits
; Kernel info:
; codeLenInByte = 15748
; NumSgprs: 30
; NumVgprs: 178
; NumAgprs: 0
; TotalNumVgprs: 178
; ScratchSize: 0
; MemoryBound: 0
; FloatMode: 240
; IeeeMode: 1
; LDSByteSize: 10240 bytes/workgroup (compile time only)
; SGPRBlocks: 3
; VGPRBlocks: 22
; NumSGPRsForWavesPerEU: 30
; NumVGPRsForWavesPerEU: 178
; AccumOffset: 180
; Occupancy: 2
; WaveLimiterHint : 1
; COMPUTE_PGM_RSRC2:SCRATCH_EN: 0
; COMPUTE_PGM_RSRC2:USER_SGPR: 2
; COMPUTE_PGM_RSRC2:TRAP_HANDLER: 0
; COMPUTE_PGM_RSRC2:TGID_X_EN: 1
; COMPUTE_PGM_RSRC2:TGID_Y_EN: 0
; COMPUTE_PGM_RSRC2:TGID_Z_EN: 1
; COMPUTE_PGM_RSRC2:TIDIG_COMP_CNT: 1
; COMPUTE_PGM_RSRC3_GFX90A:ACCUM_OFFSET: 44
; COMPUTE_PGM_RSRC3_GFX90A:TG_SPLIT: 0
	.section	.text._ZN12_GLOBAL__N_120geam_min_plus_kernelIf15HIP_vector_typeIfLj2EEfLi8ELi32ELi64ELi256ELi4ELi64ELi4ELi64ELi4ELc78ELc84ELb0ELb0ELb1EfKPKfKPfEEviiiT16_PT17_ilSA_ilS8_SA_ilPT18_ili26rocblas_geam_ex_operation_,"axG",@progbits,_ZN12_GLOBAL__N_120geam_min_plus_kernelIf15HIP_vector_typeIfLj2EEfLi8ELi32ELi64ELi256ELi4ELi64ELi4ELi64ELi4ELc78ELc84ELb0ELb0ELb1EfKPKfKPfEEviiiT16_PT17_ilSA_ilS8_SA_ilPT18_ili26rocblas_geam_ex_operation_,comdat
	.globl	_ZN12_GLOBAL__N_120geam_min_plus_kernelIf15HIP_vector_typeIfLj2EEfLi8ELi32ELi64ELi256ELi4ELi64ELi4ELi64ELi4ELc78ELc84ELb0ELb0ELb1EfKPKfKPfEEviiiT16_PT17_ilSA_ilS8_SA_ilPT18_ili26rocblas_geam_ex_operation_ ; -- Begin function _ZN12_GLOBAL__N_120geam_min_plus_kernelIf15HIP_vector_typeIfLj2EEfLi8ELi32ELi64ELi256ELi4ELi64ELi4ELi64ELi4ELc78ELc84ELb0ELb0ELb1EfKPKfKPfEEviiiT16_PT17_ilSA_ilS8_SA_ilPT18_ili26rocblas_geam_ex_operation_
	.p2align	8
	.type	_ZN12_GLOBAL__N_120geam_min_plus_kernelIf15HIP_vector_typeIfLj2EEfLi8ELi32ELi64ELi256ELi4ELi64ELi4ELi64ELi4ELc78ELc84ELb0ELb0ELb1EfKPKfKPfEEviiiT16_PT17_ilSA_ilS8_SA_ilPT18_ili26rocblas_geam_ex_operation_,@function
_ZN12_GLOBAL__N_120geam_min_plus_kernelIf15HIP_vector_typeIfLj2EEfLi8ELi32ELi64ELi256ELi4ELi64ELi4ELi64ELi4ELc78ELc84ELb0ELb0ELb1EfKPKfKPfEEviiiT16_PT17_ilSA_ilS8_SA_ilPT18_ili26rocblas_geam_ex_operation_: ; @_ZN12_GLOBAL__N_120geam_min_plus_kernelIf15HIP_vector_typeIfLj2EEfLi8ELi32ELi64ELi256ELi4ELi64ELi4ELi64ELi4ELc78ELc84ELb0ELb0ELb1EfKPKfKPfEEviiiT16_PT17_ilSA_ilS8_SA_ilPT18_ili26rocblas_geam_ex_operation_
; %bb.0:
	s_load_dwordx2 s[16:17], s[0:1], 0x8
	s_load_dwordx4 s[8:11], s[0:1], 0x20
	s_mov_b32 s4, s3
	s_mov_b32 s5, 0
	s_waitcnt lgkmcnt(0)
	v_cmp_eq_f32_e64 s[12:13], s17, 0
	s_and_b64 vcc, exec, s[12:13]
	s_cbranch_vccnz .LBB17_3
; %bb.1:
	s_load_dwordx2 s[6:7], s[0:1], 0x10
	s_lshl_b64 s[14:15], s[4:5], 3
	s_waitcnt lgkmcnt(0)
	s_add_u32 s6, s6, s14
	s_addc_u32 s7, s7, s15
	s_load_dwordx2 s[6:7], s[6:7], 0x0
	s_lshl_b64 s[8:9], s[8:9], 2
	s_waitcnt lgkmcnt(0)
	s_add_u32 s18, s6, s8
	s_addc_u32 s19, s7, s9
	v_cndmask_b32_e64 v1, 0, 1, s[12:13]
	v_cmp_ne_u32_e64 s[6:7], 1, v1
	s_andn2_b64 vcc, exec, s[12:13]
	s_cbranch_vccnz .LBB17_4
.LBB17_2:
	s_mov_b64 s[20:21], 0
	s_cbranch_execz .LBB17_5
	s_branch .LBB17_6
.LBB17_3:
	s_mov_b64 s[18:19], 0
	v_cndmask_b32_e64 v1, 0, 1, s[12:13]
	v_cmp_ne_u32_e64 s[6:7], 1, v1
	s_andn2_b64 vcc, exec, s[12:13]
	s_cbranch_vccz .LBB17_2
.LBB17_4:
                                        ; implicit-def: $sgpr20_sgpr21
.LBB17_5:
	s_lshl_b64 s[12:13], s[4:5], 3
	s_add_u32 s10, s10, s12
	s_load_dwordx2 s[8:9], s[0:1], 0x38
	s_addc_u32 s11, s11, s13
	s_load_dwordx2 s[10:11], s[10:11], 0x0
	s_waitcnt lgkmcnt(0)
	s_lshl_b64 s[8:9], s[8:9], 2
	s_add_u32 s20, s10, s8
	s_addc_u32 s21, s11, s9
.LBB17_6:
	s_load_dword s26, s[0:1], 0x40
	s_load_dwordx4 s[12:15], s[0:1], 0x58
	s_waitcnt lgkmcnt(0)
	v_cmp_eq_f32_e64 s[8:9], s26, 0
	s_and_b64 s[8:9], exec, s[8:9]
	s_mov_b64 vcc, s[8:9]
	s_cbranch_vccnz .LBB17_8
; %bb.7:
	s_load_dwordx2 s[10:11], s[0:1], 0x48
	s_lshl_b64 s[22:23], s[4:5], 3
	s_waitcnt lgkmcnt(0)
	s_add_u32 s10, s10, s22
	s_addc_u32 s11, s11, s23
	s_load_dwordx2 s[10:11], s[10:11], 0x0
	s_lshl_b64 s[12:13], s[12:13], 2
	s_waitcnt lgkmcnt(0)
	s_add_u32 s10, s10, s12
	s_addc_u32 s11, s11, s13
	s_branch .LBB17_9
.LBB17_8:
	s_mov_b64 s[10:11], 0
.LBB17_9:
	s_load_dword s22, s[0:1], 0x18
	s_load_dword s3, s[0:1], 0x0
	s_lshl_b64 s[4:5], s[4:5], 3
	v_and_b32_e32 v80, 0x3ff, v0
	v_bfe_u32 v81, v0, 10, 10
	s_waitcnt lgkmcnt(0)
	s_ashr_i32 s23, s22, 31
	s_add_u32 s4, s14, s4
	s_addc_u32 s5, s15, s5
	s_add_i32 s3, s3, -1
	s_ashr_i32 s12, s3, 31
	s_lshr_b32 s12, s12, 26
	s_add_i32 s3, s3, s12
	s_ashr_i32 s3, s3, 6
	s_add_i32 s14, s3, 1
	v_cvt_f32_u32_e32 v1, s14
	s_load_dwordx2 s[12:13], s[4:5], 0x0
	s_not_b32 s3, s3
	v_lshl_add_u32 v0, v81, 3, v80
	v_rcp_iflag_f32_e32 v1, v1
	v_and_b32_e32 v57, 63, v0
	v_lshrrev_b32_e32 v56, 6, v0
	v_mul_f32_e32 v1, 0x4f7ffffe, v1
	v_cvt_u32_f32_e32 v1, v1
	s_nop 0
	v_readfirstlane_b32 s4, v1
	s_mul_i32 s3, s3, s4
	s_mul_hi_u32 s3, s4, s3
	s_add_i32 s4, s4, s3
	s_mul_hi_u32 s3, s2, s4
	s_mul_i32 s4, s3, s14
	s_sub_i32 s4, s2, s4
	s_add_i32 s5, s3, 1
	s_sub_i32 s15, s4, s14
	s_cmp_ge_u32 s4, s14
	s_cselect_b32 s3, s5, s3
	s_cselect_b32 s4, s15, s4
	s_add_i32 s5, s3, 1
	s_cmp_ge_u32 s4, s14
	s_cselect_b32 s15, s5, s3
	s_mul_i32 s3, s15, s14
	s_sub_i32 s4, s2, s3
	s_and_b64 vcc, exec, s[6:7]
	s_lshl_b32 s27, s4, 6
	s_cbranch_vccnz .LBB17_11
; %bb.10:
	v_mov_b32_e32 v1, 0
	s_mov_b64 s[4:5], 0
	s_mov_b32 s14, 0
	s_branch .LBB17_12
.LBB17_11:
	s_mov_b64 s[4:5], -1
                                        ; implicit-def: $sgpr14
                                        ; implicit-def: $vgpr0_vgpr1
.LBB17_12:
	v_or_b32_e32 v4, s27, v57
	v_cmp_neq_f32_e64 s[24:25], s17, 0
	s_andn2_b64 vcc, exec, s[4:5]
	v_ashrrev_i32_e32 v5, 31, v4
	s_cbranch_vccnz .LBB17_14
; %bb.13:
	v_mad_i64_i32 v[0:1], s[4:5], s22, v56, 0
	v_lshl_add_u64 v[0:1], v[0:1], 2, s[18:19]
	v_lshl_add_u64 v[0:1], v[4:5], 2, v[0:1]
	flat_load_dword v0, v[0:1]
	v_mov_b32_e32 v1, 0
	s_waitcnt vmcnt(0) lgkmcnt(0)
	v_mul_f32_e32 v9, s17, v0
	s_branch .LBB17_15
.LBB17_14:
	v_mov_b32_e32 v9, s14
.LBB17_15:
	s_load_dword s14, s[0:1], 0x30
	s_lshl_b32 s28, s15, 8
	v_or_b32_e32 v0, s28, v57
	s_andn2_b64 vcc, exec, s[24:25]
	s_waitcnt lgkmcnt(0)
	s_ashr_i32 s15, s14, 31
	v_mul_lo_u32 v1, v1, s14
	v_mul_lo_u32 v6, v56, s15
	v_mad_u64_u32 v[2:3], s[4:5], v56, s14, 0
	v_add3_u32 v3, v3, v6, v1
	v_cndmask_b32_e64 v1, 0, 1, s[24:25]
	v_lshl_add_u64 v[6:7], v[2:3], 2, s[20:21]
	v_cmp_ne_u32_e64 s[4:5], 1, v1
	v_ashrrev_i32_e32 v1, 31, v0
	s_cbranch_vccnz .LBB17_20
; %bb.16:
	v_lshl_add_u64 v[2:3], v[0:1], 2, v[6:7]
	flat_load_dword v10, v[2:3]
	flat_load_dword v11, v[2:3] offset:256
	s_mov_b32 s24, s17
	s_waitcnt vmcnt(0) lgkmcnt(0)
	v_pk_mul_f32 v[2:3], v[10:11], s[24:25] op_sel_hi:[1,0]
	s_and_b64 vcc, exec, s[4:5]
	s_cbranch_vccnz .LBB17_21
.LBB17_17:
	v_lshl_add_u64 v[6:7], v[0:1], 2, v[6:7]
	flat_load_dword v10, v[6:7] offset:512
	flat_load_dword v11, v[6:7] offset:768
	s_mov_b32 s24, s17
	s_waitcnt vmcnt(0) lgkmcnt(0)
	v_pk_mul_f32 v[6:7], v[10:11], s[24:25] op_sel_hi:[1,0]
	s_and_b64 vcc, exec, s[6:7]
	v_add_u32_e32 v8, 4, v56
	s_cbranch_vccnz .LBB17_22
.LBB17_18:
	v_mov_b32_e32 v11, 0
	s_mov_b32 s24, 0
	s_cbranch_execz .LBB17_23
; %bb.19:
	v_mov_b32_e32 v62, s24
	s_branch .LBB17_24
.LBB17_20:
	v_mov_b32_e32 v2, 0
	v_mov_b32_e32 v3, 0
	s_and_b64 vcc, exec, s[4:5]
	s_cbranch_vccz .LBB17_17
.LBB17_21:
	v_mov_b32_e32 v6, 0
	v_mov_b32_e32 v7, 0
	s_and_b64 vcc, exec, s[6:7]
	v_add_u32_e32 v8, 4, v56
	s_cbranch_vccz .LBB17_18
.LBB17_22:
                                        ; implicit-def: $sgpr24
                                        ; implicit-def: $vgpr10_vgpr11
.LBB17_23:
	v_mad_i64_i32 v[10:11], s[6:7], s22, v8, 0
	v_lshl_add_u64 v[10:11], v[10:11], 2, s[18:19]
	v_lshl_add_u64 v[4:5], v[4:5], 2, v[10:11]
	flat_load_dword v4, v[4:5]
	v_mov_b32_e32 v11, 0
	s_waitcnt vmcnt(0) lgkmcnt(0)
	v_mul_f32_e32 v62, s17, v4
.LBB17_24:
	v_mul_lo_u32 v10, v11, s14
	v_mul_lo_u32 v11, v8, s15
	v_mad_u64_u32 v[4:5], s[6:7], v8, s14, 0
	v_add3_u32 v5, v5, v11, v10
	s_and_b64 vcc, exec, s[4:5]
	v_lshl_add_u64 v[4:5], v[4:5], 2, s[20:21]
	s_cbranch_vccnz .LBB17_27
; %bb.25:
	v_lshl_add_u64 v[10:11], v[0:1], 2, v[4:5]
	flat_load_dword v12, v[10:11]
	flat_load_dword v13, v[10:11] offset:256
	s_mov_b32 s6, s17
	s_waitcnt vmcnt(0) lgkmcnt(0)
	v_pk_mul_f32 v[58:59], v[12:13], s[6:7] op_sel_hi:[1,0]
	s_and_b64 vcc, exec, s[4:5]
	s_cbranch_vccnz .LBB17_28
.LBB17_26:
	v_lshl_add_u64 v[0:1], v[0:1], 2, v[4:5]
	flat_load_dword v4, v[0:1] offset:512
	flat_load_dword v5, v[0:1] offset:768
	s_mov_b32 s6, s17
	s_waitcnt vmcnt(0) lgkmcnt(0)
	v_pk_mul_f32 v[60:61], v[4:5], s[6:7] op_sel_hi:[1,0]
	s_branch .LBB17_29
.LBB17_27:
	v_mov_b32_e32 v58, 0
	v_mov_b32_e32 v59, 0
	s_and_b64 vcc, exec, s[4:5]
	s_cbranch_vccz .LBB17_26
.LBB17_28:
	v_mov_b32_e32 v60, 0
	v_mov_b32_e32 v61, 0
.LBB17_29:
	v_lshlrev_b32_e32 v0, 2, v56
	v_lshl_add_u32 v84, v57, 4, v0
	v_lshlrev_b32_e32 v82, 4, v80
	v_lshlrev_b32_e32 v83, 4, v81
	ds_write_b32 v84, v9 offset:8192
	ds_write2st64_b32 v84, v2, v3 offset1:4
	ds_write2st64_b32 v84, v6, v7 offset0:8 offset1:12
	s_waitcnt lgkmcnt(0)
	s_barrier
	ds_read_b128 v[12:15], v82 offset:8192
	ds_read_b128 v[20:23], v82 offset:8320
	;; [unrolled: 1-line block ×8, first 2 shown]
	ds_read_b128 v[52:55], v83
	ds_read_b128 v[48:51], v83 offset:512
	ds_read_b128 v[44:47], v83 offset:1024
	;; [unrolled: 1-line block ×5, first 2 shown]
	s_waitcnt lgkmcnt(5)
	v_pk_add_f32 v[64:65], v[12:13], v[52:53]
	s_mov_b32 s6, 0x7f7fffff
	v_min3_f32 v63, v64, v65, s6
	v_pk_add_f32 v[64:65], v[20:21], v[52:53]
	s_cmp_lt_i32 s16, 9
	v_min3_f32 v66, v64, v65, s6
	v_pk_add_f32 v[64:65], v[24:25], v[52:53]
	s_nop 0
	v_min3_f32 v67, v64, v65, s6
	v_pk_add_f32 v[64:65], v[28:29], v[52:53]
	s_nop 0
	v_min3_f32 v68, v64, v65, s6
	v_pk_add_f32 v[64:65], v[16:17], v[52:53]
	s_nop 0
	v_min3_f32 v69, v64, v65, s6
	v_pk_add_f32 v[64:65], v[8:9], v[52:53]
	s_nop 0
	v_min3_f32 v70, v64, v65, s6
	v_pk_add_f32 v[64:65], v[4:5], v[52:53]
	v_pk_add_f32 v[52:53], v[0:1], v[52:53]
	v_min3_f32 v64, v64, v65, s6
	v_min3_f32 v65, v52, v53, s6
	s_waitcnt lgkmcnt(4)
	v_pk_add_f32 v[52:53], v[12:13], v[48:49]
	s_nop 0
	v_min3_f32 v71, v52, v53, s6
	v_pk_add_f32 v[52:53], v[20:21], v[48:49]
	s_nop 0
	v_min3_f32 v72, v52, v53, s6
	v_pk_add_f32 v[52:53], v[24:25], v[48:49]
	s_nop 0
	v_min3_f32 v73, v52, v53, s6
	v_pk_add_f32 v[52:53], v[28:29], v[48:49]
	s_nop 0
	v_min3_f32 v74, v52, v53, s6
	v_pk_add_f32 v[52:53], v[16:17], v[48:49]
	s_nop 0
	v_min3_f32 v75, v52, v53, s6
	v_pk_add_f32 v[52:53], v[8:9], v[48:49]
	s_nop 0
	v_min3_f32 v76, v52, v53, s6
	v_pk_add_f32 v[52:53], v[4:5], v[48:49]
	v_pk_add_f32 v[48:49], v[0:1], v[48:49]
	v_min3_f32 v77, v52, v53, s6
	v_min3_f32 v78, v48, v49, s6
	s_waitcnt lgkmcnt(3)
	v_pk_add_f32 v[48:49], v[12:13], v[44:45]
	s_nop 0
	v_min3_f32 v79, v48, v49, s6
	v_pk_add_f32 v[48:49], v[20:21], v[44:45]
	s_nop 0
	;; [unrolled: 23-line block ×5, first 2 shown]
	v_min3_f32 v109, v36, v37, s6
	v_pk_add_f32 v[36:37], v[24:25], v[32:33]
	s_nop 0
	v_min3_f32 v110, v36, v37, s6
	v_pk_add_f32 v[36:37], v[28:29], v[32:33]
	s_nop 0
	;; [unrolled: 3-line block ×11, first 2 shown]
	v_min3_f32 v86, v36, v37, v64
	v_pk_add_f32 v[36:37], v[4:5], v[32:33]
	v_pk_add_f32 v[32:33], v[0:1], v[32:33]
	v_min3_f32 v63, v36, v37, s6
	v_min3_f32 v64, v32, v33, s6
	v_pk_add_f32 v[32:33], v[2:3], v[54:55]
	ds_read_b128 v[52:55], v83 offset:3072
	v_min3_f32 v148, v32, v33, v65
	v_pk_add_f32 v[32:33], v[14:15], v[50:51]
	s_nop 0
	v_min3_f32 v149, v32, v33, v71
	v_pk_add_f32 v[32:33], v[22:23], v[50:51]
	s_nop 0
	;; [unrolled: 3-line block ×7, first 2 shown]
	v_min3_f32 v141, v32, v33, v77
	v_pk_add_f32 v[32:33], v[2:3], v[50:51]
	ds_read_b128 v[48:51], v83 offset:3584
	v_min3_f32 v145, v32, v33, v78
	v_pk_add_f32 v[32:33], v[14:15], v[46:47]
	s_waitcnt lgkmcnt(1)
	v_pk_add_f32 v[36:37], v[12:13], v[52:53]
	v_min3_f32 v144, v32, v33, v79
	v_pk_add_f32 v[32:33], v[22:23], v[46:47]
	v_min3_f32 v65, v36, v37, s6
	v_min3_f32 v140, v32, v33, v89
	v_pk_add_f32 v[32:33], v[26:27], v[46:47]
	v_pk_add_f32 v[36:37], v[20:21], v[52:53]
	v_min3_f32 v139, v32, v33, v90
	v_pk_add_f32 v[32:33], v[30:31], v[46:47]
	v_min3_f32 v66, v36, v37, s6
	v_min3_f32 v136, v32, v33, v91
	v_pk_add_f32 v[32:33], v[18:19], v[46:47]
	v_pk_add_f32 v[36:37], v[16:17], v[52:53]
	v_min3_f32 v135, v32, v33, v92
	v_pk_add_f32 v[32:33], v[10:11], v[46:47]
	s_waitcnt lgkmcnt(0)
	v_pk_add_f32 v[12:13], v[12:13], v[48:49]
	v_min3_f32 v134, v32, v33, v93
	v_pk_add_f32 v[32:33], v[6:7], v[46:47]
	v_pk_add_f32 v[16:17], v[16:17], v[48:49]
	v_min3_f32 v133, v32, v33, v94
	v_pk_add_f32 v[32:33], v[24:25], v[52:53]
	v_min3_f32 v16, v16, v17, s6
	v_min3_f32 v67, v32, v33, s6
	v_pk_add_f32 v[32:33], v[28:29], v[52:53]
	ds_write_b32 v84, v62 offset:9216
	ds_write2st64_b32 v84, v58, v59 offset0:16 offset1:20
	ds_write2st64_b32 v84, v60, v61 offset0:24 offset1:28
	v_min3_f32 v68, v32, v33, s6
	v_pk_add_f32 v[32:33], v[2:3], v[46:47]
	v_min3_f32 v46, v36, v37, s6
	v_min3_f32 v132, v32, v33, v95
	v_pk_add_f32 v[32:33], v[14:15], v[42:43]
	v_pk_add_f32 v[36:37], v[8:9], v[52:53]
	v_min3_f32 v131, v32, v33, v96
	v_pk_add_f32 v[32:33], v[22:23], v[42:43]
	v_min3_f32 v36, v36, v37, s6
	v_min3_f32 v130, v32, v33, v97
	v_pk_add_f32 v[32:33], v[26:27], v[42:43]
	v_pk_add_f32 v[8:9], v[8:9], v[48:49]
	;; [unrolled: 6-line block ×3, first 2 shown]
	v_min3_f32 v127, v32, v33, v100
	v_pk_add_f32 v[32:33], v[10:11], v[42:43]
	s_waitcnt lgkmcnt(0)
	v_min3_f32 v126, v32, v33, v101
	v_pk_add_f32 v[32:33], v[6:7], v[42:43]
	s_barrier
	v_min3_f32 v125, v32, v33, v44
	v_pk_add_f32 v[32:33], v[4:5], v[52:53]
	v_pk_add_f32 v[4:5], v[4:5], v[48:49]
	v_min3_f32 v37, v32, v33, s6
	v_pk_add_f32 v[32:33], v[0:1], v[52:53]
	v_pk_add_f32 v[0:1], v[0:1], v[48:49]
	v_min3_f32 v44, v32, v33, s6
	v_pk_add_f32 v[32:33], v[2:3], v[42:43]
	v_min3_f32 v4, v4, v5, s6
	v_min3_f32 v124, v32, v33, v45
	v_pk_add_f32 v[32:33], v[14:15], v[38:39]
	v_min3_f32 v5, v0, v1, s6
	v_min3_f32 v123, v32, v33, v102
	v_pk_add_f32 v[32:33], v[22:23], v[38:39]
	v_pk_add_f32 v[0:1], v[2:3], v[54:55]
	v_min3_f32 v122, v32, v33, v103
	v_pk_add_f32 v[32:33], v[26:27], v[38:39]
	v_min3_f32 v99, v0, v1, v44
	v_min3_f32 v121, v32, v33, v104
	v_pk_add_f32 v[32:33], v[30:31], v[38:39]
	v_pk_add_f32 v[0:1], v[14:15], v[50:51]
	v_min3_f32 v120, v32, v33, v105
	v_pk_add_f32 v[32:33], v[18:19], v[38:39]
	s_nop 0
	v_min3_f32 v119, v32, v33, v106
	v_pk_add_f32 v[32:33], v[10:11], v[38:39]
	s_nop 0
	;; [unrolled: 3-line block ×3, first 2 shown]
	v_min3_f32 v117, v32, v33, v40
	v_pk_add_f32 v[32:33], v[2:3], v[38:39]
	v_min3_f32 v38, v12, v13, s6
	v_pk_add_f32 v[12:13], v[20:21], v[48:49]
	v_min3_f32 v100, v0, v1, v38
	v_min3_f32 v20, v12, v13, s6
	v_pk_add_f32 v[12:13], v[14:15], v[34:35]
	v_pk_add_f32 v[0:1], v[22:23], v[50:51]
	v_min3_f32 v116, v12, v13, v108
	v_pk_add_f32 v[12:13], v[22:23], v[34:35]
	v_min3_f32 v108, v8, v9, v65
	v_min3_f32 v113, v12, v13, v109
	v_pk_add_f32 v[12:13], v[26:27], v[34:35]
	;; [unrolled: 6-line block ×5, first 2 shown]
	v_min3_f32 v98, v0, v1, v21
	v_min3_f32 v24, v12, v13, s6
	v_pk_add_f32 v[0:1], v[30:31], v[50:51]
	v_pk_add_f32 v[8:9], v[30:31], v[54:55]
	v_min3_f32 v94, v0, v1, v24
	v_pk_add_f32 v[0:1], v[18:19], v[50:51]
	v_min3_f32 v103, v8, v9, v68
	;; [unrolled: 2-line block ×5, first 2 shown]
	v_pk_add_f32 v[0:1], v[6:7], v[50:51]
	v_pk_add_f32 v[12:13], v[2:3], v[34:35]
	v_min3_f32 v101, v8, v9, v36
	v_pk_add_f32 v[8:9], v[6:7], v[54:55]
	v_min3_f32 v93, v0, v1, v4
	;; [unrolled: 2-line block ×3, first 2 shown]
	v_min3_f32 v107, v12, v13, v64
	v_min3_f32 v102, v8, v9, v37
	;; [unrolled: 1-line block ×3, first 2 shown]
	s_cbranch_scc1 .LBB17_47
; %bb.30:
	v_mov_b32_e32 v0, 0x2400
	v_lshl_add_u32 v153, v80, 4, v0
	v_mov_b32_e32 v0, 0x1000
	v_add_u32_e32 v2, 12, v56
	v_lshl_add_u32 v154, v81, 4, v0
	v_mad_i64_i32 v[0:1], s[6:7], v2, s22, 0
	v_lshlrev_b64 v[64:65], 2, v[0:1]
	v_lshl_or_b32 v0, s2, 6, v57
	s_lshl_b32 s2, s3, 6
	v_subrev_u32_e32 v0, s2, v0
	v_ashrrev_i32_e32 v1, 31, v0
	v_lshl_add_u64 v[66:67], v[0:1], 2, s[18:19]
	v_mad_i64_i32 v[0:1], s[6:7], v2, s14, 0
	v_lshlrev_b64 v[68:69], 2, v[0:1]
	v_add_u32_e32 v0, s28, v57
	v_ashrrev_i32_e32 v1, 31, v0
	v_add_u32_e32 v2, 8, v56
	v_lshl_add_u64 v[70:71], v[0:1], 2, s[20:21]
	s_lshl_b64 s[6:7], s[14:15], 5
	v_mad_i64_i32 v[0:1], s[14:15], v2, s14, 0
	v_lshlrev_b64 v[72:73], 2, v[0:1]
	v_mad_i64_i32 v[0:1], s[14:15], v2, s22, 0
	v_or_b32_e32 v89, 0x2000, v84
	v_add_u32_e32 v90, 0x2000, v82
	v_add_u32_e32 v91, 0x2400, v84
	v_or_b32_e32 v137, 0x1000, v84
	s_add_i32 s24, s16, -8
	s_mov_b32 s16, s17
	s_lshl_b64 s[2:3], s[22:23], 5
	v_lshlrev_b64 v[74:75], 2, v[0:1]
	s_mov_b32 s14, 0
	s_branch .LBB17_33
.LBB17_31:                              ;   in Loop: Header=BB17_33 Depth=1
	flat_load_dword v0, v[78:79] offset:512
	flat_load_dword v1, v[78:79] offset:768
	s_waitcnt vmcnt(0) lgkmcnt(0)
	v_pk_mul_f32 v[36:37], v[0:1], s[16:17]
.LBB17_32:                              ;   in Loop: Header=BB17_33 Depth=1
	ds_read_b128 v[0:3], v90
	ds_read_b128 v[4:7], v90 offset:128
	ds_read_b128 v[8:11], v90 offset:256
	;; [unrolled: 1-line block ×7, first 2 shown]
	ds_read_b128 v[126:129], v83
	ds_read_b128 v[130:133], v83 offset:512
	ds_read_b128 v[156:159], v83 offset:1024
	;; [unrolled: 1-line block ×7, first 2 shown]
	s_waitcnt lgkmcnt(7)
	v_pk_add_f32 v[78:79], v[0:1], v[126:127]
	s_add_i32 s14, s14, 8
	v_min3_f32 v134, v78, v79, v40
	v_pk_add_f32 v[78:79], v[4:5], v[126:127]
	v_lshl_add_u64 v[66:67], v[66:67], 0, s[2:3]
	v_min3_f32 v78, v78, v79, v41
	v_pk_add_f32 v[40:41], v[8:9], v[126:127]
	s_cmp_ge_i32 s14, s24
	v_min3_f32 v44, v40, v41, v44
	v_pk_add_f32 v[40:41], v[12:13], v[126:127]
	v_lshl_add_u64 v[70:71], v[70:71], 0, s[6:7]
	v_min3_f32 v45, v40, v41, v45
	v_pk_add_f32 v[40:41], v[16:17], v[126:127]
	ds_write_b32 v91, v155
	ds_write2st64_b32 v137, v76, v77 offset1:4
	ds_write2st64_b32 v137, v36, v37 offset0:8 offset1:12
	v_min3_f32 v48, v40, v41, v48
	v_pk_add_f32 v[40:41], v[20:21], v[126:127]
	s_waitcnt lgkmcnt(0)
	v_min3_f32 v49, v40, v41, v49
	v_pk_add_f32 v[40:41], v[24:25], v[126:127]
	s_barrier
	v_min3_f32 v52, v40, v41, v52
	v_pk_add_f32 v[40:41], v[28:29], v[126:127]
	s_nop 0
	v_min3_f32 v53, v40, v41, v53
	v_pk_add_f32 v[40:41], v[0:1], v[130:131]
	s_nop 0
	;; [unrolled: 3-line block ×41, first 2 shown]
	v_min3_f32 v42, v40, v41, v42
	v_pk_add_f32 v[40:41], v[0:1], v[172:173]
	v_pk_add_f32 v[0:1], v[0:1], v[32:33]
	v_min3_f32 v43, v40, v41, v43
	v_min3_f32 v39, v0, v1, v39
	v_pk_add_f32 v[0:1], v[4:5], v[32:33]
	v_pk_add_f32 v[40:41], v[4:5], v[172:173]
	v_min3_f32 v4, v0, v1, v119
	v_pk_add_f32 v[0:1], v[8:9], v[32:33]
	v_min3_f32 v160, v40, v41, v113
	v_min3_f32 v5, v0, v1, v120
	v_pk_add_f32 v[0:1], v[12:13], v[32:33]
	v_pk_add_f32 v[40:41], v[8:9], v[172:173]
	v_min3_f32 v8, v0, v1, v121
	;; [unrolled: 6-line block ×7, first 2 shown]
	v_pk_add_f32 v[0:1], v[26:27], v[128:129]
	v_min3_f32 v38, v40, v41, v38
	v_min3_f32 v86, v0, v1, v52
	v_pk_add_f32 v[0:1], v[30:31], v[128:129]
	s_nop 0
	v_min3_f32 v148, v0, v1, v53
	v_pk_add_f32 v[0:1], v[2:3], v[132:133]
	s_nop 0
	;; [unrolled: 3-line block ×57, first 2 shown]
	v_min3_f32 v96, v0, v1, v16
	s_cbranch_scc1 .LBB17_47
.LBB17_33:                              ; =>This Inner Loop Header: Depth=1
	s_and_b64 vcc, exec, s[4:5]
	s_cbranch_vccnz .LBB17_37
; %bb.34:                               ;   in Loop: Header=BB17_33 Depth=1
	v_lshl_add_u64 v[0:1], v[66:67], 0, v[74:75]
	flat_load_dword v0, v[0:1]
	s_waitcnt vmcnt(0) lgkmcnt(0)
	v_mul_f32_e32 v155, s17, v0
	s_and_b64 vcc, exec, s[4:5]
	v_lshl_add_u64 v[0:1], v[70:71], 0, v[72:73]
	s_cbranch_vccnz .LBB17_38
.LBB17_35:                              ;   in Loop: Header=BB17_33 Depth=1
	flat_load_dword v2, v[0:1]
	flat_load_dword v3, v[0:1] offset:256
	s_waitcnt vmcnt(0) lgkmcnt(0)
	v_pk_mul_f32 v[76:77], v[2:3], s[16:17]
	s_and_b64 vcc, exec, s[4:5]
	s_cbranch_vccnz .LBB17_39
.LBB17_36:                              ;   in Loop: Header=BB17_33 Depth=1
	flat_load_dword v2, v[0:1] offset:512
	flat_load_dword v3, v[0:1] offset:768
	s_waitcnt vmcnt(0) lgkmcnt(0)
	v_pk_mul_f32 v[78:79], v[2:3], s[16:17]
	s_branch .LBB17_40
.LBB17_37:                              ;   in Loop: Header=BB17_33 Depth=1
	v_mov_b32_e32 v155, 0
	s_and_b64 vcc, exec, s[4:5]
	v_lshl_add_u64 v[0:1], v[70:71], 0, v[72:73]
	s_cbranch_vccz .LBB17_35
.LBB17_38:                              ;   in Loop: Header=BB17_33 Depth=1
	v_mov_b32_e32 v76, 0
	v_mov_b32_e32 v77, 0
	s_and_b64 vcc, exec, s[4:5]
	s_cbranch_vccz .LBB17_36
.LBB17_39:                              ;   in Loop: Header=BB17_33 Depth=1
	v_mov_b32_e32 v78, 0
	v_mov_b32_e32 v79, 0
.LBB17_40:                              ;   in Loop: Header=BB17_33 Depth=1
	ds_read_b128 v[28:31], v153
	ds_read_b128 v[24:27], v153 offset:128
	ds_read_b128 v[20:23], v153 offset:256
	;; [unrolled: 1-line block ×7, first 2 shown]
	ds_read_b128 v[60:63], v154
	ds_read_b128 v[56:59], v154 offset:512
	ds_read_b128 v[52:55], v154 offset:1024
	;; [unrolled: 1-line block ×7, first 2 shown]
	s_and_b64 vcc, exec, s[4:5]
	ds_write_b32 v89, v155
	ds_write2st64_b32 v84, v76, v77 offset1:4
	ds_write2st64_b32 v84, v78, v79 offset0:8 offset1:12
	s_waitcnt lgkmcnt(0)
	s_barrier
	s_cbranch_vccnz .LBB17_43
; %bb.41:                               ;   in Loop: Header=BB17_33 Depth=1
	v_lshl_add_u64 v[76:77], v[66:67], 0, v[64:65]
	flat_load_dword v76, v[76:77]
	s_waitcnt vmcnt(0) lgkmcnt(0)
	v_mul_f32_e32 v155, s17, v76
	s_and_b64 vcc, exec, s[4:5]
	v_lshl_add_u64 v[78:79], v[70:71], 0, v[68:69]
	s_cbranch_vccnz .LBB17_44
.LBB17_42:                              ;   in Loop: Header=BB17_33 Depth=1
	flat_load_dword v76, v[78:79]
	flat_load_dword v77, v[78:79] offset:256
	s_waitcnt vmcnt(0) lgkmcnt(0)
	v_pk_mul_f32 v[76:77], v[76:77], s[16:17]
	s_branch .LBB17_45
.LBB17_43:                              ;   in Loop: Header=BB17_33 Depth=1
	v_mov_b32_e32 v155, 0
	s_and_b64 vcc, exec, s[4:5]
	v_lshl_add_u64 v[78:79], v[70:71], 0, v[68:69]
	s_cbranch_vccz .LBB17_42
.LBB17_44:                              ;   in Loop: Header=BB17_33 Depth=1
	v_mov_b32_e32 v76, 0
	v_mov_b32_e32 v77, 0
.LBB17_45:                              ;   in Loop: Header=BB17_33 Depth=1
	v_pk_add_f32 v[156:157], v[28:29], v[60:61]
	s_and_b64 vcc, exec, s[4:5]
	v_min3_f32 v88, v156, v157, v88
	v_pk_add_f32 v[156:157], v[24:25], v[60:61]
	s_nop 0
	v_min3_f32 v158, v156, v157, v151
	v_pk_add_f32 v[156:157], v[20:21], v[60:61]
	s_nop 0
	v_min3_f32 v152, v156, v157, v152
	v_pk_add_f32 v[156:157], v[16:17], v[60:61]
	s_nop 0
	v_min3_f32 v87, v156, v157, v87
	v_pk_add_f32 v[156:157], v[12:13], v[60:61]
	s_nop 0
	v_min3_f32 v156, v156, v157, v150
	v_pk_add_f32 v[150:151], v[8:9], v[60:61]
	s_nop 0
	v_min3_f32 v85, v150, v151, v85
	v_pk_add_f32 v[150:151], v[4:5], v[60:61]
	v_pk_add_f32 v[60:61], v[0:1], v[60:61]
	v_min3_f32 v86, v150, v151, v86
	v_min3_f32 v148, v60, v61, v148
	v_pk_add_f32 v[60:61], v[28:29], v[56:57]
	s_nop 0
	v_min3_f32 v149, v60, v61, v149
	v_pk_add_f32 v[60:61], v[24:25], v[56:57]
	s_nop 0
	v_min3_f32 v146, v60, v61, v146
	v_pk_add_f32 v[60:61], v[20:21], v[56:57]
	s_nop 0
	v_min3_f32 v147, v60, v61, v147
	v_pk_add_f32 v[60:61], v[16:17], v[56:57]
	s_nop 0
	v_min3_f32 v142, v60, v61, v142
	v_pk_add_f32 v[60:61], v[12:13], v[56:57]
	s_nop 0
	v_min3_f32 v143, v60, v61, v143
	v_pk_add_f32 v[60:61], v[8:9], v[56:57]
	s_nop 0
	v_min3_f32 v138, v60, v61, v138
	v_pk_add_f32 v[60:61], v[4:5], v[56:57]
	v_pk_add_f32 v[56:57], v[0:1], v[56:57]
	v_min3_f32 v141, v60, v61, v141
	v_min3_f32 v145, v56, v57, v145
	v_pk_add_f32 v[56:57], v[28:29], v[52:53]
	s_nop 0
	;; [unrolled: 22-line block ×5, first 2 shown]
	v_min3_f32 v116, v44, v45, v116
	v_pk_add_f32 v[44:45], v[24:25], v[40:41]
	s_nop 0
	v_min3_f32 v113, v44, v45, v113
	v_pk_add_f32 v[44:45], v[20:21], v[40:41]
	s_nop 0
	;; [unrolled: 3-line block ×5, first 2 shown]
	v_min3_f32 v150, v44, v45, v109
	v_pk_add_f32 v[44:45], v[4:5], v[40:41]
	v_pk_add_f32 v[40:41], v[0:1], v[40:41]
	v_min3_f32 v151, v44, v45, v110
	v_min3_f32 v157, v40, v41, v107
	v_pk_add_f32 v[40:41], v[28:29], v[36:37]
	v_pk_add_f32 v[28:29], v[28:29], v[32:33]
	v_min3_f32 v159, v40, v41, v108
	v_pk_add_f32 v[40:41], v[24:25], v[36:37]
	v_pk_add_f32 v[24:25], v[24:25], v[32:33]
	v_min3_f32 v160, v40, v41, v105
	v_pk_add_f32 v[40:41], v[20:21], v[36:37]
	v_min3_f32 v24, v24, v25, v97
	v_min3_f32 v161, v40, v41, v106
	v_pk_add_f32 v[40:41], v[16:17], v[36:37]
	v_pk_add_f32 v[16:17], v[16:17], v[32:33]
	v_min3_f32 v162, v40, v41, v103
	v_pk_add_f32 v[40:41], v[12:13], v[36:37]
	v_min3_f32 v16, v16, v17, v94
	v_min3_f32 v163, v40, v41, v104
	v_pk_add_f32 v[40:41], v[8:9], v[36:37]
	v_pk_add_f32 v[8:9], v[8:9], v[32:33]
	v_min3_f32 v164, v40, v41, v101
	v_pk_add_f32 v[40:41], v[4:5], v[36:37]
	v_pk_add_f32 v[36:37], v[0:1], v[36:37]
	;; [unrolled: 1-line block ×4, first 2 shown]
	v_min3_f32 v4, v4, v5, v93
	v_min3_f32 v5, v0, v1, v96
	v_pk_add_f32 v[0:1], v[30:31], v[62:63]
	v_min3_f32 v165, v40, v41, v102
	v_min3_f32 v40, v0, v1, v88
	v_pk_add_f32 v[0:1], v[26:27], v[62:63]
	;; [unrolled: 3-line block ×3, first 2 shown]
	v_pk_add_f32 v[12:13], v[12:13], v[32:33]
	v_min3_f32 v44, v0, v1, v152
	v_pk_add_f32 v[0:1], v[18:19], v[62:63]
	v_min3_f32 v12, v12, v13, v95
	v_min3_f32 v45, v0, v1, v87
	v_pk_add_f32 v[0:1], v[14:15], v[62:63]
	v_pk_add_f32 v[20:21], v[20:21], v[32:33]
	v_min3_f32 v48, v0, v1, v156
	v_pk_add_f32 v[0:1], v[10:11], v[62:63]
	v_min3_f32 v20, v20, v21, v98
	v_min3_f32 v49, v0, v1, v85
	v_pk_add_f32 v[0:1], v[6:7], v[62:63]
	v_min3_f32 v36, v36, v37, v99
	;; [unrolled: 3-line block ×3, first 2 shown]
	v_min3_f32 v53, v0, v1, v148
	v_pk_add_f32 v[0:1], v[30:31], v[58:59]
	s_nop 0
	v_min3_f32 v56, v0, v1, v149
	v_pk_add_f32 v[0:1], v[26:27], v[58:59]
	s_nop 0
	;; [unrolled: 3-line block ×56, first 2 shown]
	v_min3_f32 v125, v0, v1, v5
	s_cbranch_vccz .LBB17_31
; %bb.46:                               ;   in Loop: Header=BB17_33 Depth=1
	v_mov_b32_e32 v36, 0
	v_mov_b32_e32 v37, 0
	s_branch .LBB17_32
.LBB17_47:
	s_load_dwordx2 s[2:3], s[0:1], 0x70
	ds_read_b128 v[32:35], v82 offset:9216
	ds_read_b128 v[60:63], v83 offset:4096
	s_load_dword s4, s[0:1], 0x50
	s_load_dword s5, s[0:1], 0x68
	v_add_u32_e32 v68, s27, v80
	v_add_u32_e32 v137, s28, v81
	s_waitcnt lgkmcnt(0)
	s_lshl_b64 s[0:1], s[2:3], 2
	v_pk_add_f32 v[0:1], v[32:33], v[60:61]
	s_add_u32 s0, s12, s0
	v_min3_f32 v2, v0, v1, v88
	v_pk_add_f32 v[0:1], v[34:35], v[62:63]
	s_addc_u32 s1, s13, s1
	v_min3_f32 v2, v0, v1, v2
	v_add_u32_e32 v64, 8, v68
	v_mad_i64_i32 v[0:1], s[2:3], v137, s5, 0
	v_ashrrev_i32_e32 v69, 31, v68
	v_ashrrev_i32_e32 v65, 31, v64
	v_lshl_add_u64 v[88:89], v[0:1], 2, s[0:1]
	v_mad_i64_i32 v[0:1], s[2:3], v137, s4, 0
	v_max_f32_e32 v2, v2, v2
	s_mov_b64 vcc, s[8:9]
	s_cbranch_vccz .LBB17_49
; %bb.48:
	v_min_f32_e32 v3, 0, v2
	v_lshl_add_u64 v[4:5], v[68:69], 2, v[88:89]
	s_mov_b32 s6, 0
	global_store_dword v[4:5], v3, off
	s_mov_b64 s[2:3], 0
	s_branch .LBB17_50
.LBB17_49:
	s_mov_b64 s[2:3], -1
                                        ; implicit-def: $sgpr6
.LBB17_50:
	ds_read_b128 v[28:31], v82 offset:9344
	ds_read_b128 v[24:27], v82 offset:9472
	v_lshl_add_u64 v[90:91], v[0:1], 2, s[10:11]
	s_andn2_b64 vcc, exec, s[2:3]
	v_lshlrev_b64 v[72:73], 2, v[68:69]
	s_cbranch_vccnz .LBB17_52
; %bb.51:
	v_lshl_add_u64 v[0:1], v[90:91], 0, v[72:73]
	flat_load_dword v3, v[0:1]
	v_lshl_add_u64 v[0:1], v[88:89], 0, v[72:73]
	s_waitcnt vmcnt(0) lgkmcnt(0)
	v_mul_f32_e32 v3, s26, v3
	v_min_f32_e32 v2, v3, v2
	global_store_dword v[0:1], v2, off
	v_lshl_add_u64 v[0:1], v[64:65], 2, v[90:91]
	flat_load_dword v0, v[0:1]
	s_waitcnt vmcnt(0) lgkmcnt(0)
	v_mul_f32_e32 v70, s26, v0
	s_branch .LBB17_53
.LBB17_52:
	v_mov_b32_e32 v70, s6
.LBB17_53:
	ds_read_b128 v[16:19], v82 offset:9728
	ds_read_b128 v[12:15], v82 offset:9856
	;; [unrolled: 1-line block ×12, first 2 shown]
	s_waitcnt lgkmcnt(13)
	v_pk_add_f32 v[66:67], v[28:29], v[60:61]
	s_mov_b64 vcc, s[8:9]
	v_min3_f32 v71, v66, v67, v151
	s_waitcnt lgkmcnt(12)
	v_pk_add_f32 v[66:67], v[24:25], v[60:61]
	s_nop 0
	v_min3_f32 v74, v66, v67, v152
	v_pk_add_f32 v[66:67], v[30:31], v[62:63]
	s_nop 0
	v_min_f32_e32 v76, v66, v67
	v_pk_add_f32 v[66:67], v[26:27], v[62:63]
	v_min3_f32 v76, v70, v76, v71
	v_min3_f32 v77, v66, v67, v74
	v_add_u32_e32 v74, 16, v68
	v_add_u32_e32 v66, 24, v68
	v_lshl_add_u64 v[70:71], v[64:65], 2, v[88:89]
	v_ashrrev_i32_e32 v75, 31, v74
	v_ashrrev_i32_e32 v67, 31, v66
	global_store_dword v[70:71], v76, off
	v_max_f32_e32 v70, v77, v77
	s_cbranch_vccz .LBB17_56
; %bb.54:
	v_min_f32_e32 v71, 0, v70
	v_lshl_add_u64 v[76:77], v[74:75], 2, v[88:89]
	s_mov_b32 s6, 0
	global_store_dword v[76:77], v71, off
	v_lshlrev_b64 v[78:79], 2, v[74:75]
	s_cbranch_execz .LBB17_57
; %bb.55:
	v_mov_b32_e32 v76, s6
	s_branch .LBB17_58
.LBB17_56:
                                        ; implicit-def: $sgpr6
	v_lshlrev_b64 v[78:79], 2, v[74:75]
.LBB17_57:
	v_lshl_add_u64 v[76:77], v[90:91], 0, v[78:79]
	flat_load_dword v71, v[76:77]
	v_lshl_add_u64 v[76:77], v[88:89], 0, v[78:79]
	s_waitcnt vmcnt(0) lgkmcnt(0)
	v_mul_f32_e32 v71, s26, v71
	v_min_f32_e32 v70, v71, v70
	global_store_dword v[76:77], v70, off
	v_lshl_add_u64 v[70:71], v[66:67], 2, v[90:91]
	flat_load_dword v70, v[70:71]
	s_waitcnt vmcnt(0) lgkmcnt(0)
	v_mul_f32_e32 v76, s26, v70
.LBB17_58:
	s_waitcnt lgkmcnt(1)
	v_pk_add_f32 v[70:71], v[20:21], v[60:61]
	s_mov_b64 vcc, s[8:9]
	v_min3_f32 v77, v70, v71, v87
	v_pk_add_f32 v[70:71], v[16:17], v[60:61]
	s_nop 0
	v_min3_f32 v80, v70, v71, v150
	v_pk_add_f32 v[70:71], v[22:23], v[62:63]
	s_nop 0
	v_min_f32_e32 v82, v70, v71
	v_pk_add_f32 v[70:71], v[18:19], v[62:63]
	v_min3_f32 v82, v76, v82, v77
	v_min3_f32 v83, v70, v71, v80
	v_add_u32_e32 v80, 32, v68
	v_add_u32_e32 v70, 40, v68
	v_lshl_add_u64 v[76:77], v[66:67], 2, v[88:89]
	v_ashrrev_i32_e32 v81, 31, v80
	v_ashrrev_i32_e32 v71, 31, v70
	global_store_dword v[76:77], v82, off
	v_max_f32_e32 v76, v83, v83
	s_cbranch_vccz .LBB17_61
; %bb.59:
	v_min_f32_e32 v77, 0, v76
	v_lshl_add_u64 v[82:83], v[80:81], 2, v[88:89]
	s_mov_b32 s6, 0
	global_store_dword v[82:83], v77, off
	v_lshlrev_b64 v[82:83], 2, v[80:81]
	s_cbranch_execz .LBB17_62
; %bb.60:
	v_mov_b32_e32 v87, s6
	s_branch .LBB17_63
.LBB17_61:
                                        ; implicit-def: $sgpr6
	v_lshlrev_b64 v[82:83], 2, v[80:81]
.LBB17_62:
	v_lshl_add_u64 v[150:151], v[90:91], 0, v[82:83]
	flat_load_dword v77, v[150:151]
	v_lshl_add_u64 v[150:151], v[88:89], 0, v[82:83]
	s_waitcnt vmcnt(0) lgkmcnt(0)
	v_mul_f32_e32 v77, s26, v77
	v_min_f32_e32 v76, v77, v76
	global_store_dword v[150:151], v76, off
	v_lshl_add_u64 v[76:77], v[70:71], 2, v[90:91]
	flat_load_dword v76, v[76:77]
	s_waitcnt vmcnt(0) lgkmcnt(0)
	v_mul_f32_e32 v87, s26, v76
.LBB17_63:
	v_pk_add_f32 v[76:77], v[12:13], v[60:61]
	s_mov_b64 vcc, s[8:9]
	v_min3_f32 v150, v76, v77, v85
	v_pk_add_f32 v[76:77], v[8:9], v[60:61]
	s_nop 0
	v_min3_f32 v84, v76, v77, v86
	v_pk_add_f32 v[76:77], v[14:15], v[62:63]
	s_nop 0
	v_min_f32_e32 v86, v76, v77
	v_pk_add_f32 v[76:77], v[10:11], v[62:63]
	v_min3_f32 v150, v87, v86, v150
	v_min3_f32 v151, v76, v77, v84
	v_add_u32_e32 v84, 48, v68
	v_add_u32_e32 v76, 56, v68
	v_lshl_add_u64 v[86:87], v[70:71], 2, v[88:89]
	v_ashrrev_i32_e32 v85, 31, v84
	v_ashrrev_i32_e32 v77, 31, v76
	global_store_dword v[86:87], v150, off
	v_max_f32_e32 v150, v151, v151
	s_cbranch_vccz .LBB17_66
; %bb.64:
	v_min_f32_e32 v151, 0, v150
	v_lshl_add_u64 v[86:87], v[84:85], 2, v[88:89]
	s_mov_b32 s6, 0
	global_store_dword v[86:87], v151, off
	v_lshlrev_b64 v[86:87], 2, v[84:85]
	s_cbranch_execz .LBB17_67
; %bb.65:
	v_mov_b32_e32 v90, s6
	s_branch .LBB17_68
.LBB17_66:
                                        ; implicit-def: $sgpr6
	v_lshlrev_b64 v[86:87], 2, v[84:85]
.LBB17_67:
	v_lshl_add_u64 v[152:153], v[90:91], 0, v[86:87]
	flat_load_dword v151, v[152:153]
	v_lshl_add_u64 v[152:153], v[88:89], 0, v[86:87]
	v_lshl_add_u64 v[90:91], v[76:77], 2, v[90:91]
	s_waitcnt vmcnt(0) lgkmcnt(0)
	v_mul_f32_e32 v151, s26, v151
	v_min_f32_e32 v150, v151, v150
	global_store_dword v[152:153], v150, off
	flat_load_dword v90, v[90:91]
	s_waitcnt vmcnt(0) lgkmcnt(0)
	v_mul_f32_e32 v90, s26, v90
.LBB17_68:
	v_pk_add_f32 v[60:61], v[0:1], v[60:61]
	s_mov_b64 vcc, s[8:9]
	v_min3_f32 v91, v60, v61, v148
	v_pk_add_f32 v[60:61], v[32:33], v[56:57]
	s_nop 0
	v_min3_f32 v148, v60, v61, v149
	v_pk_add_f32 v[60:61], v[2:3], v[62:63]
	s_nop 0
	v_min_f32_e32 v62, v60, v61
	v_pk_add_f32 v[60:61], v[34:35], v[58:59]
	v_min3_f32 v62, v90, v62, v91
	v_min3_f32 v148, v60, v61, v148
	v_lshl_add_u64 v[60:61], v[76:77], 2, v[88:89]
	global_store_dword v[60:61], v62, off
	v_add_u32_e32 v62, 32, v137
	v_mad_i64_i32 v[60:61], s[2:3], v62, s5, 0
	v_lshl_add_u64 v[60:61], v[60:61], 2, s[0:1]
	v_mad_i64_i32 v[62:63], s[2:3], v62, s4, 0
	v_max_f32_e32 v88, v148, v148
	s_cbranch_vccz .LBB17_71
; %bb.69:
	v_min_f32_e32 v89, 0, v88
	v_lshl_add_u64 v[90:91], v[68:69], 2, v[60:61]
	s_mov_b32 s6, 0
	global_store_dword v[90:91], v89, off
	v_lshl_add_u64 v[62:63], v[62:63], 2, s[10:11]
	s_cbranch_execz .LBB17_72
; %bb.70:
	v_mov_b32_e32 v88, s6
	s_branch .LBB17_73
.LBB17_71:
                                        ; implicit-def: $sgpr6
	v_lshl_add_u64 v[62:63], v[62:63], 2, s[10:11]
.LBB17_72:
	v_lshl_add_u64 v[90:91], v[62:63], 0, v[72:73]
	flat_load_dword v89, v[90:91]
	v_lshl_add_u64 v[90:91], v[60:61], 0, v[72:73]
	s_waitcnt vmcnt(0) lgkmcnt(0)
	v_mul_f32_e32 v89, s26, v89
	v_min_f32_e32 v88, v89, v88
	global_store_dword v[90:91], v88, off
	v_lshl_add_u64 v[88:89], v[64:65], 2, v[62:63]
	flat_load_dword v88, v[88:89]
	s_waitcnt vmcnt(0) lgkmcnt(0)
	v_mul_f32_e32 v88, s26, v88
.LBB17_73:
	v_pk_add_f32 v[90:91], v[28:29], v[56:57]
	s_mov_b64 vcc, s[8:9]
	v_min3_f32 v89, v90, v91, v146
	v_pk_add_f32 v[90:91], v[24:25], v[56:57]
	s_nop 0
	v_min3_f32 v146, v90, v91, v147
	v_pk_add_f32 v[90:91], v[30:31], v[58:59]
	s_nop 0
	v_min_f32_e32 v147, v90, v91
	v_pk_add_f32 v[90:91], v[26:27], v[58:59]
	s_nop 0
	v_min3_f32 v90, v90, v91, v146
	v_min3_f32 v91, v88, v147, v89
	v_lshl_add_u64 v[88:89], v[64:65], 2, v[60:61]
	global_store_dword v[88:89], v91, off
	v_max_f32_e32 v88, v90, v90
	s_cbranch_vccz .LBB17_76
; %bb.74:
	v_min_f32_e32 v89, 0, v88
	v_lshl_add_u64 v[90:91], v[74:75], 2, v[60:61]
	s_mov_b32 s6, 0
	global_store_dword v[90:91], v89, off
	s_cbranch_execz .LBB17_77
; %bb.75:
	v_mov_b32_e32 v88, s6
	s_branch .LBB17_78
.LBB17_76:
                                        ; implicit-def: $sgpr6
.LBB17_77:
	v_lshl_add_u64 v[90:91], v[62:63], 0, v[78:79]
	flat_load_dword v89, v[90:91]
	v_lshl_add_u64 v[90:91], v[60:61], 0, v[78:79]
	s_waitcnt vmcnt(0) lgkmcnt(0)
	v_mul_f32_e32 v89, s26, v89
	v_min_f32_e32 v88, v89, v88
	global_store_dword v[90:91], v88, off
	v_lshl_add_u64 v[88:89], v[66:67], 2, v[62:63]
	flat_load_dword v88, v[88:89]
	s_waitcnt vmcnt(0) lgkmcnt(0)
	v_mul_f32_e32 v88, s26, v88
.LBB17_78:
	v_pk_add_f32 v[90:91], v[20:21], v[56:57]
	s_mov_b64 vcc, s[8:9]
	v_min3_f32 v89, v90, v91, v142
	v_pk_add_f32 v[90:91], v[16:17], v[56:57]
	s_nop 0
	v_min3_f32 v142, v90, v91, v143
	v_pk_add_f32 v[90:91], v[22:23], v[58:59]
	s_nop 0
	v_min_f32_e32 v143, v90, v91
	v_pk_add_f32 v[90:91], v[18:19], v[58:59]
	s_nop 0
	v_min3_f32 v90, v90, v91, v142
	v_min3_f32 v91, v88, v143, v89
	v_lshl_add_u64 v[88:89], v[66:67], 2, v[60:61]
	global_store_dword v[88:89], v91, off
	v_max_f32_e32 v88, v90, v90
	s_cbranch_vccz .LBB17_81
; %bb.79:
	v_min_f32_e32 v89, 0, v88
	v_lshl_add_u64 v[90:91], v[80:81], 2, v[60:61]
	s_mov_b32 s6, 0
	global_store_dword v[90:91], v89, off
	s_cbranch_execz .LBB17_82
; %bb.80:
	v_mov_b32_e32 v88, s6
	s_branch .LBB17_83
.LBB17_81:
                                        ; implicit-def: $sgpr6
.LBB17_82:
	v_lshl_add_u64 v[90:91], v[62:63], 0, v[82:83]
	flat_load_dword v89, v[90:91]
	v_lshl_add_u64 v[90:91], v[60:61], 0, v[82:83]
	s_waitcnt vmcnt(0) lgkmcnt(0)
	v_mul_f32_e32 v89, s26, v89
	v_min_f32_e32 v88, v89, v88
	global_store_dword v[90:91], v88, off
	v_lshl_add_u64 v[88:89], v[70:71], 2, v[62:63]
	flat_load_dword v88, v[88:89]
	s_waitcnt vmcnt(0) lgkmcnt(0)
	v_mul_f32_e32 v88, s26, v88
.LBB17_83:
	v_pk_add_f32 v[90:91], v[12:13], v[56:57]
	s_mov_b64 vcc, s[8:9]
	v_min3_f32 v89, v90, v91, v138
	v_pk_add_f32 v[90:91], v[8:9], v[56:57]
	s_nop 0
	v_min3_f32 v138, v90, v91, v141
	v_pk_add_f32 v[90:91], v[14:15], v[58:59]
	s_nop 0
	v_min_f32_e32 v141, v90, v91
	v_pk_add_f32 v[90:91], v[10:11], v[58:59]
	s_nop 0
	v_min3_f32 v90, v90, v91, v138
	v_min3_f32 v91, v88, v141, v89
	v_lshl_add_u64 v[88:89], v[70:71], 2, v[60:61]
	global_store_dword v[88:89], v91, off
	v_max_f32_e32 v88, v90, v90
	s_cbranch_vccz .LBB17_86
; %bb.84:
	v_min_f32_e32 v89, 0, v88
	v_lshl_add_u64 v[90:91], v[84:85], 2, v[60:61]
	s_mov_b32 s6, 0
	global_store_dword v[90:91], v89, off
	s_cbranch_execz .LBB17_87
; %bb.85:
	v_mov_b32_e32 v62, s6
	s_branch .LBB17_88
.LBB17_86:
                                        ; implicit-def: $sgpr6
.LBB17_87:
	v_lshl_add_u64 v[90:91], v[62:63], 0, v[86:87]
	flat_load_dword v89, v[90:91]
	v_lshl_add_u64 v[90:91], v[60:61], 0, v[86:87]
	v_lshl_add_u64 v[62:63], v[76:77], 2, v[62:63]
	s_waitcnt vmcnt(0) lgkmcnt(0)
	v_mul_f32_e32 v89, s26, v89
	v_min_f32_e32 v88, v89, v88
	global_store_dword v[90:91], v88, off
	flat_load_dword v62, v[62:63]
	s_waitcnt vmcnt(0) lgkmcnt(0)
	v_mul_f32_e32 v62, s26, v62
.LBB17_88:
	v_pk_add_f32 v[56:57], v[0:1], v[56:57]
	s_mov_b64 vcc, s[8:9]
	v_min3_f32 v63, v56, v57, v145
	v_pk_add_f32 v[56:57], v[32:33], v[52:53]
	s_nop 0
	v_min3_f32 v88, v56, v57, v144
	v_pk_add_f32 v[56:57], v[2:3], v[58:59]
	s_nop 0
	v_min_f32_e32 v58, v56, v57
	v_pk_add_f32 v[56:57], v[34:35], v[54:55]
	v_min3_f32 v58, v62, v58, v63
	v_min3_f32 v88, v56, v57, v88
	v_lshl_add_u64 v[56:57], v[76:77], 2, v[60:61]
	global_store_dword v[56:57], v58, off
	v_add_u32_e32 v58, 64, v137
	v_mad_i64_i32 v[56:57], s[2:3], v58, s5, 0
	v_lshl_add_u64 v[56:57], v[56:57], 2, s[0:1]
	v_mad_i64_i32 v[58:59], s[2:3], v58, s4, 0
	v_max_f32_e32 v60, v88, v88
	s_cbranch_vccz .LBB17_91
; %bb.89:
	v_min_f32_e32 v61, 0, v60
	v_lshl_add_u64 v[62:63], v[68:69], 2, v[56:57]
	s_mov_b32 s6, 0
	global_store_dword v[62:63], v61, off
	v_lshl_add_u64 v[58:59], v[58:59], 2, s[10:11]
	s_cbranch_execz .LBB17_92
; %bb.90:
	v_mov_b32_e32 v60, s6
	s_branch .LBB17_93
.LBB17_91:
                                        ; implicit-def: $sgpr6
	v_lshl_add_u64 v[58:59], v[58:59], 2, s[10:11]
.LBB17_92:
	v_lshl_add_u64 v[62:63], v[58:59], 0, v[72:73]
	flat_load_dword v61, v[62:63]
	v_lshl_add_u64 v[62:63], v[56:57], 0, v[72:73]
	s_waitcnt vmcnt(0) lgkmcnt(0)
	v_mul_f32_e32 v61, s26, v61
	v_min_f32_e32 v60, v61, v60
	global_store_dword v[62:63], v60, off
	v_lshl_add_u64 v[60:61], v[64:65], 2, v[58:59]
	flat_load_dword v60, v[60:61]
	s_waitcnt vmcnt(0) lgkmcnt(0)
	v_mul_f32_e32 v60, s26, v60
.LBB17_93:
	v_pk_add_f32 v[62:63], v[28:29], v[52:53]
	s_mov_b64 vcc, s[8:9]
	v_min3_f32 v61, v62, v63, v140
	v_pk_add_f32 v[62:63], v[24:25], v[52:53]
	s_nop 0
	v_min3_f32 v88, v62, v63, v139
	v_pk_add_f32 v[62:63], v[30:31], v[54:55]
	s_nop 0
	v_min_f32_e32 v89, v62, v63
	v_pk_add_f32 v[62:63], v[26:27], v[54:55]
	s_nop 0
	v_min3_f32 v62, v62, v63, v88
	v_min3_f32 v63, v60, v89, v61
	v_lshl_add_u64 v[60:61], v[64:65], 2, v[56:57]
	global_store_dword v[60:61], v63, off
	v_max_f32_e32 v60, v62, v62
	s_cbranch_vccz .LBB17_96
; %bb.94:
	v_min_f32_e32 v61, 0, v60
	v_lshl_add_u64 v[62:63], v[74:75], 2, v[56:57]
	s_mov_b32 s6, 0
	global_store_dword v[62:63], v61, off
	s_cbranch_execz .LBB17_97
; %bb.95:
	v_mov_b32_e32 v60, s6
	s_branch .LBB17_98
.LBB17_96:
                                        ; implicit-def: $sgpr6
.LBB17_97:
	v_lshl_add_u64 v[62:63], v[58:59], 0, v[78:79]
	flat_load_dword v61, v[62:63]
	v_lshl_add_u64 v[62:63], v[56:57], 0, v[78:79]
	s_waitcnt vmcnt(0) lgkmcnt(0)
	v_mul_f32_e32 v61, s26, v61
	v_min_f32_e32 v60, v61, v60
	global_store_dword v[62:63], v60, off
	v_lshl_add_u64 v[60:61], v[66:67], 2, v[58:59]
	flat_load_dword v60, v[60:61]
	s_waitcnt vmcnt(0) lgkmcnt(0)
	v_mul_f32_e32 v60, s26, v60
.LBB17_98:
	v_pk_add_f32 v[62:63], v[20:21], v[52:53]
	s_mov_b64 vcc, s[8:9]
	v_min3_f32 v61, v62, v63, v136
	v_pk_add_f32 v[62:63], v[16:17], v[52:53]
	s_nop 0
	v_min3_f32 v88, v62, v63, v135
	v_pk_add_f32 v[62:63], v[22:23], v[54:55]
	s_nop 0
	v_min_f32_e32 v89, v62, v63
	v_pk_add_f32 v[62:63], v[18:19], v[54:55]
	s_nop 0
	v_min3_f32 v62, v62, v63, v88
	v_min3_f32 v63, v60, v89, v61
	v_lshl_add_u64 v[60:61], v[66:67], 2, v[56:57]
	global_store_dword v[60:61], v63, off
	v_max_f32_e32 v60, v62, v62
	s_cbranch_vccz .LBB17_101
; %bb.99:
	v_min_f32_e32 v61, 0, v60
	v_lshl_add_u64 v[62:63], v[80:81], 2, v[56:57]
	s_mov_b32 s6, 0
	global_store_dword v[62:63], v61, off
	s_cbranch_execz .LBB17_102
; %bb.100:
	v_mov_b32_e32 v60, s6
	s_branch .LBB17_103
.LBB17_101:
                                        ; implicit-def: $sgpr6
.LBB17_102:
	v_lshl_add_u64 v[62:63], v[58:59], 0, v[82:83]
	flat_load_dword v61, v[62:63]
	v_lshl_add_u64 v[62:63], v[56:57], 0, v[82:83]
	s_waitcnt vmcnt(0) lgkmcnt(0)
	v_mul_f32_e32 v61, s26, v61
	v_min_f32_e32 v60, v61, v60
	global_store_dword v[62:63], v60, off
	v_lshl_add_u64 v[60:61], v[70:71], 2, v[58:59]
	flat_load_dword v60, v[60:61]
	s_waitcnt vmcnt(0) lgkmcnt(0)
	v_mul_f32_e32 v60, s26, v60
.LBB17_103:
	v_pk_add_f32 v[62:63], v[12:13], v[52:53]
	s_mov_b64 vcc, s[8:9]
	v_min3_f32 v61, v62, v63, v134
	v_pk_add_f32 v[62:63], v[8:9], v[52:53]
	s_nop 0
	v_min3_f32 v88, v62, v63, v133
	v_pk_add_f32 v[62:63], v[14:15], v[54:55]
	s_nop 0
	v_min_f32_e32 v89, v62, v63
	v_pk_add_f32 v[62:63], v[10:11], v[54:55]
	s_nop 0
	v_min3_f32 v62, v62, v63, v88
	v_min3_f32 v63, v60, v89, v61
	v_lshl_add_u64 v[60:61], v[70:71], 2, v[56:57]
	global_store_dword v[60:61], v63, off
	v_max_f32_e32 v60, v62, v62
	s_cbranch_vccz .LBB17_106
; %bb.104:
	v_min_f32_e32 v61, 0, v60
	v_lshl_add_u64 v[62:63], v[84:85], 2, v[56:57]
	s_mov_b32 s6, 0
	global_store_dword v[62:63], v61, off
	s_cbranch_execz .LBB17_107
; %bb.105:
	v_mov_b32_e32 v58, s6
	s_branch .LBB17_108
.LBB17_106:
                                        ; implicit-def: $sgpr6
.LBB17_107:
	v_lshl_add_u64 v[62:63], v[58:59], 0, v[86:87]
	flat_load_dword v61, v[62:63]
	v_lshl_add_u64 v[62:63], v[56:57], 0, v[86:87]
	v_lshl_add_u64 v[58:59], v[76:77], 2, v[58:59]
	s_waitcnt vmcnt(0) lgkmcnt(0)
	v_mul_f32_e32 v61, s26, v61
	v_min_f32_e32 v60, v61, v60
	global_store_dword v[62:63], v60, off
	flat_load_dword v58, v[58:59]
	s_waitcnt vmcnt(0) lgkmcnt(0)
	v_mul_f32_e32 v58, s26, v58
.LBB17_108:
	v_pk_add_f32 v[52:53], v[0:1], v[52:53]
	s_mov_b64 vcc, s[8:9]
	v_min3_f32 v59, v52, v53, v132
	v_pk_add_f32 v[52:53], v[32:33], v[48:49]
	s_nop 0
	v_min3_f32 v60, v52, v53, v131
	v_pk_add_f32 v[52:53], v[2:3], v[54:55]
	s_nop 0
	v_min_f32_e32 v54, v52, v53
	v_pk_add_f32 v[52:53], v[34:35], v[50:51]
	v_min3_f32 v54, v58, v54, v59
	v_min3_f32 v60, v52, v53, v60
	v_lshl_add_u64 v[52:53], v[76:77], 2, v[56:57]
	global_store_dword v[52:53], v54, off
	v_add_u32_e32 v54, 0x60, v137
	v_mad_i64_i32 v[52:53], s[2:3], v54, s5, 0
	v_lshl_add_u64 v[52:53], v[52:53], 2, s[0:1]
	v_mad_i64_i32 v[54:55], s[2:3], v54, s4, 0
	v_max_f32_e32 v56, v60, v60
	s_cbranch_vccz .LBB17_111
; %bb.109:
	v_min_f32_e32 v57, 0, v56
	v_lshl_add_u64 v[58:59], v[68:69], 2, v[52:53]
	s_mov_b32 s6, 0
	global_store_dword v[58:59], v57, off
	v_lshl_add_u64 v[54:55], v[54:55], 2, s[10:11]
	s_cbranch_execz .LBB17_112
; %bb.110:
	v_mov_b32_e32 v56, s6
	s_branch .LBB17_113
.LBB17_111:
                                        ; implicit-def: $sgpr6
	v_lshl_add_u64 v[54:55], v[54:55], 2, s[10:11]
.LBB17_112:
	v_lshl_add_u64 v[58:59], v[54:55], 0, v[72:73]
	flat_load_dword v57, v[58:59]
	v_lshl_add_u64 v[58:59], v[52:53], 0, v[72:73]
	s_waitcnt vmcnt(0) lgkmcnt(0)
	v_mul_f32_e32 v57, s26, v57
	v_min_f32_e32 v56, v57, v56
	global_store_dword v[58:59], v56, off
	v_lshl_add_u64 v[56:57], v[64:65], 2, v[54:55]
	flat_load_dword v56, v[56:57]
	s_waitcnt vmcnt(0) lgkmcnt(0)
	v_mul_f32_e32 v56, s26, v56
.LBB17_113:
	v_pk_add_f32 v[58:59], v[28:29], v[48:49]
	s_mov_b64 vcc, s[8:9]
	v_min3_f32 v57, v58, v59, v130
	v_pk_add_f32 v[58:59], v[24:25], v[48:49]
	s_nop 0
	v_min3_f32 v60, v58, v59, v129
	v_pk_add_f32 v[58:59], v[30:31], v[50:51]
	s_nop 0
	v_min_f32_e32 v61, v58, v59
	v_pk_add_f32 v[58:59], v[26:27], v[50:51]
	s_nop 0
	v_min3_f32 v58, v58, v59, v60
	v_min3_f32 v59, v56, v61, v57
	v_lshl_add_u64 v[56:57], v[64:65], 2, v[52:53]
	global_store_dword v[56:57], v59, off
	v_max_f32_e32 v56, v58, v58
	s_cbranch_vccz .LBB17_116
; %bb.114:
	v_min_f32_e32 v57, 0, v56
	v_lshl_add_u64 v[58:59], v[74:75], 2, v[52:53]
	s_mov_b32 s6, 0
	global_store_dword v[58:59], v57, off
	s_cbranch_execz .LBB17_117
; %bb.115:
	v_mov_b32_e32 v56, s6
	s_branch .LBB17_118
.LBB17_116:
                                        ; implicit-def: $sgpr6
.LBB17_117:
	v_lshl_add_u64 v[58:59], v[54:55], 0, v[78:79]
	flat_load_dword v57, v[58:59]
	v_lshl_add_u64 v[58:59], v[52:53], 0, v[78:79]
	s_waitcnt vmcnt(0) lgkmcnt(0)
	v_mul_f32_e32 v57, s26, v57
	v_min_f32_e32 v56, v57, v56
	global_store_dword v[58:59], v56, off
	v_lshl_add_u64 v[56:57], v[66:67], 2, v[54:55]
	flat_load_dword v56, v[56:57]
	s_waitcnt vmcnt(0) lgkmcnt(0)
	v_mul_f32_e32 v56, s26, v56
.LBB17_118:
	v_pk_add_f32 v[58:59], v[20:21], v[48:49]
	s_mov_b64 vcc, s[8:9]
	v_min3_f32 v57, v58, v59, v128
	v_pk_add_f32 v[58:59], v[16:17], v[48:49]
	s_nop 0
	v_min3_f32 v60, v58, v59, v127
	v_pk_add_f32 v[58:59], v[22:23], v[50:51]
	s_nop 0
	v_min_f32_e32 v61, v58, v59
	v_pk_add_f32 v[58:59], v[18:19], v[50:51]
	s_nop 0
	v_min3_f32 v58, v58, v59, v60
	v_min3_f32 v59, v56, v61, v57
	v_lshl_add_u64 v[56:57], v[66:67], 2, v[52:53]
	global_store_dword v[56:57], v59, off
	v_max_f32_e32 v56, v58, v58
	s_cbranch_vccz .LBB17_121
; %bb.119:
	v_min_f32_e32 v57, 0, v56
	v_lshl_add_u64 v[58:59], v[80:81], 2, v[52:53]
	s_mov_b32 s6, 0
	global_store_dword v[58:59], v57, off
	s_cbranch_execz .LBB17_122
; %bb.120:
	v_mov_b32_e32 v56, s6
	s_branch .LBB17_123
.LBB17_121:
                                        ; implicit-def: $sgpr6
.LBB17_122:
	v_lshl_add_u64 v[58:59], v[54:55], 0, v[82:83]
	flat_load_dword v57, v[58:59]
	v_lshl_add_u64 v[58:59], v[52:53], 0, v[82:83]
	s_waitcnt vmcnt(0) lgkmcnt(0)
	v_mul_f32_e32 v57, s26, v57
	v_min_f32_e32 v56, v57, v56
	global_store_dword v[58:59], v56, off
	v_lshl_add_u64 v[56:57], v[70:71], 2, v[54:55]
	flat_load_dword v56, v[56:57]
	s_waitcnt vmcnt(0) lgkmcnt(0)
	v_mul_f32_e32 v56, s26, v56
.LBB17_123:
	v_pk_add_f32 v[58:59], v[12:13], v[48:49]
	s_mov_b64 vcc, s[8:9]
	v_min3_f32 v57, v58, v59, v126
	v_pk_add_f32 v[58:59], v[8:9], v[48:49]
	s_nop 0
	v_min3_f32 v60, v58, v59, v125
	v_pk_add_f32 v[58:59], v[14:15], v[50:51]
	s_nop 0
	v_min_f32_e32 v61, v58, v59
	v_pk_add_f32 v[58:59], v[10:11], v[50:51]
	s_nop 0
	v_min3_f32 v58, v58, v59, v60
	v_min3_f32 v59, v56, v61, v57
	v_lshl_add_u64 v[56:57], v[70:71], 2, v[52:53]
	global_store_dword v[56:57], v59, off
	v_max_f32_e32 v56, v58, v58
	s_cbranch_vccz .LBB17_126
; %bb.124:
	v_min_f32_e32 v57, 0, v56
	v_lshl_add_u64 v[58:59], v[84:85], 2, v[52:53]
	s_mov_b32 s6, 0
	global_store_dword v[58:59], v57, off
	s_cbranch_execz .LBB17_127
; %bb.125:
	v_mov_b32_e32 v54, s6
	s_branch .LBB17_128
.LBB17_126:
                                        ; implicit-def: $sgpr6
.LBB17_127:
	v_lshl_add_u64 v[58:59], v[54:55], 0, v[86:87]
	flat_load_dword v57, v[58:59]
	v_lshl_add_u64 v[58:59], v[52:53], 0, v[86:87]
	v_lshl_add_u64 v[54:55], v[76:77], 2, v[54:55]
	s_waitcnt vmcnt(0) lgkmcnt(0)
	v_mul_f32_e32 v57, s26, v57
	v_min_f32_e32 v56, v57, v56
	global_store_dword v[58:59], v56, off
	flat_load_dword v54, v[54:55]
	s_waitcnt vmcnt(0) lgkmcnt(0)
	v_mul_f32_e32 v54, s26, v54
.LBB17_128:
	v_pk_add_f32 v[48:49], v[0:1], v[48:49]
	s_mov_b64 vcc, s[8:9]
	v_min3_f32 v55, v48, v49, v124
	v_pk_add_f32 v[48:49], v[32:33], v[44:45]
	s_nop 0
	v_min3_f32 v56, v48, v49, v123
	v_pk_add_f32 v[48:49], v[2:3], v[50:51]
	s_nop 0
	v_min_f32_e32 v50, v48, v49
	v_pk_add_f32 v[48:49], v[34:35], v[46:47]
	v_min3_f32 v50, v54, v50, v55
	v_min3_f32 v56, v48, v49, v56
	v_lshl_add_u64 v[48:49], v[76:77], 2, v[52:53]
	global_store_dword v[48:49], v50, off
	v_add_u32_e32 v50, 0x80, v137
	v_mad_i64_i32 v[48:49], s[2:3], v50, s5, 0
	v_lshl_add_u64 v[48:49], v[48:49], 2, s[0:1]
	v_mad_i64_i32 v[50:51], s[2:3], v50, s4, 0
	v_max_f32_e32 v52, v56, v56
	s_cbranch_vccz .LBB17_131
; %bb.129:
	v_min_f32_e32 v53, 0, v52
	v_lshl_add_u64 v[54:55], v[68:69], 2, v[48:49]
	s_mov_b32 s6, 0
	global_store_dword v[54:55], v53, off
	v_lshl_add_u64 v[50:51], v[50:51], 2, s[10:11]
	s_cbranch_execz .LBB17_132
; %bb.130:
	v_mov_b32_e32 v52, s6
	s_branch .LBB17_133
.LBB17_131:
                                        ; implicit-def: $sgpr6
	v_lshl_add_u64 v[50:51], v[50:51], 2, s[10:11]
.LBB17_132:
	v_lshl_add_u64 v[54:55], v[50:51], 0, v[72:73]
	flat_load_dword v53, v[54:55]
	v_lshl_add_u64 v[54:55], v[48:49], 0, v[72:73]
	s_waitcnt vmcnt(0) lgkmcnt(0)
	v_mul_f32_e32 v53, s26, v53
	v_min_f32_e32 v52, v53, v52
	global_store_dword v[54:55], v52, off
	v_lshl_add_u64 v[52:53], v[64:65], 2, v[50:51]
	flat_load_dword v52, v[52:53]
	s_waitcnt vmcnt(0) lgkmcnt(0)
	v_mul_f32_e32 v52, s26, v52
.LBB17_133:
	v_pk_add_f32 v[54:55], v[28:29], v[44:45]
	s_mov_b64 vcc, s[8:9]
	v_min3_f32 v53, v54, v55, v122
	v_pk_add_f32 v[54:55], v[24:25], v[44:45]
	s_nop 0
	v_min3_f32 v56, v54, v55, v121
	v_pk_add_f32 v[54:55], v[30:31], v[46:47]
	s_nop 0
	v_min_f32_e32 v57, v54, v55
	v_pk_add_f32 v[54:55], v[26:27], v[46:47]
	s_nop 0
	v_min3_f32 v54, v54, v55, v56
	v_min3_f32 v55, v52, v57, v53
	v_lshl_add_u64 v[52:53], v[64:65], 2, v[48:49]
	global_store_dword v[52:53], v55, off
	v_max_f32_e32 v52, v54, v54
	s_cbranch_vccz .LBB17_136
; %bb.134:
	v_min_f32_e32 v53, 0, v52
	v_lshl_add_u64 v[54:55], v[74:75], 2, v[48:49]
	s_mov_b32 s6, 0
	global_store_dword v[54:55], v53, off
	s_cbranch_execz .LBB17_137
; %bb.135:
	v_mov_b32_e32 v52, s6
	s_branch .LBB17_138
.LBB17_136:
                                        ; implicit-def: $sgpr6
.LBB17_137:
	v_lshl_add_u64 v[54:55], v[50:51], 0, v[78:79]
	flat_load_dword v53, v[54:55]
	v_lshl_add_u64 v[54:55], v[48:49], 0, v[78:79]
	s_waitcnt vmcnt(0) lgkmcnt(0)
	v_mul_f32_e32 v53, s26, v53
	v_min_f32_e32 v52, v53, v52
	global_store_dword v[54:55], v52, off
	v_lshl_add_u64 v[52:53], v[66:67], 2, v[50:51]
	flat_load_dword v52, v[52:53]
	s_waitcnt vmcnt(0) lgkmcnt(0)
	v_mul_f32_e32 v52, s26, v52
.LBB17_138:
	v_pk_add_f32 v[54:55], v[20:21], v[44:45]
	s_mov_b64 vcc, s[8:9]
	v_min3_f32 v53, v54, v55, v120
	v_pk_add_f32 v[54:55], v[16:17], v[44:45]
	s_nop 0
	v_min3_f32 v56, v54, v55, v119
	v_pk_add_f32 v[54:55], v[22:23], v[46:47]
	s_nop 0
	v_min_f32_e32 v57, v54, v55
	v_pk_add_f32 v[54:55], v[18:19], v[46:47]
	s_nop 0
	v_min3_f32 v54, v54, v55, v56
	v_min3_f32 v55, v52, v57, v53
	v_lshl_add_u64 v[52:53], v[66:67], 2, v[48:49]
	global_store_dword v[52:53], v55, off
	v_max_f32_e32 v52, v54, v54
	s_cbranch_vccz .LBB17_141
; %bb.139:
	v_min_f32_e32 v53, 0, v52
	v_lshl_add_u64 v[54:55], v[80:81], 2, v[48:49]
	s_mov_b32 s6, 0
	global_store_dword v[54:55], v53, off
	s_cbranch_execz .LBB17_142
; %bb.140:
	v_mov_b32_e32 v52, s6
	s_branch .LBB17_143
.LBB17_141:
                                        ; implicit-def: $sgpr6
.LBB17_142:
	v_lshl_add_u64 v[54:55], v[50:51], 0, v[82:83]
	flat_load_dword v53, v[54:55]
	v_lshl_add_u64 v[54:55], v[48:49], 0, v[82:83]
	s_waitcnt vmcnt(0) lgkmcnt(0)
	v_mul_f32_e32 v53, s26, v53
	v_min_f32_e32 v52, v53, v52
	global_store_dword v[54:55], v52, off
	v_lshl_add_u64 v[52:53], v[70:71], 2, v[50:51]
	flat_load_dword v52, v[52:53]
	s_waitcnt vmcnt(0) lgkmcnt(0)
	v_mul_f32_e32 v52, s26, v52
.LBB17_143:
	v_pk_add_f32 v[54:55], v[12:13], v[44:45]
	s_mov_b64 vcc, s[8:9]
	v_min3_f32 v53, v54, v55, v118
	v_pk_add_f32 v[54:55], v[8:9], v[44:45]
	s_nop 0
	v_min3_f32 v56, v54, v55, v117
	v_pk_add_f32 v[54:55], v[14:15], v[46:47]
	s_nop 0
	v_min_f32_e32 v57, v54, v55
	v_pk_add_f32 v[54:55], v[10:11], v[46:47]
	s_nop 0
	v_min3_f32 v54, v54, v55, v56
	v_min3_f32 v55, v52, v57, v53
	v_lshl_add_u64 v[52:53], v[70:71], 2, v[48:49]
	global_store_dword v[52:53], v55, off
	v_max_f32_e32 v52, v54, v54
	s_cbranch_vccz .LBB17_146
; %bb.144:
	v_min_f32_e32 v53, 0, v52
	v_lshl_add_u64 v[54:55], v[84:85], 2, v[48:49]
	s_mov_b32 s6, 0
	global_store_dword v[54:55], v53, off
	s_cbranch_execz .LBB17_147
; %bb.145:
	v_mov_b32_e32 v50, s6
	s_branch .LBB17_148
.LBB17_146:
                                        ; implicit-def: $sgpr6
.LBB17_147:
	v_lshl_add_u64 v[54:55], v[50:51], 0, v[86:87]
	flat_load_dword v53, v[54:55]
	v_lshl_add_u64 v[54:55], v[48:49], 0, v[86:87]
	v_lshl_add_u64 v[50:51], v[76:77], 2, v[50:51]
	s_waitcnt vmcnt(0) lgkmcnt(0)
	v_mul_f32_e32 v53, s26, v53
	v_min_f32_e32 v52, v53, v52
	global_store_dword v[54:55], v52, off
	flat_load_dword v50, v[50:51]
	s_waitcnt vmcnt(0) lgkmcnt(0)
	v_mul_f32_e32 v50, s26, v50
.LBB17_148:
	v_pk_add_f32 v[44:45], v[0:1], v[44:45]
	s_mov_b64 vcc, s[8:9]
	v_min3_f32 v51, v44, v45, v115
	v_pk_add_f32 v[44:45], v[32:33], v[40:41]
	s_nop 0
	v_min3_f32 v52, v44, v45, v116
	v_pk_add_f32 v[44:45], v[2:3], v[46:47]
	s_nop 0
	v_min_f32_e32 v46, v44, v45
	v_pk_add_f32 v[44:45], v[34:35], v[42:43]
	v_min3_f32 v46, v50, v46, v51
	v_min3_f32 v52, v44, v45, v52
	v_lshl_add_u64 v[44:45], v[76:77], 2, v[48:49]
	global_store_dword v[44:45], v46, off
	v_add_u32_e32 v46, 0xa0, v137
	v_mad_i64_i32 v[44:45], s[2:3], v46, s5, 0
	v_lshl_add_u64 v[44:45], v[44:45], 2, s[0:1]
	v_mad_i64_i32 v[46:47], s[2:3], v46, s4, 0
	v_max_f32_e32 v48, v52, v52
	s_cbranch_vccz .LBB17_151
; %bb.149:
	v_min_f32_e32 v49, 0, v48
	v_lshl_add_u64 v[50:51], v[68:69], 2, v[44:45]
	s_mov_b32 s6, 0
	global_store_dword v[50:51], v49, off
	v_lshl_add_u64 v[46:47], v[46:47], 2, s[10:11]
	s_cbranch_execz .LBB17_152
; %bb.150:
	v_mov_b32_e32 v48, s6
	s_branch .LBB17_153
.LBB17_151:
                                        ; implicit-def: $sgpr6
	v_lshl_add_u64 v[46:47], v[46:47], 2, s[10:11]
.LBB17_152:
	v_lshl_add_u64 v[50:51], v[46:47], 0, v[72:73]
	flat_load_dword v49, v[50:51]
	v_lshl_add_u64 v[50:51], v[44:45], 0, v[72:73]
	s_waitcnt vmcnt(0) lgkmcnt(0)
	v_mul_f32_e32 v49, s26, v49
	v_min_f32_e32 v48, v49, v48
	global_store_dword v[50:51], v48, off
	v_lshl_add_u64 v[48:49], v[64:65], 2, v[46:47]
	flat_load_dword v48, v[48:49]
	s_waitcnt vmcnt(0) lgkmcnt(0)
	v_mul_f32_e32 v48, s26, v48
.LBB17_153:
	v_pk_add_f32 v[50:51], v[28:29], v[40:41]
	s_mov_b64 vcc, s[8:9]
	v_min3_f32 v49, v50, v51, v113
	v_pk_add_f32 v[50:51], v[24:25], v[40:41]
	s_nop 0
	v_min3_f32 v52, v50, v51, v114
	v_pk_add_f32 v[50:51], v[30:31], v[42:43]
	s_nop 0
	v_min_f32_e32 v53, v50, v51
	v_pk_add_f32 v[50:51], v[26:27], v[42:43]
	s_nop 0
	v_min3_f32 v50, v50, v51, v52
	v_min3_f32 v51, v48, v53, v49
	v_lshl_add_u64 v[48:49], v[64:65], 2, v[44:45]
	global_store_dword v[48:49], v51, off
	v_max_f32_e32 v48, v50, v50
	s_cbranch_vccz .LBB17_156
; %bb.154:
	v_min_f32_e32 v49, 0, v48
	v_lshl_add_u64 v[50:51], v[74:75], 2, v[44:45]
	s_mov_b32 s6, 0
	global_store_dword v[50:51], v49, off
	s_cbranch_execz .LBB17_157
; %bb.155:
	v_mov_b32_e32 v48, s6
	s_branch .LBB17_158
.LBB17_156:
                                        ; implicit-def: $sgpr6
.LBB17_157:
	v_lshl_add_u64 v[50:51], v[46:47], 0, v[78:79]
	flat_load_dword v49, v[50:51]
	v_lshl_add_u64 v[50:51], v[44:45], 0, v[78:79]
	s_waitcnt vmcnt(0) lgkmcnt(0)
	v_mul_f32_e32 v49, s26, v49
	v_min_f32_e32 v48, v49, v48
	global_store_dword v[50:51], v48, off
	v_lshl_add_u64 v[48:49], v[66:67], 2, v[46:47]
	flat_load_dword v48, v[48:49]
	s_waitcnt vmcnt(0) lgkmcnt(0)
	v_mul_f32_e32 v48, s26, v48
.LBB17_158:
	v_pk_add_f32 v[50:51], v[20:21], v[40:41]
	s_mov_b64 vcc, s[8:9]
	v_min3_f32 v49, v50, v51, v111
	v_pk_add_f32 v[50:51], v[16:17], v[40:41]
	s_nop 0
	v_min3_f32 v52, v50, v51, v112
	v_pk_add_f32 v[50:51], v[22:23], v[42:43]
	s_nop 0
	v_min_f32_e32 v53, v50, v51
	v_pk_add_f32 v[50:51], v[18:19], v[42:43]
	s_nop 0
	v_min3_f32 v50, v50, v51, v52
	v_min3_f32 v51, v48, v53, v49
	v_lshl_add_u64 v[48:49], v[66:67], 2, v[44:45]
	global_store_dword v[48:49], v51, off
	v_max_f32_e32 v48, v50, v50
	s_cbranch_vccz .LBB17_161
; %bb.159:
	v_min_f32_e32 v49, 0, v48
	v_lshl_add_u64 v[50:51], v[80:81], 2, v[44:45]
	s_mov_b32 s6, 0
	global_store_dword v[50:51], v49, off
	s_cbranch_execz .LBB17_162
; %bb.160:
	v_mov_b32_e32 v48, s6
	s_branch .LBB17_163
.LBB17_161:
                                        ; implicit-def: $sgpr6
.LBB17_162:
	v_lshl_add_u64 v[50:51], v[46:47], 0, v[82:83]
	flat_load_dword v49, v[50:51]
	v_lshl_add_u64 v[50:51], v[44:45], 0, v[82:83]
	s_waitcnt vmcnt(0) lgkmcnt(0)
	v_mul_f32_e32 v49, s26, v49
	v_min_f32_e32 v48, v49, v48
	global_store_dword v[50:51], v48, off
	v_lshl_add_u64 v[48:49], v[70:71], 2, v[46:47]
	flat_load_dword v48, v[48:49]
	s_waitcnt vmcnt(0) lgkmcnt(0)
	v_mul_f32_e32 v48, s26, v48
.LBB17_163:
	v_pk_add_f32 v[50:51], v[12:13], v[40:41]
	s_mov_b64 vcc, s[8:9]
	v_min3_f32 v49, v50, v51, v109
	v_pk_add_f32 v[50:51], v[8:9], v[40:41]
	s_nop 0
	v_min3_f32 v52, v50, v51, v110
	v_pk_add_f32 v[50:51], v[14:15], v[42:43]
	s_nop 0
	v_min_f32_e32 v53, v50, v51
	v_pk_add_f32 v[50:51], v[10:11], v[42:43]
	s_nop 0
	v_min3_f32 v50, v50, v51, v52
	v_min3_f32 v51, v48, v53, v49
	v_lshl_add_u64 v[48:49], v[70:71], 2, v[44:45]
	global_store_dword v[48:49], v51, off
	v_max_f32_e32 v48, v50, v50
	s_cbranch_vccz .LBB17_166
; %bb.164:
	v_min_f32_e32 v49, 0, v48
	v_lshl_add_u64 v[50:51], v[84:85], 2, v[44:45]
	s_mov_b32 s6, 0
	global_store_dword v[50:51], v49, off
	s_cbranch_execz .LBB17_167
; %bb.165:
	v_mov_b32_e32 v46, s6
	s_branch .LBB17_168
.LBB17_166:
                                        ; implicit-def: $sgpr6
.LBB17_167:
	v_lshl_add_u64 v[50:51], v[46:47], 0, v[86:87]
	flat_load_dword v49, v[50:51]
	v_lshl_add_u64 v[50:51], v[44:45], 0, v[86:87]
	v_lshl_add_u64 v[46:47], v[76:77], 2, v[46:47]
	s_waitcnt vmcnt(0) lgkmcnt(0)
	v_mul_f32_e32 v49, s26, v49
	v_min_f32_e32 v48, v49, v48
	global_store_dword v[50:51], v48, off
	flat_load_dword v46, v[46:47]
	s_waitcnt vmcnt(0) lgkmcnt(0)
	v_mul_f32_e32 v46, s26, v46
.LBB17_168:
	v_pk_add_f32 v[40:41], v[0:1], v[40:41]
	s_mov_b64 vcc, s[8:9]
	v_min3_f32 v47, v40, v41, v107
	v_pk_add_f32 v[40:41], v[32:33], v[36:37]
	s_nop 0
	v_min3_f32 v48, v40, v41, v108
	v_pk_add_f32 v[40:41], v[2:3], v[42:43]
	s_nop 0
	v_min_f32_e32 v42, v40, v41
	v_pk_add_f32 v[40:41], v[34:35], v[38:39]
	v_min3_f32 v42, v46, v42, v47
	v_min3_f32 v48, v40, v41, v48
	v_lshl_add_u64 v[40:41], v[76:77], 2, v[44:45]
	global_store_dword v[40:41], v42, off
	v_add_u32_e32 v42, 0xc0, v137
	v_mad_i64_i32 v[40:41], s[2:3], v42, s5, 0
	v_lshl_add_u64 v[40:41], v[40:41], 2, s[0:1]
	v_mad_i64_i32 v[42:43], s[2:3], v42, s4, 0
	v_max_f32_e32 v44, v48, v48
	s_cbranch_vccz .LBB17_171
; %bb.169:
	v_min_f32_e32 v45, 0, v44
	v_lshl_add_u64 v[46:47], v[68:69], 2, v[40:41]
	s_mov_b32 s6, 0
	global_store_dword v[46:47], v45, off
	v_lshl_add_u64 v[42:43], v[42:43], 2, s[10:11]
	s_cbranch_execz .LBB17_172
; %bb.170:
	v_mov_b32_e32 v44, s6
	s_branch .LBB17_173
.LBB17_171:
                                        ; implicit-def: $sgpr6
	v_lshl_add_u64 v[42:43], v[42:43], 2, s[10:11]
.LBB17_172:
	v_lshl_add_u64 v[46:47], v[42:43], 0, v[72:73]
	flat_load_dword v45, v[46:47]
	v_lshl_add_u64 v[46:47], v[40:41], 0, v[72:73]
	s_waitcnt vmcnt(0) lgkmcnt(0)
	v_mul_f32_e32 v45, s26, v45
	v_min_f32_e32 v44, v45, v44
	global_store_dword v[46:47], v44, off
	v_lshl_add_u64 v[44:45], v[64:65], 2, v[42:43]
	flat_load_dword v44, v[44:45]
	s_waitcnt vmcnt(0) lgkmcnt(0)
	v_mul_f32_e32 v44, s26, v44
.LBB17_173:
	v_pk_add_f32 v[46:47], v[28:29], v[36:37]
	s_mov_b64 vcc, s[8:9]
	v_min3_f32 v45, v46, v47, v105
	v_pk_add_f32 v[46:47], v[24:25], v[36:37]
	s_nop 0
	v_min3_f32 v48, v46, v47, v106
	v_pk_add_f32 v[46:47], v[30:31], v[38:39]
	s_nop 0
	v_min_f32_e32 v49, v46, v47
	v_pk_add_f32 v[46:47], v[26:27], v[38:39]
	s_nop 0
	v_min3_f32 v46, v46, v47, v48
	v_min3_f32 v47, v44, v49, v45
	v_lshl_add_u64 v[44:45], v[64:65], 2, v[40:41]
	global_store_dword v[44:45], v47, off
	v_max_f32_e32 v44, v46, v46
	s_cbranch_vccz .LBB17_176
; %bb.174:
	v_min_f32_e32 v45, 0, v44
	v_lshl_add_u64 v[46:47], v[74:75], 2, v[40:41]
	s_mov_b32 s6, 0
	global_store_dword v[46:47], v45, off
	s_cbranch_execz .LBB17_177
; %bb.175:
	v_mov_b32_e32 v44, s6
	s_branch .LBB17_178
.LBB17_176:
                                        ; implicit-def: $sgpr6
.LBB17_177:
	v_lshl_add_u64 v[46:47], v[42:43], 0, v[78:79]
	flat_load_dword v45, v[46:47]
	v_lshl_add_u64 v[46:47], v[40:41], 0, v[78:79]
	s_waitcnt vmcnt(0) lgkmcnt(0)
	v_mul_f32_e32 v45, s26, v45
	v_min_f32_e32 v44, v45, v44
	global_store_dword v[46:47], v44, off
	v_lshl_add_u64 v[44:45], v[66:67], 2, v[42:43]
	flat_load_dword v44, v[44:45]
	s_waitcnt vmcnt(0) lgkmcnt(0)
	v_mul_f32_e32 v44, s26, v44
.LBB17_178:
	v_pk_add_f32 v[46:47], v[20:21], v[36:37]
	s_mov_b64 vcc, s[8:9]
	v_min3_f32 v45, v46, v47, v103
	v_pk_add_f32 v[46:47], v[16:17], v[36:37]
	s_nop 0
	v_min3_f32 v48, v46, v47, v104
	v_pk_add_f32 v[46:47], v[22:23], v[38:39]
	s_nop 0
	v_min_f32_e32 v49, v46, v47
	v_pk_add_f32 v[46:47], v[18:19], v[38:39]
	s_nop 0
	v_min3_f32 v46, v46, v47, v48
	v_min3_f32 v47, v44, v49, v45
	v_lshl_add_u64 v[44:45], v[66:67], 2, v[40:41]
	global_store_dword v[44:45], v47, off
	v_max_f32_e32 v44, v46, v46
	s_cbranch_vccz .LBB17_181
; %bb.179:
	v_min_f32_e32 v45, 0, v44
	v_lshl_add_u64 v[46:47], v[80:81], 2, v[40:41]
	s_mov_b32 s6, 0
	global_store_dword v[46:47], v45, off
	s_cbranch_execz .LBB17_182
; %bb.180:
	v_mov_b32_e32 v44, s6
	s_branch .LBB17_183
.LBB17_181:
                                        ; implicit-def: $sgpr6
.LBB17_182:
	v_lshl_add_u64 v[46:47], v[42:43], 0, v[82:83]
	flat_load_dword v45, v[46:47]
	v_lshl_add_u64 v[46:47], v[40:41], 0, v[82:83]
	s_waitcnt vmcnt(0) lgkmcnt(0)
	v_mul_f32_e32 v45, s26, v45
	v_min_f32_e32 v44, v45, v44
	global_store_dword v[46:47], v44, off
	v_lshl_add_u64 v[44:45], v[70:71], 2, v[42:43]
	flat_load_dword v44, v[44:45]
	s_waitcnt vmcnt(0) lgkmcnt(0)
	v_mul_f32_e32 v44, s26, v44
.LBB17_183:
	v_pk_add_f32 v[46:47], v[12:13], v[36:37]
	s_mov_b64 vcc, s[8:9]
	v_min3_f32 v45, v46, v47, v101
	v_pk_add_f32 v[46:47], v[8:9], v[36:37]
	s_nop 0
	v_min3_f32 v48, v46, v47, v102
	v_pk_add_f32 v[46:47], v[14:15], v[38:39]
	s_nop 0
	v_min_f32_e32 v49, v46, v47
	v_pk_add_f32 v[46:47], v[10:11], v[38:39]
	s_nop 0
	v_min3_f32 v46, v46, v47, v48
	v_min3_f32 v47, v44, v49, v45
	v_lshl_add_u64 v[44:45], v[70:71], 2, v[40:41]
	global_store_dword v[44:45], v47, off
	v_max_f32_e32 v44, v46, v46
	s_cbranch_vccz .LBB17_186
; %bb.184:
	v_min_f32_e32 v45, 0, v44
	v_lshl_add_u64 v[46:47], v[84:85], 2, v[40:41]
	s_mov_b32 s6, 0
	global_store_dword v[46:47], v45, off
	s_cbranch_execz .LBB17_187
; %bb.185:
	v_mov_b32_e32 v42, s6
	s_branch .LBB17_188
.LBB17_186:
                                        ; implicit-def: $sgpr6
.LBB17_187:
	v_lshl_add_u64 v[46:47], v[42:43], 0, v[86:87]
	flat_load_dword v45, v[46:47]
	v_lshl_add_u64 v[46:47], v[40:41], 0, v[86:87]
	v_lshl_add_u64 v[42:43], v[76:77], 2, v[42:43]
	s_waitcnt vmcnt(0) lgkmcnt(0)
	v_mul_f32_e32 v45, s26, v45
	v_min_f32_e32 v44, v45, v44
	global_store_dword v[46:47], v44, off
	flat_load_dword v42, v[42:43]
	s_waitcnt vmcnt(0) lgkmcnt(0)
	v_mul_f32_e32 v42, s26, v42
.LBB17_188:
	v_pk_add_f32 v[36:37], v[0:1], v[36:37]
	s_waitcnt lgkmcnt(0)
	v_pk_add_f32 v[32:33], v[32:33], v[4:5]
	v_min3_f32 v36, v36, v37, v99
	v_min3_f32 v37, v32, v33, v100
	v_pk_add_f32 v[32:33], v[2:3], v[38:39]
	s_mov_b64 vcc, s[8:9]
	v_min_f32_e32 v38, v32, v33
	v_pk_add_f32 v[32:33], v[34:35], v[6:7]
	v_min3_f32 v34, v42, v38, v36
	v_min3_f32 v37, v32, v33, v37
	v_lshl_add_u64 v[32:33], v[76:77], 2, v[40:41]
	global_store_dword v[32:33], v34, off
	v_add_u32_e32 v34, 0xe0, v137
	v_mad_i64_i32 v[32:33], s[2:3], v34, s5, 0
	v_lshl_add_u64 v[32:33], v[32:33], 2, s[0:1]
	v_mad_i64_i32 v[34:35], s[0:1], v34, s4, 0
	v_max_f32_e32 v36, v37, v37
	s_cbranch_vccz .LBB17_191
; %bb.189:
	v_min_f32_e32 v37, 0, v36
	v_lshl_add_u64 v[38:39], v[68:69], 2, v[32:33]
	s_mov_b32 s2, 0
	global_store_dword v[38:39], v37, off
	v_lshl_add_u64 v[34:35], v[34:35], 2, s[10:11]
	s_cbranch_execz .LBB17_192
; %bb.190:
	v_mov_b32_e32 v36, s2
	s_branch .LBB17_193
.LBB17_191:
                                        ; implicit-def: $sgpr2
	v_lshl_add_u64 v[34:35], v[34:35], 2, s[10:11]
.LBB17_192:
	v_lshl_add_u64 v[38:39], v[34:35], 0, v[72:73]
	flat_load_dword v37, v[38:39]
	v_lshl_add_u64 v[38:39], v[32:33], 0, v[72:73]
	s_waitcnt vmcnt(0) lgkmcnt(0)
	v_mul_f32_e32 v37, s26, v37
	v_min_f32_e32 v36, v37, v36
	global_store_dword v[38:39], v36, off
	v_lshl_add_u64 v[36:37], v[64:65], 2, v[34:35]
	flat_load_dword v36, v[36:37]
	s_waitcnt vmcnt(0) lgkmcnt(0)
	v_mul_f32_e32 v36, s26, v36
.LBB17_193:
	v_pk_add_f32 v[28:29], v[28:29], v[4:5]
	v_pk_add_f32 v[24:25], v[24:25], v[4:5]
	v_min3_f32 v28, v28, v29, v97
	v_min3_f32 v29, v24, v25, v98
	v_pk_add_f32 v[24:25], v[30:31], v[6:7]
	s_mov_b64 vcc, s[8:9]
	v_min_f32_e32 v30, v24, v25
	v_pk_add_f32 v[24:25], v[26:27], v[6:7]
	v_min3_f32 v27, v36, v30, v28
	v_min3_f32 v26, v24, v25, v29
	v_lshl_add_u64 v[24:25], v[64:65], 2, v[32:33]
	global_store_dword v[24:25], v27, off
	v_max_f32_e32 v24, v26, v26
	s_cbranch_vccz .LBB17_196
; %bb.194:
	v_min_f32_e32 v25, 0, v24
	v_lshl_add_u64 v[26:27], v[74:75], 2, v[32:33]
	s_mov_b32 s2, 0
	global_store_dword v[26:27], v25, off
	s_cbranch_execz .LBB17_197
; %bb.195:
	v_mov_b32_e32 v24, s2
	s_branch .LBB17_198
.LBB17_196:
                                        ; implicit-def: $sgpr2
.LBB17_197:
	v_lshl_add_u64 v[26:27], v[34:35], 0, v[78:79]
	flat_load_dword v25, v[26:27]
	v_lshl_add_u64 v[26:27], v[32:33], 0, v[78:79]
	s_waitcnt vmcnt(0) lgkmcnt(0)
	v_mul_f32_e32 v25, s26, v25
	v_min_f32_e32 v24, v25, v24
	global_store_dword v[26:27], v24, off
	v_lshl_add_u64 v[24:25], v[66:67], 2, v[34:35]
	flat_load_dword v24, v[24:25]
	s_waitcnt vmcnt(0) lgkmcnt(0)
	v_mul_f32_e32 v24, s26, v24
.LBB17_198:
	v_pk_add_f32 v[20:21], v[20:21], v[4:5]
	v_pk_add_f32 v[16:17], v[16:17], v[4:5]
	v_min3_f32 v20, v20, v21, v94
	v_min3_f32 v21, v16, v17, v95
	v_pk_add_f32 v[16:17], v[22:23], v[6:7]
	s_mov_b64 vcc, s[8:9]
	v_min_f32_e32 v22, v16, v17
	v_pk_add_f32 v[16:17], v[18:19], v[6:7]
	v_min3_f32 v19, v24, v22, v20
	v_min3_f32 v18, v16, v17, v21
	v_lshl_add_u64 v[16:17], v[66:67], 2, v[32:33]
	global_store_dword v[16:17], v19, off
	v_max_f32_e32 v16, v18, v18
	s_cbranch_vccz .LBB17_201
; %bb.199:
	v_min_f32_e32 v17, 0, v16
	v_lshl_add_u64 v[18:19], v[80:81], 2, v[32:33]
	s_mov_b32 s2, 0
	global_store_dword v[18:19], v17, off
	s_cbranch_execz .LBB17_202
; %bb.200:
	v_mov_b32_e32 v16, s2
	s_branch .LBB17_203
.LBB17_201:
                                        ; implicit-def: $sgpr2
.LBB17_202:
	v_lshl_add_u64 v[18:19], v[34:35], 0, v[82:83]
	flat_load_dword v17, v[18:19]
	v_lshl_add_u64 v[18:19], v[32:33], 0, v[82:83]
	s_waitcnt vmcnt(0) lgkmcnt(0)
	v_mul_f32_e32 v17, s26, v17
	v_min_f32_e32 v16, v17, v16
	global_store_dword v[18:19], v16, off
	v_lshl_add_u64 v[16:17], v[70:71], 2, v[34:35]
	flat_load_dword v16, v[16:17]
	s_waitcnt vmcnt(0) lgkmcnt(0)
	v_mul_f32_e32 v16, s26, v16
.LBB17_203:
	;; [unrolled: 38-line block ×3, first 2 shown]
	v_pk_add_f32 v[2:3], v[2:3], v[6:7]
	v_pk_add_f32 v[0:1], v[0:1], v[4:5]
	v_min_f32_e32 v2, v2, v3
	v_min3_f32 v0, v0, v1, v96
	v_min3_f32 v2, v8, v2, v0
	v_lshl_add_u64 v[0:1], v[76:77], 2, v[32:33]
	global_store_dword v[0:1], v2, off
	s_endpgm
	.section	.rodata,"a",@progbits
	.p2align	6, 0x0
	.amdhsa_kernel _ZN12_GLOBAL__N_120geam_min_plus_kernelIf15HIP_vector_typeIfLj2EEfLi8ELi32ELi64ELi256ELi4ELi64ELi4ELi64ELi4ELc78ELc84ELb0ELb0ELb1EfKPKfKPfEEviiiT16_PT17_ilSA_ilS8_SA_ilPT18_ili26rocblas_geam_ex_operation_
		.amdhsa_group_segment_fixed_size 10240
		.amdhsa_private_segment_fixed_size 0
		.amdhsa_kernarg_size 128
		.amdhsa_user_sgpr_count 2
		.amdhsa_user_sgpr_dispatch_ptr 0
		.amdhsa_user_sgpr_queue_ptr 0
		.amdhsa_user_sgpr_kernarg_segment_ptr 1
		.amdhsa_user_sgpr_dispatch_id 0
		.amdhsa_user_sgpr_kernarg_preload_length 0
		.amdhsa_user_sgpr_kernarg_preload_offset 0
		.amdhsa_user_sgpr_private_segment_size 0
		.amdhsa_uses_dynamic_stack 0
		.amdhsa_enable_private_segment 0
		.amdhsa_system_sgpr_workgroup_id_x 1
		.amdhsa_system_sgpr_workgroup_id_y 0
		.amdhsa_system_sgpr_workgroup_id_z 1
		.amdhsa_system_sgpr_workgroup_info 0
		.amdhsa_system_vgpr_workitem_id 1
		.amdhsa_next_free_vgpr 176
		.amdhsa_next_free_sgpr 29
		.amdhsa_accum_offset 176
		.amdhsa_reserve_vcc 1
		.amdhsa_float_round_mode_32 0
		.amdhsa_float_round_mode_16_64 0
		.amdhsa_float_denorm_mode_32 3
		.amdhsa_float_denorm_mode_16_64 3
		.amdhsa_dx10_clamp 1
		.amdhsa_ieee_mode 1
		.amdhsa_fp16_overflow 0
		.amdhsa_tg_split 0
		.amdhsa_exception_fp_ieee_invalid_op 0
		.amdhsa_exception_fp_denorm_src 0
		.amdhsa_exception_fp_ieee_div_zero 0
		.amdhsa_exception_fp_ieee_overflow 0
		.amdhsa_exception_fp_ieee_underflow 0
		.amdhsa_exception_fp_ieee_inexact 0
		.amdhsa_exception_int_div_zero 0
	.end_amdhsa_kernel
	.section	.text._ZN12_GLOBAL__N_120geam_min_plus_kernelIf15HIP_vector_typeIfLj2EEfLi8ELi32ELi64ELi256ELi4ELi64ELi4ELi64ELi4ELc78ELc84ELb0ELb0ELb1EfKPKfKPfEEviiiT16_PT17_ilSA_ilS8_SA_ilPT18_ili26rocblas_geam_ex_operation_,"axG",@progbits,_ZN12_GLOBAL__N_120geam_min_plus_kernelIf15HIP_vector_typeIfLj2EEfLi8ELi32ELi64ELi256ELi4ELi64ELi4ELi64ELi4ELc78ELc84ELb0ELb0ELb1EfKPKfKPfEEviiiT16_PT17_ilSA_ilS8_SA_ilPT18_ili26rocblas_geam_ex_operation_,comdat
.Lfunc_end17:
	.size	_ZN12_GLOBAL__N_120geam_min_plus_kernelIf15HIP_vector_typeIfLj2EEfLi8ELi32ELi64ELi256ELi4ELi64ELi4ELi64ELi4ELc78ELc84ELb0ELb0ELb1EfKPKfKPfEEviiiT16_PT17_ilSA_ilS8_SA_ilPT18_ili26rocblas_geam_ex_operation_, .Lfunc_end17-_ZN12_GLOBAL__N_120geam_min_plus_kernelIf15HIP_vector_typeIfLj2EEfLi8ELi32ELi64ELi256ELi4ELi64ELi4ELi64ELi4ELc78ELc84ELb0ELb0ELb1EfKPKfKPfEEviiiT16_PT17_ilSA_ilS8_SA_ilPT18_ili26rocblas_geam_ex_operation_
                                        ; -- End function
	.section	.AMDGPU.csdata,"",@progbits
; Kernel info:
; codeLenInByte = 16668
; NumSgprs: 35
; NumVgprs: 176
; NumAgprs: 0
; TotalNumVgprs: 176
; ScratchSize: 0
; MemoryBound: 0
; FloatMode: 240
; IeeeMode: 1
; LDSByteSize: 10240 bytes/workgroup (compile time only)
; SGPRBlocks: 4
; VGPRBlocks: 21
; NumSGPRsForWavesPerEU: 35
; NumVGPRsForWavesPerEU: 176
; AccumOffset: 176
; Occupancy: 2
; WaveLimiterHint : 1
; COMPUTE_PGM_RSRC2:SCRATCH_EN: 0
; COMPUTE_PGM_RSRC2:USER_SGPR: 2
; COMPUTE_PGM_RSRC2:TRAP_HANDLER: 0
; COMPUTE_PGM_RSRC2:TGID_X_EN: 1
; COMPUTE_PGM_RSRC2:TGID_Y_EN: 0
; COMPUTE_PGM_RSRC2:TGID_Z_EN: 1
; COMPUTE_PGM_RSRC2:TIDIG_COMP_CNT: 1
; COMPUTE_PGM_RSRC3_GFX90A:ACCUM_OFFSET: 43
; COMPUTE_PGM_RSRC3_GFX90A:TG_SPLIT: 0
	.section	.text._ZN12_GLOBAL__N_120geam_min_plus_kernelIf15HIP_vector_typeIfLj2EEfLi8ELi32ELi64ELi256ELi4ELi64ELi4ELi64ELi4ELc78ELc84ELb0ELb1ELb1EPKfKS4_KPfEEviiiT16_PT17_ilSA_ilS8_SA_ilPT18_ili26rocblas_geam_ex_operation_,"axG",@progbits,_ZN12_GLOBAL__N_120geam_min_plus_kernelIf15HIP_vector_typeIfLj2EEfLi8ELi32ELi64ELi256ELi4ELi64ELi4ELi64ELi4ELc78ELc84ELb0ELb1ELb1EPKfKS4_KPfEEviiiT16_PT17_ilSA_ilS8_SA_ilPT18_ili26rocblas_geam_ex_operation_,comdat
	.globl	_ZN12_GLOBAL__N_120geam_min_plus_kernelIf15HIP_vector_typeIfLj2EEfLi8ELi32ELi64ELi256ELi4ELi64ELi4ELi64ELi4ELc78ELc84ELb0ELb1ELb1EPKfKS4_KPfEEviiiT16_PT17_ilSA_ilS8_SA_ilPT18_ili26rocblas_geam_ex_operation_ ; -- Begin function _ZN12_GLOBAL__N_120geam_min_plus_kernelIf15HIP_vector_typeIfLj2EEfLi8ELi32ELi64ELi256ELi4ELi64ELi4ELi64ELi4ELc78ELc84ELb0ELb1ELb1EPKfKS4_KPfEEviiiT16_PT17_ilSA_ilS8_SA_ilPT18_ili26rocblas_geam_ex_operation_
	.p2align	8
	.type	_ZN12_GLOBAL__N_120geam_min_plus_kernelIf15HIP_vector_typeIfLj2EEfLi8ELi32ELi64ELi256ELi4ELi64ELi4ELi64ELi4ELc78ELc84ELb0ELb1ELb1EPKfKS4_KPfEEviiiT16_PT17_ilSA_ilS8_SA_ilPT18_ili26rocblas_geam_ex_operation_,@function
_ZN12_GLOBAL__N_120geam_min_plus_kernelIf15HIP_vector_typeIfLj2EEfLi8ELi32ELi64ELi256ELi4ELi64ELi4ELi64ELi4ELc78ELc84ELb0ELb1ELb1EPKfKS4_KPfEEviiiT16_PT17_ilSA_ilS8_SA_ilPT18_ili26rocblas_geam_ex_operation_: ; @_ZN12_GLOBAL__N_120geam_min_plus_kernelIf15HIP_vector_typeIfLj2EEfLi8ELi32ELi64ELi256ELi4ELi64ELi4ELi64ELi4ELc78ELc84ELb0ELb1ELb1EPKfKS4_KPfEEviiiT16_PT17_ilSA_ilS8_SA_ilPT18_ili26rocblas_geam_ex_operation_
; %bb.0:
	s_load_dwordx4 s[12:15], s[0:1], 0x10
	s_load_dwordx4 s[4:7], s[0:1], 0x28
	s_mov_b32 s16, s3
	s_mov_b32 s17, 0
	s_lshl_b64 s[18:19], s[16:17], 2
	s_waitcnt lgkmcnt(0)
	s_add_u32 s20, s12, s18
	s_load_dwordx4 s[8:11], s[0:1], 0x40
	s_addc_u32 s21, s13, s19
	s_load_dword s38, s[20:21], 0x0
	s_load_dwordx2 s[12:13], s[0:1], 0x50
	s_mov_b64 s[26:27], 0
	s_mov_b64 s[28:29], 0
	s_waitcnt lgkmcnt(0)
	s_add_u32 s10, s10, s18
	s_addc_u32 s11, s11, s19
	v_cmp_eq_f32_e64 s[18:19], s38, 0
	v_cmp_neq_f32_e64 s[20:21], s38, 0
	s_and_b64 vcc, exec, s[18:19]
	s_cbranch_vccnz .LBB18_2
; %bb.1:
	s_lshl_b64 s[22:23], s[16:17], 3
	s_add_u32 s14, s14, s22
	s_addc_u32 s15, s15, s23
	s_load_dwordx2 s[14:15], s[14:15], 0x0
	s_lshl_b64 s[4:5], s[4:5], 2
	s_waitcnt lgkmcnt(0)
	s_add_u32 s28, s14, s4
	s_addc_u32 s29, s15, s5
.LBB18_2:
	s_load_dword s33, s[10:11], 0x0
	s_andn2_b64 vcc, exec, s[20:21]
	s_cbranch_vccnz .LBB18_4
; %bb.3:
	s_lshl_b64 s[4:5], s[16:17], 3
	s_add_u32 s4, s6, s4
	s_addc_u32 s5, s7, s5
	s_load_dwordx2 s[4:5], s[4:5], 0x0
	s_lshl_b64 s[6:7], s[8:9], 2
	s_waitcnt lgkmcnt(0)
	s_add_u32 s26, s4, s6
	s_addc_u32 s27, s5, s7
.LBB18_4:
	s_load_dwordx4 s[4:7], s[0:1], 0x60
	s_waitcnt lgkmcnt(0)
	v_cmp_eq_f32_e64 s[8:9], s33, 0
	v_cmp_neq_f32_e64 s[14:15], s33, 0
	s_and_b64 vcc, exec, s[8:9]
	s_cbranch_vccnz .LBB18_6
; %bb.5:
	s_lshl_b64 s[8:9], s[16:17], 3
	s_add_u32 s8, s12, s8
	s_addc_u32 s9, s13, s9
	s_load_dwordx2 s[8:9], s[8:9], 0x0
	s_lshl_b64 s[4:5], s[4:5], 2
	s_waitcnt lgkmcnt(0)
	s_add_u32 s24, s8, s4
	s_addc_u32 s25, s9, s5
	s_branch .LBB18_7
.LBB18_6:
	s_mov_b64 s[24:25], 0
.LBB18_7:
	s_load_dword s30, s[0:1], 0x20
	s_load_dwordx4 s[20:23], s[0:1], 0x0
	s_lshl_b64 s[4:5], s[16:17], 3
	v_and_b32_e32 v74, 0x3ff, v0
	v_bfe_u32 v75, v0, 10, 10
	s_waitcnt lgkmcnt(0)
	s_ashr_i32 s31, s30, 31
	s_add_u32 s4, s6, s4
	s_addc_u32 s5, s7, s5
	s_add_i32 s7, s20, -1
	s_ashr_i32 s3, s7, 31
	s_lshr_b32 s3, s3, 26
	s_add_i32 s3, s7, s3
	s_ashr_i32 s3, s3, 6
	s_add_i32 s8, s3, 1
	v_cvt_f32_u32_e32 v1, s8
	s_load_dwordx2 s[16:17], s[4:5], 0x0
	s_not_b32 s3, s3
                                        ; implicit-def: $vgpr3
	v_rcp_iflag_f32_e32 v0, v1
	v_lshl_add_u32 v1, v75, 3, v74
	v_and_b32_e32 v2, 63, v1
	v_lshrrev_b32_e32 v76, 6, v1
	v_mul_f32_e32 v0, 0x4f7ffffe, v0
	v_cvt_u32_f32_e32 v0, v0
	v_cmp_le_i32_e64 s[10:11], s22, v76
	v_readfirstlane_b32 s4, v0
	s_mul_i32 s3, s3, s4
	s_mul_hi_u32 s3, s4, s3
	s_add_i32 s4, s4, s3
	s_mul_hi_u32 s3, s2, s4
	s_mul_i32 s4, s3, s8
	s_sub_i32 s4, s2, s4
	s_add_i32 s5, s3, 1
	s_sub_i32 s6, s4, s8
	s_cmp_ge_u32 s4, s8
	s_cselect_b32 s3, s5, s3
	s_cselect_b32 s4, s6, s4
	s_add_i32 s5, s3, 1
	s_cmp_ge_u32 s4, s8
	s_cselect_b32 s6, s5, s3
	s_mul_i32 s3, s6, s8
	s_sub_i32 s2, s2, s3
	s_lshl_b32 s36, s2, 6
	v_or_b32_e32 v0, s36, v2
	v_cmp_le_i32_e32 vcc, s20, v0
	s_or_b64 s[2:3], s[10:11], vcc
	s_add_i32 s23, s22, -1
	v_min_i32_e32 v56, s7, v0
	v_min_i32_e32 v0, s23, v76
	s_or_b64 s[4:5], s[18:19], s[2:3]
	s_xor_b64 s[4:5], s[4:5], -1
	v_ashrrev_i32_e32 v1, 31, v0
	v_ashrrev_i32_e32 v57, 31, v56
	s_and_saveexec_b64 s[8:9], s[4:5]
	s_xor_b64 s[4:5], exec, s[8:9]
	s_cbranch_execz .LBB18_9
; %bb.8:
	v_mad_i64_i32 v[4:5], s[8:9], s30, v0, 0
	v_lshl_add_u64 v[4:5], v[4:5], 2, s[28:29]
	v_lshl_add_u64 v[4:5], v[56:57], 2, v[4:5]
	flat_load_dword v3, v[4:5]
	s_waitcnt vmcnt(0) lgkmcnt(0)
	v_mul_f32_e32 v3, s38, v3
.LBB18_9:
	s_andn2_saveexec_b64 s[4:5], s[4:5]
; %bb.10:
	v_mov_b32_e32 v3, 0x7f7fffff
	v_cndmask_b32_e64 v3, 0, v3, s[2:3]
; %bb.11:
	s_or_b64 exec, exec, s[4:5]
	s_load_dword s39, s[0:1], 0x38
	s_lshl_b32 s37, s6, 8
	v_or_b32_e32 v64, s37, v2
	v_ashrrev_i32_e32 v65, 31, v64
	s_waitcnt lgkmcnt(0)
	s_ashr_i32 s40, s39, 31
	v_mul_lo_u32 v4, v1, s39
	v_mul_lo_u32 v5, v0, s40
	v_mad_u64_u32 v[0:1], s[2:3], v0, s39, 0
	v_cmp_le_i32_e64 s[2:3], s21, v64
	v_add3_u32 v1, v1, v5, v4
	v_mov_b32_e32 v5, 0x7f7fffff
	s_or_b64 s[4:5], s[10:11], s[2:3]
	v_cndmask_b32_e64 v4, 0, v5, s[4:5]
	s_or_b64 s[4:5], s[18:19], s[4:5]
	v_lshl_add_u64 v[0:1], v[0:1], 2, s[26:27]
	s_xor_b64 s[6:7], s[4:5], -1
	s_and_saveexec_b64 s[4:5], s[6:7]
	s_cbranch_execz .LBB18_13
; %bb.12:
	v_lshl_add_u64 v[6:7], v[64:65], 2, v[0:1]
	flat_load_dword v4, v[6:7]
	s_waitcnt vmcnt(0) lgkmcnt(0)
	v_mul_f32_e32 v4, s38, v4
.LBB18_13:
	s_or_b64 exec, exec, s[4:5]
	v_or_b32_e32 v6, 64, v64
	v_cmp_le_i32_e64 s[4:5], s21, v6
	s_or_b64 s[6:7], s[10:11], s[4:5]
	v_cndmask_b32_e64 v5, 0, v5, s[6:7]
	s_or_b64 s[6:7], s[18:19], s[6:7]
	s_xor_b64 s[8:9], s[6:7], -1
	s_and_saveexec_b64 s[6:7], s[8:9]
	s_cbranch_execz .LBB18_15
; %bb.14:
	v_lshl_add_u64 v[6:7], v[64:65], 2, v[0:1]
	flat_load_dword v5, v[6:7] offset:256
	s_waitcnt vmcnt(0) lgkmcnt(0)
	v_mul_f32_e32 v5, s38, v5
.LBB18_15:
	s_or_b64 exec, exec, s[6:7]
	v_or_b32_e32 v6, 0x80, v64
	v_cmp_le_i32_e64 s[6:7], s21, v6
	v_mov_b32_e32 v7, 0x7f7fffff
	s_or_b64 s[8:9], s[10:11], s[6:7]
	v_cndmask_b32_e64 v6, 0, v7, s[8:9]
	s_or_b64 s[8:9], s[18:19], s[8:9]
	s_xor_b64 s[12:13], s[8:9], -1
	s_and_saveexec_b64 s[8:9], s[12:13]
	s_cbranch_execz .LBB18_17
; %bb.16:
	v_lshl_add_u64 v[8:9], v[64:65], 2, v[0:1]
	flat_load_dword v6, v[8:9] offset:512
	s_waitcnt vmcnt(0) lgkmcnt(0)
	v_mul_f32_e32 v6, s38, v6
.LBB18_17:
	s_or_b64 exec, exec, s[8:9]
	v_or_b32_e32 v8, 0xc0, v64
	v_cmp_le_i32_e64 s[8:9], s21, v8
	s_or_b64 s[10:11], s[10:11], s[8:9]
	v_cndmask_b32_e64 v7, 0, v7, s[10:11]
	s_or_b64 s[10:11], s[18:19], s[10:11]
	s_xor_b64 s[12:13], s[10:11], -1
	s_and_saveexec_b64 s[10:11], s[12:13]
	s_cbranch_execz .LBB18_19
; %bb.18:
	v_lshl_add_u64 v[0:1], v[64:65], 2, v[0:1]
	flat_load_dword v0, v[0:1] offset:768
	s_waitcnt vmcnt(0) lgkmcnt(0)
	v_mul_f32_e32 v7, s38, v0
.LBB18_19:
	s_or_b64 exec, exec, s[10:11]
	v_add_u32_e32 v0, 4, v76
	v_cmp_le_i32_e64 s[10:11], s22, v0
	s_or_b64 s[12:13], vcc, s[10:11]
	v_min_i32_e32 v0, s23, v0
	s_or_b64 s[34:35], s[18:19], s[12:13]
	s_xor_b64 s[34:35], s[34:35], -1
	v_ashrrev_i32_e32 v1, 31, v0
                                        ; implicit-def: $vgpr58
	s_and_saveexec_b64 s[42:43], s[34:35]
	s_xor_b64 s[34:35], exec, s[42:43]
	s_cbranch_execz .LBB18_21
; %bb.20:
	v_mad_i64_i32 v[8:9], s[42:43], s30, v0, 0
	v_lshl_add_u64 v[8:9], v[8:9], 2, s[28:29]
	v_lshl_add_u64 v[8:9], v[56:57], 2, v[8:9]
	flat_load_dword v8, v[8:9]
	s_waitcnt vmcnt(0) lgkmcnt(0)
	v_mul_f32_e32 v58, s38, v8
.LBB18_21:
	s_andn2_saveexec_b64 s[34:35], s[34:35]
; %bb.22:
	v_mov_b32_e32 v8, 0x7f7fffff
	v_cndmask_b32_e64 v58, 0, v8, s[12:13]
; %bb.23:
	s_or_b64 exec, exec, s[34:35]
	v_mul_lo_u32 v8, v1, s39
	v_mul_lo_u32 v9, v0, s40
	v_mad_u64_u32 v[0:1], s[12:13], v0, s39, 0
	v_add3_u32 v1, v1, v9, v8
	v_mov_b32_e32 v8, 0x7f7fffff
	s_or_b64 s[12:13], s[2:3], s[10:11]
	v_cndmask_b32_e64 v59, 0, v8, s[12:13]
	s_or_b64 s[12:13], s[18:19], s[12:13]
	v_lshl_add_u64 v[0:1], v[0:1], 2, s[26:27]
	s_xor_b64 s[34:35], s[12:13], -1
	s_and_saveexec_b64 s[12:13], s[34:35]
	s_cbranch_execz .LBB18_25
; %bb.24:
	v_lshl_add_u64 v[10:11], v[64:65], 2, v[0:1]
	flat_load_dword v9, v[10:11]
	s_waitcnt vmcnt(0) lgkmcnt(0)
	v_mul_f32_e32 v59, s38, v9
.LBB18_25:
	s_or_b64 exec, exec, s[12:13]
	s_or_b64 s[12:13], s[4:5], s[10:11]
	v_cndmask_b32_e64 v60, 0, v8, s[12:13]
	s_or_b64 s[12:13], s[18:19], s[12:13]
	s_xor_b64 s[34:35], s[12:13], -1
	s_and_saveexec_b64 s[12:13], s[34:35]
	s_cbranch_execz .LBB18_27
; %bb.26:
	v_lshl_add_u64 v[8:9], v[64:65], 2, v[0:1]
	flat_load_dword v8, v[8:9] offset:256
	s_waitcnt vmcnt(0) lgkmcnt(0)
	v_mul_f32_e32 v60, s38, v8
.LBB18_27:
	s_or_b64 exec, exec, s[12:13]
	v_mov_b32_e32 v8, 0x7f7fffff
	s_or_b64 s[12:13], s[6:7], s[10:11]
	v_cndmask_b32_e64 v61, 0, v8, s[12:13]
	s_or_b64 s[12:13], s[18:19], s[12:13]
	s_xor_b64 s[34:35], s[12:13], -1
	s_and_saveexec_b64 s[12:13], s[34:35]
	s_cbranch_execz .LBB18_29
; %bb.28:
	v_lshl_add_u64 v[10:11], v[64:65], 2, v[0:1]
	flat_load_dword v9, v[10:11] offset:512
	s_waitcnt vmcnt(0) lgkmcnt(0)
	v_mul_f32_e32 v61, s38, v9
.LBB18_29:
	s_or_b64 exec, exec, s[12:13]
	s_or_b64 s[10:11], s[8:9], s[10:11]
	v_cndmask_b32_e64 v62, 0, v8, s[10:11]
	s_or_b64 s[10:11], s[18:19], s[10:11]
	s_xor_b64 s[34:35], s[10:11], -1
	s_mov_b32 s12, 0x7f7fffff
	s_and_saveexec_b64 s[10:11], s[34:35]
	s_cbranch_execz .LBB18_31
; %bb.30:
	v_lshl_add_u64 v[0:1], v[64:65], 2, v[0:1]
	flat_load_dword v0, v[0:1] offset:768
	s_waitcnt vmcnt(0) lgkmcnt(0)
	v_mul_f32_e32 v62, s38, v0
.LBB18_31:
	s_or_b64 exec, exec, s[10:11]
	v_lshlrev_b32_e32 v0, 2, v76
	v_lshl_add_u32 v79, v2, 4, v0
	v_lshlrev_b32_e32 v77, 4, v74
	v_lshlrev_b32_e32 v78, 4, v75
	ds_write_b32 v79, v3 offset:8192
	ds_write2st64_b32 v79, v4, v5 offset1:4
	ds_write2st64_b32 v79, v6, v7 offset0:8 offset1:12
	s_waitcnt lgkmcnt(0)
	s_barrier
	ds_read_b128 v[12:15], v77 offset:8192
	ds_read_b128 v[20:23], v77 offset:8320
	ds_read_b128 v[24:27], v77 offset:8448
	ds_read_b128 v[28:31], v77 offset:8576
	ds_read_b128 v[16:19], v77 offset:8704
	ds_read_b128 v[8:11], v77 offset:8832
	ds_read_b128 v[4:7], v77 offset:8960
	ds_read_b128 v[0:3], v77 offset:9088
	ds_read_b128 v[52:55], v78
	ds_read_b128 v[48:51], v78 offset:512
	ds_read_b128 v[44:47], v78 offset:1024
	;; [unrolled: 1-line block ×5, first 2 shown]
	s_waitcnt lgkmcnt(5)
	v_pk_add_f32 v[66:67], v[12:13], v[52:53]
	s_cmp_lt_i32 s22, 9
	v_min3_f32 v63, v66, v67, s12
	v_pk_add_f32 v[66:67], v[20:21], v[52:53]
	s_nop 0
	v_min3_f32 v68, v66, v67, s12
	v_pk_add_f32 v[66:67], v[24:25], v[52:53]
	s_nop 0
	v_min3_f32 v69, v66, v67, s12
	v_pk_add_f32 v[66:67], v[28:29], v[52:53]
	s_nop 0
	v_min3_f32 v70, v66, v67, s12
	v_pk_add_f32 v[66:67], v[16:17], v[52:53]
	s_nop 0
	v_min3_f32 v71, v66, v67, s12
	v_pk_add_f32 v[66:67], v[8:9], v[52:53]
	s_nop 0
	v_min3_f32 v72, v66, v67, s12
	v_pk_add_f32 v[66:67], v[4:5], v[52:53]
	v_pk_add_f32 v[52:53], v[0:1], v[52:53]
	v_min3_f32 v66, v66, v67, s12
	v_min3_f32 v67, v52, v53, s12
	s_waitcnt lgkmcnt(4)
	v_pk_add_f32 v[52:53], v[12:13], v[48:49]
	s_nop 0
	v_min3_f32 v73, v52, v53, s12
	v_pk_add_f32 v[52:53], v[20:21], v[48:49]
	s_nop 0
	v_min3_f32 v80, v52, v53, s12
	v_pk_add_f32 v[52:53], v[24:25], v[48:49]
	s_nop 0
	v_min3_f32 v81, v52, v53, s12
	v_pk_add_f32 v[52:53], v[28:29], v[48:49]
	s_nop 0
	v_min3_f32 v82, v52, v53, s12
	v_pk_add_f32 v[52:53], v[16:17], v[48:49]
	s_nop 0
	v_min3_f32 v83, v52, v53, s12
	v_pk_add_f32 v[52:53], v[8:9], v[48:49]
	s_nop 0
	v_min3_f32 v84, v52, v53, s12
	v_pk_add_f32 v[52:53], v[4:5], v[48:49]
	v_pk_add_f32 v[48:49], v[0:1], v[48:49]
	v_min3_f32 v85, v52, v53, s12
	v_min3_f32 v86, v48, v49, s12
	s_waitcnt lgkmcnt(3)
	v_pk_add_f32 v[48:49], v[12:13], v[44:45]
	s_nop 0
	;; [unrolled: 23-line block ×5, first 2 shown]
	v_min3_f32 v105, v36, v37, s12
	v_pk_add_f32 v[36:37], v[20:21], v[32:33]
	s_nop 0
	v_min3_f32 v106, v36, v37, s12
	v_pk_add_f32 v[36:37], v[24:25], v[32:33]
	s_nop 0
	;; [unrolled: 3-line block ×5, first 2 shown]
	v_min3_f32 v151, v36, v37, s12
	v_pk_add_f32 v[36:37], v[4:5], v[32:33]
	v_pk_add_f32 v[32:33], v[0:1], v[32:33]
	v_min3_f32 v152, v36, v37, s12
	v_min3_f32 v153, v32, v33, s12
	v_pk_add_f32 v[32:33], v[14:15], v[54:55]
	s_nop 0
	v_min3_f32 v148, v32, v33, v63
	v_pk_add_f32 v[32:33], v[22:23], v[54:55]
	s_nop 0
	;; [unrolled: 3-line block ×7, first 2 shown]
	v_min3_f32 v142, v32, v33, v66
	v_pk_add_f32 v[32:33], v[2:3], v[54:55]
	ds_read_b128 v[52:55], v78 offset:3072
	v_min3_f32 v141, v32, v33, v67
	ds_read_b128 v[66:69], v78 offset:3584
	v_pk_add_f32 v[32:33], v[14:15], v[50:51]
	ds_write_b32 v79, v58 offset:9216
	ds_write2st64_b32 v79, v59, v60 offset0:16 offset1:20
	ds_write2st64_b32 v79, v61, v62 offset0:24 offset1:28
	v_min3_f32 v140, v32, v33, v73
	v_pk_add_f32 v[32:33], v[22:23], v[50:51]
	s_waitcnt lgkmcnt(4)
	v_pk_add_f32 v[36:37], v[24:25], v[52:53]
	v_min3_f32 v139, v32, v33, v80
	v_pk_add_f32 v[32:33], v[26:27], v[50:51]
	s_waitcnt lgkmcnt(0)
	v_min3_f32 v138, v32, v33, v81
	v_pk_add_f32 v[32:33], v[30:31], v[50:51]
	s_barrier
	v_min3_f32 v137, v32, v33, v82
	v_pk_add_f32 v[32:33], v[18:19], v[50:51]
	s_nop 0
	v_min3_f32 v136, v32, v33, v83
	v_pk_add_f32 v[32:33], v[10:11], v[50:51]
	s_nop 0
	;; [unrolled: 3-line block ×3, first 2 shown]
	v_min3_f32 v132, v32, v33, v85
	v_pk_add_f32 v[32:33], v[12:13], v[52:53]
	v_pk_add_f32 v[12:13], v[12:13], v[66:67]
	v_min3_f32 v63, v32, v33, s12
	v_pk_add_f32 v[32:33], v[20:21], v[52:53]
	s_nop 0
	v_min3_f32 v70, v32, v33, s12
	v_pk_add_f32 v[32:33], v[2:3], v[50:51]
	v_min3_f32 v50, v36, v37, s12
	v_min3_f32 v135, v32, v33, v86
	v_pk_add_f32 v[32:33], v[14:15], v[46:47]
	v_pk_add_f32 v[36:37], v[28:29], v[52:53]
	v_min3_f32 v133, v32, v33, v87
	v_pk_add_f32 v[32:33], v[22:23], v[46:47]
	v_min3_f32 v51, v36, v37, s12
	v_min3_f32 v131, v32, v33, v88
	v_pk_add_f32 v[32:33], v[26:27], v[46:47]
	v_pk_add_f32 v[36:37], v[4:5], v[52:53]
	v_min3_f32 v130, v32, v33, v89
	v_pk_add_f32 v[32:33], v[30:31], v[46:47]
	v_pk_add_f32 v[4:5], v[4:5], v[66:67]
	v_min3_f32 v129, v32, v33, v90
	v_pk_add_f32 v[32:33], v[18:19], v[46:47]
	v_min3_f32 v4, v4, v5, s12
	v_min3_f32 v128, v32, v33, v91
	v_pk_add_f32 v[32:33], v[10:11], v[46:47]
	s_nop 0
	v_min3_f32 v127, v32, v33, v92
	v_pk_add_f32 v[32:33], v[6:7], v[46:47]
	s_nop 0
	;; [unrolled: 3-line block ×3, first 2 shown]
	v_min3_f32 v48, v32, v33, s12
	v_pk_add_f32 v[32:33], v[8:9], v[52:53]
	v_pk_add_f32 v[8:9], v[8:9], v[66:67]
	v_min3_f32 v71, v32, v33, s12
	v_pk_add_f32 v[32:33], v[2:3], v[46:47]
	v_min3_f32 v46, v36, v37, s12
	v_min3_f32 v125, v32, v33, v49
	v_pk_add_f32 v[32:33], v[14:15], v[42:43]
	v_pk_add_f32 v[36:37], v[0:1], v[52:53]
	v_min3_f32 v123, v32, v33, v93
	v_pk_add_f32 v[32:33], v[22:23], v[42:43]
	v_pk_add_f32 v[0:1], v[0:1], v[66:67]
	v_min3_f32 v122, v32, v33, v94
	v_pk_add_f32 v[32:33], v[26:27], v[42:43]
	v_min3_f32 v5, v0, v1, s12
	v_min3_f32 v121, v32, v33, v95
	v_pk_add_f32 v[32:33], v[30:31], v[42:43]
	v_pk_add_f32 v[0:1], v[14:15], v[54:55]
	v_min3_f32 v120, v32, v33, v96
	v_pk_add_f32 v[32:33], v[18:19], v[42:43]
	v_min3_f32 v36, v36, v37, s12
	v_min3_f32 v119, v32, v33, v97
	v_pk_add_f32 v[32:33], v[10:11], v[42:43]
	s_nop 0
	v_min3_f32 v118, v32, v33, v98
	v_pk_add_f32 v[32:33], v[6:7], v[42:43]
	s_nop 0
	;; [unrolled: 3-line block ×4, first 2 shown]
	v_min3_f32 v115, v32, v33, v99
	v_pk_add_f32 v[32:33], v[22:23], v[38:39]
	v_min3_f32 v99, v0, v1, v63
	v_min3_f32 v114, v32, v33, v100
	v_pk_add_f32 v[32:33], v[26:27], v[38:39]
	v_pk_add_f32 v[0:1], v[22:23], v[54:55]
	v_min3_f32 v113, v32, v33, v101
	v_pk_add_f32 v[32:33], v[30:31], v[38:39]
	v_min3_f32 v98, v0, v1, v70
	v_min3_f32 v112, v32, v33, v102
	v_pk_add_f32 v[32:33], v[18:19], v[38:39]
	v_pk_add_f32 v[0:1], v[26:27], v[54:55]
	;; [unrolled: 6-line block ×3, first 2 shown]
	v_min3_f32 v109, v32, v33, v40
	v_min3_f32 v32, v12, v13, s12
	v_pk_add_f32 v[12:13], v[20:21], v[66:67]
	v_min3_f32 v96, v0, v1, v51
	v_min3_f32 v33, v12, v13, s12
	v_pk_add_f32 v[12:13], v[2:3], v[38:39]
	v_pk_add_f32 v[0:1], v[18:19], v[54:55]
	v_min3_f32 v108, v12, v13, v41
	v_pk_add_f32 v[12:13], v[14:15], v[34:35]
	v_min3_f32 v95, v0, v1, v48
	v_min3_f32 v107, v12, v13, v105
	v_pk_add_f32 v[12:13], v[22:23], v[34:35]
	v_pk_add_f32 v[0:1], v[10:11], v[54:55]
	v_min3_f32 v106, v12, v13, v106
	v_pk_add_f32 v[12:13], v[26:27], v[34:35]
	v_min3_f32 v94, v0, v1, v71
	v_pk_add_f32 v[0:1], v[6:7], v[54:55]
	v_min3_f32 v105, v12, v13, v124
	v_pk_add_f32 v[12:13], v[30:31], v[34:35]
	v_min3_f32 v93, v0, v1, v46
	v_pk_add_f32 v[0:1], v[2:3], v[54:55]
	v_min3_f32 v104, v12, v13, v149
	v_pk_add_f32 v[12:13], v[18:19], v[34:35]
	v_min3_f32 v92, v0, v1, v36
	v_pk_add_f32 v[0:1], v[14:15], v[68:69]
	v_pk_add_f32 v[20:21], v[24:25], v[66:67]
	v_min3_f32 v103, v12, v13, v150
	v_pk_add_f32 v[12:13], v[10:11], v[34:35]
	v_min3_f32 v91, v0, v1, v32
	;; [unrolled: 2-line block ×6, first 2 shown]
	v_min3_f32 v101, v12, v13, v152
	v_pk_add_f32 v[12:13], v[16:17], v[66:67]
	v_min3_f32 v89, v0, v1, v24
	v_pk_add_f32 v[0:1], v[30:31], v[68:69]
	v_min3_f32 v12, v12, v13, s12
	v_min3_f32 v87, v0, v1, v20
	v_pk_add_f32 v[0:1], v[18:19], v[68:69]
	v_min3_f32 v13, v8, v9, s12
	v_min3_f32 v86, v0, v1, v12
	v_pk_add_f32 v[0:1], v[10:11], v[68:69]
	v_pk_add_f32 v[8:9], v[2:3], v[34:35]
	v_min3_f32 v85, v0, v1, v13
	v_pk_add_f32 v[0:1], v[6:7], v[68:69]
	v_min3_f32 v100, v8, v9, v153
	v_min3_f32 v84, v0, v1, v4
	v_pk_add_f32 v[0:1], v[2:3], v[68:69]
	s_nop 0
	v_min3_f32 v88, v0, v1, v5
	s_cbranch_scc1 .LBB18_54
; %bb.32:
	v_mov_b32_e32 v0, 0x2400
	v_lshl_add_u32 v124, v74, 4, v0
	v_mov_b32_e32 v0, 0x1000
	v_lshl_add_u32 v149, v75, 4, v0
	v_add_u32_e32 v0, 12, v76
	v_mad_i64_i32 v[0:1], s[10:11], v0, s30, 0
	v_lshlrev_b64 v[68:69], 2, v[0:1]
	v_add_u32_e32 v0, 8, v76
	v_mad_i64_i32 v[0:1], s[10:11], v0, s30, 0
	v_or_b32_e32 v80, 0x2000, v79
	v_add_u32_e32 v81, 0x2000, v77
	v_add_u32_e32 v82, 0x2400, v79
	v_or_b32_e32 v83, 0x1000, v79
	s_add_i32 s34, s22, -8
	v_lshl_add_u64 v[66:67], v[56:57], 2, s[28:29]
	s_lshl_b64 s[28:29], s[30:31], 5
	v_lshlrev_b64 v[70:71], 2, v[0:1]
	s_mov_b32 s30, 0
	v_mov_b32_e32 v150, 0x7f7fffff
	s_branch .LBB18_34
.LBB18_33:                              ;   in Loop: Header=BB18_34 Depth=1
	s_or_b64 exec, exec, s[10:11]
	ds_read_b128 v[0:3], v81
	ds_read_b128 v[4:7], v81 offset:128
	ds_read_b128 v[8:11], v81 offset:256
	;; [unrolled: 1-line block ×7, first 2 shown]
	ds_read_b128 v[126:129], v78
	ds_read_b128 v[156:159], v78 offset:512
	ds_read_b128 v[160:163], v78 offset:1024
	;; [unrolled: 1-line block ×7, first 2 shown]
	s_waitcnt lgkmcnt(7)
	v_pk_add_f32 v[72:73], v[0:1], v[126:127]
	s_add_i32 s30, s30, 8
	v_min3_f32 v37, v72, v73, v37
	v_pk_add_f32 v[72:73], v[4:5], v[126:127]
	s_cmp_ge_i32 s30, s34
	v_min3_f32 v121, v72, v73, v40
	v_pk_add_f32 v[72:73], v[8:9], v[126:127]
	v_lshl_add_u64 v[66:67], v[66:67], 0, s[28:29]
	v_min3_f32 v72, v72, v73, v41
	v_pk_add_f32 v[40:41], v[12:13], v[126:127]
	ds_write_b32 v82, v151
	ds_write2st64_b32 v83, v152, v153 offset1:4
	ds_write2st64_b32 v83, v154, v36 offset0:8 offset1:12
	v_min3_f32 v44, v40, v41, v44
	v_pk_add_f32 v[40:41], v[16:17], v[126:127]
	s_waitcnt lgkmcnt(0)
	v_min3_f32 v45, v40, v41, v45
	v_pk_add_f32 v[40:41], v[20:21], v[126:127]
	s_barrier
	v_min3_f32 v48, v40, v41, v48
	v_pk_add_f32 v[40:41], v[24:25], v[126:127]
	s_nop 0
	v_min3_f32 v49, v40, v41, v49
	v_pk_add_f32 v[40:41], v[28:29], v[126:127]
	s_nop 0
	;; [unrolled: 3-line block ×42, first 2 shown]
	v_min3_f32 v42, v40, v41, v42
	v_pk_add_f32 v[40:41], v[0:1], v[176:177]
	v_pk_add_f32 v[0:1], v[0:1], v[32:33]
	v_min3_f32 v43, v40, v41, v43
	v_min3_f32 v39, v0, v1, v39
	v_pk_add_f32 v[0:1], v[4:5], v[32:33]
	v_pk_add_f32 v[40:41], v[4:5], v[176:177]
	v_min3_f32 v4, v0, v1, v114
	v_pk_add_f32 v[0:1], v[8:9], v[32:33]
	v_min3_f32 v160, v40, v41, v108
	v_min3_f32 v5, v0, v1, v115
	v_pk_add_f32 v[0:1], v[12:13], v[32:33]
	v_pk_add_f32 v[40:41], v[8:9], v[176:177]
	v_min3_f32 v8, v0, v1, v116
	;; [unrolled: 6-line block ×7, first 2 shown]
	v_pk_add_f32 v[0:1], v[26:27], v[128:129]
	v_min3_f32 v38, v40, v41, v38
	v_min3_f32 v142, v0, v1, v49
	v_pk_add_f32 v[0:1], v[30:31], v[128:129]
	s_nop 0
	v_min3_f32 v141, v0, v1, v52
	v_pk_add_f32 v[0:1], v[2:3], v[158:159]
	s_nop 0
	;; [unrolled: 3-line block ×57, first 2 shown]
	v_min3_f32 v88, v0, v1, v16
	s_cbranch_scc1 .LBB18_54
.LBB18_34:                              ; =>This Inner Loop Header: Depth=1
	v_add_u32_e32 v72, s30, v76
	v_add_u32_e32 v0, 8, v72
	v_cmp_le_i32_e64 s[10:11], s22, v0
	s_or_b64 s[12:13], vcc, s[10:11]
	v_cndmask_b32_e64 v73, 0, v150, s[12:13]
	s_or_b64 s[12:13], s[18:19], s[12:13]
	s_xor_b64 s[40:41], s[12:13], -1
	s_and_saveexec_b64 s[12:13], s[40:41]
	s_cbranch_execz .LBB18_36
; %bb.35:                               ;   in Loop: Header=BB18_34 Depth=1
	v_lshl_add_u64 v[2:3], v[66:67], 0, v[70:71]
	flat_load_dword v1, v[2:3]
	s_waitcnt vmcnt(0) lgkmcnt(0)
	v_mul_f32_e32 v73, s38, v1
.LBB18_36:                              ;   in Loop: Header=BB18_34 Depth=1
	s_or_b64 exec, exec, s[12:13]
	v_min_i32_e32 v0, s23, v0
	v_mad_i64_i32 v[0:1], s[12:13], v0, s39, 0
	s_or_b64 s[12:13], s[2:3], s[10:11]
	v_lshl_add_u64 v[0:1], v[0:1], 2, s[26:27]
	v_cndmask_b32_e64 v151, 0, v150, s[12:13]
	s_or_b64 s[12:13], s[18:19], s[12:13]
	s_xor_b64 s[40:41], s[12:13], -1
	v_lshl_add_u64 v[0:1], v[64:65], 2, v[0:1]
	s_and_saveexec_b64 s[12:13], s[40:41]
	s_cbranch_execz .LBB18_38
; %bb.37:                               ;   in Loop: Header=BB18_34 Depth=1
	flat_load_dword v2, v[0:1]
	s_waitcnt vmcnt(0) lgkmcnt(0)
	v_mul_f32_e32 v151, s38, v2
.LBB18_38:                              ;   in Loop: Header=BB18_34 Depth=1
	s_or_b64 exec, exec, s[12:13]
	s_or_b64 s[12:13], s[4:5], s[10:11]
	v_cndmask_b32_e64 v152, 0, v150, s[12:13]
	s_or_b64 s[12:13], s[18:19], s[12:13]
	s_xor_b64 s[40:41], s[12:13], -1
	s_and_saveexec_b64 s[12:13], s[40:41]
	s_cbranch_execz .LBB18_40
; %bb.39:                               ;   in Loop: Header=BB18_34 Depth=1
	flat_load_dword v2, v[0:1] offset:256
	s_waitcnt vmcnt(0) lgkmcnt(0)
	v_mul_f32_e32 v152, s38, v2
.LBB18_40:                              ;   in Loop: Header=BB18_34 Depth=1
	s_or_b64 exec, exec, s[12:13]
	s_or_b64 s[12:13], s[6:7], s[10:11]
	v_cndmask_b32_e64 v153, 0, v150, s[12:13]
	s_or_b64 s[12:13], s[18:19], s[12:13]
	s_xor_b64 s[40:41], s[12:13], -1
	s_and_saveexec_b64 s[12:13], s[40:41]
	s_cbranch_execz .LBB18_42
; %bb.41:                               ;   in Loop: Header=BB18_34 Depth=1
	flat_load_dword v2, v[0:1] offset:512
	s_waitcnt vmcnt(0) lgkmcnt(0)
	v_mul_f32_e32 v153, s38, v2
.LBB18_42:                              ;   in Loop: Header=BB18_34 Depth=1
	;; [unrolled: 12-line block ×3, first 2 shown]
	s_or_b64 exec, exec, s[10:11]
	ds_read_b128 v[28:31], v124
	ds_read_b128 v[24:27], v124 offset:128
	ds_read_b128 v[20:23], v124 offset:256
	;; [unrolled: 1-line block ×7, first 2 shown]
	ds_read_b128 v[60:63], v149
	ds_read_b128 v[56:59], v149 offset:512
	ds_read_b128 v[52:55], v149 offset:1024
	;; [unrolled: 1-line block ×7, first 2 shown]
	v_add_u32_e32 v72, 12, v72
	v_cmp_le_i32_e64 s[10:11], s22, v72
	s_or_b64 s[12:13], vcc, s[10:11]
	ds_write_b32 v80, v73
	ds_write2st64_b32 v79, v151, v152 offset1:4
	ds_write2st64_b32 v79, v153, v154 offset0:8 offset1:12
	v_cndmask_b32_e64 v151, 0, v150, s[12:13]
	s_or_b64 s[12:13], s[18:19], s[12:13]
	s_xor_b64 s[40:41], s[12:13], -1
	s_waitcnt lgkmcnt(0)
	s_barrier
	s_and_saveexec_b64 s[12:13], s[40:41]
	s_cbranch_execz .LBB18_46
; %bb.45:                               ;   in Loop: Header=BB18_34 Depth=1
	v_lshl_add_u64 v[152:153], v[66:67], 0, v[68:69]
	flat_load_dword v73, v[152:153]
	s_waitcnt vmcnt(0) lgkmcnt(0)
	v_mul_f32_e32 v151, s38, v73
.LBB18_46:                              ;   in Loop: Header=BB18_34 Depth=1
	s_or_b64 exec, exec, s[12:13]
	v_min_i32_e32 v72, s23, v72
	v_mad_i64_i32 v[72:73], s[12:13], v72, s39, 0
	s_or_b64 s[12:13], s[2:3], s[10:11]
	v_lshl_add_u64 v[72:73], v[72:73], 2, s[26:27]
	v_cndmask_b32_e64 v152, 0, v150, s[12:13]
	s_or_b64 s[12:13], s[18:19], s[12:13]
	s_xor_b64 s[40:41], s[12:13], -1
	v_lshl_add_u64 v[72:73], v[64:65], 2, v[72:73]
	s_and_saveexec_b64 s[12:13], s[40:41]
	s_cbranch_execz .LBB18_48
; %bb.47:                               ;   in Loop: Header=BB18_34 Depth=1
	flat_load_dword v152, v[72:73]
	s_waitcnt vmcnt(0) lgkmcnt(0)
	v_mul_f32_e32 v152, s38, v152
.LBB18_48:                              ;   in Loop: Header=BB18_34 Depth=1
	s_or_b64 exec, exec, s[12:13]
	s_or_b64 s[12:13], s[4:5], s[10:11]
	v_cndmask_b32_e64 v153, 0, v150, s[12:13]
	s_or_b64 s[12:13], s[18:19], s[12:13]
	s_xor_b64 s[40:41], s[12:13], -1
	s_and_saveexec_b64 s[12:13], s[40:41]
	s_cbranch_execz .LBB18_50
; %bb.49:                               ;   in Loop: Header=BB18_34 Depth=1
	flat_load_dword v153, v[72:73] offset:256
	s_waitcnt vmcnt(0) lgkmcnt(0)
	v_mul_f32_e32 v153, s38, v153
.LBB18_50:                              ;   in Loop: Header=BB18_34 Depth=1
	s_or_b64 exec, exec, s[12:13]
	s_or_b64 s[12:13], s[6:7], s[10:11]
	v_cndmask_b32_e64 v154, 0, v150, s[12:13]
	s_or_b64 s[12:13], s[18:19], s[12:13]
	s_xor_b64 s[40:41], s[12:13], -1
	s_and_saveexec_b64 s[12:13], s[40:41]
	s_cbranch_execz .LBB18_52
; %bb.51:                               ;   in Loop: Header=BB18_34 Depth=1
	flat_load_dword v154, v[72:73] offset:512
	s_waitcnt vmcnt(0) lgkmcnt(0)
	v_mul_f32_e32 v154, s38, v154
.LBB18_52:                              ;   in Loop: Header=BB18_34 Depth=1
	s_or_b64 exec, exec, s[12:13]
	v_pk_add_f32 v[156:157], v[28:29], v[60:61]
	s_or_b64 s[10:11], s[8:9], s[10:11]
	v_min3_f32 v148, v156, v157, v148
	v_pk_add_f32 v[156:157], v[24:25], v[60:61]
	s_nop 0
	v_min3_f32 v155, v156, v157, v147
	v_pk_add_f32 v[156:157], v[20:21], v[60:61]
	s_nop 0
	v_min3_f32 v156, v156, v157, v146
	v_pk_add_f32 v[146:147], v[16:17], v[60:61]
	s_nop 0
	v_min3_f32 v157, v146, v147, v145
	v_pk_add_f32 v[146:147], v[12:13], v[60:61]
	s_nop 0
	v_min3_f32 v146, v146, v147, v144
	v_pk_add_f32 v[144:145], v[8:9], v[60:61]
	s_nop 0
	v_min3_f32 v143, v144, v145, v143
	v_pk_add_f32 v[144:145], v[4:5], v[60:61]
	v_pk_add_f32 v[60:61], v[0:1], v[60:61]
	v_min3_f32 v142, v144, v145, v142
	v_min3_f32 v141, v60, v61, v141
	v_pk_add_f32 v[60:61], v[28:29], v[56:57]
	s_nop 0
	v_min3_f32 v140, v60, v61, v140
	v_pk_add_f32 v[60:61], v[24:25], v[56:57]
	s_nop 0
	v_min3_f32 v139, v60, v61, v139
	v_pk_add_f32 v[60:61], v[20:21], v[56:57]
	s_nop 0
	v_min3_f32 v138, v60, v61, v138
	v_pk_add_f32 v[60:61], v[16:17], v[56:57]
	s_nop 0
	v_min3_f32 v137, v60, v61, v137
	v_pk_add_f32 v[60:61], v[12:13], v[56:57]
	s_nop 0
	v_min3_f32 v136, v60, v61, v136
	v_pk_add_f32 v[60:61], v[8:9], v[56:57]
	s_nop 0
	v_min3_f32 v134, v60, v61, v134
	v_pk_add_f32 v[60:61], v[4:5], v[56:57]
	v_pk_add_f32 v[56:57], v[0:1], v[56:57]
	v_min3_f32 v132, v60, v61, v132
	v_min3_f32 v135, v56, v57, v135
	v_pk_add_f32 v[56:57], v[28:29], v[52:53]
	s_nop 0
	;; [unrolled: 22-line block ×5, first 2 shown]
	v_min3_f32 v107, v44, v45, v107
	v_pk_add_f32 v[44:45], v[24:25], v[40:41]
	s_nop 0
	v_min3_f32 v106, v44, v45, v106
	v_pk_add_f32 v[44:45], v[20:21], v[40:41]
	s_nop 0
	;; [unrolled: 3-line block ×5, first 2 shown]
	v_min3_f32 v145, v44, v45, v102
	v_pk_add_f32 v[44:45], v[4:5], v[40:41]
	v_pk_add_f32 v[40:41], v[0:1], v[40:41]
	v_min3_f32 v147, v44, v45, v101
	v_min3_f32 v158, v40, v41, v100
	v_pk_add_f32 v[40:41], v[28:29], v[36:37]
	v_pk_add_f32 v[28:29], v[28:29], v[32:33]
	v_min3_f32 v159, v40, v41, v99
	v_pk_add_f32 v[40:41], v[24:25], v[36:37]
	v_pk_add_f32 v[24:25], v[24:25], v[32:33]
	;; [unrolled: 3-line block ×7, first 2 shown]
	v_pk_add_f32 v[4:5], v[4:5], v[32:33]
	v_pk_add_f32 v[0:1], v[0:1], v[32:33]
	v_min3_f32 v4, v4, v5, v84
	v_min3_f32 v5, v0, v1, v88
	v_pk_add_f32 v[0:1], v[30:31], v[62:63]
	v_min3_f32 v36, v36, v37, v92
	v_min3_f32 v37, v0, v1, v148
	;; [unrolled: 3-line block ×9, first 2 shown]
	v_pk_add_f32 v[0:1], v[30:31], v[58:59]
	s_nop 0
	v_min3_f32 v53, v0, v1, v140
	v_pk_add_f32 v[0:1], v[26:27], v[58:59]
	s_nop 0
	v_min3_f32 v56, v0, v1, v139
	;; [unrolled: 3-line block ×48, first 2 shown]
	v_pk_add_f32 v[0:1], v[30:31], v[34:35]
	v_cndmask_b32_e64 v36, 0, v150, s[10:11]
	v_min3_f32 v39, v0, v1, v28
	v_pk_add_f32 v[0:1], v[26:27], v[34:35]
	s_or_b64 s[10:11], s[18:19], s[10:11]
	v_min3_f32 v114, v0, v1, v24
	v_pk_add_f32 v[0:1], v[22:23], v[34:35]
	s_xor_b64 s[12:13], s[10:11], -1
	v_min3_f32 v115, v0, v1, v20
	v_pk_add_f32 v[0:1], v[18:19], v[34:35]
	s_nop 0
	v_min3_f32 v116, v0, v1, v16
	v_pk_add_f32 v[0:1], v[14:15], v[34:35]
	s_nop 0
	;; [unrolled: 3-line block ×5, first 2 shown]
	v_min3_f32 v120, v0, v1, v5
	s_and_saveexec_b64 s[10:11], s[12:13]
	s_cbranch_execz .LBB18_33
; %bb.53:                               ;   in Loop: Header=BB18_34 Depth=1
	flat_load_dword v0, v[72:73] offset:768
	s_waitcnt vmcnt(0) lgkmcnt(0)
	v_mul_f32_e32 v36, s38, v0
	s_branch .LBB18_33
.LBB18_54:
	s_load_dwordx2 s[2:3], s[0:1], 0x78
	s_load_dword s29, s[0:1], 0x58
	s_load_dword s28, s[0:1], 0x70
	ds_read_b128 v[32:35], v77 offset:9216
	ds_read_b128 v[28:31], v77 offset:9344
	;; [unrolled: 1-line block ×16, first 2 shown]
	s_waitcnt lgkmcnt(0)
	s_lshl_b64 s[0:1], s[2:3], 2
	s_add_u32 s22, s16, s0
	v_add_u32_e32 v124, s37, v75
	s_addc_u32 s23, s17, s1
	v_mad_i64_i32 v[66:67], s[0:1], v124, s29, 0
	v_add_u32_e32 v64, s36, v74
	v_lshl_add_u64 v[82:83], v[66:67], 2, s[24:25]
	v_mad_i64_i32 v[66:67], s[0:1], v124, s28, 0
	v_cmp_gt_i32_e64 s[18:19], s21, v124
	v_lshl_add_u64 v[80:81], v[66:67], 2, s[22:23]
	v_cmp_gt_i32_e64 s[2:3], s20, v64
	v_cndmask_b32_e64 v66, 0, 1, s[14:15]
	s_and_b64 s[6:7], s[2:3], s[18:19]
	v_ashrrev_i32_e32 v65, 31, v64
	v_cmp_ne_u32_e64 s[0:1], 1, v66
	s_and_saveexec_b64 s[4:5], s[6:7]
	s_cbranch_execz .LBB18_59
; %bb.55:
	s_and_b64 vcc, exec, s[0:1]
	s_cbranch_vccnz .LBB18_57
; %bb.56:
	v_lshl_add_u64 v[66:67], v[64:65], 2, v[82:83]
	flat_load_dword v66, v[66:67]
	s_waitcnt vmcnt(0) lgkmcnt(0)
	v_mul_f32_e32 v66, s33, v66
	s_branch .LBB18_58
.LBB18_57:
	v_mov_b32_e32 v66, 0
.LBB18_58:
	v_pk_add_f32 v[68:69], v[32:33], v[60:61]
	s_nop 0
	v_min3_f32 v67, v68, v69, v148
	v_pk_add_f32 v[68:69], v[34:35], v[62:63]
	s_nop 0
	v_min_f32_e32 v68, v68, v69
	v_min3_f32 v68, v66, v68, v67
	v_lshl_add_u64 v[66:67], v[64:65], 2, v[80:81]
	global_store_dword v[66:67], v68, off
.LBB18_59:
	s_or_b64 exec, exec, s[4:5]
	v_add_u32_e32 v66, 8, v64
	v_cmp_gt_i32_e64 s[4:5], s20, v66
	s_and_b64 s[8:9], s[4:5], s[18:19]
	v_ashrrev_i32_e32 v67, 31, v66
	s_and_saveexec_b64 s[6:7], s[8:9]
	s_cbranch_execz .LBB18_64
; %bb.60:
	s_and_b64 vcc, exec, s[0:1]
	s_cbranch_vccnz .LBB18_62
; %bb.61:
	v_lshl_add_u64 v[68:69], v[66:67], 2, v[82:83]
	flat_load_dword v68, v[68:69]
	s_waitcnt vmcnt(0) lgkmcnt(0)
	v_mul_f32_e32 v68, s33, v68
	s_branch .LBB18_63
.LBB18_62:
	v_mov_b32_e32 v68, 0
.LBB18_63:
	v_pk_add_f32 v[70:71], v[28:29], v[60:61]
	s_nop 0
	v_min3_f32 v69, v70, v71, v147
	v_pk_add_f32 v[70:71], v[30:31], v[62:63]
	s_nop 0
	v_min_f32_e32 v70, v70, v71
	v_min3_f32 v70, v68, v70, v69
	v_lshl_add_u64 v[68:69], v[66:67], 2, v[80:81]
	global_store_dword v[68:69], v70, off
.LBB18_64:
	s_or_b64 exec, exec, s[6:7]
	v_add_u32_e32 v68, 16, v64
	v_cmp_gt_i32_e64 s[6:7], s20, v68
	s_and_b64 s[10:11], s[6:7], s[18:19]
	v_ashrrev_i32_e32 v69, 31, v68
	;; [unrolled: 29-line block ×7, first 2 shown]
	s_and_saveexec_b64 s[18:19], s[26:27]
	s_cbranch_execz .LBB18_94
; %bb.90:
	s_and_b64 vcc, exec, s[0:1]
	s_cbranch_vccnz .LBB18_92
; %bb.91:
	v_lshl_add_u64 v[82:83], v[78:79], 2, v[82:83]
	flat_load_dword v82, v[82:83]
	s_waitcnt vmcnt(0) lgkmcnt(0)
	v_mul_f32_e32 v82, s33, v82
	s_branch .LBB18_93
.LBB18_92:
	v_mov_b32_e32 v82, 0
.LBB18_93:
	v_pk_add_f32 v[60:61], v[0:1], v[60:61]
	s_nop 0
	v_min3_f32 v83, v60, v61, v141
	v_pk_add_f32 v[60:61], v[2:3], v[62:63]
	s_nop 0
	v_min_f32_e32 v60, v60, v61
	v_min3_f32 v62, v82, v60, v83
	v_lshl_add_u64 v[60:61], v[78:79], 2, v[80:81]
	global_store_dword v[60:61], v62, off
.LBB18_94:
	s_or_b64 exec, exec, s[18:19]
	v_add_u32_e32 v80, 32, v124
	v_mad_i64_i32 v[60:61], s[26:27], v80, s29, 0
	v_cmp_gt_i32_e64 s[18:19], s21, v80
	v_lshl_add_u64 v[62:63], v[60:61], 2, s[24:25]
	v_mad_i64_i32 v[60:61], s[26:27], v80, s28, 0
	v_lshl_add_u64 v[60:61], v[60:61], 2, s[22:23]
	s_and_b64 s[30:31], s[2:3], s[18:19]
	s_and_saveexec_b64 s[26:27], s[30:31]
	s_cbranch_execnz .LBB18_102
; %bb.95:
	s_or_b64 exec, exec, s[26:27]
	s_and_b64 s[30:31], s[4:5], s[18:19]
	s_and_saveexec_b64 s[26:27], s[30:31]
	s_cbranch_execnz .LBB18_106
.LBB18_96:
	s_or_b64 exec, exec, s[26:27]
	s_and_b64 s[30:31], s[6:7], s[18:19]
	s_and_saveexec_b64 s[26:27], s[30:31]
	s_cbranch_execnz .LBB18_110
.LBB18_97:
	s_or_b64 exec, exec, s[26:27]
	s_and_b64 s[30:31], s[8:9], s[18:19]
	s_and_saveexec_b64 s[26:27], s[30:31]
	s_cbranch_execnz .LBB18_114
.LBB18_98:
	s_or_b64 exec, exec, s[26:27]
	s_and_b64 s[30:31], s[10:11], s[18:19]
	s_and_saveexec_b64 s[26:27], s[30:31]
	s_cbranch_execnz .LBB18_118
.LBB18_99:
	s_or_b64 exec, exec, s[26:27]
	s_and_b64 s[30:31], s[12:13], s[18:19]
	s_and_saveexec_b64 s[26:27], s[30:31]
	s_cbranch_execnz .LBB18_122
.LBB18_100:
	s_or_b64 exec, exec, s[26:27]
	s_and_b64 s[30:31], s[14:15], s[18:19]
	s_and_saveexec_b64 s[26:27], s[30:31]
	s_cbranch_execnz .LBB18_126
.LBB18_101:
	s_or_b64 exec, exec, s[26:27]
	s_and_b64 s[26:27], s[16:17], s[18:19]
	s_and_saveexec_b64 s[18:19], s[26:27]
	s_cbranch_execnz .LBB18_130
	s_branch .LBB18_134
.LBB18_102:
	s_and_b64 vcc, exec, s[0:1]
	s_cbranch_vccnz .LBB18_104
; %bb.103:
	v_lshl_add_u64 v[80:81], v[64:65], 2, v[62:63]
	flat_load_dword v80, v[80:81]
	s_waitcnt vmcnt(0) lgkmcnt(0)
	v_mul_f32_e32 v80, s33, v80
	s_branch .LBB18_105
.LBB18_104:
	v_mov_b32_e32 v80, 0
.LBB18_105:
	v_pk_add_f32 v[82:83], v[32:33], v[56:57]
	s_nop 0
	v_min3_f32 v81, v82, v83, v140
	v_pk_add_f32 v[82:83], v[34:35], v[58:59]
	s_nop 0
	v_min_f32_e32 v82, v82, v83
	v_min3_f32 v82, v80, v82, v81
	v_lshl_add_u64 v[80:81], v[64:65], 2, v[60:61]
	global_store_dword v[80:81], v82, off
	s_or_b64 exec, exec, s[26:27]
	s_and_b64 s[30:31], s[4:5], s[18:19]
	s_and_saveexec_b64 s[26:27], s[30:31]
	s_cbranch_execz .LBB18_96
.LBB18_106:
	s_and_b64 vcc, exec, s[0:1]
	s_cbranch_vccnz .LBB18_108
; %bb.107:
	v_lshl_add_u64 v[80:81], v[66:67], 2, v[62:63]
	flat_load_dword v80, v[80:81]
	s_waitcnt vmcnt(0) lgkmcnt(0)
	v_mul_f32_e32 v80, s33, v80
	s_branch .LBB18_109
.LBB18_108:
	v_mov_b32_e32 v80, 0
.LBB18_109:
	v_pk_add_f32 v[82:83], v[28:29], v[56:57]
	s_nop 0
	v_min3_f32 v81, v82, v83, v139
	v_pk_add_f32 v[82:83], v[30:31], v[58:59]
	s_nop 0
	v_min_f32_e32 v82, v82, v83
	v_min3_f32 v82, v80, v82, v81
	v_lshl_add_u64 v[80:81], v[66:67], 2, v[60:61]
	global_store_dword v[80:81], v82, off
	s_or_b64 exec, exec, s[26:27]
	s_and_b64 s[30:31], s[6:7], s[18:19]
	s_and_saveexec_b64 s[26:27], s[30:31]
	s_cbranch_execz .LBB18_97
.LBB18_110:
	s_and_b64 vcc, exec, s[0:1]
	s_cbranch_vccnz .LBB18_112
; %bb.111:
	v_lshl_add_u64 v[80:81], v[68:69], 2, v[62:63]
	flat_load_dword v80, v[80:81]
	s_waitcnt vmcnt(0) lgkmcnt(0)
	v_mul_f32_e32 v80, s33, v80
	s_branch .LBB18_113
.LBB18_112:
	v_mov_b32_e32 v80, 0
.LBB18_113:
	v_pk_add_f32 v[82:83], v[24:25], v[56:57]
	s_nop 0
	v_min3_f32 v81, v82, v83, v138
	v_pk_add_f32 v[82:83], v[26:27], v[58:59]
	s_nop 0
	v_min_f32_e32 v82, v82, v83
	v_min3_f32 v82, v80, v82, v81
	v_lshl_add_u64 v[80:81], v[68:69], 2, v[60:61]
	global_store_dword v[80:81], v82, off
	s_or_b64 exec, exec, s[26:27]
	s_and_b64 s[30:31], s[8:9], s[18:19]
	s_and_saveexec_b64 s[26:27], s[30:31]
	s_cbranch_execz .LBB18_98
.LBB18_114:
	s_and_b64 vcc, exec, s[0:1]
	s_cbranch_vccnz .LBB18_116
; %bb.115:
	v_lshl_add_u64 v[80:81], v[70:71], 2, v[62:63]
	flat_load_dword v80, v[80:81]
	s_waitcnt vmcnt(0) lgkmcnt(0)
	v_mul_f32_e32 v80, s33, v80
	s_branch .LBB18_117
.LBB18_116:
	v_mov_b32_e32 v80, 0
.LBB18_117:
	v_pk_add_f32 v[82:83], v[20:21], v[56:57]
	s_nop 0
	v_min3_f32 v81, v82, v83, v137
	v_pk_add_f32 v[82:83], v[22:23], v[58:59]
	s_nop 0
	v_min_f32_e32 v82, v82, v83
	v_min3_f32 v82, v80, v82, v81
	v_lshl_add_u64 v[80:81], v[70:71], 2, v[60:61]
	global_store_dword v[80:81], v82, off
	s_or_b64 exec, exec, s[26:27]
	s_and_b64 s[30:31], s[10:11], s[18:19]
	s_and_saveexec_b64 s[26:27], s[30:31]
	s_cbranch_execz .LBB18_99
.LBB18_118:
	s_and_b64 vcc, exec, s[0:1]
	s_cbranch_vccnz .LBB18_120
; %bb.119:
	v_lshl_add_u64 v[80:81], v[72:73], 2, v[62:63]
	flat_load_dword v80, v[80:81]
	s_waitcnt vmcnt(0) lgkmcnt(0)
	v_mul_f32_e32 v80, s33, v80
	s_branch .LBB18_121
.LBB18_120:
	v_mov_b32_e32 v80, 0
.LBB18_121:
	v_pk_add_f32 v[82:83], v[16:17], v[56:57]
	s_nop 0
	v_min3_f32 v81, v82, v83, v136
	v_pk_add_f32 v[82:83], v[18:19], v[58:59]
	s_nop 0
	v_min_f32_e32 v82, v82, v83
	v_min3_f32 v82, v80, v82, v81
	v_lshl_add_u64 v[80:81], v[72:73], 2, v[60:61]
	global_store_dword v[80:81], v82, off
	s_or_b64 exec, exec, s[26:27]
	s_and_b64 s[30:31], s[12:13], s[18:19]
	s_and_saveexec_b64 s[26:27], s[30:31]
	s_cbranch_execz .LBB18_100
.LBB18_122:
	s_and_b64 vcc, exec, s[0:1]
	s_cbranch_vccnz .LBB18_124
; %bb.123:
	v_lshl_add_u64 v[80:81], v[74:75], 2, v[62:63]
	flat_load_dword v80, v[80:81]
	s_waitcnt vmcnt(0) lgkmcnt(0)
	v_mul_f32_e32 v80, s33, v80
	s_branch .LBB18_125
.LBB18_124:
	v_mov_b32_e32 v80, 0
.LBB18_125:
	v_pk_add_f32 v[82:83], v[12:13], v[56:57]
	s_nop 0
	v_min3_f32 v81, v82, v83, v134
	v_pk_add_f32 v[82:83], v[14:15], v[58:59]
	s_nop 0
	v_min_f32_e32 v82, v82, v83
	v_min3_f32 v82, v80, v82, v81
	v_lshl_add_u64 v[80:81], v[74:75], 2, v[60:61]
	global_store_dword v[80:81], v82, off
	s_or_b64 exec, exec, s[26:27]
	s_and_b64 s[30:31], s[14:15], s[18:19]
	s_and_saveexec_b64 s[26:27], s[30:31]
	s_cbranch_execz .LBB18_101
.LBB18_126:
	s_and_b64 vcc, exec, s[0:1]
	s_cbranch_vccnz .LBB18_128
; %bb.127:
	v_lshl_add_u64 v[80:81], v[76:77], 2, v[62:63]
	flat_load_dword v80, v[80:81]
	s_waitcnt vmcnt(0) lgkmcnt(0)
	v_mul_f32_e32 v80, s33, v80
	s_branch .LBB18_129
.LBB18_128:
	v_mov_b32_e32 v80, 0
.LBB18_129:
	v_pk_add_f32 v[82:83], v[8:9], v[56:57]
	s_nop 0
	v_min3_f32 v81, v82, v83, v132
	v_pk_add_f32 v[82:83], v[10:11], v[58:59]
	s_nop 0
	v_min_f32_e32 v82, v82, v83
	v_min3_f32 v82, v80, v82, v81
	v_lshl_add_u64 v[80:81], v[76:77], 2, v[60:61]
	global_store_dword v[80:81], v82, off
	s_or_b64 exec, exec, s[26:27]
	s_and_b64 s[26:27], s[16:17], s[18:19]
	s_and_saveexec_b64 s[18:19], s[26:27]
	s_cbranch_execz .LBB18_134
.LBB18_130:
	s_and_b64 vcc, exec, s[0:1]
	s_cbranch_vccnz .LBB18_132
; %bb.131:
	v_lshl_add_u64 v[62:63], v[78:79], 2, v[62:63]
	flat_load_dword v62, v[62:63]
	s_waitcnt vmcnt(0) lgkmcnt(0)
	v_mul_f32_e32 v62, s33, v62
	s_branch .LBB18_133
.LBB18_132:
	v_mov_b32_e32 v62, 0
.LBB18_133:
	v_pk_add_f32 v[56:57], v[0:1], v[56:57]
	s_nop 0
	v_min3_f32 v63, v56, v57, v135
	v_pk_add_f32 v[56:57], v[2:3], v[58:59]
	s_nop 0
	v_min_f32_e32 v56, v56, v57
	v_min3_f32 v58, v62, v56, v63
	v_lshl_add_u64 v[56:57], v[78:79], 2, v[60:61]
	global_store_dword v[56:57], v58, off
.LBB18_134:
	s_or_b64 exec, exec, s[18:19]
	v_add_u32_e32 v60, 64, v124
	v_mad_i64_i32 v[56:57], s[26:27], v60, s29, 0
	v_cmp_gt_i32_e64 s[18:19], s21, v60
	v_lshl_add_u64 v[58:59], v[56:57], 2, s[24:25]
	v_mad_i64_i32 v[56:57], s[26:27], v60, s28, 0
	v_lshl_add_u64 v[56:57], v[56:57], 2, s[22:23]
	s_and_b64 s[30:31], s[2:3], s[18:19]
	s_and_saveexec_b64 s[26:27], s[30:31]
	s_cbranch_execnz .LBB18_142
; %bb.135:
	s_or_b64 exec, exec, s[26:27]
	s_and_b64 s[30:31], s[4:5], s[18:19]
	s_and_saveexec_b64 s[26:27], s[30:31]
	s_cbranch_execnz .LBB18_146
.LBB18_136:
	s_or_b64 exec, exec, s[26:27]
	s_and_b64 s[30:31], s[6:7], s[18:19]
	s_and_saveexec_b64 s[26:27], s[30:31]
	s_cbranch_execnz .LBB18_150
.LBB18_137:
	s_or_b64 exec, exec, s[26:27]
	s_and_b64 s[30:31], s[8:9], s[18:19]
	s_and_saveexec_b64 s[26:27], s[30:31]
	s_cbranch_execnz .LBB18_154
.LBB18_138:
	s_or_b64 exec, exec, s[26:27]
	s_and_b64 s[30:31], s[10:11], s[18:19]
	s_and_saveexec_b64 s[26:27], s[30:31]
	s_cbranch_execnz .LBB18_158
.LBB18_139:
	s_or_b64 exec, exec, s[26:27]
	s_and_b64 s[30:31], s[12:13], s[18:19]
	s_and_saveexec_b64 s[26:27], s[30:31]
	s_cbranch_execnz .LBB18_162
.LBB18_140:
	s_or_b64 exec, exec, s[26:27]
	s_and_b64 s[30:31], s[14:15], s[18:19]
	s_and_saveexec_b64 s[26:27], s[30:31]
	s_cbranch_execnz .LBB18_166
.LBB18_141:
	s_or_b64 exec, exec, s[26:27]
	s_and_b64 s[26:27], s[16:17], s[18:19]
	s_and_saveexec_b64 s[18:19], s[26:27]
	s_cbranch_execnz .LBB18_170
	s_branch .LBB18_174
.LBB18_142:
	s_and_b64 vcc, exec, s[0:1]
	s_cbranch_vccnz .LBB18_144
; %bb.143:
	v_lshl_add_u64 v[60:61], v[64:65], 2, v[58:59]
	flat_load_dword v60, v[60:61]
	s_waitcnt vmcnt(0) lgkmcnt(0)
	v_mul_f32_e32 v60, s33, v60
	s_branch .LBB18_145
.LBB18_144:
	v_mov_b32_e32 v60, 0
.LBB18_145:
	v_pk_add_f32 v[62:63], v[32:33], v[52:53]
	s_nop 0
	v_min3_f32 v61, v62, v63, v133
	v_pk_add_f32 v[62:63], v[34:35], v[54:55]
	s_nop 0
	v_min_f32_e32 v62, v62, v63
	v_min3_f32 v62, v60, v62, v61
	v_lshl_add_u64 v[60:61], v[64:65], 2, v[56:57]
	global_store_dword v[60:61], v62, off
	s_or_b64 exec, exec, s[26:27]
	s_and_b64 s[30:31], s[4:5], s[18:19]
	s_and_saveexec_b64 s[26:27], s[30:31]
	s_cbranch_execz .LBB18_136
.LBB18_146:
	s_and_b64 vcc, exec, s[0:1]
	s_cbranch_vccnz .LBB18_148
; %bb.147:
	v_lshl_add_u64 v[60:61], v[66:67], 2, v[58:59]
	flat_load_dword v60, v[60:61]
	s_waitcnt vmcnt(0) lgkmcnt(0)
	v_mul_f32_e32 v60, s33, v60
	s_branch .LBB18_149
.LBB18_148:
	v_mov_b32_e32 v60, 0
.LBB18_149:
	v_pk_add_f32 v[62:63], v[28:29], v[52:53]
	s_nop 0
	v_min3_f32 v61, v62, v63, v131
	v_pk_add_f32 v[62:63], v[30:31], v[54:55]
	s_nop 0
	v_min_f32_e32 v62, v62, v63
	v_min3_f32 v62, v60, v62, v61
	v_lshl_add_u64 v[60:61], v[66:67], 2, v[56:57]
	global_store_dword v[60:61], v62, off
	s_or_b64 exec, exec, s[26:27]
	s_and_b64 s[30:31], s[6:7], s[18:19]
	s_and_saveexec_b64 s[26:27], s[30:31]
	s_cbranch_execz .LBB18_137
.LBB18_150:
	s_and_b64 vcc, exec, s[0:1]
	s_cbranch_vccnz .LBB18_152
; %bb.151:
	v_lshl_add_u64 v[60:61], v[68:69], 2, v[58:59]
	flat_load_dword v60, v[60:61]
	s_waitcnt vmcnt(0) lgkmcnt(0)
	v_mul_f32_e32 v60, s33, v60
	s_branch .LBB18_153
.LBB18_152:
	v_mov_b32_e32 v60, 0
.LBB18_153:
	v_pk_add_f32 v[62:63], v[24:25], v[52:53]
	s_nop 0
	v_min3_f32 v61, v62, v63, v130
	v_pk_add_f32 v[62:63], v[26:27], v[54:55]
	s_nop 0
	v_min_f32_e32 v62, v62, v63
	v_min3_f32 v62, v60, v62, v61
	v_lshl_add_u64 v[60:61], v[68:69], 2, v[56:57]
	global_store_dword v[60:61], v62, off
	s_or_b64 exec, exec, s[26:27]
	s_and_b64 s[30:31], s[8:9], s[18:19]
	s_and_saveexec_b64 s[26:27], s[30:31]
	s_cbranch_execz .LBB18_138
.LBB18_154:
	s_and_b64 vcc, exec, s[0:1]
	s_cbranch_vccnz .LBB18_156
; %bb.155:
	v_lshl_add_u64 v[60:61], v[70:71], 2, v[58:59]
	flat_load_dword v60, v[60:61]
	s_waitcnt vmcnt(0) lgkmcnt(0)
	v_mul_f32_e32 v60, s33, v60
	s_branch .LBB18_157
.LBB18_156:
	v_mov_b32_e32 v60, 0
.LBB18_157:
	v_pk_add_f32 v[62:63], v[20:21], v[52:53]
	s_nop 0
	v_min3_f32 v61, v62, v63, v129
	v_pk_add_f32 v[62:63], v[22:23], v[54:55]
	s_nop 0
	v_min_f32_e32 v62, v62, v63
	v_min3_f32 v62, v60, v62, v61
	v_lshl_add_u64 v[60:61], v[70:71], 2, v[56:57]
	global_store_dword v[60:61], v62, off
	s_or_b64 exec, exec, s[26:27]
	s_and_b64 s[30:31], s[10:11], s[18:19]
	s_and_saveexec_b64 s[26:27], s[30:31]
	s_cbranch_execz .LBB18_139
.LBB18_158:
	s_and_b64 vcc, exec, s[0:1]
	s_cbranch_vccnz .LBB18_160
; %bb.159:
	v_lshl_add_u64 v[60:61], v[72:73], 2, v[58:59]
	flat_load_dword v60, v[60:61]
	s_waitcnt vmcnt(0) lgkmcnt(0)
	v_mul_f32_e32 v60, s33, v60
	s_branch .LBB18_161
.LBB18_160:
	v_mov_b32_e32 v60, 0
.LBB18_161:
	v_pk_add_f32 v[62:63], v[16:17], v[52:53]
	s_nop 0
	v_min3_f32 v61, v62, v63, v128
	v_pk_add_f32 v[62:63], v[18:19], v[54:55]
	s_nop 0
	v_min_f32_e32 v62, v62, v63
	v_min3_f32 v62, v60, v62, v61
	v_lshl_add_u64 v[60:61], v[72:73], 2, v[56:57]
	global_store_dword v[60:61], v62, off
	s_or_b64 exec, exec, s[26:27]
	s_and_b64 s[30:31], s[12:13], s[18:19]
	s_and_saveexec_b64 s[26:27], s[30:31]
	s_cbranch_execz .LBB18_140
.LBB18_162:
	s_and_b64 vcc, exec, s[0:1]
	s_cbranch_vccnz .LBB18_164
; %bb.163:
	v_lshl_add_u64 v[60:61], v[74:75], 2, v[58:59]
	flat_load_dword v60, v[60:61]
	s_waitcnt vmcnt(0) lgkmcnt(0)
	v_mul_f32_e32 v60, s33, v60
	s_branch .LBB18_165
.LBB18_164:
	v_mov_b32_e32 v60, 0
.LBB18_165:
	v_pk_add_f32 v[62:63], v[12:13], v[52:53]
	s_nop 0
	v_min3_f32 v61, v62, v63, v127
	v_pk_add_f32 v[62:63], v[14:15], v[54:55]
	s_nop 0
	v_min_f32_e32 v62, v62, v63
	v_min3_f32 v62, v60, v62, v61
	v_lshl_add_u64 v[60:61], v[74:75], 2, v[56:57]
	global_store_dword v[60:61], v62, off
	s_or_b64 exec, exec, s[26:27]
	s_and_b64 s[30:31], s[14:15], s[18:19]
	s_and_saveexec_b64 s[26:27], s[30:31]
	s_cbranch_execz .LBB18_141
.LBB18_166:
	s_and_b64 vcc, exec, s[0:1]
	s_cbranch_vccnz .LBB18_168
; %bb.167:
	v_lshl_add_u64 v[60:61], v[76:77], 2, v[58:59]
	flat_load_dword v60, v[60:61]
	s_waitcnt vmcnt(0) lgkmcnt(0)
	v_mul_f32_e32 v60, s33, v60
	s_branch .LBB18_169
.LBB18_168:
	v_mov_b32_e32 v60, 0
.LBB18_169:
	v_pk_add_f32 v[62:63], v[8:9], v[52:53]
	s_nop 0
	v_min3_f32 v61, v62, v63, v126
	v_pk_add_f32 v[62:63], v[10:11], v[54:55]
	s_nop 0
	v_min_f32_e32 v62, v62, v63
	v_min3_f32 v62, v60, v62, v61
	v_lshl_add_u64 v[60:61], v[76:77], 2, v[56:57]
	global_store_dword v[60:61], v62, off
	s_or_b64 exec, exec, s[26:27]
	s_and_b64 s[26:27], s[16:17], s[18:19]
	s_and_saveexec_b64 s[18:19], s[26:27]
	s_cbranch_execz .LBB18_174
.LBB18_170:
	s_and_b64 vcc, exec, s[0:1]
	s_cbranch_vccnz .LBB18_172
; %bb.171:
	v_lshl_add_u64 v[58:59], v[78:79], 2, v[58:59]
	flat_load_dword v58, v[58:59]
	s_waitcnt vmcnt(0) lgkmcnt(0)
	v_mul_f32_e32 v58, s33, v58
	s_branch .LBB18_173
.LBB18_172:
	v_mov_b32_e32 v58, 0
.LBB18_173:
	v_pk_add_f32 v[52:53], v[0:1], v[52:53]
	s_nop 0
	v_min3_f32 v59, v52, v53, v125
	v_pk_add_f32 v[52:53], v[2:3], v[54:55]
	s_nop 0
	v_min_f32_e32 v52, v52, v53
	v_min3_f32 v54, v58, v52, v59
	v_lshl_add_u64 v[52:53], v[78:79], 2, v[56:57]
	global_store_dword v[52:53], v54, off
.LBB18_174:
	s_or_b64 exec, exec, s[18:19]
	v_add_u32_e32 v56, 0x60, v124
	v_mad_i64_i32 v[52:53], s[26:27], v56, s29, 0
	v_cmp_gt_i32_e64 s[18:19], s21, v56
	v_lshl_add_u64 v[54:55], v[52:53], 2, s[24:25]
	v_mad_i64_i32 v[52:53], s[26:27], v56, s28, 0
	v_lshl_add_u64 v[52:53], v[52:53], 2, s[22:23]
	s_and_b64 s[30:31], s[2:3], s[18:19]
	s_and_saveexec_b64 s[26:27], s[30:31]
	s_cbranch_execnz .LBB18_182
; %bb.175:
	s_or_b64 exec, exec, s[26:27]
	s_and_b64 s[30:31], s[4:5], s[18:19]
	s_and_saveexec_b64 s[26:27], s[30:31]
	s_cbranch_execnz .LBB18_186
.LBB18_176:
	s_or_b64 exec, exec, s[26:27]
	s_and_b64 s[30:31], s[6:7], s[18:19]
	s_and_saveexec_b64 s[26:27], s[30:31]
	s_cbranch_execnz .LBB18_190
.LBB18_177:
	s_or_b64 exec, exec, s[26:27]
	s_and_b64 s[30:31], s[8:9], s[18:19]
	s_and_saveexec_b64 s[26:27], s[30:31]
	s_cbranch_execnz .LBB18_194
.LBB18_178:
	s_or_b64 exec, exec, s[26:27]
	s_and_b64 s[30:31], s[10:11], s[18:19]
	s_and_saveexec_b64 s[26:27], s[30:31]
	s_cbranch_execnz .LBB18_198
.LBB18_179:
	s_or_b64 exec, exec, s[26:27]
	s_and_b64 s[30:31], s[12:13], s[18:19]
	s_and_saveexec_b64 s[26:27], s[30:31]
	s_cbranch_execnz .LBB18_202
.LBB18_180:
	s_or_b64 exec, exec, s[26:27]
	s_and_b64 s[30:31], s[14:15], s[18:19]
	s_and_saveexec_b64 s[26:27], s[30:31]
	s_cbranch_execnz .LBB18_206
.LBB18_181:
	s_or_b64 exec, exec, s[26:27]
	s_and_b64 s[26:27], s[16:17], s[18:19]
	s_and_saveexec_b64 s[18:19], s[26:27]
	s_cbranch_execnz .LBB18_210
	s_branch .LBB18_214
.LBB18_182:
	s_and_b64 vcc, exec, s[0:1]
	s_cbranch_vccnz .LBB18_184
; %bb.183:
	v_lshl_add_u64 v[56:57], v[64:65], 2, v[54:55]
	flat_load_dword v56, v[56:57]
	s_waitcnt vmcnt(0) lgkmcnt(0)
	v_mul_f32_e32 v56, s33, v56
	s_branch .LBB18_185
.LBB18_184:
	v_mov_b32_e32 v56, 0
.LBB18_185:
	v_pk_add_f32 v[58:59], v[32:33], v[48:49]
	s_nop 0
	v_min3_f32 v57, v58, v59, v123
	v_pk_add_f32 v[58:59], v[34:35], v[50:51]
	s_nop 0
	v_min_f32_e32 v58, v58, v59
	v_min3_f32 v58, v56, v58, v57
	v_lshl_add_u64 v[56:57], v[64:65], 2, v[52:53]
	global_store_dword v[56:57], v58, off
	s_or_b64 exec, exec, s[26:27]
	s_and_b64 s[30:31], s[4:5], s[18:19]
	s_and_saveexec_b64 s[26:27], s[30:31]
	s_cbranch_execz .LBB18_176
.LBB18_186:
	s_and_b64 vcc, exec, s[0:1]
	s_cbranch_vccnz .LBB18_188
; %bb.187:
	v_lshl_add_u64 v[56:57], v[66:67], 2, v[54:55]
	flat_load_dword v56, v[56:57]
	s_waitcnt vmcnt(0) lgkmcnt(0)
	v_mul_f32_e32 v56, s33, v56
	s_branch .LBB18_189
.LBB18_188:
	v_mov_b32_e32 v56, 0
.LBB18_189:
	v_pk_add_f32 v[58:59], v[28:29], v[48:49]
	s_nop 0
	v_min3_f32 v57, v58, v59, v122
	v_pk_add_f32 v[58:59], v[30:31], v[50:51]
	s_nop 0
	v_min_f32_e32 v58, v58, v59
	v_min3_f32 v58, v56, v58, v57
	v_lshl_add_u64 v[56:57], v[66:67], 2, v[52:53]
	global_store_dword v[56:57], v58, off
	s_or_b64 exec, exec, s[26:27]
	s_and_b64 s[30:31], s[6:7], s[18:19]
	s_and_saveexec_b64 s[26:27], s[30:31]
	s_cbranch_execz .LBB18_177
.LBB18_190:
	s_and_b64 vcc, exec, s[0:1]
	s_cbranch_vccnz .LBB18_192
; %bb.191:
	v_lshl_add_u64 v[56:57], v[68:69], 2, v[54:55]
	flat_load_dword v56, v[56:57]
	s_waitcnt vmcnt(0) lgkmcnt(0)
	v_mul_f32_e32 v56, s33, v56
	s_branch .LBB18_193
.LBB18_192:
	v_mov_b32_e32 v56, 0
.LBB18_193:
	v_pk_add_f32 v[58:59], v[24:25], v[48:49]
	s_nop 0
	v_min3_f32 v57, v58, v59, v121
	v_pk_add_f32 v[58:59], v[26:27], v[50:51]
	s_nop 0
	v_min_f32_e32 v58, v58, v59
	v_min3_f32 v58, v56, v58, v57
	v_lshl_add_u64 v[56:57], v[68:69], 2, v[52:53]
	global_store_dword v[56:57], v58, off
	s_or_b64 exec, exec, s[26:27]
	s_and_b64 s[30:31], s[8:9], s[18:19]
	s_and_saveexec_b64 s[26:27], s[30:31]
	s_cbranch_execz .LBB18_178
.LBB18_194:
	s_and_b64 vcc, exec, s[0:1]
	s_cbranch_vccnz .LBB18_196
; %bb.195:
	v_lshl_add_u64 v[56:57], v[70:71], 2, v[54:55]
	flat_load_dword v56, v[56:57]
	s_waitcnt vmcnt(0) lgkmcnt(0)
	v_mul_f32_e32 v56, s33, v56
	s_branch .LBB18_197
.LBB18_196:
	v_mov_b32_e32 v56, 0
.LBB18_197:
	v_pk_add_f32 v[58:59], v[20:21], v[48:49]
	s_nop 0
	v_min3_f32 v57, v58, v59, v120
	v_pk_add_f32 v[58:59], v[22:23], v[50:51]
	s_nop 0
	v_min_f32_e32 v58, v58, v59
	v_min3_f32 v58, v56, v58, v57
	v_lshl_add_u64 v[56:57], v[70:71], 2, v[52:53]
	global_store_dword v[56:57], v58, off
	s_or_b64 exec, exec, s[26:27]
	s_and_b64 s[30:31], s[10:11], s[18:19]
	s_and_saveexec_b64 s[26:27], s[30:31]
	s_cbranch_execz .LBB18_179
.LBB18_198:
	s_and_b64 vcc, exec, s[0:1]
	s_cbranch_vccnz .LBB18_200
; %bb.199:
	v_lshl_add_u64 v[56:57], v[72:73], 2, v[54:55]
	flat_load_dword v56, v[56:57]
	s_waitcnt vmcnt(0) lgkmcnt(0)
	v_mul_f32_e32 v56, s33, v56
	s_branch .LBB18_201
.LBB18_200:
	v_mov_b32_e32 v56, 0
.LBB18_201:
	v_pk_add_f32 v[58:59], v[16:17], v[48:49]
	s_nop 0
	v_min3_f32 v57, v58, v59, v119
	v_pk_add_f32 v[58:59], v[18:19], v[50:51]
	s_nop 0
	v_min_f32_e32 v58, v58, v59
	v_min3_f32 v58, v56, v58, v57
	v_lshl_add_u64 v[56:57], v[72:73], 2, v[52:53]
	global_store_dword v[56:57], v58, off
	s_or_b64 exec, exec, s[26:27]
	s_and_b64 s[30:31], s[12:13], s[18:19]
	s_and_saveexec_b64 s[26:27], s[30:31]
	s_cbranch_execz .LBB18_180
.LBB18_202:
	s_and_b64 vcc, exec, s[0:1]
	s_cbranch_vccnz .LBB18_204
; %bb.203:
	v_lshl_add_u64 v[56:57], v[74:75], 2, v[54:55]
	flat_load_dword v56, v[56:57]
	s_waitcnt vmcnt(0) lgkmcnt(0)
	v_mul_f32_e32 v56, s33, v56
	s_branch .LBB18_205
.LBB18_204:
	v_mov_b32_e32 v56, 0
.LBB18_205:
	v_pk_add_f32 v[58:59], v[12:13], v[48:49]
	s_nop 0
	v_min3_f32 v57, v58, v59, v118
	v_pk_add_f32 v[58:59], v[14:15], v[50:51]
	s_nop 0
	v_min_f32_e32 v58, v58, v59
	v_min3_f32 v58, v56, v58, v57
	v_lshl_add_u64 v[56:57], v[74:75], 2, v[52:53]
	global_store_dword v[56:57], v58, off
	s_or_b64 exec, exec, s[26:27]
	s_and_b64 s[30:31], s[14:15], s[18:19]
	s_and_saveexec_b64 s[26:27], s[30:31]
	s_cbranch_execz .LBB18_181
.LBB18_206:
	s_and_b64 vcc, exec, s[0:1]
	s_cbranch_vccnz .LBB18_208
; %bb.207:
	v_lshl_add_u64 v[56:57], v[76:77], 2, v[54:55]
	flat_load_dword v56, v[56:57]
	s_waitcnt vmcnt(0) lgkmcnt(0)
	v_mul_f32_e32 v56, s33, v56
	s_branch .LBB18_209
.LBB18_208:
	v_mov_b32_e32 v56, 0
.LBB18_209:
	v_pk_add_f32 v[58:59], v[8:9], v[48:49]
	s_nop 0
	v_min3_f32 v57, v58, v59, v117
	v_pk_add_f32 v[58:59], v[10:11], v[50:51]
	s_nop 0
	v_min_f32_e32 v58, v58, v59
	v_min3_f32 v58, v56, v58, v57
	v_lshl_add_u64 v[56:57], v[76:77], 2, v[52:53]
	global_store_dword v[56:57], v58, off
	s_or_b64 exec, exec, s[26:27]
	s_and_b64 s[26:27], s[16:17], s[18:19]
	s_and_saveexec_b64 s[18:19], s[26:27]
	s_cbranch_execz .LBB18_214
.LBB18_210:
	s_and_b64 vcc, exec, s[0:1]
	s_cbranch_vccnz .LBB18_212
; %bb.211:
	v_lshl_add_u64 v[54:55], v[78:79], 2, v[54:55]
	flat_load_dword v54, v[54:55]
	s_waitcnt vmcnt(0) lgkmcnt(0)
	v_mul_f32_e32 v54, s33, v54
	s_branch .LBB18_213
.LBB18_212:
	v_mov_b32_e32 v54, 0
.LBB18_213:
	v_pk_add_f32 v[48:49], v[0:1], v[48:49]
	s_nop 0
	v_min3_f32 v55, v48, v49, v116
	v_pk_add_f32 v[48:49], v[2:3], v[50:51]
	s_nop 0
	v_min_f32_e32 v48, v48, v49
	v_min3_f32 v50, v54, v48, v55
	v_lshl_add_u64 v[48:49], v[78:79], 2, v[52:53]
	global_store_dword v[48:49], v50, off
.LBB18_214:
	s_or_b64 exec, exec, s[18:19]
	v_add_u32_e32 v52, 0x80, v124
	v_mad_i64_i32 v[48:49], s[26:27], v52, s29, 0
	v_cmp_gt_i32_e64 s[18:19], s21, v52
	v_lshl_add_u64 v[50:51], v[48:49], 2, s[24:25]
	v_mad_i64_i32 v[48:49], s[26:27], v52, s28, 0
	v_lshl_add_u64 v[48:49], v[48:49], 2, s[22:23]
	s_and_b64 s[30:31], s[2:3], s[18:19]
	s_and_saveexec_b64 s[26:27], s[30:31]
	s_cbranch_execnz .LBB18_222
; %bb.215:
	s_or_b64 exec, exec, s[26:27]
	s_and_b64 s[30:31], s[4:5], s[18:19]
	s_and_saveexec_b64 s[26:27], s[30:31]
	s_cbranch_execnz .LBB18_226
.LBB18_216:
	s_or_b64 exec, exec, s[26:27]
	s_and_b64 s[30:31], s[6:7], s[18:19]
	s_and_saveexec_b64 s[26:27], s[30:31]
	s_cbranch_execnz .LBB18_230
.LBB18_217:
	s_or_b64 exec, exec, s[26:27]
	s_and_b64 s[30:31], s[8:9], s[18:19]
	s_and_saveexec_b64 s[26:27], s[30:31]
	s_cbranch_execnz .LBB18_234
.LBB18_218:
	s_or_b64 exec, exec, s[26:27]
	s_and_b64 s[30:31], s[10:11], s[18:19]
	s_and_saveexec_b64 s[26:27], s[30:31]
	s_cbranch_execnz .LBB18_238
.LBB18_219:
	s_or_b64 exec, exec, s[26:27]
	s_and_b64 s[30:31], s[12:13], s[18:19]
	s_and_saveexec_b64 s[26:27], s[30:31]
	s_cbranch_execnz .LBB18_242
.LBB18_220:
	s_or_b64 exec, exec, s[26:27]
	s_and_b64 s[30:31], s[14:15], s[18:19]
	s_and_saveexec_b64 s[26:27], s[30:31]
	s_cbranch_execnz .LBB18_246
.LBB18_221:
	s_or_b64 exec, exec, s[26:27]
	s_and_b64 s[26:27], s[16:17], s[18:19]
	s_and_saveexec_b64 s[18:19], s[26:27]
	s_cbranch_execnz .LBB18_250
	s_branch .LBB18_254
.LBB18_222:
	s_and_b64 vcc, exec, s[0:1]
	s_cbranch_vccnz .LBB18_224
; %bb.223:
	v_lshl_add_u64 v[52:53], v[64:65], 2, v[50:51]
	flat_load_dword v52, v[52:53]
	s_waitcnt vmcnt(0) lgkmcnt(0)
	v_mul_f32_e32 v52, s33, v52
	s_branch .LBB18_225
.LBB18_224:
	v_mov_b32_e32 v52, 0
.LBB18_225:
	v_pk_add_f32 v[54:55], v[32:33], v[44:45]
	s_nop 0
	v_min3_f32 v53, v54, v55, v115
	v_pk_add_f32 v[54:55], v[34:35], v[46:47]
	s_nop 0
	v_min_f32_e32 v54, v54, v55
	v_min3_f32 v54, v52, v54, v53
	v_lshl_add_u64 v[52:53], v[64:65], 2, v[48:49]
	global_store_dword v[52:53], v54, off
	s_or_b64 exec, exec, s[26:27]
	s_and_b64 s[30:31], s[4:5], s[18:19]
	s_and_saveexec_b64 s[26:27], s[30:31]
	s_cbranch_execz .LBB18_216
.LBB18_226:
	s_and_b64 vcc, exec, s[0:1]
	s_cbranch_vccnz .LBB18_228
; %bb.227:
	v_lshl_add_u64 v[52:53], v[66:67], 2, v[50:51]
	flat_load_dword v52, v[52:53]
	s_waitcnt vmcnt(0) lgkmcnt(0)
	v_mul_f32_e32 v52, s33, v52
	s_branch .LBB18_229
.LBB18_228:
	v_mov_b32_e32 v52, 0
.LBB18_229:
	v_pk_add_f32 v[54:55], v[28:29], v[44:45]
	s_nop 0
	v_min3_f32 v53, v54, v55, v114
	v_pk_add_f32 v[54:55], v[30:31], v[46:47]
	s_nop 0
	v_min_f32_e32 v54, v54, v55
	v_min3_f32 v54, v52, v54, v53
	v_lshl_add_u64 v[52:53], v[66:67], 2, v[48:49]
	global_store_dword v[52:53], v54, off
	s_or_b64 exec, exec, s[26:27]
	s_and_b64 s[30:31], s[6:7], s[18:19]
	s_and_saveexec_b64 s[26:27], s[30:31]
	s_cbranch_execz .LBB18_217
.LBB18_230:
	s_and_b64 vcc, exec, s[0:1]
	s_cbranch_vccnz .LBB18_232
; %bb.231:
	v_lshl_add_u64 v[52:53], v[68:69], 2, v[50:51]
	flat_load_dword v52, v[52:53]
	s_waitcnt vmcnt(0) lgkmcnt(0)
	v_mul_f32_e32 v52, s33, v52
	s_branch .LBB18_233
.LBB18_232:
	v_mov_b32_e32 v52, 0
.LBB18_233:
	v_pk_add_f32 v[54:55], v[24:25], v[44:45]
	s_nop 0
	v_min3_f32 v53, v54, v55, v113
	v_pk_add_f32 v[54:55], v[26:27], v[46:47]
	s_nop 0
	v_min_f32_e32 v54, v54, v55
	v_min3_f32 v54, v52, v54, v53
	v_lshl_add_u64 v[52:53], v[68:69], 2, v[48:49]
	global_store_dword v[52:53], v54, off
	s_or_b64 exec, exec, s[26:27]
	s_and_b64 s[30:31], s[8:9], s[18:19]
	s_and_saveexec_b64 s[26:27], s[30:31]
	s_cbranch_execz .LBB18_218
.LBB18_234:
	s_and_b64 vcc, exec, s[0:1]
	s_cbranch_vccnz .LBB18_236
; %bb.235:
	v_lshl_add_u64 v[52:53], v[70:71], 2, v[50:51]
	flat_load_dword v52, v[52:53]
	s_waitcnt vmcnt(0) lgkmcnt(0)
	v_mul_f32_e32 v52, s33, v52
	s_branch .LBB18_237
.LBB18_236:
	v_mov_b32_e32 v52, 0
.LBB18_237:
	v_pk_add_f32 v[54:55], v[20:21], v[44:45]
	s_nop 0
	v_min3_f32 v53, v54, v55, v112
	v_pk_add_f32 v[54:55], v[22:23], v[46:47]
	s_nop 0
	v_min_f32_e32 v54, v54, v55
	v_min3_f32 v54, v52, v54, v53
	v_lshl_add_u64 v[52:53], v[70:71], 2, v[48:49]
	global_store_dword v[52:53], v54, off
	s_or_b64 exec, exec, s[26:27]
	s_and_b64 s[30:31], s[10:11], s[18:19]
	s_and_saveexec_b64 s[26:27], s[30:31]
	s_cbranch_execz .LBB18_219
.LBB18_238:
	s_and_b64 vcc, exec, s[0:1]
	s_cbranch_vccnz .LBB18_240
; %bb.239:
	v_lshl_add_u64 v[52:53], v[72:73], 2, v[50:51]
	flat_load_dword v52, v[52:53]
	s_waitcnt vmcnt(0) lgkmcnt(0)
	v_mul_f32_e32 v52, s33, v52
	s_branch .LBB18_241
.LBB18_240:
	v_mov_b32_e32 v52, 0
.LBB18_241:
	v_pk_add_f32 v[54:55], v[16:17], v[44:45]
	s_nop 0
	v_min3_f32 v53, v54, v55, v111
	v_pk_add_f32 v[54:55], v[18:19], v[46:47]
	s_nop 0
	v_min_f32_e32 v54, v54, v55
	v_min3_f32 v54, v52, v54, v53
	v_lshl_add_u64 v[52:53], v[72:73], 2, v[48:49]
	global_store_dword v[52:53], v54, off
	s_or_b64 exec, exec, s[26:27]
	s_and_b64 s[30:31], s[12:13], s[18:19]
	s_and_saveexec_b64 s[26:27], s[30:31]
	s_cbranch_execz .LBB18_220
.LBB18_242:
	s_and_b64 vcc, exec, s[0:1]
	s_cbranch_vccnz .LBB18_244
; %bb.243:
	v_lshl_add_u64 v[52:53], v[74:75], 2, v[50:51]
	flat_load_dword v52, v[52:53]
	s_waitcnt vmcnt(0) lgkmcnt(0)
	v_mul_f32_e32 v52, s33, v52
	s_branch .LBB18_245
.LBB18_244:
	v_mov_b32_e32 v52, 0
.LBB18_245:
	v_pk_add_f32 v[54:55], v[12:13], v[44:45]
	s_nop 0
	v_min3_f32 v53, v54, v55, v110
	v_pk_add_f32 v[54:55], v[14:15], v[46:47]
	s_nop 0
	v_min_f32_e32 v54, v54, v55
	v_min3_f32 v54, v52, v54, v53
	v_lshl_add_u64 v[52:53], v[74:75], 2, v[48:49]
	global_store_dword v[52:53], v54, off
	s_or_b64 exec, exec, s[26:27]
	s_and_b64 s[30:31], s[14:15], s[18:19]
	s_and_saveexec_b64 s[26:27], s[30:31]
	s_cbranch_execz .LBB18_221
.LBB18_246:
	s_and_b64 vcc, exec, s[0:1]
	s_cbranch_vccnz .LBB18_248
; %bb.247:
	v_lshl_add_u64 v[52:53], v[76:77], 2, v[50:51]
	flat_load_dword v52, v[52:53]
	s_waitcnt vmcnt(0) lgkmcnt(0)
	v_mul_f32_e32 v52, s33, v52
	s_branch .LBB18_249
.LBB18_248:
	v_mov_b32_e32 v52, 0
.LBB18_249:
	v_pk_add_f32 v[54:55], v[8:9], v[44:45]
	s_nop 0
	v_min3_f32 v53, v54, v55, v109
	v_pk_add_f32 v[54:55], v[10:11], v[46:47]
	s_nop 0
	v_min_f32_e32 v54, v54, v55
	v_min3_f32 v54, v52, v54, v53
	v_lshl_add_u64 v[52:53], v[76:77], 2, v[48:49]
	global_store_dword v[52:53], v54, off
	s_or_b64 exec, exec, s[26:27]
	s_and_b64 s[26:27], s[16:17], s[18:19]
	s_and_saveexec_b64 s[18:19], s[26:27]
	s_cbranch_execz .LBB18_254
.LBB18_250:
	s_and_b64 vcc, exec, s[0:1]
	s_cbranch_vccnz .LBB18_252
; %bb.251:
	v_lshl_add_u64 v[50:51], v[78:79], 2, v[50:51]
	flat_load_dword v50, v[50:51]
	s_waitcnt vmcnt(0) lgkmcnt(0)
	v_mul_f32_e32 v50, s33, v50
	s_branch .LBB18_253
.LBB18_252:
	v_mov_b32_e32 v50, 0
.LBB18_253:
	v_pk_add_f32 v[44:45], v[0:1], v[44:45]
	s_nop 0
	v_min3_f32 v51, v44, v45, v108
	v_pk_add_f32 v[44:45], v[2:3], v[46:47]
	s_nop 0
	v_min_f32_e32 v44, v44, v45
	v_min3_f32 v46, v50, v44, v51
	v_lshl_add_u64 v[44:45], v[78:79], 2, v[48:49]
	global_store_dword v[44:45], v46, off
.LBB18_254:
	s_or_b64 exec, exec, s[18:19]
	v_add_u32_e32 v48, 0xa0, v124
	v_mad_i64_i32 v[44:45], s[26:27], v48, s29, 0
	v_cmp_gt_i32_e64 s[18:19], s21, v48
	v_lshl_add_u64 v[46:47], v[44:45], 2, s[24:25]
	v_mad_i64_i32 v[44:45], s[26:27], v48, s28, 0
	v_lshl_add_u64 v[44:45], v[44:45], 2, s[22:23]
	s_and_b64 s[30:31], s[2:3], s[18:19]
	s_and_saveexec_b64 s[26:27], s[30:31]
	s_cbranch_execnz .LBB18_262
; %bb.255:
	s_or_b64 exec, exec, s[26:27]
	s_and_b64 s[30:31], s[4:5], s[18:19]
	s_and_saveexec_b64 s[26:27], s[30:31]
	s_cbranch_execnz .LBB18_266
.LBB18_256:
	s_or_b64 exec, exec, s[26:27]
	s_and_b64 s[30:31], s[6:7], s[18:19]
	s_and_saveexec_b64 s[26:27], s[30:31]
	s_cbranch_execnz .LBB18_270
.LBB18_257:
	s_or_b64 exec, exec, s[26:27]
	s_and_b64 s[30:31], s[8:9], s[18:19]
	s_and_saveexec_b64 s[26:27], s[30:31]
	s_cbranch_execnz .LBB18_274
.LBB18_258:
	s_or_b64 exec, exec, s[26:27]
	s_and_b64 s[30:31], s[10:11], s[18:19]
	s_and_saveexec_b64 s[26:27], s[30:31]
	s_cbranch_execnz .LBB18_278
.LBB18_259:
	s_or_b64 exec, exec, s[26:27]
	s_and_b64 s[30:31], s[12:13], s[18:19]
	s_and_saveexec_b64 s[26:27], s[30:31]
	s_cbranch_execnz .LBB18_282
.LBB18_260:
	s_or_b64 exec, exec, s[26:27]
	s_and_b64 s[30:31], s[14:15], s[18:19]
	s_and_saveexec_b64 s[26:27], s[30:31]
	s_cbranch_execnz .LBB18_286
.LBB18_261:
	s_or_b64 exec, exec, s[26:27]
	s_and_b64 s[26:27], s[16:17], s[18:19]
	s_and_saveexec_b64 s[18:19], s[26:27]
	s_cbranch_execnz .LBB18_290
	s_branch .LBB18_294
.LBB18_262:
	s_and_b64 vcc, exec, s[0:1]
	s_cbranch_vccnz .LBB18_264
; %bb.263:
	v_lshl_add_u64 v[48:49], v[64:65], 2, v[46:47]
	flat_load_dword v48, v[48:49]
	s_waitcnt vmcnt(0) lgkmcnt(0)
	v_mul_f32_e32 v48, s33, v48
	s_branch .LBB18_265
.LBB18_264:
	v_mov_b32_e32 v48, 0
.LBB18_265:
	v_pk_add_f32 v[50:51], v[32:33], v[40:41]
	s_nop 0
	v_min3_f32 v49, v50, v51, v107
	v_pk_add_f32 v[50:51], v[34:35], v[42:43]
	s_nop 0
	v_min_f32_e32 v50, v50, v51
	v_min3_f32 v50, v48, v50, v49
	v_lshl_add_u64 v[48:49], v[64:65], 2, v[44:45]
	global_store_dword v[48:49], v50, off
	s_or_b64 exec, exec, s[26:27]
	s_and_b64 s[30:31], s[4:5], s[18:19]
	s_and_saveexec_b64 s[26:27], s[30:31]
	s_cbranch_execz .LBB18_256
.LBB18_266:
	s_and_b64 vcc, exec, s[0:1]
	s_cbranch_vccnz .LBB18_268
; %bb.267:
	v_lshl_add_u64 v[48:49], v[66:67], 2, v[46:47]
	flat_load_dword v48, v[48:49]
	s_waitcnt vmcnt(0) lgkmcnt(0)
	v_mul_f32_e32 v48, s33, v48
	s_branch .LBB18_269
.LBB18_268:
	v_mov_b32_e32 v48, 0
.LBB18_269:
	v_pk_add_f32 v[50:51], v[28:29], v[40:41]
	s_nop 0
	v_min3_f32 v49, v50, v51, v106
	v_pk_add_f32 v[50:51], v[30:31], v[42:43]
	s_nop 0
	v_min_f32_e32 v50, v50, v51
	v_min3_f32 v50, v48, v50, v49
	v_lshl_add_u64 v[48:49], v[66:67], 2, v[44:45]
	global_store_dword v[48:49], v50, off
	s_or_b64 exec, exec, s[26:27]
	s_and_b64 s[30:31], s[6:7], s[18:19]
	s_and_saveexec_b64 s[26:27], s[30:31]
	s_cbranch_execz .LBB18_257
.LBB18_270:
	s_and_b64 vcc, exec, s[0:1]
	s_cbranch_vccnz .LBB18_272
; %bb.271:
	v_lshl_add_u64 v[48:49], v[68:69], 2, v[46:47]
	flat_load_dword v48, v[48:49]
	s_waitcnt vmcnt(0) lgkmcnt(0)
	v_mul_f32_e32 v48, s33, v48
	s_branch .LBB18_273
.LBB18_272:
	v_mov_b32_e32 v48, 0
.LBB18_273:
	v_pk_add_f32 v[50:51], v[24:25], v[40:41]
	s_nop 0
	v_min3_f32 v49, v50, v51, v105
	v_pk_add_f32 v[50:51], v[26:27], v[42:43]
	s_nop 0
	v_min_f32_e32 v50, v50, v51
	v_min3_f32 v50, v48, v50, v49
	v_lshl_add_u64 v[48:49], v[68:69], 2, v[44:45]
	global_store_dword v[48:49], v50, off
	s_or_b64 exec, exec, s[26:27]
	s_and_b64 s[30:31], s[8:9], s[18:19]
	s_and_saveexec_b64 s[26:27], s[30:31]
	s_cbranch_execz .LBB18_258
.LBB18_274:
	s_and_b64 vcc, exec, s[0:1]
	s_cbranch_vccnz .LBB18_276
; %bb.275:
	v_lshl_add_u64 v[48:49], v[70:71], 2, v[46:47]
	flat_load_dword v48, v[48:49]
	s_waitcnt vmcnt(0) lgkmcnt(0)
	v_mul_f32_e32 v48, s33, v48
	s_branch .LBB18_277
.LBB18_276:
	v_mov_b32_e32 v48, 0
.LBB18_277:
	v_pk_add_f32 v[50:51], v[20:21], v[40:41]
	s_nop 0
	v_min3_f32 v49, v50, v51, v104
	v_pk_add_f32 v[50:51], v[22:23], v[42:43]
	s_nop 0
	v_min_f32_e32 v50, v50, v51
	v_min3_f32 v50, v48, v50, v49
	v_lshl_add_u64 v[48:49], v[70:71], 2, v[44:45]
	global_store_dword v[48:49], v50, off
	s_or_b64 exec, exec, s[26:27]
	s_and_b64 s[30:31], s[10:11], s[18:19]
	s_and_saveexec_b64 s[26:27], s[30:31]
	s_cbranch_execz .LBB18_259
.LBB18_278:
	s_and_b64 vcc, exec, s[0:1]
	s_cbranch_vccnz .LBB18_280
; %bb.279:
	v_lshl_add_u64 v[48:49], v[72:73], 2, v[46:47]
	flat_load_dword v48, v[48:49]
	s_waitcnt vmcnt(0) lgkmcnt(0)
	v_mul_f32_e32 v48, s33, v48
	s_branch .LBB18_281
.LBB18_280:
	v_mov_b32_e32 v48, 0
.LBB18_281:
	v_pk_add_f32 v[50:51], v[16:17], v[40:41]
	s_nop 0
	v_min3_f32 v49, v50, v51, v103
	v_pk_add_f32 v[50:51], v[18:19], v[42:43]
	s_nop 0
	v_min_f32_e32 v50, v50, v51
	v_min3_f32 v50, v48, v50, v49
	v_lshl_add_u64 v[48:49], v[72:73], 2, v[44:45]
	global_store_dword v[48:49], v50, off
	s_or_b64 exec, exec, s[26:27]
	s_and_b64 s[30:31], s[12:13], s[18:19]
	s_and_saveexec_b64 s[26:27], s[30:31]
	s_cbranch_execz .LBB18_260
.LBB18_282:
	s_and_b64 vcc, exec, s[0:1]
	s_cbranch_vccnz .LBB18_284
; %bb.283:
	v_lshl_add_u64 v[48:49], v[74:75], 2, v[46:47]
	flat_load_dword v48, v[48:49]
	s_waitcnt vmcnt(0) lgkmcnt(0)
	v_mul_f32_e32 v48, s33, v48
	s_branch .LBB18_285
.LBB18_284:
	v_mov_b32_e32 v48, 0
.LBB18_285:
	v_pk_add_f32 v[50:51], v[12:13], v[40:41]
	s_nop 0
	v_min3_f32 v49, v50, v51, v102
	v_pk_add_f32 v[50:51], v[14:15], v[42:43]
	s_nop 0
	v_min_f32_e32 v50, v50, v51
	v_min3_f32 v50, v48, v50, v49
	v_lshl_add_u64 v[48:49], v[74:75], 2, v[44:45]
	global_store_dword v[48:49], v50, off
	s_or_b64 exec, exec, s[26:27]
	s_and_b64 s[30:31], s[14:15], s[18:19]
	s_and_saveexec_b64 s[26:27], s[30:31]
	s_cbranch_execz .LBB18_261
.LBB18_286:
	s_and_b64 vcc, exec, s[0:1]
	s_cbranch_vccnz .LBB18_288
; %bb.287:
	v_lshl_add_u64 v[48:49], v[76:77], 2, v[46:47]
	flat_load_dword v48, v[48:49]
	s_waitcnt vmcnt(0) lgkmcnt(0)
	v_mul_f32_e32 v48, s33, v48
	s_branch .LBB18_289
.LBB18_288:
	v_mov_b32_e32 v48, 0
.LBB18_289:
	v_pk_add_f32 v[50:51], v[8:9], v[40:41]
	s_nop 0
	v_min3_f32 v49, v50, v51, v101
	v_pk_add_f32 v[50:51], v[10:11], v[42:43]
	s_nop 0
	v_min_f32_e32 v50, v50, v51
	v_min3_f32 v50, v48, v50, v49
	v_lshl_add_u64 v[48:49], v[76:77], 2, v[44:45]
	global_store_dword v[48:49], v50, off
	s_or_b64 exec, exec, s[26:27]
	s_and_b64 s[26:27], s[16:17], s[18:19]
	s_and_saveexec_b64 s[18:19], s[26:27]
	s_cbranch_execz .LBB18_294
.LBB18_290:
	s_and_b64 vcc, exec, s[0:1]
	s_cbranch_vccnz .LBB18_292
; %bb.291:
	v_lshl_add_u64 v[46:47], v[78:79], 2, v[46:47]
	flat_load_dword v46, v[46:47]
	s_waitcnt vmcnt(0) lgkmcnt(0)
	v_mul_f32_e32 v46, s33, v46
	s_branch .LBB18_293
.LBB18_292:
	v_mov_b32_e32 v46, 0
.LBB18_293:
	v_pk_add_f32 v[40:41], v[0:1], v[40:41]
	s_nop 0
	v_min3_f32 v47, v40, v41, v100
	v_pk_add_f32 v[40:41], v[2:3], v[42:43]
	s_nop 0
	v_min_f32_e32 v40, v40, v41
	v_min3_f32 v42, v46, v40, v47
	v_lshl_add_u64 v[40:41], v[78:79], 2, v[44:45]
	global_store_dword v[40:41], v42, off
.LBB18_294:
	s_or_b64 exec, exec, s[18:19]
	v_add_u32_e32 v44, 0xc0, v124
	v_mad_i64_i32 v[40:41], s[26:27], v44, s29, 0
	v_cmp_gt_i32_e64 s[18:19], s21, v44
	v_lshl_add_u64 v[42:43], v[40:41], 2, s[24:25]
	v_mad_i64_i32 v[40:41], s[26:27], v44, s28, 0
	v_lshl_add_u64 v[40:41], v[40:41], 2, s[22:23]
	s_and_b64 s[30:31], s[2:3], s[18:19]
	s_and_saveexec_b64 s[26:27], s[30:31]
	s_cbranch_execnz .LBB18_302
; %bb.295:
	s_or_b64 exec, exec, s[26:27]
	s_and_b64 s[30:31], s[4:5], s[18:19]
	s_and_saveexec_b64 s[26:27], s[30:31]
	s_cbranch_execnz .LBB18_306
.LBB18_296:
	s_or_b64 exec, exec, s[26:27]
	s_and_b64 s[30:31], s[6:7], s[18:19]
	s_and_saveexec_b64 s[26:27], s[30:31]
	s_cbranch_execnz .LBB18_310
.LBB18_297:
	s_or_b64 exec, exec, s[26:27]
	s_and_b64 s[30:31], s[8:9], s[18:19]
	s_and_saveexec_b64 s[26:27], s[30:31]
	s_cbranch_execnz .LBB18_314
.LBB18_298:
	s_or_b64 exec, exec, s[26:27]
	s_and_b64 s[30:31], s[10:11], s[18:19]
	s_and_saveexec_b64 s[26:27], s[30:31]
	s_cbranch_execnz .LBB18_318
.LBB18_299:
	s_or_b64 exec, exec, s[26:27]
	s_and_b64 s[30:31], s[12:13], s[18:19]
	s_and_saveexec_b64 s[26:27], s[30:31]
	s_cbranch_execnz .LBB18_322
.LBB18_300:
	s_or_b64 exec, exec, s[26:27]
	s_and_b64 s[30:31], s[14:15], s[18:19]
	s_and_saveexec_b64 s[26:27], s[30:31]
	s_cbranch_execnz .LBB18_326
.LBB18_301:
	s_or_b64 exec, exec, s[26:27]
	s_and_b64 s[26:27], s[16:17], s[18:19]
	s_and_saveexec_b64 s[18:19], s[26:27]
	s_cbranch_execnz .LBB18_330
	s_branch .LBB18_334
.LBB18_302:
	s_and_b64 vcc, exec, s[0:1]
	s_cbranch_vccnz .LBB18_304
; %bb.303:
	v_lshl_add_u64 v[44:45], v[64:65], 2, v[42:43]
	flat_load_dword v44, v[44:45]
	s_waitcnt vmcnt(0) lgkmcnt(0)
	v_mul_f32_e32 v44, s33, v44
	s_branch .LBB18_305
.LBB18_304:
	v_mov_b32_e32 v44, 0
.LBB18_305:
	v_pk_add_f32 v[46:47], v[32:33], v[36:37]
	s_nop 0
	v_min3_f32 v45, v46, v47, v99
	v_pk_add_f32 v[46:47], v[34:35], v[38:39]
	s_nop 0
	v_min_f32_e32 v46, v46, v47
	v_min3_f32 v46, v44, v46, v45
	v_lshl_add_u64 v[44:45], v[64:65], 2, v[40:41]
	global_store_dword v[44:45], v46, off
	s_or_b64 exec, exec, s[26:27]
	s_and_b64 s[30:31], s[4:5], s[18:19]
	s_and_saveexec_b64 s[26:27], s[30:31]
	s_cbranch_execz .LBB18_296
.LBB18_306:
	s_and_b64 vcc, exec, s[0:1]
	s_cbranch_vccnz .LBB18_308
; %bb.307:
	v_lshl_add_u64 v[44:45], v[66:67], 2, v[42:43]
	flat_load_dword v44, v[44:45]
	s_waitcnt vmcnt(0) lgkmcnt(0)
	v_mul_f32_e32 v44, s33, v44
	s_branch .LBB18_309
.LBB18_308:
	v_mov_b32_e32 v44, 0
.LBB18_309:
	v_pk_add_f32 v[46:47], v[28:29], v[36:37]
	s_nop 0
	v_min3_f32 v45, v46, v47, v98
	v_pk_add_f32 v[46:47], v[30:31], v[38:39]
	s_nop 0
	v_min_f32_e32 v46, v46, v47
	v_min3_f32 v46, v44, v46, v45
	v_lshl_add_u64 v[44:45], v[66:67], 2, v[40:41]
	global_store_dword v[44:45], v46, off
	s_or_b64 exec, exec, s[26:27]
	s_and_b64 s[30:31], s[6:7], s[18:19]
	s_and_saveexec_b64 s[26:27], s[30:31]
	s_cbranch_execz .LBB18_297
.LBB18_310:
	s_and_b64 vcc, exec, s[0:1]
	s_cbranch_vccnz .LBB18_312
; %bb.311:
	v_lshl_add_u64 v[44:45], v[68:69], 2, v[42:43]
	flat_load_dword v44, v[44:45]
	s_waitcnt vmcnt(0) lgkmcnt(0)
	v_mul_f32_e32 v44, s33, v44
	s_branch .LBB18_313
.LBB18_312:
	v_mov_b32_e32 v44, 0
.LBB18_313:
	v_pk_add_f32 v[46:47], v[24:25], v[36:37]
	s_nop 0
	v_min3_f32 v45, v46, v47, v97
	v_pk_add_f32 v[46:47], v[26:27], v[38:39]
	s_nop 0
	v_min_f32_e32 v46, v46, v47
	v_min3_f32 v46, v44, v46, v45
	v_lshl_add_u64 v[44:45], v[68:69], 2, v[40:41]
	global_store_dword v[44:45], v46, off
	s_or_b64 exec, exec, s[26:27]
	s_and_b64 s[30:31], s[8:9], s[18:19]
	s_and_saveexec_b64 s[26:27], s[30:31]
	s_cbranch_execz .LBB18_298
.LBB18_314:
	s_and_b64 vcc, exec, s[0:1]
	s_cbranch_vccnz .LBB18_316
; %bb.315:
	v_lshl_add_u64 v[44:45], v[70:71], 2, v[42:43]
	flat_load_dword v44, v[44:45]
	s_waitcnt vmcnt(0) lgkmcnt(0)
	v_mul_f32_e32 v44, s33, v44
	s_branch .LBB18_317
.LBB18_316:
	v_mov_b32_e32 v44, 0
.LBB18_317:
	v_pk_add_f32 v[46:47], v[20:21], v[36:37]
	s_nop 0
	v_min3_f32 v45, v46, v47, v96
	v_pk_add_f32 v[46:47], v[22:23], v[38:39]
	s_nop 0
	v_min_f32_e32 v46, v46, v47
	v_min3_f32 v46, v44, v46, v45
	v_lshl_add_u64 v[44:45], v[70:71], 2, v[40:41]
	global_store_dword v[44:45], v46, off
	s_or_b64 exec, exec, s[26:27]
	s_and_b64 s[30:31], s[10:11], s[18:19]
	s_and_saveexec_b64 s[26:27], s[30:31]
	s_cbranch_execz .LBB18_299
.LBB18_318:
	s_and_b64 vcc, exec, s[0:1]
	s_cbranch_vccnz .LBB18_320
; %bb.319:
	v_lshl_add_u64 v[44:45], v[72:73], 2, v[42:43]
	flat_load_dword v44, v[44:45]
	s_waitcnt vmcnt(0) lgkmcnt(0)
	v_mul_f32_e32 v44, s33, v44
	s_branch .LBB18_321
.LBB18_320:
	v_mov_b32_e32 v44, 0
.LBB18_321:
	v_pk_add_f32 v[46:47], v[16:17], v[36:37]
	s_nop 0
	v_min3_f32 v45, v46, v47, v95
	v_pk_add_f32 v[46:47], v[18:19], v[38:39]
	s_nop 0
	v_min_f32_e32 v46, v46, v47
	v_min3_f32 v46, v44, v46, v45
	v_lshl_add_u64 v[44:45], v[72:73], 2, v[40:41]
	global_store_dword v[44:45], v46, off
	s_or_b64 exec, exec, s[26:27]
	s_and_b64 s[30:31], s[12:13], s[18:19]
	s_and_saveexec_b64 s[26:27], s[30:31]
	s_cbranch_execz .LBB18_300
.LBB18_322:
	s_and_b64 vcc, exec, s[0:1]
	s_cbranch_vccnz .LBB18_324
; %bb.323:
	v_lshl_add_u64 v[44:45], v[74:75], 2, v[42:43]
	flat_load_dword v44, v[44:45]
	s_waitcnt vmcnt(0) lgkmcnt(0)
	v_mul_f32_e32 v44, s33, v44
	s_branch .LBB18_325
.LBB18_324:
	v_mov_b32_e32 v44, 0
.LBB18_325:
	v_pk_add_f32 v[46:47], v[12:13], v[36:37]
	s_nop 0
	v_min3_f32 v45, v46, v47, v94
	v_pk_add_f32 v[46:47], v[14:15], v[38:39]
	s_nop 0
	v_min_f32_e32 v46, v46, v47
	v_min3_f32 v46, v44, v46, v45
	v_lshl_add_u64 v[44:45], v[74:75], 2, v[40:41]
	global_store_dword v[44:45], v46, off
	s_or_b64 exec, exec, s[26:27]
	s_and_b64 s[30:31], s[14:15], s[18:19]
	s_and_saveexec_b64 s[26:27], s[30:31]
	s_cbranch_execz .LBB18_301
.LBB18_326:
	s_and_b64 vcc, exec, s[0:1]
	s_cbranch_vccnz .LBB18_328
; %bb.327:
	v_lshl_add_u64 v[44:45], v[76:77], 2, v[42:43]
	flat_load_dword v44, v[44:45]
	s_waitcnt vmcnt(0) lgkmcnt(0)
	v_mul_f32_e32 v44, s33, v44
	s_branch .LBB18_329
.LBB18_328:
	v_mov_b32_e32 v44, 0
.LBB18_329:
	v_pk_add_f32 v[46:47], v[8:9], v[36:37]
	s_nop 0
	v_min3_f32 v45, v46, v47, v93
	v_pk_add_f32 v[46:47], v[10:11], v[38:39]
	s_nop 0
	v_min_f32_e32 v46, v46, v47
	v_min3_f32 v46, v44, v46, v45
	v_lshl_add_u64 v[44:45], v[76:77], 2, v[40:41]
	global_store_dword v[44:45], v46, off
	s_or_b64 exec, exec, s[26:27]
	s_and_b64 s[26:27], s[16:17], s[18:19]
	s_and_saveexec_b64 s[18:19], s[26:27]
	s_cbranch_execz .LBB18_334
.LBB18_330:
	s_and_b64 vcc, exec, s[0:1]
	s_cbranch_vccnz .LBB18_332
; %bb.331:
	v_lshl_add_u64 v[42:43], v[78:79], 2, v[42:43]
	flat_load_dword v42, v[42:43]
	s_waitcnt vmcnt(0) lgkmcnt(0)
	v_mul_f32_e32 v42, s33, v42
	s_branch .LBB18_333
.LBB18_332:
	v_mov_b32_e32 v42, 0
.LBB18_333:
	v_pk_add_f32 v[36:37], v[0:1], v[36:37]
	s_nop 0
	v_min3_f32 v43, v36, v37, v92
	v_pk_add_f32 v[36:37], v[2:3], v[38:39]
	s_nop 0
	v_min_f32_e32 v36, v36, v37
	v_min3_f32 v38, v42, v36, v43
	v_lshl_add_u64 v[36:37], v[78:79], 2, v[40:41]
	global_store_dword v[36:37], v38, off
.LBB18_334:
	s_or_b64 exec, exec, s[18:19]
	v_add_u32_e32 v40, 0xe0, v124
	v_cmp_gt_i32_e64 s[18:19], s21, v40
	v_mad_i64_i32 v[36:37], s[20:21], v40, s29, 0
	v_lshl_add_u64 v[38:39], v[36:37], 2, s[24:25]
	v_mad_i64_i32 v[36:37], s[20:21], v40, s28, 0
	v_lshl_add_u64 v[36:37], v[36:37], 2, s[22:23]
	s_and_b64 s[20:21], s[2:3], s[18:19]
	s_and_saveexec_b64 s[2:3], s[20:21]
	s_cbranch_execnz .LBB18_343
; %bb.335:
	s_or_b64 exec, exec, s[2:3]
	s_and_b64 s[4:5], s[4:5], s[18:19]
	s_and_saveexec_b64 s[2:3], s[4:5]
	s_cbranch_execnz .LBB18_347
.LBB18_336:
	s_or_b64 exec, exec, s[2:3]
	s_and_b64 s[4:5], s[6:7], s[18:19]
	s_and_saveexec_b64 s[2:3], s[4:5]
	s_cbranch_execnz .LBB18_351
.LBB18_337:
	s_or_b64 exec, exec, s[2:3]
	s_and_b64 s[4:5], s[8:9], s[18:19]
	s_and_saveexec_b64 s[2:3], s[4:5]
	s_cbranch_execnz .LBB18_355
.LBB18_338:
	s_or_b64 exec, exec, s[2:3]
	s_and_b64 s[4:5], s[10:11], s[18:19]
	s_and_saveexec_b64 s[2:3], s[4:5]
	s_cbranch_execnz .LBB18_359
.LBB18_339:
	s_or_b64 exec, exec, s[2:3]
	s_and_b64 s[4:5], s[12:13], s[18:19]
	s_and_saveexec_b64 s[2:3], s[4:5]
	s_cbranch_execnz .LBB18_363
.LBB18_340:
	s_or_b64 exec, exec, s[2:3]
	s_and_b64 s[4:5], s[14:15], s[18:19]
	s_and_saveexec_b64 s[2:3], s[4:5]
	s_cbranch_execnz .LBB18_367
.LBB18_341:
	s_or_b64 exec, exec, s[2:3]
	s_and_b64 s[2:3], s[16:17], s[18:19]
	s_and_saveexec_b64 s[4:5], s[2:3]
	s_cbranch_execnz .LBB18_371
.LBB18_342:
	s_endpgm
.LBB18_343:
	s_and_b64 vcc, exec, s[0:1]
	s_cbranch_vccnz .LBB18_345
; %bb.344:
	v_lshl_add_u64 v[40:41], v[64:65], 2, v[38:39]
	flat_load_dword v40, v[40:41]
	s_waitcnt vmcnt(0) lgkmcnt(0)
	v_mul_f32_e32 v40, s33, v40
	s_branch .LBB18_346
.LBB18_345:
	v_mov_b32_e32 v40, 0
.LBB18_346:
	v_pk_add_f32 v[32:33], v[32:33], v[4:5]
	s_nop 0
	v_min3_f32 v41, v32, v33, v91
	v_pk_add_f32 v[32:33], v[34:35], v[6:7]
	s_nop 0
	v_min_f32_e32 v32, v32, v33
	v_min3_f32 v34, v40, v32, v41
	v_lshl_add_u64 v[32:33], v[64:65], 2, v[36:37]
	global_store_dword v[32:33], v34, off
	s_or_b64 exec, exec, s[2:3]
	s_and_b64 s[4:5], s[4:5], s[18:19]
	s_and_saveexec_b64 s[2:3], s[4:5]
	s_cbranch_execz .LBB18_336
.LBB18_347:
	s_and_b64 vcc, exec, s[0:1]
	s_cbranch_vccnz .LBB18_349
; %bb.348:
	v_lshl_add_u64 v[32:33], v[66:67], 2, v[38:39]
	flat_load_dword v32, v[32:33]
	s_waitcnt vmcnt(0) lgkmcnt(0)
	v_mul_f32_e32 v32, s33, v32
	s_branch .LBB18_350
.LBB18_349:
	v_mov_b32_e32 v32, 0
.LBB18_350:
	v_pk_add_f32 v[28:29], v[28:29], v[4:5]
	s_nop 0
	v_min3_f32 v33, v28, v29, v90
	v_pk_add_f32 v[28:29], v[30:31], v[6:7]
	s_nop 0
	v_min_f32_e32 v28, v28, v29
	v_min3_f32 v30, v32, v28, v33
	v_lshl_add_u64 v[28:29], v[66:67], 2, v[36:37]
	global_store_dword v[28:29], v30, off
	s_or_b64 exec, exec, s[2:3]
	s_and_b64 s[4:5], s[6:7], s[18:19]
	s_and_saveexec_b64 s[2:3], s[4:5]
	s_cbranch_execz .LBB18_337
.LBB18_351:
	s_and_b64 vcc, exec, s[0:1]
	s_cbranch_vccnz .LBB18_353
; %bb.352:
	v_lshl_add_u64 v[28:29], v[68:69], 2, v[38:39]
	flat_load_dword v28, v[28:29]
	s_waitcnt vmcnt(0) lgkmcnt(0)
	v_mul_f32_e32 v28, s33, v28
	s_branch .LBB18_354
.LBB18_353:
	v_mov_b32_e32 v28, 0
.LBB18_354:
	v_pk_add_f32 v[24:25], v[24:25], v[4:5]
	s_nop 0
	v_min3_f32 v29, v24, v25, v89
	v_pk_add_f32 v[24:25], v[26:27], v[6:7]
	s_nop 0
	v_min_f32_e32 v24, v24, v25
	v_min3_f32 v26, v28, v24, v29
	v_lshl_add_u64 v[24:25], v[68:69], 2, v[36:37]
	global_store_dword v[24:25], v26, off
	s_or_b64 exec, exec, s[2:3]
	s_and_b64 s[4:5], s[8:9], s[18:19]
	s_and_saveexec_b64 s[2:3], s[4:5]
	s_cbranch_execz .LBB18_338
.LBB18_355:
	s_and_b64 vcc, exec, s[0:1]
	s_cbranch_vccnz .LBB18_357
; %bb.356:
	v_lshl_add_u64 v[24:25], v[70:71], 2, v[38:39]
	flat_load_dword v24, v[24:25]
	s_waitcnt vmcnt(0) lgkmcnt(0)
	v_mul_f32_e32 v24, s33, v24
	s_branch .LBB18_358
.LBB18_357:
	v_mov_b32_e32 v24, 0
.LBB18_358:
	v_pk_add_f32 v[20:21], v[20:21], v[4:5]
	s_nop 0
	v_min3_f32 v25, v20, v21, v87
	v_pk_add_f32 v[20:21], v[22:23], v[6:7]
	s_nop 0
	v_min_f32_e32 v20, v20, v21
	v_min3_f32 v22, v24, v20, v25
	v_lshl_add_u64 v[20:21], v[70:71], 2, v[36:37]
	global_store_dword v[20:21], v22, off
	s_or_b64 exec, exec, s[2:3]
	s_and_b64 s[4:5], s[10:11], s[18:19]
	s_and_saveexec_b64 s[2:3], s[4:5]
	s_cbranch_execz .LBB18_339
.LBB18_359:
	s_and_b64 vcc, exec, s[0:1]
	s_cbranch_vccnz .LBB18_361
; %bb.360:
	v_lshl_add_u64 v[20:21], v[72:73], 2, v[38:39]
	flat_load_dword v20, v[20:21]
	s_waitcnt vmcnt(0) lgkmcnt(0)
	v_mul_f32_e32 v20, s33, v20
	s_branch .LBB18_362
.LBB18_361:
	v_mov_b32_e32 v20, 0
.LBB18_362:
	v_pk_add_f32 v[16:17], v[16:17], v[4:5]
	s_nop 0
	v_min3_f32 v21, v16, v17, v86
	v_pk_add_f32 v[16:17], v[18:19], v[6:7]
	s_nop 0
	v_min_f32_e32 v16, v16, v17
	v_min3_f32 v18, v20, v16, v21
	v_lshl_add_u64 v[16:17], v[72:73], 2, v[36:37]
	global_store_dword v[16:17], v18, off
	s_or_b64 exec, exec, s[2:3]
	s_and_b64 s[4:5], s[12:13], s[18:19]
	s_and_saveexec_b64 s[2:3], s[4:5]
	s_cbranch_execz .LBB18_340
.LBB18_363:
	s_and_b64 vcc, exec, s[0:1]
	s_cbranch_vccnz .LBB18_365
; %bb.364:
	v_lshl_add_u64 v[16:17], v[74:75], 2, v[38:39]
	flat_load_dword v16, v[16:17]
	s_waitcnt vmcnt(0) lgkmcnt(0)
	v_mul_f32_e32 v16, s33, v16
	s_branch .LBB18_366
.LBB18_365:
	v_mov_b32_e32 v16, 0
.LBB18_366:
	v_pk_add_f32 v[12:13], v[12:13], v[4:5]
	s_nop 0
	v_min3_f32 v17, v12, v13, v85
	v_pk_add_f32 v[12:13], v[14:15], v[6:7]
	s_nop 0
	v_min_f32_e32 v12, v12, v13
	v_min3_f32 v14, v16, v12, v17
	v_lshl_add_u64 v[12:13], v[74:75], 2, v[36:37]
	global_store_dword v[12:13], v14, off
	s_or_b64 exec, exec, s[2:3]
	s_and_b64 s[4:5], s[14:15], s[18:19]
	s_and_saveexec_b64 s[2:3], s[4:5]
	s_cbranch_execz .LBB18_341
.LBB18_367:
	s_and_b64 vcc, exec, s[0:1]
	s_cbranch_vccnz .LBB18_369
; %bb.368:
	v_lshl_add_u64 v[12:13], v[76:77], 2, v[38:39]
	flat_load_dword v12, v[12:13]
	s_waitcnt vmcnt(0) lgkmcnt(0)
	v_mul_f32_e32 v12, s33, v12
	s_branch .LBB18_370
.LBB18_369:
	v_mov_b32_e32 v12, 0
.LBB18_370:
	v_pk_add_f32 v[8:9], v[8:9], v[4:5]
	s_nop 0
	v_min3_f32 v13, v8, v9, v84
	v_pk_add_f32 v[8:9], v[10:11], v[6:7]
	s_nop 0
	v_min_f32_e32 v8, v8, v9
	v_min3_f32 v10, v12, v8, v13
	v_lshl_add_u64 v[8:9], v[76:77], 2, v[36:37]
	global_store_dword v[8:9], v10, off
	s_or_b64 exec, exec, s[2:3]
	s_and_b64 s[2:3], s[16:17], s[18:19]
	s_and_saveexec_b64 s[4:5], s[2:3]
	s_cbranch_execz .LBB18_342
.LBB18_371:
	s_and_b64 vcc, exec, s[0:1]
	s_cbranch_vccnz .LBB18_373
; %bb.372:
	v_lshl_add_u64 v[8:9], v[78:79], 2, v[38:39]
	flat_load_dword v8, v[8:9]
	s_waitcnt vmcnt(0) lgkmcnt(0)
	v_mul_f32_e32 v8, s33, v8
	s_branch .LBB18_374
.LBB18_373:
	v_mov_b32_e32 v8, 0
.LBB18_374:
	v_pk_add_f32 v[0:1], v[0:1], v[4:5]
	s_nop 0
	v_min3_f32 v4, v0, v1, v88
	v_pk_add_f32 v[0:1], v[2:3], v[6:7]
	s_nop 0
	v_min_f32_e32 v0, v0, v1
	v_min3_f32 v2, v8, v0, v4
	v_lshl_add_u64 v[0:1], v[78:79], 2, v[36:37]
	global_store_dword v[0:1], v2, off
	s_endpgm
	.section	.rodata,"a",@progbits
	.p2align	6, 0x0
	.amdhsa_kernel _ZN12_GLOBAL__N_120geam_min_plus_kernelIf15HIP_vector_typeIfLj2EEfLi8ELi32ELi64ELi256ELi4ELi64ELi4ELi64ELi4ELc78ELc84ELb0ELb1ELb1EPKfKS4_KPfEEviiiT16_PT17_ilSA_ilS8_SA_ilPT18_ili26rocblas_geam_ex_operation_
		.amdhsa_group_segment_fixed_size 10240
		.amdhsa_private_segment_fixed_size 0
		.amdhsa_kernarg_size 136
		.amdhsa_user_sgpr_count 2
		.amdhsa_user_sgpr_dispatch_ptr 0
		.amdhsa_user_sgpr_queue_ptr 0
		.amdhsa_user_sgpr_kernarg_segment_ptr 1
		.amdhsa_user_sgpr_dispatch_id 0
		.amdhsa_user_sgpr_kernarg_preload_length 0
		.amdhsa_user_sgpr_kernarg_preload_offset 0
		.amdhsa_user_sgpr_private_segment_size 0
		.amdhsa_uses_dynamic_stack 0
		.amdhsa_enable_private_segment 0
		.amdhsa_system_sgpr_workgroup_id_x 1
		.amdhsa_system_sgpr_workgroup_id_y 0
		.amdhsa_system_sgpr_workgroup_id_z 1
		.amdhsa_system_sgpr_workgroup_info 0
		.amdhsa_system_vgpr_workitem_id 1
		.amdhsa_next_free_vgpr 180
		.amdhsa_next_free_sgpr 44
		.amdhsa_accum_offset 180
		.amdhsa_reserve_vcc 1
		.amdhsa_float_round_mode_32 0
		.amdhsa_float_round_mode_16_64 0
		.amdhsa_float_denorm_mode_32 3
		.amdhsa_float_denorm_mode_16_64 3
		.amdhsa_dx10_clamp 1
		.amdhsa_ieee_mode 1
		.amdhsa_fp16_overflow 0
		.amdhsa_tg_split 0
		.amdhsa_exception_fp_ieee_invalid_op 0
		.amdhsa_exception_fp_denorm_src 0
		.amdhsa_exception_fp_ieee_div_zero 0
		.amdhsa_exception_fp_ieee_overflow 0
		.amdhsa_exception_fp_ieee_underflow 0
		.amdhsa_exception_fp_ieee_inexact 0
		.amdhsa_exception_int_div_zero 0
	.end_amdhsa_kernel
	.section	.text._ZN12_GLOBAL__N_120geam_min_plus_kernelIf15HIP_vector_typeIfLj2EEfLi8ELi32ELi64ELi256ELi4ELi64ELi4ELi64ELi4ELc78ELc84ELb0ELb1ELb1EPKfKS4_KPfEEviiiT16_PT17_ilSA_ilS8_SA_ilPT18_ili26rocblas_geam_ex_operation_,"axG",@progbits,_ZN12_GLOBAL__N_120geam_min_plus_kernelIf15HIP_vector_typeIfLj2EEfLi8ELi32ELi64ELi256ELi4ELi64ELi4ELi64ELi4ELc78ELc84ELb0ELb1ELb1EPKfKS4_KPfEEviiiT16_PT17_ilSA_ilS8_SA_ilPT18_ili26rocblas_geam_ex_operation_,comdat
.Lfunc_end18:
	.size	_ZN12_GLOBAL__N_120geam_min_plus_kernelIf15HIP_vector_typeIfLj2EEfLi8ELi32ELi64ELi256ELi4ELi64ELi4ELi64ELi4ELc78ELc84ELb0ELb1ELb1EPKfKS4_KPfEEviiiT16_PT17_ilSA_ilS8_SA_ilPT18_ili26rocblas_geam_ex_operation_, .Lfunc_end18-_ZN12_GLOBAL__N_120geam_min_plus_kernelIf15HIP_vector_typeIfLj2EEfLi8ELi32ELi64ELi256ELi4ELi64ELi4ELi64ELi4ELc78ELc84ELb0ELb1ELb1EPKfKS4_KPfEEviiiT16_PT17_ilSA_ilS8_SA_ilPT18_ili26rocblas_geam_ex_operation_
                                        ; -- End function
	.section	.AMDGPU.csdata,"",@progbits
; Kernel info:
; codeLenInByte = 18692
; NumSgprs: 50
; NumVgprs: 180
; NumAgprs: 0
; TotalNumVgprs: 180
; ScratchSize: 0
; MemoryBound: 0
; FloatMode: 240
; IeeeMode: 1
; LDSByteSize: 10240 bytes/workgroup (compile time only)
; SGPRBlocks: 6
; VGPRBlocks: 22
; NumSGPRsForWavesPerEU: 50
; NumVGPRsForWavesPerEU: 180
; AccumOffset: 180
; Occupancy: 2
; WaveLimiterHint : 1
; COMPUTE_PGM_RSRC2:SCRATCH_EN: 0
; COMPUTE_PGM_RSRC2:USER_SGPR: 2
; COMPUTE_PGM_RSRC2:TRAP_HANDLER: 0
; COMPUTE_PGM_RSRC2:TGID_X_EN: 1
; COMPUTE_PGM_RSRC2:TGID_Y_EN: 0
; COMPUTE_PGM_RSRC2:TGID_Z_EN: 1
; COMPUTE_PGM_RSRC2:TIDIG_COMP_CNT: 1
; COMPUTE_PGM_RSRC3_GFX90A:ACCUM_OFFSET: 44
; COMPUTE_PGM_RSRC3_GFX90A:TG_SPLIT: 0
	.section	.text._ZN12_GLOBAL__N_120geam_min_plus_kernelIf15HIP_vector_typeIfLj2EEfLi8ELi32ELi64ELi256ELi4ELi64ELi4ELi64ELi4ELc78ELc84ELb1ELb1ELb1EfKPKfKPfEEviiiT16_PT17_ilSA_ilS8_SA_ilPT18_ili26rocblas_geam_ex_operation_,"axG",@progbits,_ZN12_GLOBAL__N_120geam_min_plus_kernelIf15HIP_vector_typeIfLj2EEfLi8ELi32ELi64ELi256ELi4ELi64ELi4ELi64ELi4ELc78ELc84ELb1ELb1ELb1EfKPKfKPfEEviiiT16_PT17_ilSA_ilS8_SA_ilPT18_ili26rocblas_geam_ex_operation_,comdat
	.globl	_ZN12_GLOBAL__N_120geam_min_plus_kernelIf15HIP_vector_typeIfLj2EEfLi8ELi32ELi64ELi256ELi4ELi64ELi4ELi64ELi4ELc78ELc84ELb1ELb1ELb1EfKPKfKPfEEviiiT16_PT17_ilSA_ilS8_SA_ilPT18_ili26rocblas_geam_ex_operation_ ; -- Begin function _ZN12_GLOBAL__N_120geam_min_plus_kernelIf15HIP_vector_typeIfLj2EEfLi8ELi32ELi64ELi256ELi4ELi64ELi4ELi64ELi4ELc78ELc84ELb1ELb1ELb1EfKPKfKPfEEviiiT16_PT17_ilSA_ilS8_SA_ilPT18_ili26rocblas_geam_ex_operation_
	.p2align	8
	.type	_ZN12_GLOBAL__N_120geam_min_plus_kernelIf15HIP_vector_typeIfLj2EEfLi8ELi32ELi64ELi256ELi4ELi64ELi4ELi64ELi4ELc78ELc84ELb1ELb1ELb1EfKPKfKPfEEviiiT16_PT17_ilSA_ilS8_SA_ilPT18_ili26rocblas_geam_ex_operation_,@function
_ZN12_GLOBAL__N_120geam_min_plus_kernelIf15HIP_vector_typeIfLj2EEfLi8ELi32ELi64ELi256ELi4ELi64ELi4ELi64ELi4ELc78ELc84ELb1ELb1ELb1EfKPKfKPfEEviiiT16_PT17_ilSA_ilS8_SA_ilPT18_ili26rocblas_geam_ex_operation_: ; @_ZN12_GLOBAL__N_120geam_min_plus_kernelIf15HIP_vector_typeIfLj2EEfLi8ELi32ELi64ELi256ELi4ELi64ELi4ELi64ELi4ELc78ELc84ELb1ELb1ELb1EfKPKfKPfEEviiiT16_PT17_ilSA_ilS8_SA_ilPT18_ili26rocblas_geam_ex_operation_
; %bb.0:
	s_load_dwordx4 s[20:23], s[0:1], 0x0
	s_load_dwordx4 s[4:7], s[0:1], 0x20
	s_mov_b32 s8, s3
	s_mov_b32 s9, 0
	s_waitcnt lgkmcnt(0)
	v_cmp_eq_f32_e64 s[10:11], s23, 0
	s_and_b64 vcc, exec, s[10:11]
	s_cbranch_vccnz .LBB19_3
; %bb.1:
	s_load_dwordx2 s[12:13], s[0:1], 0x10
	s_lshl_b64 s[14:15], s[8:9], 3
	s_waitcnt lgkmcnt(0)
	s_add_u32 s12, s12, s14
	s_addc_u32 s13, s13, s15
	s_load_dwordx2 s[12:13], s[12:13], 0x0
	s_lshl_b64 s[4:5], s[4:5], 2
	s_waitcnt lgkmcnt(0)
	s_add_u32 s16, s12, s4
	s_addc_u32 s17, s13, s5
	s_andn2_b64 vcc, exec, s[10:11]
	s_cbranch_vccnz .LBB19_4
.LBB19_2:
	s_mov_b64 s[18:19], 0
	s_cbranch_execz .LBB19_5
	s_branch .LBB19_6
.LBB19_3:
	s_mov_b64 s[16:17], 0
	s_andn2_b64 vcc, exec, s[10:11]
	s_cbranch_vccz .LBB19_2
.LBB19_4:
                                        ; implicit-def: $sgpr18_sgpr19
.LBB19_5:
	s_lshl_b64 s[10:11], s[8:9], 3
	s_add_u32 s6, s6, s10
	s_load_dwordx2 s[4:5], s[0:1], 0x38
	s_addc_u32 s7, s7, s11
	s_load_dwordx2 s[6:7], s[6:7], 0x0
	s_waitcnt lgkmcnt(0)
	s_lshl_b64 s[4:5], s[4:5], 2
	s_add_u32 s18, s6, s4
	s_addc_u32 s19, s7, s5
.LBB19_6:
	s_load_dword s33, s[0:1], 0x40
	s_load_dwordx4 s[4:7], s[0:1], 0x58
	s_waitcnt lgkmcnt(0)
	v_cmp_eq_f32_e64 s[10:11], s33, 0
	v_cmp_neq_f32_e64 s[12:13], s33, 0
	s_and_b64 vcc, exec, s[10:11]
	s_cbranch_vccnz .LBB19_8
; %bb.7:
	s_load_dwordx2 s[10:11], s[0:1], 0x48
	s_lshl_b64 s[14:15], s[8:9], 3
	s_waitcnt lgkmcnt(0)
	s_add_u32 s10, s10, s14
	s_addc_u32 s11, s11, s15
	s_load_dwordx2 s[10:11], s[10:11], 0x0
	s_lshl_b64 s[4:5], s[4:5], 2
	s_waitcnt lgkmcnt(0)
	s_add_u32 s24, s10, s4
	s_addc_u32 s25, s11, s5
	s_branch .LBB19_9
.LBB19_8:
	s_mov_b64 s[24:25], 0
.LBB19_9:
	s_load_dword s26, s[0:1], 0x18
	s_lshl_b64 s[4:5], s[8:9], 3
	v_and_b32_e32 v78, 0x3ff, v0
	v_bfe_u32 v79, v0, 10, 10
	v_mov_b32_e32 v2, 0x7f7fffff
	s_waitcnt lgkmcnt(0)
	s_ashr_i32 s27, s26, 31
	s_add_u32 s4, s6, s4
	s_addc_u32 s5, s7, s5
	s_add_i32 s3, s20, -1
	s_ashr_i32 s6, s3, 31
	s_lshr_b32 s6, s6, 26
	s_add_i32 s3, s3, s6
	s_ashr_i32 s3, s3, 6
	s_add_i32 s6, s3, 1
	v_cvt_f32_u32_e32 v1, s6
	s_load_dwordx2 s[14:15], s[4:5], 0x0
	s_not_b32 s3, s3
	v_mov_b32_e32 v4, 0x7f7fffff
	v_rcp_iflag_f32_e32 v0, v1
	v_lshl_add_u32 v1, v79, 3, v78
	v_and_b32_e32 v3, 63, v1
	v_lshrrev_b32_e32 v80, 6, v1
	v_mul_f32_e32 v0, 0x4f7ffffe, v0
	v_cvt_u32_f32_e32 v0, v0
	v_cmp_le_i32_e64 s[10:11], s22, v80
	v_readfirstlane_b32 s4, v0
	s_mul_i32 s3, s3, s4
	s_mul_hi_u32 s3, s4, s3
	s_add_i32 s4, s4, s3
	s_mul_hi_u32 s3, s2, s4
	s_mul_i32 s4, s3, s6
	s_sub_i32 s4, s2, s4
	s_add_i32 s5, s3, 1
	s_sub_i32 s7, s4, s6
	s_cmp_ge_u32 s4, s6
	s_cselect_b32 s3, s5, s3
	s_cselect_b32 s4, s7, s4
	s_add_i32 s5, s3, 1
	s_cmp_ge_u32 s4, s6
	s_cselect_b32 s4, s5, s3
	s_mul_i32 s3, s4, s6
	s_sub_i32 s2, s2, s3
	s_lshl_b32 s34, s2, 6
	v_or_b32_e32 v56, s34, v3
	v_cmp_le_i32_e32 vcc, s20, v56
	s_or_b64 s[2:3], s[10:11], vcc
	s_xor_b64 s[6:7], s[2:3], -1
	v_ashrrev_i32_e32 v57, 31, v56
	s_and_saveexec_b64 s[2:3], s[6:7]
	s_cbranch_execz .LBB19_11
; %bb.10:
	v_mad_i64_i32 v[0:1], s[6:7], s26, v80, 0
	v_lshl_add_u64 v[0:1], v[0:1], 2, s[16:17]
	v_lshl_add_u64 v[0:1], v[56:57], 2, v[0:1]
	flat_load_dword v4, v[0:1]
.LBB19_11:
	s_or_b64 exec, exec, s[2:3]
	s_load_dword s28, s[0:1], 0x30
	s_lshl_b32 s35, s4, 8
	v_or_b32_e32 v58, s35, v3
	v_cmp_le_i32_e64 s[2:3], s21, v58
	v_ashrrev_i32_e32 v59, 31, v58
	s_waitcnt lgkmcnt(0)
	v_mad_i64_i32 v[0:1], s[4:5], v80, s28, 0
	s_or_b64 s[4:5], s[10:11], s[2:3]
	v_lshl_add_u64 v[0:1], v[0:1], 2, s[18:19]
	s_xor_b64 s[6:7], s[4:5], -1
	s_and_saveexec_b64 s[4:5], s[6:7]
	s_cbranch_execz .LBB19_13
; %bb.12:
	v_lshl_add_u64 v[6:7], v[58:59], 2, v[0:1]
	flat_load_dword v2, v[6:7]
.LBB19_13:
	s_or_b64 exec, exec, s[4:5]
	v_or_b32_e32 v5, 64, v58
	v_cmp_le_i32_e64 s[4:5], s21, v5
	s_or_b64 s[6:7], s[10:11], s[4:5]
	s_xor_b64 s[8:9], s[6:7], -1
	v_mov_b32_e32 v5, 0x7f7fffff
	v_mov_b32_e32 v6, 0x7f7fffff
	s_and_saveexec_b64 s[6:7], s[8:9]
	s_cbranch_execz .LBB19_15
; %bb.14:
	v_lshl_add_u64 v[6:7], v[58:59], 2, v[0:1]
	flat_load_dword v6, v[6:7] offset:256
.LBB19_15:
	s_or_b64 exec, exec, s[6:7]
	v_or_b32_e32 v7, 0x80, v58
	v_cmp_le_i32_e64 s[6:7], s21, v7
	s_or_b64 s[8:9], s[10:11], s[6:7]
	s_ashr_i32 s29, s28, 31
	s_xor_b64 s[30:31], s[8:9], -1
	s_and_saveexec_b64 s[8:9], s[30:31]
	s_cbranch_execz .LBB19_17
; %bb.16:
	v_lshl_add_u64 v[8:9], v[58:59], 2, v[0:1]
	flat_load_dword v5, v[8:9] offset:512
.LBB19_17:
	s_or_b64 exec, exec, s[8:9]
	v_or_b32_e32 v7, 0xc0, v58
	v_cmp_le_i32_e64 s[8:9], s21, v7
	s_or_b64 s[10:11], s[10:11], s[8:9]
	s_xor_b64 s[30:31], s[10:11], -1
	v_mov_b32_e32 v60, 0x7f7fffff
	v_mov_b32_e32 v7, 0x7f7fffff
	s_and_saveexec_b64 s[10:11], s[30:31]
	s_cbranch_execz .LBB19_19
; %bb.18:
	v_lshl_add_u64 v[0:1], v[58:59], 2, v[0:1]
	flat_load_dword v7, v[0:1] offset:768
.LBB19_19:
	s_or_b64 exec, exec, s[10:11]
	v_add_u32_e32 v0, 4, v80
	v_cmp_le_i32_e64 s[10:11], s22, v0
	s_or_b64 s[30:31], vcc, s[10:11]
	s_xor_b64 s[36:37], s[30:31], -1
	s_and_saveexec_b64 s[30:31], s[36:37]
	s_cbranch_execz .LBB19_21
; %bb.20:
	v_mad_i64_i32 v[8:9], s[36:37], s26, v0, 0
	v_lshl_add_u64 v[8:9], v[8:9], 2, s[16:17]
	v_lshl_add_u64 v[8:9], v[56:57], 2, v[8:9]
	flat_load_dword v60, v[8:9]
.LBB19_21:
	s_or_b64 exec, exec, s[30:31]
	v_mad_i64_i32 v[0:1], s[30:31], v0, s28, 0
	s_or_b64 s[30:31], s[2:3], s[10:11]
	v_lshl_add_u64 v[0:1], v[0:1], 2, s[18:19]
	s_xor_b64 s[36:37], s[30:31], -1
	v_mov_b32_e32 v61, 0x7f7fffff
	v_mov_b32_e32 v62, 0x7f7fffff
	s_and_saveexec_b64 s[30:31], s[36:37]
	s_cbranch_execz .LBB19_23
; %bb.22:
	v_lshl_add_u64 v[8:9], v[58:59], 2, v[0:1]
	flat_load_dword v62, v[8:9]
.LBB19_23:
	s_or_b64 exec, exec, s[30:31]
	s_or_b64 s[30:31], s[4:5], s[10:11]
	s_xor_b64 s[36:37], s[30:31], -1
	s_and_saveexec_b64 s[30:31], s[36:37]
	s_cbranch_execz .LBB19_25
; %bb.24:
	v_lshl_add_u64 v[8:9], v[58:59], 2, v[0:1]
	flat_load_dword v61, v[8:9] offset:256
.LBB19_25:
	s_or_b64 exec, exec, s[30:31]
	s_or_b64 s[30:31], s[6:7], s[10:11]
	s_xor_b64 s[36:37], s[30:31], -1
	v_mov_b32_e32 v63, 0x7f7fffff
	v_mov_b32_e32 v64, 0x7f7fffff
	s_and_saveexec_b64 s[30:31], s[36:37]
	s_cbranch_execz .LBB19_27
; %bb.26:
	v_lshl_add_u64 v[8:9], v[58:59], 2, v[0:1]
	flat_load_dword v64, v[8:9] offset:512
.LBB19_27:
	s_or_b64 exec, exec, s[30:31]
	s_or_b64 s[10:11], s[8:9], s[10:11]
	s_xor_b64 s[30:31], s[10:11], -1
	s_and_saveexec_b64 s[10:11], s[30:31]
	s_cbranch_execz .LBB19_29
; %bb.28:
	v_lshl_add_u64 v[0:1], v[58:59], 2, v[0:1]
	flat_load_dword v63, v[0:1] offset:768
.LBB19_29:
	s_or_b64 exec, exec, s[10:11]
	v_lshlrev_b32_e32 v0, 2, v80
	v_lshl_add_u32 v83, v3, 4, v0
	v_lshlrev_b32_e32 v81, 4, v78
	v_lshlrev_b32_e32 v82, 4, v79
	s_waitcnt vmcnt(0)
	ds_write_b32 v83, v4 offset:8192
	s_waitcnt lgkmcnt(0)
	ds_write2st64_b32 v83, v2, v6 offset1:4
	ds_write2st64_b32 v83, v5, v7 offset0:8 offset1:12
	s_waitcnt lgkmcnt(0)
	s_barrier
	ds_read_b128 v[12:15], v81 offset:8192
	ds_read_b128 v[20:23], v81 offset:8320
	;; [unrolled: 1-line block ×8, first 2 shown]
	ds_read_b128 v[52:55], v82
	ds_read_b128 v[48:51], v82 offset:512
	ds_read_b128 v[44:47], v82 offset:1024
	;; [unrolled: 1-line block ×5, first 2 shown]
	s_waitcnt lgkmcnt(5)
	v_pk_add_f32 v[66:67], v[12:13], v[52:53]
	s_mov_b32 s10, 0x7f7fffff
	v_min3_f32 v65, v66, v67, s10
	v_pk_add_f32 v[66:67], v[20:21], v[52:53]
	s_cmp_lt_i32 s22, 9
	v_min3_f32 v68, v66, v67, s10
	v_pk_add_f32 v[66:67], v[24:25], v[52:53]
	s_nop 0
	v_min3_f32 v69, v66, v67, s10
	v_pk_add_f32 v[66:67], v[28:29], v[52:53]
	s_nop 0
	v_min3_f32 v70, v66, v67, s10
	v_pk_add_f32 v[66:67], v[16:17], v[52:53]
	s_nop 0
	v_min3_f32 v71, v66, v67, s10
	v_pk_add_f32 v[66:67], v[8:9], v[52:53]
	s_nop 0
	v_min3_f32 v72, v66, v67, s10
	v_pk_add_f32 v[66:67], v[4:5], v[52:53]
	v_pk_add_f32 v[52:53], v[0:1], v[52:53]
	v_min3_f32 v66, v66, v67, s10
	v_min3_f32 v67, v52, v53, s10
	s_waitcnt lgkmcnt(4)
	v_pk_add_f32 v[52:53], v[12:13], v[48:49]
	s_nop 0
	v_min3_f32 v73, v52, v53, s10
	v_pk_add_f32 v[52:53], v[20:21], v[48:49]
	s_nop 0
	v_min3_f32 v74, v52, v53, s10
	v_pk_add_f32 v[52:53], v[24:25], v[48:49]
	s_nop 0
	v_min3_f32 v75, v52, v53, s10
	v_pk_add_f32 v[52:53], v[28:29], v[48:49]
	s_nop 0
	v_min3_f32 v76, v52, v53, s10
	v_pk_add_f32 v[52:53], v[16:17], v[48:49]
	s_nop 0
	v_min3_f32 v77, v52, v53, s10
	v_pk_add_f32 v[52:53], v[8:9], v[48:49]
	s_nop 0
	v_min3_f32 v84, v52, v53, s10
	v_pk_add_f32 v[52:53], v[4:5], v[48:49]
	v_pk_add_f32 v[48:49], v[0:1], v[48:49]
	v_min3_f32 v85, v52, v53, s10
	v_min3_f32 v86, v48, v49, s10
	s_waitcnt lgkmcnt(3)
	v_pk_add_f32 v[48:49], v[12:13], v[44:45]
	s_nop 0
	v_min3_f32 v87, v48, v49, s10
	v_pk_add_f32 v[48:49], v[20:21], v[44:45]
	s_nop 0
	;; [unrolled: 23-line block ×5, first 2 shown]
	v_min3_f32 v106, v36, v37, s10
	v_pk_add_f32 v[36:37], v[24:25], v[32:33]
	s_nop 0
	v_min3_f32 v123, v36, v37, s10
	v_pk_add_f32 v[36:37], v[28:29], v[32:33]
	s_nop 0
	;; [unrolled: 3-line block ×4, first 2 shown]
	v_min3_f32 v151, v36, v37, s10
	v_pk_add_f32 v[36:37], v[4:5], v[32:33]
	v_pk_add_f32 v[32:33], v[0:1], v[32:33]
	v_min3_f32 v152, v36, v37, s10
	v_min3_f32 v153, v32, v33, s10
	v_pk_add_f32 v[32:33], v[14:15], v[54:55]
	s_nop 0
	v_min3_f32 v148, v32, v33, v65
	v_pk_add_f32 v[32:33], v[22:23], v[54:55]
	s_nop 0
	;; [unrolled: 3-line block ×7, first 2 shown]
	v_min3_f32 v142, v32, v33, v66
	v_pk_add_f32 v[32:33], v[2:3], v[54:55]
	ds_read_b128 v[52:55], v82 offset:3072
	v_min3_f32 v141, v32, v33, v67
	ds_read_b128 v[66:69], v82 offset:3584
	v_pk_add_f32 v[32:33], v[14:15], v[50:51]
	ds_write_b32 v83, v60 offset:9216
	ds_write2st64_b32 v83, v62, v61 offset0:16 offset1:20
	ds_write2st64_b32 v83, v64, v63 offset0:24 offset1:28
	v_min3_f32 v140, v32, v33, v73
	v_pk_add_f32 v[32:33], v[22:23], v[50:51]
	s_waitcnt lgkmcnt(4)
	v_pk_add_f32 v[36:37], v[24:25], v[52:53]
	v_min3_f32 v139, v32, v33, v74
	v_pk_add_f32 v[32:33], v[26:27], v[50:51]
	s_waitcnt lgkmcnt(0)
	v_min3_f32 v138, v32, v33, v75
	v_pk_add_f32 v[32:33], v[30:31], v[50:51]
	s_barrier
	v_min3_f32 v137, v32, v33, v76
	v_pk_add_f32 v[32:33], v[18:19], v[50:51]
	s_nop 0
	v_min3_f32 v136, v32, v33, v77
	v_pk_add_f32 v[32:33], v[10:11], v[50:51]
	s_nop 0
	;; [unrolled: 3-line block ×3, first 2 shown]
	v_min3_f32 v132, v32, v33, v85
	v_pk_add_f32 v[32:33], v[12:13], v[52:53]
	v_pk_add_f32 v[12:13], v[12:13], v[66:67]
	v_min3_f32 v65, v32, v33, s10
	v_pk_add_f32 v[32:33], v[20:21], v[52:53]
	s_nop 0
	v_min3_f32 v70, v32, v33, s10
	v_pk_add_f32 v[32:33], v[2:3], v[50:51]
	v_min3_f32 v50, v36, v37, s10
	v_min3_f32 v135, v32, v33, v86
	v_pk_add_f32 v[32:33], v[14:15], v[46:47]
	v_pk_add_f32 v[36:37], v[28:29], v[52:53]
	v_min3_f32 v133, v32, v33, v87
	v_pk_add_f32 v[32:33], v[22:23], v[46:47]
	v_min3_f32 v51, v36, v37, s10
	v_min3_f32 v131, v32, v33, v88
	v_pk_add_f32 v[32:33], v[26:27], v[46:47]
	v_pk_add_f32 v[36:37], v[4:5], v[52:53]
	v_min3_f32 v130, v32, v33, v89
	v_pk_add_f32 v[32:33], v[30:31], v[46:47]
	v_pk_add_f32 v[4:5], v[4:5], v[66:67]
	v_min3_f32 v129, v32, v33, v90
	v_pk_add_f32 v[32:33], v[18:19], v[46:47]
	v_min3_f32 v4, v4, v5, s10
	v_min3_f32 v128, v32, v33, v91
	v_pk_add_f32 v[32:33], v[10:11], v[46:47]
	s_nop 0
	v_min3_f32 v127, v32, v33, v92
	v_pk_add_f32 v[32:33], v[6:7], v[46:47]
	s_nop 0
	v_min3_f32 v126, v32, v33, v48
	v_pk_add_f32 v[32:33], v[16:17], v[52:53]
	s_nop 0
	v_min3_f32 v48, v32, v33, s10
	v_pk_add_f32 v[32:33], v[8:9], v[52:53]
	v_pk_add_f32 v[8:9], v[8:9], v[66:67]
	v_min3_f32 v71, v32, v33, s10
	v_pk_add_f32 v[32:33], v[2:3], v[46:47]
	v_min3_f32 v46, v36, v37, s10
	v_min3_f32 v125, v32, v33, v49
	v_pk_add_f32 v[32:33], v[14:15], v[42:43]
	v_pk_add_f32 v[36:37], v[0:1], v[52:53]
	v_min3_f32 v124, v32, v33, v93
	v_pk_add_f32 v[32:33], v[22:23], v[42:43]
	v_pk_add_f32 v[0:1], v[0:1], v[66:67]
	v_min3_f32 v122, v32, v33, v94
	v_pk_add_f32 v[32:33], v[26:27], v[42:43]
	v_min3_f32 v5, v0, v1, s10
	v_min3_f32 v121, v32, v33, v95
	v_pk_add_f32 v[32:33], v[30:31], v[42:43]
	v_pk_add_f32 v[0:1], v[14:15], v[54:55]
	v_min3_f32 v120, v32, v33, v96
	v_pk_add_f32 v[32:33], v[18:19], v[42:43]
	v_min3_f32 v36, v36, v37, s10
	v_min3_f32 v119, v32, v33, v97
	v_pk_add_f32 v[32:33], v[10:11], v[42:43]
	s_nop 0
	v_min3_f32 v118, v32, v33, v98
	v_pk_add_f32 v[32:33], v[6:7], v[42:43]
	s_nop 0
	;; [unrolled: 3-line block ×4, first 2 shown]
	v_min3_f32 v115, v32, v33, v99
	v_pk_add_f32 v[32:33], v[22:23], v[38:39]
	v_min3_f32 v99, v0, v1, v65
	v_min3_f32 v114, v32, v33, v100
	v_pk_add_f32 v[32:33], v[26:27], v[38:39]
	v_pk_add_f32 v[0:1], v[22:23], v[54:55]
	v_min3_f32 v113, v32, v33, v101
	v_pk_add_f32 v[32:33], v[30:31], v[38:39]
	v_min3_f32 v98, v0, v1, v70
	v_min3_f32 v112, v32, v33, v102
	v_pk_add_f32 v[32:33], v[18:19], v[38:39]
	v_pk_add_f32 v[0:1], v[26:27], v[54:55]
	v_min3_f32 v111, v32, v33, v103
	v_pk_add_f32 v[32:33], v[10:11], v[38:39]
	v_min3_f32 v97, v0, v1, v50
	v_min3_f32 v110, v32, v33, v104
	v_pk_add_f32 v[32:33], v[6:7], v[38:39]
	v_pk_add_f32 v[0:1], v[30:31], v[54:55]
	v_min3_f32 v109, v32, v33, v40
	v_min3_f32 v32, v12, v13, s10
	v_pk_add_f32 v[12:13], v[20:21], v[66:67]
	v_min3_f32 v96, v0, v1, v51
	v_min3_f32 v33, v12, v13, s10
	v_pk_add_f32 v[12:13], v[2:3], v[38:39]
	v_pk_add_f32 v[0:1], v[18:19], v[54:55]
	v_min3_f32 v108, v12, v13, v41
	v_pk_add_f32 v[12:13], v[14:15], v[34:35]
	v_min3_f32 v95, v0, v1, v48
	v_min3_f32 v107, v12, v13, v105
	v_pk_add_f32 v[12:13], v[22:23], v[34:35]
	v_pk_add_f32 v[0:1], v[10:11], v[54:55]
	v_min3_f32 v106, v12, v13, v106
	v_pk_add_f32 v[12:13], v[26:27], v[34:35]
	v_min3_f32 v94, v0, v1, v71
	;; [unrolled: 2-line block ×6, first 2 shown]
	v_pk_add_f32 v[0:1], v[14:15], v[68:69]
	v_pk_add_f32 v[20:21], v[24:25], v[66:67]
	v_min3_f32 v103, v12, v13, v150
	v_pk_add_f32 v[12:13], v[10:11], v[34:35]
	v_min3_f32 v91, v0, v1, v32
	;; [unrolled: 2-line block ×6, first 2 shown]
	v_min3_f32 v101, v12, v13, v152
	v_pk_add_f32 v[12:13], v[16:17], v[66:67]
	v_min3_f32 v89, v0, v1, v24
	v_pk_add_f32 v[0:1], v[30:31], v[68:69]
	v_min3_f32 v12, v12, v13, s10
	v_min3_f32 v87, v0, v1, v20
	v_pk_add_f32 v[0:1], v[18:19], v[68:69]
	v_min3_f32 v13, v8, v9, s10
	v_min3_f32 v86, v0, v1, v12
	v_pk_add_f32 v[0:1], v[10:11], v[68:69]
	v_pk_add_f32 v[8:9], v[2:3], v[34:35]
	v_min3_f32 v85, v0, v1, v13
	v_pk_add_f32 v[0:1], v[6:7], v[68:69]
	v_min3_f32 v100, v8, v9, v153
	v_min3_f32 v84, v0, v1, v4
	v_pk_add_f32 v[0:1], v[2:3], v[68:69]
	s_nop 0
	v_min3_f32 v88, v0, v1, v5
	s_cbranch_scc1 .LBB19_52
; %bb.30:
	v_mov_b32_e32 v0, 0x2400
	v_lshl_add_u32 v152, v78, 4, v0
	v_mov_b32_e32 v0, 0x1000
	v_add_u32_e32 v2, 8, v80
	v_lshl_add_u32 v153, v79, 4, v0
	v_mad_i64_i32 v[0:1], s[10:11], v2, s26, 0
	v_lshlrev_b64 v[66:67], 2, v[0:1]
	v_mad_i64_i32 v[0:1], s[10:11], v2, s28, 0
	v_add_u32_e32 v2, 12, v80
	v_lshlrev_b64 v[68:69], 2, v[0:1]
	v_mad_i64_i32 v[0:1], s[10:11], v2, s28, 0
	v_lshlrev_b64 v[72:73], 2, v[0:1]
	v_mad_i64_i32 v[0:1], s[10:11], v2, s26, 0
	v_or_b32_e32 v123, 0x2000, v83
	v_add_u32_e32 v149, 0x2000, v81
	v_add_u32_e32 v150, 0x2400, v83
	v_or_b32_e32 v151, 0x1000, v83
	s_add_i32 s23, s22, -8
	v_lshl_add_u64 v[64:65], v[56:57], 2, s[16:17]
	s_lshl_b64 s[16:17], s[26:27], 5
	v_lshl_add_u64 v[70:71], v[58:59], 2, s[18:19]
	s_lshl_b64 s[18:19], s[28:29], 5
	v_lshlrev_b64 v[74:75], 2, v[0:1]
	s_mov_b32 s28, 0
	s_branch .LBB19_32
.LBB19_31:                              ;   in Loop: Header=BB19_32 Depth=1
	s_or_b64 exec, exec, s[10:11]
	ds_read_b128 v[0:3], v149
	ds_read_b128 v[4:7], v149 offset:128
	ds_read_b128 v[8:11], v149 offset:256
	;; [unrolled: 1-line block ×7, first 2 shown]
	ds_read_b128 v[124:127], v82
	ds_read_b128 v[128:131], v82 offset:512
	ds_read_b128 v[160:163], v82 offset:1024
	;; [unrolled: 1-line block ×7, first 2 shown]
	s_waitcnt lgkmcnt(0)
	v_pk_add_f32 v[76:77], v[0:1], v[124:125]
	s_add_i32 s28, s28, 8
	v_min3_f32 v120, v76, v77, v36
	v_pk_add_f32 v[76:77], v[4:5], v[124:125]
	v_lshl_add_u64 v[64:65], v[64:65], 0, s[16:17]
	v_min3_f32 v76, v76, v77, v37
	v_pk_add_f32 v[36:37], v[8:9], v[124:125]
	s_cmp_ge_i32 s28, s23
	v_min3_f32 v40, v36, v37, v40
	v_pk_add_f32 v[36:37], v[12:13], v[124:125]
	v_lshl_add_u64 v[70:71], v[70:71], 0, s[18:19]
	v_min3_f32 v41, v36, v37, v41
	v_pk_add_f32 v[36:37], v[16:17], v[124:125]
	s_waitcnt vmcnt(0)
	ds_write_b32 v150, v154
	ds_write2st64_b32 v151, v156, v155 offset1:4
	ds_write2st64_b32 v151, v158, v157 offset0:8 offset1:12
	v_min3_f32 v44, v36, v37, v44
	v_pk_add_f32 v[36:37], v[20:21], v[124:125]
	s_waitcnt lgkmcnt(0)
	v_min3_f32 v45, v36, v37, v45
	v_pk_add_f32 v[36:37], v[24:25], v[124:125]
	s_barrier
	v_min3_f32 v48, v36, v37, v48
	v_pk_add_f32 v[36:37], v[28:29], v[124:125]
	s_nop 0
	v_min3_f32 v49, v36, v37, v49
	v_pk_add_f32 v[36:37], v[0:1], v[128:129]
	s_nop 0
	v_min3_f32 v52, v36, v37, v52
	v_pk_add_f32 v[36:37], v[4:5], v[128:129]
	s_nop 0
	v_min3_f32 v53, v36, v37, v53
	v_pk_add_f32 v[36:37], v[8:9], v[128:129]
	s_nop 0
	v_min3_f32 v56, v36, v37, v56
	v_pk_add_f32 v[36:37], v[12:13], v[128:129]
	s_nop 0
	v_min3_f32 v57, v36, v37, v57
	v_pk_add_f32 v[36:37], v[16:17], v[128:129]
	s_nop 0
	v_min3_f32 v60, v36, v37, v60
	v_pk_add_f32 v[36:37], v[20:21], v[128:129]
	s_nop 0
	v_min3_f32 v61, v36, v37, v61
	v_pk_add_f32 v[36:37], v[24:25], v[128:129]
	s_nop 0
	v_min3_f32 v62, v36, v37, v62
	v_pk_add_f32 v[36:37], v[28:29], v[128:129]
	s_nop 0
	v_min3_f32 v58, v36, v37, v58
	v_pk_add_f32 v[36:37], v[0:1], v[160:161]
	s_nop 0
	v_min3_f32 v59, v36, v37, v59
	v_pk_add_f32 v[36:37], v[4:5], v[160:161]
	s_nop 0
	v_min3_f32 v63, v36, v37, v63
	v_pk_add_f32 v[36:37], v[8:9], v[160:161]
	s_nop 0
	v_min3_f32 v77, v36, v37, v84
	v_pk_add_f32 v[36:37], v[12:13], v[160:161]
	s_nop 0
	v_min3_f32 v84, v36, v37, v85
	v_pk_add_f32 v[36:37], v[16:17], v[160:161]
	s_nop 0
	v_min3_f32 v85, v36, v37, v86
	v_pk_add_f32 v[36:37], v[20:21], v[160:161]
	s_nop 0
	v_min3_f32 v86, v36, v37, v87
	v_pk_add_f32 v[36:37], v[24:25], v[160:161]
	s_nop 0
	v_min3_f32 v87, v36, v37, v88
	v_pk_add_f32 v[36:37], v[28:29], v[160:161]
	s_nop 0
	v_min3_f32 v54, v36, v37, v54
	v_pk_add_f32 v[36:37], v[0:1], v[164:165]
	s_nop 0
	v_min3_f32 v55, v36, v37, v55
	v_pk_add_f32 v[36:37], v[4:5], v[164:165]
	s_nop 0
	v_min3_f32 v88, v36, v37, v89
	v_pk_add_f32 v[36:37], v[8:9], v[164:165]
	s_nop 0
	v_min3_f32 v89, v36, v37, v90
	v_pk_add_f32 v[36:37], v[12:13], v[164:165]
	s_nop 0
	v_min3_f32 v90, v36, v37, v91
	v_pk_add_f32 v[36:37], v[16:17], v[164:165]
	s_nop 0
	v_min3_f32 v91, v36, v37, v92
	v_pk_add_f32 v[36:37], v[20:21], v[164:165]
	s_nop 0
	v_min3_f32 v92, v36, v37, v93
	v_pk_add_f32 v[36:37], v[24:25], v[164:165]
	s_nop 0
	v_min3_f32 v93, v36, v37, v94
	v_pk_add_f32 v[36:37], v[28:29], v[164:165]
	s_nop 0
	v_min3_f32 v50, v36, v37, v50
	v_pk_add_f32 v[36:37], v[0:1], v[168:169]
	s_nop 0
	v_min3_f32 v51, v36, v37, v51
	v_pk_add_f32 v[36:37], v[4:5], v[168:169]
	s_nop 0
	v_min3_f32 v94, v36, v37, v95
	v_pk_add_f32 v[36:37], v[8:9], v[168:169]
	s_nop 0
	v_min3_f32 v95, v36, v37, v96
	v_pk_add_f32 v[36:37], v[12:13], v[168:169]
	s_nop 0
	v_min3_f32 v96, v36, v37, v97
	v_pk_add_f32 v[36:37], v[16:17], v[168:169]
	s_nop 0
	v_min3_f32 v97, v36, v37, v98
	v_pk_add_f32 v[36:37], v[20:21], v[168:169]
	s_nop 0
	v_min3_f32 v98, v36, v37, v99
	v_pk_add_f32 v[36:37], v[24:25], v[168:169]
	s_nop 0
	v_min3_f32 v99, v36, v37, v100
	v_pk_add_f32 v[36:37], v[28:29], v[168:169]
	s_nop 0
	v_min3_f32 v46, v36, v37, v46
	v_pk_add_f32 v[36:37], v[0:1], v[172:173]
	s_nop 0
	v_min3_f32 v47, v36, v37, v47
	v_pk_add_f32 v[36:37], v[4:5], v[172:173]
	s_nop 0
	v_min3_f32 v100, v36, v37, v101
	v_pk_add_f32 v[36:37], v[8:9], v[172:173]
	s_nop 0
	v_min3_f32 v101, v36, v37, v102
	v_pk_add_f32 v[36:37], v[12:13], v[172:173]
	s_nop 0
	v_min3_f32 v102, v36, v37, v103
	v_pk_add_f32 v[36:37], v[16:17], v[172:173]
	s_nop 0
	v_min3_f32 v103, v36, v37, v104
	v_pk_add_f32 v[36:37], v[20:21], v[172:173]
	s_nop 0
	v_min3_f32 v159, v36, v37, v105
	v_pk_add_f32 v[36:37], v[24:25], v[172:173]
	s_nop 0
	v_min3_f32 v160, v36, v37, v106
	v_pk_add_f32 v[36:37], v[28:29], v[172:173]
	s_nop 0
	v_min3_f32 v42, v36, v37, v42
	v_pk_add_f32 v[36:37], v[0:1], v[176:177]
	v_pk_add_f32 v[0:1], v[0:1], v[32:33]
	v_min3_f32 v43, v36, v37, v43
	v_pk_add_f32 v[36:37], v[4:5], v[176:177]
	s_nop 0
	v_min3_f32 v161, v36, v37, v107
	v_pk_add_f32 v[36:37], v[8:9], v[176:177]
	s_nop 0
	;; [unrolled: 3-line block ×7, first 2 shown]
	v_min3_f32 v36, v36, v37, v38
	v_min3_f32 v37, v0, v1, v39
	v_pk_add_f32 v[0:1], v[4:5], v[32:33]
	s_nop 0
	v_min3_f32 v4, v0, v1, v113
	v_pk_add_f32 v[0:1], v[8:9], v[32:33]
	s_nop 0
	;; [unrolled: 3-line block ×71, first 2 shown]
	v_min3_f32 v88, v0, v1, v16
	s_cbranch_scc1 .LBB19_52
.LBB19_32:                              ; =>This Inner Loop Header: Depth=1
	v_add_u32_e32 v76, s28, v80
	v_add_u32_e32 v0, 8, v76
	v_cmp_le_i32_e64 s[10:11], s22, v0
	s_or_b64 s[26:27], vcc, s[10:11]
	s_xor_b64 s[30:31], s[26:27], -1
	v_mov_b32_e32 v77, 0x7f7fffff
	v_mov_b32_e32 v155, 0x7f7fffff
	s_and_saveexec_b64 s[26:27], s[30:31]
	s_cbranch_execz .LBB19_34
; %bb.33:                               ;   in Loop: Header=BB19_32 Depth=1
	v_lshl_add_u64 v[0:1], v[64:65], 0, v[66:67]
	flat_load_dword v155, v[0:1]
.LBB19_34:                              ;   in Loop: Header=BB19_32 Depth=1
	s_or_b64 exec, exec, s[26:27]
	s_or_b64 s[26:27], s[2:3], s[10:11]
	s_xor_b64 s[30:31], s[26:27], -1
	v_lshl_add_u64 v[0:1], v[70:71], 0, v[68:69]
	s_and_saveexec_b64 s[26:27], s[30:31]
	s_cbranch_execz .LBB19_36
; %bb.35:                               ;   in Loop: Header=BB19_32 Depth=1
	flat_load_dword v77, v[0:1]
.LBB19_36:                              ;   in Loop: Header=BB19_32 Depth=1
	s_or_b64 exec, exec, s[26:27]
	s_or_b64 s[26:27], s[4:5], s[10:11]
	s_xor_b64 s[30:31], s[26:27], -1
	v_mov_b32_e32 v156, 0x7f7fffff
	v_mov_b32_e32 v157, 0x7f7fffff
	s_and_saveexec_b64 s[26:27], s[30:31]
	s_cbranch_execz .LBB19_38
; %bb.37:                               ;   in Loop: Header=BB19_32 Depth=1
	flat_load_dword v157, v[0:1] offset:256
.LBB19_38:                              ;   in Loop: Header=BB19_32 Depth=1
	s_or_b64 exec, exec, s[26:27]
	s_or_b64 s[26:27], s[6:7], s[10:11]
	s_xor_b64 s[30:31], s[26:27], -1
	s_and_saveexec_b64 s[26:27], s[30:31]
	s_cbranch_execz .LBB19_40
; %bb.39:                               ;   in Loop: Header=BB19_32 Depth=1
	flat_load_dword v156, v[0:1] offset:512
.LBB19_40:                              ;   in Loop: Header=BB19_32 Depth=1
	s_or_b64 exec, exec, s[26:27]
	s_or_b64 s[10:11], s[8:9], s[10:11]
	s_xor_b64 s[26:27], s[10:11], -1
	v_mov_b32_e32 v154, 0x7f7fffff
	v_mov_b32_e32 v158, 0x7f7fffff
	s_and_saveexec_b64 s[10:11], s[26:27]
	s_cbranch_execz .LBB19_42
; %bb.41:                               ;   in Loop: Header=BB19_32 Depth=1
	flat_load_dword v158, v[0:1] offset:768
.LBB19_42:                              ;   in Loop: Header=BB19_32 Depth=1
	s_or_b64 exec, exec, s[10:11]
	ds_read_b128 v[28:31], v152
	ds_read_b128 v[24:27], v152 offset:128
	ds_read_b128 v[20:23], v152 offset:256
	ds_read_b128 v[16:19], v152 offset:384
	ds_read_b128 v[12:15], v152 offset:512
	ds_read_b128 v[8:11], v152 offset:640
	ds_read_b128 v[4:7], v152 offset:768
	ds_read_b128 v[0:3], v152 offset:896
	ds_read_b128 v[60:63], v153
	ds_read_b128 v[56:59], v153 offset:512
	ds_read_b128 v[52:55], v153 offset:1024
	ds_read_b128 v[48:51], v153 offset:1536
	ds_read_b128 v[44:47], v153 offset:2048
	ds_read_b128 v[40:43], v153 offset:2560
	ds_read_b128 v[36:39], v153 offset:3072
	ds_read_b128 v[32:35], v153 offset:3584
	v_add_u32_e32 v76, 12, v76
	v_cmp_le_i32_e64 s[10:11], s22, v76
	s_or_b64 s[26:27], vcc, s[10:11]
	s_xor_b64 s[30:31], s[26:27], -1
	s_waitcnt vmcnt(0) lgkmcnt(0)
	ds_write_b32 v123, v155
	ds_write2st64_b32 v83, v77, v157 offset1:4
	ds_write2st64_b32 v83, v156, v158 offset0:8 offset1:12
	s_waitcnt lgkmcnt(0)
	s_barrier
	s_and_saveexec_b64 s[26:27], s[30:31]
	s_cbranch_execz .LBB19_44
; %bb.43:                               ;   in Loop: Header=BB19_32 Depth=1
	v_lshl_add_u64 v[76:77], v[64:65], 0, v[74:75]
	flat_load_dword v154, v[76:77]
.LBB19_44:                              ;   in Loop: Header=BB19_32 Depth=1
	s_or_b64 exec, exec, s[26:27]
	s_or_b64 s[26:27], s[2:3], s[10:11]
	s_xor_b64 s[30:31], s[26:27], -1
	v_mov_b32_e32 v155, 0x7f7fffff
	v_lshl_add_u64 v[76:77], v[70:71], 0, v[72:73]
	v_mov_b32_e32 v156, 0x7f7fffff
	s_and_saveexec_b64 s[26:27], s[30:31]
	s_cbranch_execz .LBB19_46
; %bb.45:                               ;   in Loop: Header=BB19_32 Depth=1
	flat_load_dword v156, v[76:77]
.LBB19_46:                              ;   in Loop: Header=BB19_32 Depth=1
	s_or_b64 exec, exec, s[26:27]
	s_or_b64 s[26:27], s[4:5], s[10:11]
	s_xor_b64 s[30:31], s[26:27], -1
	s_and_saveexec_b64 s[26:27], s[30:31]
	s_cbranch_execz .LBB19_48
; %bb.47:                               ;   in Loop: Header=BB19_32 Depth=1
	flat_load_dword v155, v[76:77] offset:256
.LBB19_48:                              ;   in Loop: Header=BB19_32 Depth=1
	s_or_b64 exec, exec, s[26:27]
	s_or_b64 s[26:27], s[6:7], s[10:11]
	s_xor_b64 s[30:31], s[26:27], -1
	v_mov_b32_e32 v157, 0x7f7fffff
	v_mov_b32_e32 v158, 0x7f7fffff
	s_and_saveexec_b64 s[26:27], s[30:31]
	s_cbranch_execz .LBB19_50
; %bb.49:                               ;   in Loop: Header=BB19_32 Depth=1
	flat_load_dword v158, v[76:77] offset:512
.LBB19_50:                              ;   in Loop: Header=BB19_32 Depth=1
	s_or_b64 exec, exec, s[26:27]
	v_pk_add_f32 v[160:161], v[28:29], v[60:61]
	s_or_b64 s[10:11], s[8:9], s[10:11]
	v_min3_f32 v148, v160, v161, v148
	v_pk_add_f32 v[160:161], v[24:25], v[60:61]
	s_xor_b64 s[26:27], s[10:11], -1
	v_min3_f32 v159, v160, v161, v147
	v_pk_add_f32 v[160:161], v[20:21], v[60:61]
	s_nop 0
	v_min3_f32 v160, v160, v161, v146
	v_pk_add_f32 v[146:147], v[16:17], v[60:61]
	s_nop 0
	v_min3_f32 v161, v146, v147, v145
	v_pk_add_f32 v[146:147], v[12:13], v[60:61]
	s_nop 0
	v_min3_f32 v146, v146, v147, v144
	v_pk_add_f32 v[144:145], v[8:9], v[60:61]
	s_nop 0
	v_min3_f32 v143, v144, v145, v143
	v_pk_add_f32 v[144:145], v[4:5], v[60:61]
	v_pk_add_f32 v[60:61], v[0:1], v[60:61]
	v_min3_f32 v142, v144, v145, v142
	v_min3_f32 v141, v60, v61, v141
	v_pk_add_f32 v[60:61], v[28:29], v[56:57]
	s_nop 0
	v_min3_f32 v140, v60, v61, v140
	v_pk_add_f32 v[60:61], v[24:25], v[56:57]
	s_nop 0
	v_min3_f32 v139, v60, v61, v139
	v_pk_add_f32 v[60:61], v[20:21], v[56:57]
	s_nop 0
	v_min3_f32 v138, v60, v61, v138
	v_pk_add_f32 v[60:61], v[16:17], v[56:57]
	s_nop 0
	v_min3_f32 v137, v60, v61, v137
	v_pk_add_f32 v[60:61], v[12:13], v[56:57]
	s_nop 0
	v_min3_f32 v136, v60, v61, v136
	v_pk_add_f32 v[60:61], v[8:9], v[56:57]
	s_nop 0
	v_min3_f32 v134, v60, v61, v134
	v_pk_add_f32 v[60:61], v[4:5], v[56:57]
	v_pk_add_f32 v[56:57], v[0:1], v[56:57]
	v_min3_f32 v132, v60, v61, v132
	v_min3_f32 v135, v56, v57, v135
	v_pk_add_f32 v[56:57], v[28:29], v[52:53]
	s_nop 0
	v_min3_f32 v133, v56, v57, v133
	v_pk_add_f32 v[56:57], v[24:25], v[52:53]
	s_nop 0
	;; [unrolled: 22-line block ×5, first 2 shown]
	v_min3_f32 v106, v44, v45, v106
	v_pk_add_f32 v[44:45], v[20:21], v[40:41]
	s_nop 0
	v_min3_f32 v105, v44, v45, v105
	v_pk_add_f32 v[44:45], v[16:17], v[40:41]
	s_nop 0
	;; [unrolled: 3-line block ×4, first 2 shown]
	v_min3_f32 v145, v44, v45, v102
	v_pk_add_f32 v[44:45], v[4:5], v[40:41]
	v_pk_add_f32 v[40:41], v[0:1], v[40:41]
	v_min3_f32 v147, v44, v45, v101
	v_min3_f32 v162, v40, v41, v100
	v_pk_add_f32 v[40:41], v[28:29], v[36:37]
	v_pk_add_f32 v[28:29], v[28:29], v[32:33]
	v_min3_f32 v163, v40, v41, v99
	v_pk_add_f32 v[40:41], v[24:25], v[36:37]
	v_pk_add_f32 v[24:25], v[24:25], v[32:33]
	;; [unrolled: 3-line block ×7, first 2 shown]
	v_pk_add_f32 v[4:5], v[4:5], v[32:33]
	v_pk_add_f32 v[0:1], v[0:1], v[32:33]
	v_min3_f32 v4, v4, v5, v84
	v_min3_f32 v5, v0, v1, v88
	v_pk_add_f32 v[0:1], v[30:31], v[62:63]
	v_min3_f32 v170, v36, v37, v92
	v_min3_f32 v36, v0, v1, v148
	;; [unrolled: 3-line block ×9, first 2 shown]
	v_pk_add_f32 v[0:1], v[30:31], v[58:59]
	s_nop 0
	v_min3_f32 v52, v0, v1, v140
	v_pk_add_f32 v[0:1], v[26:27], v[58:59]
	s_nop 0
	v_min3_f32 v53, v0, v1, v139
	;; [unrolled: 3-line block ×56, first 2 shown]
	s_and_saveexec_b64 s[10:11], s[26:27]
	s_cbranch_execz .LBB19_31
; %bb.51:                               ;   in Loop: Header=BB19_32 Depth=1
	flat_load_dword v157, v[76:77] offset:768
	s_branch .LBB19_31
.LBB19_52:
	s_load_dwordx2 s[2:3], s[0:1], 0x70
	s_load_dword s29, s[0:1], 0x50
	s_load_dword s28, s[0:1], 0x68
	ds_read_b128 v[32:35], v81 offset:9216
	ds_read_b128 v[28:31], v81 offset:9344
	ds_read_b128 v[24:27], v81 offset:9472
	ds_read_b128 v[20:23], v81 offset:9600
	ds_read_b128 v[16:19], v81 offset:9728
	ds_read_b128 v[12:15], v81 offset:9856
	ds_read_b128 v[8:11], v81 offset:9984
	ds_read_b128 v[0:3], v81 offset:10112
	ds_read_b128 v[60:63], v82 offset:4096
	ds_read_b128 v[56:59], v82 offset:4608
	ds_read_b128 v[52:55], v82 offset:5120
	ds_read_b128 v[48:51], v82 offset:5632
	ds_read_b128 v[44:47], v82 offset:6144
	ds_read_b128 v[40:43], v82 offset:6656
	ds_read_b128 v[36:39], v82 offset:7168
	ds_read_b128 v[4:7], v82 offset:7680
	s_waitcnt lgkmcnt(0)
	s_lshl_b64 s[0:1], s[2:3], 2
	s_add_u32 s22, s14, s0
	v_add_u32_e32 v123, s35, v79
	s_addc_u32 s23, s15, s1
	v_mad_i64_i32 v[66:67], s[0:1], v123, s29, 0
	v_add_u32_e32 v64, s34, v78
	v_lshl_add_u64 v[82:83], v[66:67], 2, s[24:25]
	v_mad_i64_i32 v[66:67], s[0:1], v123, s28, 0
	v_cmp_gt_i32_e64 s[18:19], s21, v123
	v_lshl_add_u64 v[80:81], v[66:67], 2, s[22:23]
	v_cmp_gt_i32_e64 s[2:3], s20, v64
	v_cndmask_b32_e64 v66, 0, 1, s[12:13]
	s_and_b64 s[6:7], s[2:3], s[18:19]
	v_ashrrev_i32_e32 v65, 31, v64
	v_cmp_ne_u32_e64 s[0:1], 1, v66
	s_and_saveexec_b64 s[4:5], s[6:7]
	s_cbranch_execz .LBB19_57
; %bb.53:
	s_and_b64 vcc, exec, s[0:1]
	s_cbranch_vccnz .LBB19_55
; %bb.54:
	v_lshl_add_u64 v[66:67], v[64:65], 2, v[82:83]
	flat_load_dword v66, v[66:67]
	s_waitcnt vmcnt(0) lgkmcnt(0)
	v_mul_f32_e32 v66, s33, v66
	s_branch .LBB19_56
.LBB19_55:
	v_mov_b32_e32 v66, 0
.LBB19_56:
	v_pk_add_f32 v[68:69], v[32:33], v[60:61]
	s_nop 0
	v_min3_f32 v67, v68, v69, v148
	v_pk_add_f32 v[68:69], v[34:35], v[62:63]
	s_nop 0
	v_min_f32_e32 v68, v68, v69
	v_min3_f32 v68, v66, v68, v67
	v_lshl_add_u64 v[66:67], v[64:65], 2, v[80:81]
	global_store_dword v[66:67], v68, off
.LBB19_57:
	s_or_b64 exec, exec, s[4:5]
	v_add_u32_e32 v66, 8, v64
	v_cmp_gt_i32_e64 s[4:5], s20, v66
	s_and_b64 s[8:9], s[4:5], s[18:19]
	v_ashrrev_i32_e32 v67, 31, v66
	s_and_saveexec_b64 s[6:7], s[8:9]
	s_cbranch_execz .LBB19_62
; %bb.58:
	s_and_b64 vcc, exec, s[0:1]
	s_cbranch_vccnz .LBB19_60
; %bb.59:
	v_lshl_add_u64 v[68:69], v[66:67], 2, v[82:83]
	flat_load_dword v68, v[68:69]
	s_waitcnt vmcnt(0) lgkmcnt(0)
	v_mul_f32_e32 v68, s33, v68
	s_branch .LBB19_61
.LBB19_60:
	v_mov_b32_e32 v68, 0
.LBB19_61:
	v_pk_add_f32 v[70:71], v[28:29], v[60:61]
	s_nop 0
	v_min3_f32 v69, v70, v71, v147
	v_pk_add_f32 v[70:71], v[30:31], v[62:63]
	s_nop 0
	v_min_f32_e32 v70, v70, v71
	v_min3_f32 v70, v68, v70, v69
	v_lshl_add_u64 v[68:69], v[66:67], 2, v[80:81]
	global_store_dword v[68:69], v70, off
.LBB19_62:
	s_or_b64 exec, exec, s[6:7]
	v_add_u32_e32 v68, 16, v64
	v_cmp_gt_i32_e64 s[6:7], s20, v68
	s_and_b64 s[10:11], s[6:7], s[18:19]
	v_ashrrev_i32_e32 v69, 31, v68
	s_and_saveexec_b64 s[8:9], s[10:11]
	s_cbranch_execz .LBB19_67
; %bb.63:
	s_and_b64 vcc, exec, s[0:1]
	s_cbranch_vccnz .LBB19_65
; %bb.64:
	v_lshl_add_u64 v[70:71], v[68:69], 2, v[82:83]
	flat_load_dword v70, v[70:71]
	s_waitcnt vmcnt(0) lgkmcnt(0)
	v_mul_f32_e32 v70, s33, v70
	s_branch .LBB19_66
.LBB19_65:
	v_mov_b32_e32 v70, 0
.LBB19_66:
	v_pk_add_f32 v[72:73], v[24:25], v[60:61]
	s_nop 0
	v_min3_f32 v71, v72, v73, v146
	v_pk_add_f32 v[72:73], v[26:27], v[62:63]
	s_nop 0
	v_min_f32_e32 v72, v72, v73
	v_min3_f32 v72, v70, v72, v71
	v_lshl_add_u64 v[70:71], v[68:69], 2, v[80:81]
	global_store_dword v[70:71], v72, off
.LBB19_67:
	s_or_b64 exec, exec, s[8:9]
	v_add_u32_e32 v70, 24, v64
	v_cmp_gt_i32_e64 s[8:9], s20, v70
	s_and_b64 s[12:13], s[8:9], s[18:19]
	v_ashrrev_i32_e32 v71, 31, v70
	s_and_saveexec_b64 s[10:11], s[12:13]
	s_cbranch_execz .LBB19_72
; %bb.68:
	s_and_b64 vcc, exec, s[0:1]
	s_cbranch_vccnz .LBB19_70
; %bb.69:
	v_lshl_add_u64 v[72:73], v[70:71], 2, v[82:83]
	flat_load_dword v72, v[72:73]
	s_waitcnt vmcnt(0) lgkmcnt(0)
	v_mul_f32_e32 v72, s33, v72
	s_branch .LBB19_71
.LBB19_70:
	v_mov_b32_e32 v72, 0
.LBB19_71:
	v_pk_add_f32 v[74:75], v[20:21], v[60:61]
	s_nop 0
	v_min3_f32 v73, v74, v75, v145
	v_pk_add_f32 v[74:75], v[22:23], v[62:63]
	s_nop 0
	v_min_f32_e32 v74, v74, v75
	v_min3_f32 v74, v72, v74, v73
	v_lshl_add_u64 v[72:73], v[70:71], 2, v[80:81]
	global_store_dword v[72:73], v74, off
.LBB19_72:
	s_or_b64 exec, exec, s[10:11]
	v_add_u32_e32 v72, 32, v64
	v_cmp_gt_i32_e64 s[10:11], s20, v72
	s_and_b64 s[14:15], s[10:11], s[18:19]
	v_ashrrev_i32_e32 v73, 31, v72
	s_and_saveexec_b64 s[12:13], s[14:15]
	s_cbranch_execz .LBB19_77
; %bb.73:
	s_and_b64 vcc, exec, s[0:1]
	s_cbranch_vccnz .LBB19_75
; %bb.74:
	v_lshl_add_u64 v[74:75], v[72:73], 2, v[82:83]
	flat_load_dword v74, v[74:75]
	s_waitcnt vmcnt(0) lgkmcnt(0)
	v_mul_f32_e32 v74, s33, v74
	s_branch .LBB19_76
.LBB19_75:
	v_mov_b32_e32 v74, 0
.LBB19_76:
	v_pk_add_f32 v[76:77], v[16:17], v[60:61]
	s_nop 0
	v_min3_f32 v75, v76, v77, v144
	v_pk_add_f32 v[76:77], v[18:19], v[62:63]
	s_nop 0
	v_min_f32_e32 v76, v76, v77
	v_min3_f32 v76, v74, v76, v75
	v_lshl_add_u64 v[74:75], v[72:73], 2, v[80:81]
	global_store_dword v[74:75], v76, off
.LBB19_77:
	s_or_b64 exec, exec, s[12:13]
	v_add_u32_e32 v74, 40, v64
	v_cmp_gt_i32_e64 s[12:13], s20, v74
	s_and_b64 s[16:17], s[12:13], s[18:19]
	v_ashrrev_i32_e32 v75, 31, v74
	s_and_saveexec_b64 s[14:15], s[16:17]
	s_cbranch_execz .LBB19_82
; %bb.78:
	s_and_b64 vcc, exec, s[0:1]
	s_cbranch_vccnz .LBB19_80
; %bb.79:
	v_lshl_add_u64 v[76:77], v[74:75], 2, v[82:83]
	flat_load_dword v76, v[76:77]
	s_waitcnt vmcnt(0) lgkmcnt(0)
	v_mul_f32_e32 v76, s33, v76
	s_branch .LBB19_81
.LBB19_80:
	v_mov_b32_e32 v76, 0
.LBB19_81:
	v_pk_add_f32 v[78:79], v[12:13], v[60:61]
	s_nop 0
	v_min3_f32 v77, v78, v79, v143
	v_pk_add_f32 v[78:79], v[14:15], v[62:63]
	s_nop 0
	v_min_f32_e32 v78, v78, v79
	v_min3_f32 v78, v76, v78, v77
	v_lshl_add_u64 v[76:77], v[74:75], 2, v[80:81]
	global_store_dword v[76:77], v78, off
.LBB19_82:
	s_or_b64 exec, exec, s[14:15]
	v_add_u32_e32 v76, 48, v64
	v_cmp_gt_i32_e64 s[14:15], s20, v76
	s_and_b64 s[26:27], s[14:15], s[18:19]
	v_ashrrev_i32_e32 v77, 31, v76
	s_and_saveexec_b64 s[16:17], s[26:27]
	s_cbranch_execz .LBB19_87
; %bb.83:
	s_and_b64 vcc, exec, s[0:1]
	s_cbranch_vccnz .LBB19_85
; %bb.84:
	v_lshl_add_u64 v[78:79], v[76:77], 2, v[82:83]
	flat_load_dword v78, v[78:79]
	s_waitcnt vmcnt(0) lgkmcnt(0)
	v_mul_f32_e32 v78, s33, v78
	s_branch .LBB19_86
.LBB19_85:
	v_mov_b32_e32 v78, 0
.LBB19_86:
	v_pk_add_f32 v[144:145], v[8:9], v[60:61]
	s_nop 0
	v_min3_f32 v79, v144, v145, v142
	v_pk_add_f32 v[142:143], v[10:11], v[62:63]
	s_nop 0
	v_min_f32_e32 v142, v142, v143
	v_min3_f32 v142, v78, v142, v79
	v_lshl_add_u64 v[78:79], v[76:77], 2, v[80:81]
	global_store_dword v[78:79], v142, off
.LBB19_87:
	s_or_b64 exec, exec, s[16:17]
	v_add_u32_e32 v78, 56, v64
	v_cmp_gt_i32_e64 s[16:17], s20, v78
	s_and_b64 s[26:27], s[16:17], s[18:19]
	v_ashrrev_i32_e32 v79, 31, v78
	s_and_saveexec_b64 s[18:19], s[26:27]
	s_cbranch_execz .LBB19_92
; %bb.88:
	s_and_b64 vcc, exec, s[0:1]
	s_cbranch_vccnz .LBB19_90
; %bb.89:
	v_lshl_add_u64 v[82:83], v[78:79], 2, v[82:83]
	flat_load_dword v82, v[82:83]
	s_waitcnt vmcnt(0) lgkmcnt(0)
	v_mul_f32_e32 v82, s33, v82
	s_branch .LBB19_91
.LBB19_90:
	v_mov_b32_e32 v82, 0
.LBB19_91:
	v_pk_add_f32 v[60:61], v[0:1], v[60:61]
	s_nop 0
	v_min3_f32 v83, v60, v61, v141
	v_pk_add_f32 v[60:61], v[2:3], v[62:63]
	s_nop 0
	v_min_f32_e32 v60, v60, v61
	v_min3_f32 v62, v82, v60, v83
	v_lshl_add_u64 v[60:61], v[78:79], 2, v[80:81]
	global_store_dword v[60:61], v62, off
.LBB19_92:
	s_or_b64 exec, exec, s[18:19]
	v_add_u32_e32 v80, 32, v123
	v_mad_i64_i32 v[60:61], s[26:27], v80, s29, 0
	v_cmp_gt_i32_e64 s[18:19], s21, v80
	v_lshl_add_u64 v[62:63], v[60:61], 2, s[24:25]
	v_mad_i64_i32 v[60:61], s[26:27], v80, s28, 0
	v_lshl_add_u64 v[60:61], v[60:61], 2, s[22:23]
	s_and_b64 s[30:31], s[2:3], s[18:19]
	s_and_saveexec_b64 s[26:27], s[30:31]
	s_cbranch_execnz .LBB19_100
; %bb.93:
	s_or_b64 exec, exec, s[26:27]
	s_and_b64 s[30:31], s[4:5], s[18:19]
	s_and_saveexec_b64 s[26:27], s[30:31]
	s_cbranch_execnz .LBB19_104
.LBB19_94:
	s_or_b64 exec, exec, s[26:27]
	s_and_b64 s[30:31], s[6:7], s[18:19]
	s_and_saveexec_b64 s[26:27], s[30:31]
	s_cbranch_execnz .LBB19_108
.LBB19_95:
	s_or_b64 exec, exec, s[26:27]
	s_and_b64 s[30:31], s[8:9], s[18:19]
	s_and_saveexec_b64 s[26:27], s[30:31]
	s_cbranch_execnz .LBB19_112
.LBB19_96:
	s_or_b64 exec, exec, s[26:27]
	s_and_b64 s[30:31], s[10:11], s[18:19]
	s_and_saveexec_b64 s[26:27], s[30:31]
	s_cbranch_execnz .LBB19_116
.LBB19_97:
	s_or_b64 exec, exec, s[26:27]
	s_and_b64 s[30:31], s[12:13], s[18:19]
	s_and_saveexec_b64 s[26:27], s[30:31]
	s_cbranch_execnz .LBB19_120
.LBB19_98:
	s_or_b64 exec, exec, s[26:27]
	s_and_b64 s[30:31], s[14:15], s[18:19]
	s_and_saveexec_b64 s[26:27], s[30:31]
	s_cbranch_execnz .LBB19_124
.LBB19_99:
	s_or_b64 exec, exec, s[26:27]
	s_and_b64 s[26:27], s[16:17], s[18:19]
	s_and_saveexec_b64 s[18:19], s[26:27]
	s_cbranch_execnz .LBB19_128
	s_branch .LBB19_132
.LBB19_100:
	s_and_b64 vcc, exec, s[0:1]
	s_cbranch_vccnz .LBB19_102
; %bb.101:
	v_lshl_add_u64 v[80:81], v[64:65], 2, v[62:63]
	flat_load_dword v80, v[80:81]
	s_waitcnt vmcnt(0) lgkmcnt(0)
	v_mul_f32_e32 v80, s33, v80
	s_branch .LBB19_103
.LBB19_102:
	v_mov_b32_e32 v80, 0
.LBB19_103:
	v_pk_add_f32 v[82:83], v[32:33], v[56:57]
	s_nop 0
	v_min3_f32 v81, v82, v83, v140
	v_pk_add_f32 v[82:83], v[34:35], v[58:59]
	s_nop 0
	v_min_f32_e32 v82, v82, v83
	v_min3_f32 v82, v80, v82, v81
	v_lshl_add_u64 v[80:81], v[64:65], 2, v[60:61]
	global_store_dword v[80:81], v82, off
	s_or_b64 exec, exec, s[26:27]
	s_and_b64 s[30:31], s[4:5], s[18:19]
	s_and_saveexec_b64 s[26:27], s[30:31]
	s_cbranch_execz .LBB19_94
.LBB19_104:
	s_and_b64 vcc, exec, s[0:1]
	s_cbranch_vccnz .LBB19_106
; %bb.105:
	v_lshl_add_u64 v[80:81], v[66:67], 2, v[62:63]
	flat_load_dword v80, v[80:81]
	s_waitcnt vmcnt(0) lgkmcnt(0)
	v_mul_f32_e32 v80, s33, v80
	s_branch .LBB19_107
.LBB19_106:
	v_mov_b32_e32 v80, 0
.LBB19_107:
	v_pk_add_f32 v[82:83], v[28:29], v[56:57]
	s_nop 0
	v_min3_f32 v81, v82, v83, v139
	v_pk_add_f32 v[82:83], v[30:31], v[58:59]
	s_nop 0
	v_min_f32_e32 v82, v82, v83
	v_min3_f32 v82, v80, v82, v81
	v_lshl_add_u64 v[80:81], v[66:67], 2, v[60:61]
	global_store_dword v[80:81], v82, off
	s_or_b64 exec, exec, s[26:27]
	s_and_b64 s[30:31], s[6:7], s[18:19]
	s_and_saveexec_b64 s[26:27], s[30:31]
	s_cbranch_execz .LBB19_95
.LBB19_108:
	s_and_b64 vcc, exec, s[0:1]
	s_cbranch_vccnz .LBB19_110
; %bb.109:
	v_lshl_add_u64 v[80:81], v[68:69], 2, v[62:63]
	flat_load_dword v80, v[80:81]
	s_waitcnt vmcnt(0) lgkmcnt(0)
	v_mul_f32_e32 v80, s33, v80
	s_branch .LBB19_111
.LBB19_110:
	v_mov_b32_e32 v80, 0
.LBB19_111:
	v_pk_add_f32 v[82:83], v[24:25], v[56:57]
	s_nop 0
	v_min3_f32 v81, v82, v83, v138
	v_pk_add_f32 v[82:83], v[26:27], v[58:59]
	s_nop 0
	v_min_f32_e32 v82, v82, v83
	v_min3_f32 v82, v80, v82, v81
	v_lshl_add_u64 v[80:81], v[68:69], 2, v[60:61]
	global_store_dword v[80:81], v82, off
	s_or_b64 exec, exec, s[26:27]
	s_and_b64 s[30:31], s[8:9], s[18:19]
	s_and_saveexec_b64 s[26:27], s[30:31]
	s_cbranch_execz .LBB19_96
.LBB19_112:
	s_and_b64 vcc, exec, s[0:1]
	s_cbranch_vccnz .LBB19_114
; %bb.113:
	v_lshl_add_u64 v[80:81], v[70:71], 2, v[62:63]
	flat_load_dword v80, v[80:81]
	s_waitcnt vmcnt(0) lgkmcnt(0)
	v_mul_f32_e32 v80, s33, v80
	s_branch .LBB19_115
.LBB19_114:
	v_mov_b32_e32 v80, 0
.LBB19_115:
	v_pk_add_f32 v[82:83], v[20:21], v[56:57]
	s_nop 0
	v_min3_f32 v81, v82, v83, v137
	v_pk_add_f32 v[82:83], v[22:23], v[58:59]
	s_nop 0
	v_min_f32_e32 v82, v82, v83
	v_min3_f32 v82, v80, v82, v81
	v_lshl_add_u64 v[80:81], v[70:71], 2, v[60:61]
	global_store_dword v[80:81], v82, off
	s_or_b64 exec, exec, s[26:27]
	s_and_b64 s[30:31], s[10:11], s[18:19]
	s_and_saveexec_b64 s[26:27], s[30:31]
	s_cbranch_execz .LBB19_97
.LBB19_116:
	s_and_b64 vcc, exec, s[0:1]
	s_cbranch_vccnz .LBB19_118
; %bb.117:
	v_lshl_add_u64 v[80:81], v[72:73], 2, v[62:63]
	flat_load_dword v80, v[80:81]
	s_waitcnt vmcnt(0) lgkmcnt(0)
	v_mul_f32_e32 v80, s33, v80
	s_branch .LBB19_119
.LBB19_118:
	v_mov_b32_e32 v80, 0
.LBB19_119:
	v_pk_add_f32 v[82:83], v[16:17], v[56:57]
	s_nop 0
	v_min3_f32 v81, v82, v83, v136
	v_pk_add_f32 v[82:83], v[18:19], v[58:59]
	s_nop 0
	v_min_f32_e32 v82, v82, v83
	v_min3_f32 v82, v80, v82, v81
	v_lshl_add_u64 v[80:81], v[72:73], 2, v[60:61]
	global_store_dword v[80:81], v82, off
	s_or_b64 exec, exec, s[26:27]
	s_and_b64 s[30:31], s[12:13], s[18:19]
	s_and_saveexec_b64 s[26:27], s[30:31]
	s_cbranch_execz .LBB19_98
.LBB19_120:
	s_and_b64 vcc, exec, s[0:1]
	s_cbranch_vccnz .LBB19_122
; %bb.121:
	v_lshl_add_u64 v[80:81], v[74:75], 2, v[62:63]
	flat_load_dword v80, v[80:81]
	s_waitcnt vmcnt(0) lgkmcnt(0)
	v_mul_f32_e32 v80, s33, v80
	s_branch .LBB19_123
.LBB19_122:
	v_mov_b32_e32 v80, 0
.LBB19_123:
	v_pk_add_f32 v[82:83], v[12:13], v[56:57]
	s_nop 0
	v_min3_f32 v81, v82, v83, v134
	v_pk_add_f32 v[82:83], v[14:15], v[58:59]
	s_nop 0
	v_min_f32_e32 v82, v82, v83
	v_min3_f32 v82, v80, v82, v81
	v_lshl_add_u64 v[80:81], v[74:75], 2, v[60:61]
	global_store_dword v[80:81], v82, off
	s_or_b64 exec, exec, s[26:27]
	s_and_b64 s[30:31], s[14:15], s[18:19]
	s_and_saveexec_b64 s[26:27], s[30:31]
	s_cbranch_execz .LBB19_99
.LBB19_124:
	s_and_b64 vcc, exec, s[0:1]
	s_cbranch_vccnz .LBB19_126
; %bb.125:
	v_lshl_add_u64 v[80:81], v[76:77], 2, v[62:63]
	flat_load_dword v80, v[80:81]
	s_waitcnt vmcnt(0) lgkmcnt(0)
	v_mul_f32_e32 v80, s33, v80
	s_branch .LBB19_127
.LBB19_126:
	v_mov_b32_e32 v80, 0
.LBB19_127:
	v_pk_add_f32 v[82:83], v[8:9], v[56:57]
	s_nop 0
	v_min3_f32 v81, v82, v83, v132
	v_pk_add_f32 v[82:83], v[10:11], v[58:59]
	s_nop 0
	v_min_f32_e32 v82, v82, v83
	v_min3_f32 v82, v80, v82, v81
	v_lshl_add_u64 v[80:81], v[76:77], 2, v[60:61]
	global_store_dword v[80:81], v82, off
	s_or_b64 exec, exec, s[26:27]
	s_and_b64 s[26:27], s[16:17], s[18:19]
	s_and_saveexec_b64 s[18:19], s[26:27]
	s_cbranch_execz .LBB19_132
.LBB19_128:
	s_and_b64 vcc, exec, s[0:1]
	s_cbranch_vccnz .LBB19_130
; %bb.129:
	v_lshl_add_u64 v[62:63], v[78:79], 2, v[62:63]
	flat_load_dword v62, v[62:63]
	s_waitcnt vmcnt(0) lgkmcnt(0)
	v_mul_f32_e32 v62, s33, v62
	s_branch .LBB19_131
.LBB19_130:
	v_mov_b32_e32 v62, 0
.LBB19_131:
	v_pk_add_f32 v[56:57], v[0:1], v[56:57]
	s_nop 0
	v_min3_f32 v63, v56, v57, v135
	v_pk_add_f32 v[56:57], v[2:3], v[58:59]
	s_nop 0
	v_min_f32_e32 v56, v56, v57
	v_min3_f32 v58, v62, v56, v63
	v_lshl_add_u64 v[56:57], v[78:79], 2, v[60:61]
	global_store_dword v[56:57], v58, off
.LBB19_132:
	s_or_b64 exec, exec, s[18:19]
	v_add_u32_e32 v60, 64, v123
	v_mad_i64_i32 v[56:57], s[26:27], v60, s29, 0
	v_cmp_gt_i32_e64 s[18:19], s21, v60
	v_lshl_add_u64 v[58:59], v[56:57], 2, s[24:25]
	v_mad_i64_i32 v[56:57], s[26:27], v60, s28, 0
	v_lshl_add_u64 v[56:57], v[56:57], 2, s[22:23]
	s_and_b64 s[30:31], s[2:3], s[18:19]
	s_and_saveexec_b64 s[26:27], s[30:31]
	s_cbranch_execnz .LBB19_140
; %bb.133:
	s_or_b64 exec, exec, s[26:27]
	s_and_b64 s[30:31], s[4:5], s[18:19]
	s_and_saveexec_b64 s[26:27], s[30:31]
	s_cbranch_execnz .LBB19_144
.LBB19_134:
	s_or_b64 exec, exec, s[26:27]
	s_and_b64 s[30:31], s[6:7], s[18:19]
	s_and_saveexec_b64 s[26:27], s[30:31]
	s_cbranch_execnz .LBB19_148
.LBB19_135:
	s_or_b64 exec, exec, s[26:27]
	s_and_b64 s[30:31], s[8:9], s[18:19]
	s_and_saveexec_b64 s[26:27], s[30:31]
	s_cbranch_execnz .LBB19_152
.LBB19_136:
	s_or_b64 exec, exec, s[26:27]
	s_and_b64 s[30:31], s[10:11], s[18:19]
	s_and_saveexec_b64 s[26:27], s[30:31]
	s_cbranch_execnz .LBB19_156
.LBB19_137:
	s_or_b64 exec, exec, s[26:27]
	s_and_b64 s[30:31], s[12:13], s[18:19]
	s_and_saveexec_b64 s[26:27], s[30:31]
	s_cbranch_execnz .LBB19_160
.LBB19_138:
	s_or_b64 exec, exec, s[26:27]
	s_and_b64 s[30:31], s[14:15], s[18:19]
	s_and_saveexec_b64 s[26:27], s[30:31]
	s_cbranch_execnz .LBB19_164
.LBB19_139:
	s_or_b64 exec, exec, s[26:27]
	s_and_b64 s[26:27], s[16:17], s[18:19]
	s_and_saveexec_b64 s[18:19], s[26:27]
	s_cbranch_execnz .LBB19_168
	s_branch .LBB19_172
.LBB19_140:
	s_and_b64 vcc, exec, s[0:1]
	s_cbranch_vccnz .LBB19_142
; %bb.141:
	v_lshl_add_u64 v[60:61], v[64:65], 2, v[58:59]
	flat_load_dword v60, v[60:61]
	s_waitcnt vmcnt(0) lgkmcnt(0)
	v_mul_f32_e32 v60, s33, v60
	s_branch .LBB19_143
.LBB19_142:
	v_mov_b32_e32 v60, 0
.LBB19_143:
	v_pk_add_f32 v[62:63], v[32:33], v[52:53]
	s_nop 0
	v_min3_f32 v61, v62, v63, v133
	v_pk_add_f32 v[62:63], v[34:35], v[54:55]
	s_nop 0
	v_min_f32_e32 v62, v62, v63
	v_min3_f32 v62, v60, v62, v61
	v_lshl_add_u64 v[60:61], v[64:65], 2, v[56:57]
	global_store_dword v[60:61], v62, off
	s_or_b64 exec, exec, s[26:27]
	s_and_b64 s[30:31], s[4:5], s[18:19]
	s_and_saveexec_b64 s[26:27], s[30:31]
	s_cbranch_execz .LBB19_134
.LBB19_144:
	s_and_b64 vcc, exec, s[0:1]
	s_cbranch_vccnz .LBB19_146
; %bb.145:
	v_lshl_add_u64 v[60:61], v[66:67], 2, v[58:59]
	flat_load_dword v60, v[60:61]
	s_waitcnt vmcnt(0) lgkmcnt(0)
	v_mul_f32_e32 v60, s33, v60
	s_branch .LBB19_147
.LBB19_146:
	v_mov_b32_e32 v60, 0
.LBB19_147:
	v_pk_add_f32 v[62:63], v[28:29], v[52:53]
	s_nop 0
	v_min3_f32 v61, v62, v63, v131
	v_pk_add_f32 v[62:63], v[30:31], v[54:55]
	s_nop 0
	v_min_f32_e32 v62, v62, v63
	v_min3_f32 v62, v60, v62, v61
	v_lshl_add_u64 v[60:61], v[66:67], 2, v[56:57]
	global_store_dword v[60:61], v62, off
	s_or_b64 exec, exec, s[26:27]
	s_and_b64 s[30:31], s[6:7], s[18:19]
	s_and_saveexec_b64 s[26:27], s[30:31]
	s_cbranch_execz .LBB19_135
.LBB19_148:
	s_and_b64 vcc, exec, s[0:1]
	s_cbranch_vccnz .LBB19_150
; %bb.149:
	v_lshl_add_u64 v[60:61], v[68:69], 2, v[58:59]
	flat_load_dword v60, v[60:61]
	s_waitcnt vmcnt(0) lgkmcnt(0)
	v_mul_f32_e32 v60, s33, v60
	s_branch .LBB19_151
.LBB19_150:
	v_mov_b32_e32 v60, 0
.LBB19_151:
	v_pk_add_f32 v[62:63], v[24:25], v[52:53]
	s_nop 0
	v_min3_f32 v61, v62, v63, v130
	v_pk_add_f32 v[62:63], v[26:27], v[54:55]
	s_nop 0
	v_min_f32_e32 v62, v62, v63
	v_min3_f32 v62, v60, v62, v61
	v_lshl_add_u64 v[60:61], v[68:69], 2, v[56:57]
	global_store_dword v[60:61], v62, off
	s_or_b64 exec, exec, s[26:27]
	s_and_b64 s[30:31], s[8:9], s[18:19]
	s_and_saveexec_b64 s[26:27], s[30:31]
	s_cbranch_execz .LBB19_136
.LBB19_152:
	s_and_b64 vcc, exec, s[0:1]
	s_cbranch_vccnz .LBB19_154
; %bb.153:
	v_lshl_add_u64 v[60:61], v[70:71], 2, v[58:59]
	flat_load_dword v60, v[60:61]
	s_waitcnt vmcnt(0) lgkmcnt(0)
	v_mul_f32_e32 v60, s33, v60
	s_branch .LBB19_155
.LBB19_154:
	v_mov_b32_e32 v60, 0
.LBB19_155:
	v_pk_add_f32 v[62:63], v[20:21], v[52:53]
	s_nop 0
	v_min3_f32 v61, v62, v63, v129
	v_pk_add_f32 v[62:63], v[22:23], v[54:55]
	s_nop 0
	v_min_f32_e32 v62, v62, v63
	v_min3_f32 v62, v60, v62, v61
	v_lshl_add_u64 v[60:61], v[70:71], 2, v[56:57]
	global_store_dword v[60:61], v62, off
	s_or_b64 exec, exec, s[26:27]
	s_and_b64 s[30:31], s[10:11], s[18:19]
	s_and_saveexec_b64 s[26:27], s[30:31]
	s_cbranch_execz .LBB19_137
.LBB19_156:
	s_and_b64 vcc, exec, s[0:1]
	s_cbranch_vccnz .LBB19_158
; %bb.157:
	v_lshl_add_u64 v[60:61], v[72:73], 2, v[58:59]
	flat_load_dword v60, v[60:61]
	s_waitcnt vmcnt(0) lgkmcnt(0)
	v_mul_f32_e32 v60, s33, v60
	s_branch .LBB19_159
.LBB19_158:
	v_mov_b32_e32 v60, 0
.LBB19_159:
	v_pk_add_f32 v[62:63], v[16:17], v[52:53]
	s_nop 0
	v_min3_f32 v61, v62, v63, v128
	v_pk_add_f32 v[62:63], v[18:19], v[54:55]
	s_nop 0
	v_min_f32_e32 v62, v62, v63
	v_min3_f32 v62, v60, v62, v61
	v_lshl_add_u64 v[60:61], v[72:73], 2, v[56:57]
	global_store_dword v[60:61], v62, off
	s_or_b64 exec, exec, s[26:27]
	s_and_b64 s[30:31], s[12:13], s[18:19]
	s_and_saveexec_b64 s[26:27], s[30:31]
	s_cbranch_execz .LBB19_138
.LBB19_160:
	s_and_b64 vcc, exec, s[0:1]
	s_cbranch_vccnz .LBB19_162
; %bb.161:
	v_lshl_add_u64 v[60:61], v[74:75], 2, v[58:59]
	flat_load_dword v60, v[60:61]
	s_waitcnt vmcnt(0) lgkmcnt(0)
	v_mul_f32_e32 v60, s33, v60
	s_branch .LBB19_163
.LBB19_162:
	v_mov_b32_e32 v60, 0
.LBB19_163:
	v_pk_add_f32 v[62:63], v[12:13], v[52:53]
	s_nop 0
	v_min3_f32 v61, v62, v63, v127
	v_pk_add_f32 v[62:63], v[14:15], v[54:55]
	s_nop 0
	v_min_f32_e32 v62, v62, v63
	v_min3_f32 v62, v60, v62, v61
	v_lshl_add_u64 v[60:61], v[74:75], 2, v[56:57]
	global_store_dword v[60:61], v62, off
	s_or_b64 exec, exec, s[26:27]
	s_and_b64 s[30:31], s[14:15], s[18:19]
	s_and_saveexec_b64 s[26:27], s[30:31]
	s_cbranch_execz .LBB19_139
.LBB19_164:
	s_and_b64 vcc, exec, s[0:1]
	s_cbranch_vccnz .LBB19_166
; %bb.165:
	v_lshl_add_u64 v[60:61], v[76:77], 2, v[58:59]
	flat_load_dword v60, v[60:61]
	s_waitcnt vmcnt(0) lgkmcnt(0)
	v_mul_f32_e32 v60, s33, v60
	s_branch .LBB19_167
.LBB19_166:
	v_mov_b32_e32 v60, 0
.LBB19_167:
	v_pk_add_f32 v[62:63], v[8:9], v[52:53]
	s_nop 0
	v_min3_f32 v61, v62, v63, v126
	v_pk_add_f32 v[62:63], v[10:11], v[54:55]
	s_nop 0
	v_min_f32_e32 v62, v62, v63
	v_min3_f32 v62, v60, v62, v61
	v_lshl_add_u64 v[60:61], v[76:77], 2, v[56:57]
	global_store_dword v[60:61], v62, off
	s_or_b64 exec, exec, s[26:27]
	s_and_b64 s[26:27], s[16:17], s[18:19]
	s_and_saveexec_b64 s[18:19], s[26:27]
	s_cbranch_execz .LBB19_172
.LBB19_168:
	s_and_b64 vcc, exec, s[0:1]
	s_cbranch_vccnz .LBB19_170
; %bb.169:
	v_lshl_add_u64 v[58:59], v[78:79], 2, v[58:59]
	flat_load_dword v58, v[58:59]
	s_waitcnt vmcnt(0) lgkmcnt(0)
	v_mul_f32_e32 v58, s33, v58
	s_branch .LBB19_171
.LBB19_170:
	v_mov_b32_e32 v58, 0
.LBB19_171:
	v_pk_add_f32 v[52:53], v[0:1], v[52:53]
	s_nop 0
	v_min3_f32 v59, v52, v53, v125
	v_pk_add_f32 v[52:53], v[2:3], v[54:55]
	s_nop 0
	v_min_f32_e32 v52, v52, v53
	v_min3_f32 v54, v58, v52, v59
	v_lshl_add_u64 v[52:53], v[78:79], 2, v[56:57]
	global_store_dword v[52:53], v54, off
.LBB19_172:
	s_or_b64 exec, exec, s[18:19]
	v_add_u32_e32 v56, 0x60, v123
	v_mad_i64_i32 v[52:53], s[26:27], v56, s29, 0
	v_cmp_gt_i32_e64 s[18:19], s21, v56
	v_lshl_add_u64 v[54:55], v[52:53], 2, s[24:25]
	v_mad_i64_i32 v[52:53], s[26:27], v56, s28, 0
	v_lshl_add_u64 v[52:53], v[52:53], 2, s[22:23]
	s_and_b64 s[30:31], s[2:3], s[18:19]
	s_and_saveexec_b64 s[26:27], s[30:31]
	s_cbranch_execnz .LBB19_180
; %bb.173:
	s_or_b64 exec, exec, s[26:27]
	s_and_b64 s[30:31], s[4:5], s[18:19]
	s_and_saveexec_b64 s[26:27], s[30:31]
	s_cbranch_execnz .LBB19_184
.LBB19_174:
	s_or_b64 exec, exec, s[26:27]
	s_and_b64 s[30:31], s[6:7], s[18:19]
	s_and_saveexec_b64 s[26:27], s[30:31]
	s_cbranch_execnz .LBB19_188
.LBB19_175:
	s_or_b64 exec, exec, s[26:27]
	s_and_b64 s[30:31], s[8:9], s[18:19]
	s_and_saveexec_b64 s[26:27], s[30:31]
	s_cbranch_execnz .LBB19_192
.LBB19_176:
	s_or_b64 exec, exec, s[26:27]
	s_and_b64 s[30:31], s[10:11], s[18:19]
	s_and_saveexec_b64 s[26:27], s[30:31]
	s_cbranch_execnz .LBB19_196
.LBB19_177:
	s_or_b64 exec, exec, s[26:27]
	s_and_b64 s[30:31], s[12:13], s[18:19]
	s_and_saveexec_b64 s[26:27], s[30:31]
	s_cbranch_execnz .LBB19_200
.LBB19_178:
	s_or_b64 exec, exec, s[26:27]
	s_and_b64 s[30:31], s[14:15], s[18:19]
	s_and_saveexec_b64 s[26:27], s[30:31]
	s_cbranch_execnz .LBB19_204
.LBB19_179:
	s_or_b64 exec, exec, s[26:27]
	s_and_b64 s[26:27], s[16:17], s[18:19]
	s_and_saveexec_b64 s[18:19], s[26:27]
	s_cbranch_execnz .LBB19_208
	s_branch .LBB19_212
.LBB19_180:
	s_and_b64 vcc, exec, s[0:1]
	s_cbranch_vccnz .LBB19_182
; %bb.181:
	v_lshl_add_u64 v[56:57], v[64:65], 2, v[54:55]
	flat_load_dword v56, v[56:57]
	s_waitcnt vmcnt(0) lgkmcnt(0)
	v_mul_f32_e32 v56, s33, v56
	s_branch .LBB19_183
.LBB19_182:
	v_mov_b32_e32 v56, 0
.LBB19_183:
	v_pk_add_f32 v[58:59], v[32:33], v[48:49]
	s_nop 0
	v_min3_f32 v57, v58, v59, v124
	v_pk_add_f32 v[58:59], v[34:35], v[50:51]
	s_nop 0
	v_min_f32_e32 v58, v58, v59
	v_min3_f32 v58, v56, v58, v57
	v_lshl_add_u64 v[56:57], v[64:65], 2, v[52:53]
	global_store_dword v[56:57], v58, off
	s_or_b64 exec, exec, s[26:27]
	s_and_b64 s[30:31], s[4:5], s[18:19]
	s_and_saveexec_b64 s[26:27], s[30:31]
	s_cbranch_execz .LBB19_174
.LBB19_184:
	s_and_b64 vcc, exec, s[0:1]
	s_cbranch_vccnz .LBB19_186
; %bb.185:
	v_lshl_add_u64 v[56:57], v[66:67], 2, v[54:55]
	flat_load_dword v56, v[56:57]
	s_waitcnt vmcnt(0) lgkmcnt(0)
	v_mul_f32_e32 v56, s33, v56
	s_branch .LBB19_187
.LBB19_186:
	v_mov_b32_e32 v56, 0
.LBB19_187:
	v_pk_add_f32 v[58:59], v[28:29], v[48:49]
	s_nop 0
	v_min3_f32 v57, v58, v59, v122
	v_pk_add_f32 v[58:59], v[30:31], v[50:51]
	s_nop 0
	v_min_f32_e32 v58, v58, v59
	v_min3_f32 v58, v56, v58, v57
	v_lshl_add_u64 v[56:57], v[66:67], 2, v[52:53]
	global_store_dword v[56:57], v58, off
	s_or_b64 exec, exec, s[26:27]
	s_and_b64 s[30:31], s[6:7], s[18:19]
	s_and_saveexec_b64 s[26:27], s[30:31]
	s_cbranch_execz .LBB19_175
.LBB19_188:
	s_and_b64 vcc, exec, s[0:1]
	s_cbranch_vccnz .LBB19_190
; %bb.189:
	v_lshl_add_u64 v[56:57], v[68:69], 2, v[54:55]
	flat_load_dword v56, v[56:57]
	s_waitcnt vmcnt(0) lgkmcnt(0)
	v_mul_f32_e32 v56, s33, v56
	s_branch .LBB19_191
.LBB19_190:
	v_mov_b32_e32 v56, 0
.LBB19_191:
	v_pk_add_f32 v[58:59], v[24:25], v[48:49]
	s_nop 0
	v_min3_f32 v57, v58, v59, v121
	v_pk_add_f32 v[58:59], v[26:27], v[50:51]
	s_nop 0
	v_min_f32_e32 v58, v58, v59
	v_min3_f32 v58, v56, v58, v57
	v_lshl_add_u64 v[56:57], v[68:69], 2, v[52:53]
	global_store_dword v[56:57], v58, off
	s_or_b64 exec, exec, s[26:27]
	s_and_b64 s[30:31], s[8:9], s[18:19]
	s_and_saveexec_b64 s[26:27], s[30:31]
	s_cbranch_execz .LBB19_176
.LBB19_192:
	s_and_b64 vcc, exec, s[0:1]
	s_cbranch_vccnz .LBB19_194
; %bb.193:
	v_lshl_add_u64 v[56:57], v[70:71], 2, v[54:55]
	flat_load_dword v56, v[56:57]
	s_waitcnt vmcnt(0) lgkmcnt(0)
	v_mul_f32_e32 v56, s33, v56
	s_branch .LBB19_195
.LBB19_194:
	v_mov_b32_e32 v56, 0
.LBB19_195:
	v_pk_add_f32 v[58:59], v[20:21], v[48:49]
	s_nop 0
	v_min3_f32 v57, v58, v59, v120
	v_pk_add_f32 v[58:59], v[22:23], v[50:51]
	s_nop 0
	v_min_f32_e32 v58, v58, v59
	v_min3_f32 v58, v56, v58, v57
	v_lshl_add_u64 v[56:57], v[70:71], 2, v[52:53]
	global_store_dword v[56:57], v58, off
	s_or_b64 exec, exec, s[26:27]
	s_and_b64 s[30:31], s[10:11], s[18:19]
	s_and_saveexec_b64 s[26:27], s[30:31]
	s_cbranch_execz .LBB19_177
.LBB19_196:
	s_and_b64 vcc, exec, s[0:1]
	s_cbranch_vccnz .LBB19_198
; %bb.197:
	v_lshl_add_u64 v[56:57], v[72:73], 2, v[54:55]
	flat_load_dword v56, v[56:57]
	s_waitcnt vmcnt(0) lgkmcnt(0)
	v_mul_f32_e32 v56, s33, v56
	s_branch .LBB19_199
.LBB19_198:
	v_mov_b32_e32 v56, 0
.LBB19_199:
	v_pk_add_f32 v[58:59], v[16:17], v[48:49]
	s_nop 0
	v_min3_f32 v57, v58, v59, v119
	v_pk_add_f32 v[58:59], v[18:19], v[50:51]
	s_nop 0
	v_min_f32_e32 v58, v58, v59
	v_min3_f32 v58, v56, v58, v57
	v_lshl_add_u64 v[56:57], v[72:73], 2, v[52:53]
	global_store_dword v[56:57], v58, off
	s_or_b64 exec, exec, s[26:27]
	s_and_b64 s[30:31], s[12:13], s[18:19]
	s_and_saveexec_b64 s[26:27], s[30:31]
	s_cbranch_execz .LBB19_178
.LBB19_200:
	s_and_b64 vcc, exec, s[0:1]
	s_cbranch_vccnz .LBB19_202
; %bb.201:
	v_lshl_add_u64 v[56:57], v[74:75], 2, v[54:55]
	flat_load_dword v56, v[56:57]
	s_waitcnt vmcnt(0) lgkmcnt(0)
	v_mul_f32_e32 v56, s33, v56
	s_branch .LBB19_203
.LBB19_202:
	v_mov_b32_e32 v56, 0
.LBB19_203:
	v_pk_add_f32 v[58:59], v[12:13], v[48:49]
	s_nop 0
	v_min3_f32 v57, v58, v59, v118
	v_pk_add_f32 v[58:59], v[14:15], v[50:51]
	s_nop 0
	v_min_f32_e32 v58, v58, v59
	v_min3_f32 v58, v56, v58, v57
	v_lshl_add_u64 v[56:57], v[74:75], 2, v[52:53]
	global_store_dword v[56:57], v58, off
	s_or_b64 exec, exec, s[26:27]
	s_and_b64 s[30:31], s[14:15], s[18:19]
	s_and_saveexec_b64 s[26:27], s[30:31]
	s_cbranch_execz .LBB19_179
.LBB19_204:
	s_and_b64 vcc, exec, s[0:1]
	s_cbranch_vccnz .LBB19_206
; %bb.205:
	v_lshl_add_u64 v[56:57], v[76:77], 2, v[54:55]
	flat_load_dword v56, v[56:57]
	s_waitcnt vmcnt(0) lgkmcnt(0)
	v_mul_f32_e32 v56, s33, v56
	s_branch .LBB19_207
.LBB19_206:
	v_mov_b32_e32 v56, 0
.LBB19_207:
	v_pk_add_f32 v[58:59], v[8:9], v[48:49]
	s_nop 0
	v_min3_f32 v57, v58, v59, v117
	v_pk_add_f32 v[58:59], v[10:11], v[50:51]
	s_nop 0
	v_min_f32_e32 v58, v58, v59
	v_min3_f32 v58, v56, v58, v57
	v_lshl_add_u64 v[56:57], v[76:77], 2, v[52:53]
	global_store_dword v[56:57], v58, off
	s_or_b64 exec, exec, s[26:27]
	s_and_b64 s[26:27], s[16:17], s[18:19]
	s_and_saveexec_b64 s[18:19], s[26:27]
	s_cbranch_execz .LBB19_212
.LBB19_208:
	s_and_b64 vcc, exec, s[0:1]
	s_cbranch_vccnz .LBB19_210
; %bb.209:
	v_lshl_add_u64 v[54:55], v[78:79], 2, v[54:55]
	flat_load_dword v54, v[54:55]
	s_waitcnt vmcnt(0) lgkmcnt(0)
	v_mul_f32_e32 v54, s33, v54
	s_branch .LBB19_211
.LBB19_210:
	v_mov_b32_e32 v54, 0
.LBB19_211:
	v_pk_add_f32 v[48:49], v[0:1], v[48:49]
	s_nop 0
	v_min3_f32 v55, v48, v49, v116
	v_pk_add_f32 v[48:49], v[2:3], v[50:51]
	s_nop 0
	v_min_f32_e32 v48, v48, v49
	v_min3_f32 v50, v54, v48, v55
	v_lshl_add_u64 v[48:49], v[78:79], 2, v[52:53]
	global_store_dword v[48:49], v50, off
.LBB19_212:
	s_or_b64 exec, exec, s[18:19]
	v_add_u32_e32 v52, 0x80, v123
	v_mad_i64_i32 v[48:49], s[26:27], v52, s29, 0
	v_cmp_gt_i32_e64 s[18:19], s21, v52
	v_lshl_add_u64 v[50:51], v[48:49], 2, s[24:25]
	v_mad_i64_i32 v[48:49], s[26:27], v52, s28, 0
	v_lshl_add_u64 v[48:49], v[48:49], 2, s[22:23]
	s_and_b64 s[30:31], s[2:3], s[18:19]
	s_and_saveexec_b64 s[26:27], s[30:31]
	s_cbranch_execnz .LBB19_220
; %bb.213:
	s_or_b64 exec, exec, s[26:27]
	s_and_b64 s[30:31], s[4:5], s[18:19]
	s_and_saveexec_b64 s[26:27], s[30:31]
	s_cbranch_execnz .LBB19_224
.LBB19_214:
	s_or_b64 exec, exec, s[26:27]
	s_and_b64 s[30:31], s[6:7], s[18:19]
	s_and_saveexec_b64 s[26:27], s[30:31]
	s_cbranch_execnz .LBB19_228
.LBB19_215:
	s_or_b64 exec, exec, s[26:27]
	s_and_b64 s[30:31], s[8:9], s[18:19]
	s_and_saveexec_b64 s[26:27], s[30:31]
	s_cbranch_execnz .LBB19_232
.LBB19_216:
	s_or_b64 exec, exec, s[26:27]
	s_and_b64 s[30:31], s[10:11], s[18:19]
	s_and_saveexec_b64 s[26:27], s[30:31]
	s_cbranch_execnz .LBB19_236
.LBB19_217:
	s_or_b64 exec, exec, s[26:27]
	s_and_b64 s[30:31], s[12:13], s[18:19]
	s_and_saveexec_b64 s[26:27], s[30:31]
	s_cbranch_execnz .LBB19_240
.LBB19_218:
	s_or_b64 exec, exec, s[26:27]
	s_and_b64 s[30:31], s[14:15], s[18:19]
	s_and_saveexec_b64 s[26:27], s[30:31]
	s_cbranch_execnz .LBB19_244
.LBB19_219:
	s_or_b64 exec, exec, s[26:27]
	s_and_b64 s[26:27], s[16:17], s[18:19]
	s_and_saveexec_b64 s[18:19], s[26:27]
	s_cbranch_execnz .LBB19_248
	s_branch .LBB19_252
.LBB19_220:
	s_and_b64 vcc, exec, s[0:1]
	s_cbranch_vccnz .LBB19_222
; %bb.221:
	v_lshl_add_u64 v[52:53], v[64:65], 2, v[50:51]
	flat_load_dword v52, v[52:53]
	s_waitcnt vmcnt(0) lgkmcnt(0)
	v_mul_f32_e32 v52, s33, v52
	s_branch .LBB19_223
.LBB19_222:
	v_mov_b32_e32 v52, 0
.LBB19_223:
	v_pk_add_f32 v[54:55], v[32:33], v[44:45]
	s_nop 0
	v_min3_f32 v53, v54, v55, v115
	v_pk_add_f32 v[54:55], v[34:35], v[46:47]
	s_nop 0
	v_min_f32_e32 v54, v54, v55
	v_min3_f32 v54, v52, v54, v53
	v_lshl_add_u64 v[52:53], v[64:65], 2, v[48:49]
	global_store_dword v[52:53], v54, off
	s_or_b64 exec, exec, s[26:27]
	s_and_b64 s[30:31], s[4:5], s[18:19]
	s_and_saveexec_b64 s[26:27], s[30:31]
	s_cbranch_execz .LBB19_214
.LBB19_224:
	s_and_b64 vcc, exec, s[0:1]
	s_cbranch_vccnz .LBB19_226
; %bb.225:
	v_lshl_add_u64 v[52:53], v[66:67], 2, v[50:51]
	flat_load_dword v52, v[52:53]
	s_waitcnt vmcnt(0) lgkmcnt(0)
	v_mul_f32_e32 v52, s33, v52
	s_branch .LBB19_227
.LBB19_226:
	v_mov_b32_e32 v52, 0
.LBB19_227:
	v_pk_add_f32 v[54:55], v[28:29], v[44:45]
	s_nop 0
	v_min3_f32 v53, v54, v55, v114
	v_pk_add_f32 v[54:55], v[30:31], v[46:47]
	s_nop 0
	v_min_f32_e32 v54, v54, v55
	v_min3_f32 v54, v52, v54, v53
	v_lshl_add_u64 v[52:53], v[66:67], 2, v[48:49]
	global_store_dword v[52:53], v54, off
	s_or_b64 exec, exec, s[26:27]
	s_and_b64 s[30:31], s[6:7], s[18:19]
	s_and_saveexec_b64 s[26:27], s[30:31]
	s_cbranch_execz .LBB19_215
.LBB19_228:
	s_and_b64 vcc, exec, s[0:1]
	s_cbranch_vccnz .LBB19_230
; %bb.229:
	v_lshl_add_u64 v[52:53], v[68:69], 2, v[50:51]
	flat_load_dword v52, v[52:53]
	s_waitcnt vmcnt(0) lgkmcnt(0)
	v_mul_f32_e32 v52, s33, v52
	s_branch .LBB19_231
.LBB19_230:
	v_mov_b32_e32 v52, 0
.LBB19_231:
	v_pk_add_f32 v[54:55], v[24:25], v[44:45]
	s_nop 0
	v_min3_f32 v53, v54, v55, v113
	v_pk_add_f32 v[54:55], v[26:27], v[46:47]
	s_nop 0
	v_min_f32_e32 v54, v54, v55
	v_min3_f32 v54, v52, v54, v53
	v_lshl_add_u64 v[52:53], v[68:69], 2, v[48:49]
	global_store_dword v[52:53], v54, off
	s_or_b64 exec, exec, s[26:27]
	s_and_b64 s[30:31], s[8:9], s[18:19]
	s_and_saveexec_b64 s[26:27], s[30:31]
	s_cbranch_execz .LBB19_216
.LBB19_232:
	s_and_b64 vcc, exec, s[0:1]
	s_cbranch_vccnz .LBB19_234
; %bb.233:
	v_lshl_add_u64 v[52:53], v[70:71], 2, v[50:51]
	flat_load_dword v52, v[52:53]
	s_waitcnt vmcnt(0) lgkmcnt(0)
	v_mul_f32_e32 v52, s33, v52
	s_branch .LBB19_235
.LBB19_234:
	v_mov_b32_e32 v52, 0
.LBB19_235:
	v_pk_add_f32 v[54:55], v[20:21], v[44:45]
	s_nop 0
	v_min3_f32 v53, v54, v55, v112
	v_pk_add_f32 v[54:55], v[22:23], v[46:47]
	s_nop 0
	v_min_f32_e32 v54, v54, v55
	v_min3_f32 v54, v52, v54, v53
	v_lshl_add_u64 v[52:53], v[70:71], 2, v[48:49]
	global_store_dword v[52:53], v54, off
	s_or_b64 exec, exec, s[26:27]
	s_and_b64 s[30:31], s[10:11], s[18:19]
	s_and_saveexec_b64 s[26:27], s[30:31]
	s_cbranch_execz .LBB19_217
.LBB19_236:
	s_and_b64 vcc, exec, s[0:1]
	s_cbranch_vccnz .LBB19_238
; %bb.237:
	v_lshl_add_u64 v[52:53], v[72:73], 2, v[50:51]
	flat_load_dword v52, v[52:53]
	s_waitcnt vmcnt(0) lgkmcnt(0)
	v_mul_f32_e32 v52, s33, v52
	s_branch .LBB19_239
.LBB19_238:
	v_mov_b32_e32 v52, 0
.LBB19_239:
	v_pk_add_f32 v[54:55], v[16:17], v[44:45]
	s_nop 0
	v_min3_f32 v53, v54, v55, v111
	v_pk_add_f32 v[54:55], v[18:19], v[46:47]
	s_nop 0
	v_min_f32_e32 v54, v54, v55
	v_min3_f32 v54, v52, v54, v53
	v_lshl_add_u64 v[52:53], v[72:73], 2, v[48:49]
	global_store_dword v[52:53], v54, off
	s_or_b64 exec, exec, s[26:27]
	s_and_b64 s[30:31], s[12:13], s[18:19]
	s_and_saveexec_b64 s[26:27], s[30:31]
	s_cbranch_execz .LBB19_218
.LBB19_240:
	s_and_b64 vcc, exec, s[0:1]
	s_cbranch_vccnz .LBB19_242
; %bb.241:
	v_lshl_add_u64 v[52:53], v[74:75], 2, v[50:51]
	flat_load_dword v52, v[52:53]
	s_waitcnt vmcnt(0) lgkmcnt(0)
	v_mul_f32_e32 v52, s33, v52
	s_branch .LBB19_243
.LBB19_242:
	v_mov_b32_e32 v52, 0
.LBB19_243:
	v_pk_add_f32 v[54:55], v[12:13], v[44:45]
	s_nop 0
	v_min3_f32 v53, v54, v55, v110
	v_pk_add_f32 v[54:55], v[14:15], v[46:47]
	s_nop 0
	v_min_f32_e32 v54, v54, v55
	v_min3_f32 v54, v52, v54, v53
	v_lshl_add_u64 v[52:53], v[74:75], 2, v[48:49]
	global_store_dword v[52:53], v54, off
	s_or_b64 exec, exec, s[26:27]
	s_and_b64 s[30:31], s[14:15], s[18:19]
	s_and_saveexec_b64 s[26:27], s[30:31]
	s_cbranch_execz .LBB19_219
.LBB19_244:
	s_and_b64 vcc, exec, s[0:1]
	s_cbranch_vccnz .LBB19_246
; %bb.245:
	v_lshl_add_u64 v[52:53], v[76:77], 2, v[50:51]
	flat_load_dword v52, v[52:53]
	s_waitcnt vmcnt(0) lgkmcnt(0)
	v_mul_f32_e32 v52, s33, v52
	s_branch .LBB19_247
.LBB19_246:
	v_mov_b32_e32 v52, 0
.LBB19_247:
	v_pk_add_f32 v[54:55], v[8:9], v[44:45]
	s_nop 0
	v_min3_f32 v53, v54, v55, v109
	v_pk_add_f32 v[54:55], v[10:11], v[46:47]
	s_nop 0
	v_min_f32_e32 v54, v54, v55
	v_min3_f32 v54, v52, v54, v53
	v_lshl_add_u64 v[52:53], v[76:77], 2, v[48:49]
	global_store_dword v[52:53], v54, off
	s_or_b64 exec, exec, s[26:27]
	s_and_b64 s[26:27], s[16:17], s[18:19]
	s_and_saveexec_b64 s[18:19], s[26:27]
	s_cbranch_execz .LBB19_252
.LBB19_248:
	s_and_b64 vcc, exec, s[0:1]
	s_cbranch_vccnz .LBB19_250
; %bb.249:
	v_lshl_add_u64 v[50:51], v[78:79], 2, v[50:51]
	flat_load_dword v50, v[50:51]
	s_waitcnt vmcnt(0) lgkmcnt(0)
	v_mul_f32_e32 v50, s33, v50
	s_branch .LBB19_251
.LBB19_250:
	v_mov_b32_e32 v50, 0
.LBB19_251:
	v_pk_add_f32 v[44:45], v[0:1], v[44:45]
	s_nop 0
	v_min3_f32 v51, v44, v45, v108
	v_pk_add_f32 v[44:45], v[2:3], v[46:47]
	s_nop 0
	v_min_f32_e32 v44, v44, v45
	v_min3_f32 v46, v50, v44, v51
	v_lshl_add_u64 v[44:45], v[78:79], 2, v[48:49]
	global_store_dword v[44:45], v46, off
.LBB19_252:
	s_or_b64 exec, exec, s[18:19]
	v_add_u32_e32 v48, 0xa0, v123
	v_mad_i64_i32 v[44:45], s[26:27], v48, s29, 0
	v_cmp_gt_i32_e64 s[18:19], s21, v48
	v_lshl_add_u64 v[46:47], v[44:45], 2, s[24:25]
	v_mad_i64_i32 v[44:45], s[26:27], v48, s28, 0
	v_lshl_add_u64 v[44:45], v[44:45], 2, s[22:23]
	s_and_b64 s[30:31], s[2:3], s[18:19]
	s_and_saveexec_b64 s[26:27], s[30:31]
	s_cbranch_execnz .LBB19_260
; %bb.253:
	s_or_b64 exec, exec, s[26:27]
	s_and_b64 s[30:31], s[4:5], s[18:19]
	s_and_saveexec_b64 s[26:27], s[30:31]
	s_cbranch_execnz .LBB19_264
.LBB19_254:
	s_or_b64 exec, exec, s[26:27]
	s_and_b64 s[30:31], s[6:7], s[18:19]
	s_and_saveexec_b64 s[26:27], s[30:31]
	s_cbranch_execnz .LBB19_268
.LBB19_255:
	s_or_b64 exec, exec, s[26:27]
	s_and_b64 s[30:31], s[8:9], s[18:19]
	s_and_saveexec_b64 s[26:27], s[30:31]
	s_cbranch_execnz .LBB19_272
.LBB19_256:
	s_or_b64 exec, exec, s[26:27]
	s_and_b64 s[30:31], s[10:11], s[18:19]
	s_and_saveexec_b64 s[26:27], s[30:31]
	s_cbranch_execnz .LBB19_276
.LBB19_257:
	s_or_b64 exec, exec, s[26:27]
	s_and_b64 s[30:31], s[12:13], s[18:19]
	s_and_saveexec_b64 s[26:27], s[30:31]
	s_cbranch_execnz .LBB19_280
.LBB19_258:
	s_or_b64 exec, exec, s[26:27]
	s_and_b64 s[30:31], s[14:15], s[18:19]
	s_and_saveexec_b64 s[26:27], s[30:31]
	s_cbranch_execnz .LBB19_284
.LBB19_259:
	s_or_b64 exec, exec, s[26:27]
	s_and_b64 s[26:27], s[16:17], s[18:19]
	s_and_saveexec_b64 s[18:19], s[26:27]
	s_cbranch_execnz .LBB19_288
	s_branch .LBB19_292
.LBB19_260:
	s_and_b64 vcc, exec, s[0:1]
	s_cbranch_vccnz .LBB19_262
; %bb.261:
	v_lshl_add_u64 v[48:49], v[64:65], 2, v[46:47]
	flat_load_dword v48, v[48:49]
	s_waitcnt vmcnt(0) lgkmcnt(0)
	v_mul_f32_e32 v48, s33, v48
	s_branch .LBB19_263
.LBB19_262:
	v_mov_b32_e32 v48, 0
.LBB19_263:
	v_pk_add_f32 v[50:51], v[32:33], v[40:41]
	s_nop 0
	v_min3_f32 v49, v50, v51, v107
	v_pk_add_f32 v[50:51], v[34:35], v[42:43]
	s_nop 0
	v_min_f32_e32 v50, v50, v51
	v_min3_f32 v50, v48, v50, v49
	v_lshl_add_u64 v[48:49], v[64:65], 2, v[44:45]
	global_store_dword v[48:49], v50, off
	s_or_b64 exec, exec, s[26:27]
	s_and_b64 s[30:31], s[4:5], s[18:19]
	s_and_saveexec_b64 s[26:27], s[30:31]
	s_cbranch_execz .LBB19_254
.LBB19_264:
	s_and_b64 vcc, exec, s[0:1]
	s_cbranch_vccnz .LBB19_266
; %bb.265:
	v_lshl_add_u64 v[48:49], v[66:67], 2, v[46:47]
	flat_load_dword v48, v[48:49]
	s_waitcnt vmcnt(0) lgkmcnt(0)
	v_mul_f32_e32 v48, s33, v48
	s_branch .LBB19_267
.LBB19_266:
	v_mov_b32_e32 v48, 0
.LBB19_267:
	v_pk_add_f32 v[50:51], v[28:29], v[40:41]
	s_nop 0
	v_min3_f32 v49, v50, v51, v106
	v_pk_add_f32 v[50:51], v[30:31], v[42:43]
	s_nop 0
	v_min_f32_e32 v50, v50, v51
	v_min3_f32 v50, v48, v50, v49
	v_lshl_add_u64 v[48:49], v[66:67], 2, v[44:45]
	global_store_dword v[48:49], v50, off
	s_or_b64 exec, exec, s[26:27]
	s_and_b64 s[30:31], s[6:7], s[18:19]
	s_and_saveexec_b64 s[26:27], s[30:31]
	s_cbranch_execz .LBB19_255
.LBB19_268:
	s_and_b64 vcc, exec, s[0:1]
	s_cbranch_vccnz .LBB19_270
; %bb.269:
	v_lshl_add_u64 v[48:49], v[68:69], 2, v[46:47]
	flat_load_dword v48, v[48:49]
	s_waitcnt vmcnt(0) lgkmcnt(0)
	v_mul_f32_e32 v48, s33, v48
	s_branch .LBB19_271
.LBB19_270:
	v_mov_b32_e32 v48, 0
.LBB19_271:
	v_pk_add_f32 v[50:51], v[24:25], v[40:41]
	s_nop 0
	v_min3_f32 v49, v50, v51, v105
	v_pk_add_f32 v[50:51], v[26:27], v[42:43]
	s_nop 0
	v_min_f32_e32 v50, v50, v51
	v_min3_f32 v50, v48, v50, v49
	v_lshl_add_u64 v[48:49], v[68:69], 2, v[44:45]
	global_store_dword v[48:49], v50, off
	s_or_b64 exec, exec, s[26:27]
	s_and_b64 s[30:31], s[8:9], s[18:19]
	s_and_saveexec_b64 s[26:27], s[30:31]
	s_cbranch_execz .LBB19_256
.LBB19_272:
	s_and_b64 vcc, exec, s[0:1]
	s_cbranch_vccnz .LBB19_274
; %bb.273:
	v_lshl_add_u64 v[48:49], v[70:71], 2, v[46:47]
	flat_load_dword v48, v[48:49]
	s_waitcnt vmcnt(0) lgkmcnt(0)
	v_mul_f32_e32 v48, s33, v48
	s_branch .LBB19_275
.LBB19_274:
	v_mov_b32_e32 v48, 0
.LBB19_275:
	v_pk_add_f32 v[50:51], v[20:21], v[40:41]
	s_nop 0
	v_min3_f32 v49, v50, v51, v104
	v_pk_add_f32 v[50:51], v[22:23], v[42:43]
	s_nop 0
	v_min_f32_e32 v50, v50, v51
	v_min3_f32 v50, v48, v50, v49
	v_lshl_add_u64 v[48:49], v[70:71], 2, v[44:45]
	global_store_dword v[48:49], v50, off
	s_or_b64 exec, exec, s[26:27]
	s_and_b64 s[30:31], s[10:11], s[18:19]
	s_and_saveexec_b64 s[26:27], s[30:31]
	s_cbranch_execz .LBB19_257
.LBB19_276:
	s_and_b64 vcc, exec, s[0:1]
	s_cbranch_vccnz .LBB19_278
; %bb.277:
	v_lshl_add_u64 v[48:49], v[72:73], 2, v[46:47]
	flat_load_dword v48, v[48:49]
	s_waitcnt vmcnt(0) lgkmcnt(0)
	v_mul_f32_e32 v48, s33, v48
	s_branch .LBB19_279
.LBB19_278:
	v_mov_b32_e32 v48, 0
.LBB19_279:
	v_pk_add_f32 v[50:51], v[16:17], v[40:41]
	s_nop 0
	v_min3_f32 v49, v50, v51, v103
	v_pk_add_f32 v[50:51], v[18:19], v[42:43]
	s_nop 0
	v_min_f32_e32 v50, v50, v51
	v_min3_f32 v50, v48, v50, v49
	v_lshl_add_u64 v[48:49], v[72:73], 2, v[44:45]
	global_store_dword v[48:49], v50, off
	s_or_b64 exec, exec, s[26:27]
	s_and_b64 s[30:31], s[12:13], s[18:19]
	s_and_saveexec_b64 s[26:27], s[30:31]
	s_cbranch_execz .LBB19_258
.LBB19_280:
	s_and_b64 vcc, exec, s[0:1]
	s_cbranch_vccnz .LBB19_282
; %bb.281:
	v_lshl_add_u64 v[48:49], v[74:75], 2, v[46:47]
	flat_load_dword v48, v[48:49]
	s_waitcnt vmcnt(0) lgkmcnt(0)
	v_mul_f32_e32 v48, s33, v48
	s_branch .LBB19_283
.LBB19_282:
	v_mov_b32_e32 v48, 0
.LBB19_283:
	v_pk_add_f32 v[50:51], v[12:13], v[40:41]
	s_nop 0
	v_min3_f32 v49, v50, v51, v102
	v_pk_add_f32 v[50:51], v[14:15], v[42:43]
	s_nop 0
	v_min_f32_e32 v50, v50, v51
	v_min3_f32 v50, v48, v50, v49
	v_lshl_add_u64 v[48:49], v[74:75], 2, v[44:45]
	global_store_dword v[48:49], v50, off
	s_or_b64 exec, exec, s[26:27]
	s_and_b64 s[30:31], s[14:15], s[18:19]
	s_and_saveexec_b64 s[26:27], s[30:31]
	s_cbranch_execz .LBB19_259
.LBB19_284:
	s_and_b64 vcc, exec, s[0:1]
	s_cbranch_vccnz .LBB19_286
; %bb.285:
	v_lshl_add_u64 v[48:49], v[76:77], 2, v[46:47]
	flat_load_dword v48, v[48:49]
	s_waitcnt vmcnt(0) lgkmcnt(0)
	v_mul_f32_e32 v48, s33, v48
	s_branch .LBB19_287
.LBB19_286:
	v_mov_b32_e32 v48, 0
.LBB19_287:
	v_pk_add_f32 v[50:51], v[8:9], v[40:41]
	s_nop 0
	v_min3_f32 v49, v50, v51, v101
	v_pk_add_f32 v[50:51], v[10:11], v[42:43]
	s_nop 0
	v_min_f32_e32 v50, v50, v51
	v_min3_f32 v50, v48, v50, v49
	v_lshl_add_u64 v[48:49], v[76:77], 2, v[44:45]
	global_store_dword v[48:49], v50, off
	s_or_b64 exec, exec, s[26:27]
	s_and_b64 s[26:27], s[16:17], s[18:19]
	s_and_saveexec_b64 s[18:19], s[26:27]
	s_cbranch_execz .LBB19_292
.LBB19_288:
	s_and_b64 vcc, exec, s[0:1]
	s_cbranch_vccnz .LBB19_290
; %bb.289:
	v_lshl_add_u64 v[46:47], v[78:79], 2, v[46:47]
	flat_load_dword v46, v[46:47]
	s_waitcnt vmcnt(0) lgkmcnt(0)
	v_mul_f32_e32 v46, s33, v46
	s_branch .LBB19_291
.LBB19_290:
	v_mov_b32_e32 v46, 0
.LBB19_291:
	v_pk_add_f32 v[40:41], v[0:1], v[40:41]
	s_nop 0
	v_min3_f32 v47, v40, v41, v100
	v_pk_add_f32 v[40:41], v[2:3], v[42:43]
	s_nop 0
	v_min_f32_e32 v40, v40, v41
	v_min3_f32 v42, v46, v40, v47
	v_lshl_add_u64 v[40:41], v[78:79], 2, v[44:45]
	global_store_dword v[40:41], v42, off
.LBB19_292:
	s_or_b64 exec, exec, s[18:19]
	v_add_u32_e32 v44, 0xc0, v123
	v_mad_i64_i32 v[40:41], s[26:27], v44, s29, 0
	v_cmp_gt_i32_e64 s[18:19], s21, v44
	v_lshl_add_u64 v[42:43], v[40:41], 2, s[24:25]
	v_mad_i64_i32 v[40:41], s[26:27], v44, s28, 0
	v_lshl_add_u64 v[40:41], v[40:41], 2, s[22:23]
	s_and_b64 s[30:31], s[2:3], s[18:19]
	s_and_saveexec_b64 s[26:27], s[30:31]
	s_cbranch_execnz .LBB19_300
; %bb.293:
	s_or_b64 exec, exec, s[26:27]
	s_and_b64 s[30:31], s[4:5], s[18:19]
	s_and_saveexec_b64 s[26:27], s[30:31]
	s_cbranch_execnz .LBB19_304
.LBB19_294:
	s_or_b64 exec, exec, s[26:27]
	s_and_b64 s[30:31], s[6:7], s[18:19]
	s_and_saveexec_b64 s[26:27], s[30:31]
	s_cbranch_execnz .LBB19_308
.LBB19_295:
	s_or_b64 exec, exec, s[26:27]
	s_and_b64 s[30:31], s[8:9], s[18:19]
	s_and_saveexec_b64 s[26:27], s[30:31]
	s_cbranch_execnz .LBB19_312
.LBB19_296:
	s_or_b64 exec, exec, s[26:27]
	s_and_b64 s[30:31], s[10:11], s[18:19]
	s_and_saveexec_b64 s[26:27], s[30:31]
	s_cbranch_execnz .LBB19_316
.LBB19_297:
	s_or_b64 exec, exec, s[26:27]
	s_and_b64 s[30:31], s[12:13], s[18:19]
	s_and_saveexec_b64 s[26:27], s[30:31]
	s_cbranch_execnz .LBB19_320
.LBB19_298:
	s_or_b64 exec, exec, s[26:27]
	s_and_b64 s[30:31], s[14:15], s[18:19]
	s_and_saveexec_b64 s[26:27], s[30:31]
	s_cbranch_execnz .LBB19_324
.LBB19_299:
	s_or_b64 exec, exec, s[26:27]
	s_and_b64 s[26:27], s[16:17], s[18:19]
	s_and_saveexec_b64 s[18:19], s[26:27]
	s_cbranch_execnz .LBB19_328
	s_branch .LBB19_332
.LBB19_300:
	s_and_b64 vcc, exec, s[0:1]
	s_cbranch_vccnz .LBB19_302
; %bb.301:
	v_lshl_add_u64 v[44:45], v[64:65], 2, v[42:43]
	flat_load_dword v44, v[44:45]
	s_waitcnt vmcnt(0) lgkmcnt(0)
	v_mul_f32_e32 v44, s33, v44
	s_branch .LBB19_303
.LBB19_302:
	v_mov_b32_e32 v44, 0
.LBB19_303:
	v_pk_add_f32 v[46:47], v[32:33], v[36:37]
	s_nop 0
	v_min3_f32 v45, v46, v47, v99
	v_pk_add_f32 v[46:47], v[34:35], v[38:39]
	s_nop 0
	v_min_f32_e32 v46, v46, v47
	v_min3_f32 v46, v44, v46, v45
	v_lshl_add_u64 v[44:45], v[64:65], 2, v[40:41]
	global_store_dword v[44:45], v46, off
	s_or_b64 exec, exec, s[26:27]
	s_and_b64 s[30:31], s[4:5], s[18:19]
	s_and_saveexec_b64 s[26:27], s[30:31]
	s_cbranch_execz .LBB19_294
.LBB19_304:
	s_and_b64 vcc, exec, s[0:1]
	s_cbranch_vccnz .LBB19_306
; %bb.305:
	v_lshl_add_u64 v[44:45], v[66:67], 2, v[42:43]
	flat_load_dword v44, v[44:45]
	s_waitcnt vmcnt(0) lgkmcnt(0)
	v_mul_f32_e32 v44, s33, v44
	s_branch .LBB19_307
.LBB19_306:
	v_mov_b32_e32 v44, 0
.LBB19_307:
	v_pk_add_f32 v[46:47], v[28:29], v[36:37]
	s_nop 0
	v_min3_f32 v45, v46, v47, v98
	v_pk_add_f32 v[46:47], v[30:31], v[38:39]
	s_nop 0
	v_min_f32_e32 v46, v46, v47
	v_min3_f32 v46, v44, v46, v45
	v_lshl_add_u64 v[44:45], v[66:67], 2, v[40:41]
	global_store_dword v[44:45], v46, off
	s_or_b64 exec, exec, s[26:27]
	s_and_b64 s[30:31], s[6:7], s[18:19]
	s_and_saveexec_b64 s[26:27], s[30:31]
	s_cbranch_execz .LBB19_295
.LBB19_308:
	s_and_b64 vcc, exec, s[0:1]
	s_cbranch_vccnz .LBB19_310
; %bb.309:
	v_lshl_add_u64 v[44:45], v[68:69], 2, v[42:43]
	flat_load_dword v44, v[44:45]
	s_waitcnt vmcnt(0) lgkmcnt(0)
	v_mul_f32_e32 v44, s33, v44
	s_branch .LBB19_311
.LBB19_310:
	v_mov_b32_e32 v44, 0
.LBB19_311:
	v_pk_add_f32 v[46:47], v[24:25], v[36:37]
	s_nop 0
	v_min3_f32 v45, v46, v47, v97
	v_pk_add_f32 v[46:47], v[26:27], v[38:39]
	s_nop 0
	v_min_f32_e32 v46, v46, v47
	v_min3_f32 v46, v44, v46, v45
	v_lshl_add_u64 v[44:45], v[68:69], 2, v[40:41]
	global_store_dword v[44:45], v46, off
	s_or_b64 exec, exec, s[26:27]
	s_and_b64 s[30:31], s[8:9], s[18:19]
	s_and_saveexec_b64 s[26:27], s[30:31]
	s_cbranch_execz .LBB19_296
.LBB19_312:
	s_and_b64 vcc, exec, s[0:1]
	s_cbranch_vccnz .LBB19_314
; %bb.313:
	v_lshl_add_u64 v[44:45], v[70:71], 2, v[42:43]
	flat_load_dword v44, v[44:45]
	s_waitcnt vmcnt(0) lgkmcnt(0)
	v_mul_f32_e32 v44, s33, v44
	s_branch .LBB19_315
.LBB19_314:
	v_mov_b32_e32 v44, 0
.LBB19_315:
	v_pk_add_f32 v[46:47], v[20:21], v[36:37]
	s_nop 0
	v_min3_f32 v45, v46, v47, v96
	v_pk_add_f32 v[46:47], v[22:23], v[38:39]
	s_nop 0
	v_min_f32_e32 v46, v46, v47
	v_min3_f32 v46, v44, v46, v45
	v_lshl_add_u64 v[44:45], v[70:71], 2, v[40:41]
	global_store_dword v[44:45], v46, off
	s_or_b64 exec, exec, s[26:27]
	s_and_b64 s[30:31], s[10:11], s[18:19]
	s_and_saveexec_b64 s[26:27], s[30:31]
	s_cbranch_execz .LBB19_297
.LBB19_316:
	s_and_b64 vcc, exec, s[0:1]
	s_cbranch_vccnz .LBB19_318
; %bb.317:
	v_lshl_add_u64 v[44:45], v[72:73], 2, v[42:43]
	flat_load_dword v44, v[44:45]
	s_waitcnt vmcnt(0) lgkmcnt(0)
	v_mul_f32_e32 v44, s33, v44
	s_branch .LBB19_319
.LBB19_318:
	v_mov_b32_e32 v44, 0
.LBB19_319:
	v_pk_add_f32 v[46:47], v[16:17], v[36:37]
	s_nop 0
	v_min3_f32 v45, v46, v47, v95
	v_pk_add_f32 v[46:47], v[18:19], v[38:39]
	s_nop 0
	v_min_f32_e32 v46, v46, v47
	v_min3_f32 v46, v44, v46, v45
	v_lshl_add_u64 v[44:45], v[72:73], 2, v[40:41]
	global_store_dword v[44:45], v46, off
	s_or_b64 exec, exec, s[26:27]
	s_and_b64 s[30:31], s[12:13], s[18:19]
	s_and_saveexec_b64 s[26:27], s[30:31]
	s_cbranch_execz .LBB19_298
.LBB19_320:
	s_and_b64 vcc, exec, s[0:1]
	s_cbranch_vccnz .LBB19_322
; %bb.321:
	v_lshl_add_u64 v[44:45], v[74:75], 2, v[42:43]
	flat_load_dword v44, v[44:45]
	s_waitcnt vmcnt(0) lgkmcnt(0)
	v_mul_f32_e32 v44, s33, v44
	s_branch .LBB19_323
.LBB19_322:
	v_mov_b32_e32 v44, 0
.LBB19_323:
	v_pk_add_f32 v[46:47], v[12:13], v[36:37]
	s_nop 0
	v_min3_f32 v45, v46, v47, v94
	v_pk_add_f32 v[46:47], v[14:15], v[38:39]
	s_nop 0
	v_min_f32_e32 v46, v46, v47
	v_min3_f32 v46, v44, v46, v45
	v_lshl_add_u64 v[44:45], v[74:75], 2, v[40:41]
	global_store_dword v[44:45], v46, off
	s_or_b64 exec, exec, s[26:27]
	s_and_b64 s[30:31], s[14:15], s[18:19]
	s_and_saveexec_b64 s[26:27], s[30:31]
	s_cbranch_execz .LBB19_299
.LBB19_324:
	s_and_b64 vcc, exec, s[0:1]
	s_cbranch_vccnz .LBB19_326
; %bb.325:
	v_lshl_add_u64 v[44:45], v[76:77], 2, v[42:43]
	flat_load_dword v44, v[44:45]
	s_waitcnt vmcnt(0) lgkmcnt(0)
	v_mul_f32_e32 v44, s33, v44
	s_branch .LBB19_327
.LBB19_326:
	v_mov_b32_e32 v44, 0
.LBB19_327:
	v_pk_add_f32 v[46:47], v[8:9], v[36:37]
	s_nop 0
	v_min3_f32 v45, v46, v47, v93
	v_pk_add_f32 v[46:47], v[10:11], v[38:39]
	s_nop 0
	v_min_f32_e32 v46, v46, v47
	v_min3_f32 v46, v44, v46, v45
	v_lshl_add_u64 v[44:45], v[76:77], 2, v[40:41]
	global_store_dword v[44:45], v46, off
	s_or_b64 exec, exec, s[26:27]
	s_and_b64 s[26:27], s[16:17], s[18:19]
	s_and_saveexec_b64 s[18:19], s[26:27]
	s_cbranch_execz .LBB19_332
.LBB19_328:
	s_and_b64 vcc, exec, s[0:1]
	s_cbranch_vccnz .LBB19_330
; %bb.329:
	v_lshl_add_u64 v[42:43], v[78:79], 2, v[42:43]
	flat_load_dword v42, v[42:43]
	s_waitcnt vmcnt(0) lgkmcnt(0)
	v_mul_f32_e32 v42, s33, v42
	s_branch .LBB19_331
.LBB19_330:
	v_mov_b32_e32 v42, 0
.LBB19_331:
	v_pk_add_f32 v[36:37], v[0:1], v[36:37]
	s_nop 0
	v_min3_f32 v43, v36, v37, v92
	v_pk_add_f32 v[36:37], v[2:3], v[38:39]
	s_nop 0
	v_min_f32_e32 v36, v36, v37
	v_min3_f32 v38, v42, v36, v43
	v_lshl_add_u64 v[36:37], v[78:79], 2, v[40:41]
	global_store_dword v[36:37], v38, off
.LBB19_332:
	s_or_b64 exec, exec, s[18:19]
	v_add_u32_e32 v40, 0xe0, v123
	v_cmp_gt_i32_e64 s[18:19], s21, v40
	v_mad_i64_i32 v[36:37], s[20:21], v40, s29, 0
	v_lshl_add_u64 v[38:39], v[36:37], 2, s[24:25]
	v_mad_i64_i32 v[36:37], s[20:21], v40, s28, 0
	v_lshl_add_u64 v[36:37], v[36:37], 2, s[22:23]
	s_and_b64 s[20:21], s[2:3], s[18:19]
	s_and_saveexec_b64 s[2:3], s[20:21]
	s_cbranch_execnz .LBB19_341
; %bb.333:
	s_or_b64 exec, exec, s[2:3]
	s_and_b64 s[4:5], s[4:5], s[18:19]
	s_and_saveexec_b64 s[2:3], s[4:5]
	s_cbranch_execnz .LBB19_345
.LBB19_334:
	s_or_b64 exec, exec, s[2:3]
	s_and_b64 s[4:5], s[6:7], s[18:19]
	s_and_saveexec_b64 s[2:3], s[4:5]
	s_cbranch_execnz .LBB19_349
.LBB19_335:
	s_or_b64 exec, exec, s[2:3]
	s_and_b64 s[4:5], s[8:9], s[18:19]
	s_and_saveexec_b64 s[2:3], s[4:5]
	s_cbranch_execnz .LBB19_353
.LBB19_336:
	s_or_b64 exec, exec, s[2:3]
	s_and_b64 s[4:5], s[10:11], s[18:19]
	s_and_saveexec_b64 s[2:3], s[4:5]
	s_cbranch_execnz .LBB19_357
.LBB19_337:
	s_or_b64 exec, exec, s[2:3]
	s_and_b64 s[4:5], s[12:13], s[18:19]
	s_and_saveexec_b64 s[2:3], s[4:5]
	s_cbranch_execnz .LBB19_361
.LBB19_338:
	s_or_b64 exec, exec, s[2:3]
	s_and_b64 s[4:5], s[14:15], s[18:19]
	s_and_saveexec_b64 s[2:3], s[4:5]
	s_cbranch_execnz .LBB19_365
.LBB19_339:
	s_or_b64 exec, exec, s[2:3]
	s_and_b64 s[2:3], s[16:17], s[18:19]
	s_and_saveexec_b64 s[4:5], s[2:3]
	s_cbranch_execnz .LBB19_369
.LBB19_340:
	s_endpgm
.LBB19_341:
	s_and_b64 vcc, exec, s[0:1]
	s_cbranch_vccnz .LBB19_343
; %bb.342:
	v_lshl_add_u64 v[40:41], v[64:65], 2, v[38:39]
	flat_load_dword v40, v[40:41]
	s_waitcnt vmcnt(0) lgkmcnt(0)
	v_mul_f32_e32 v40, s33, v40
	s_branch .LBB19_344
.LBB19_343:
	v_mov_b32_e32 v40, 0
.LBB19_344:
	v_pk_add_f32 v[32:33], v[32:33], v[4:5]
	s_nop 0
	v_min3_f32 v41, v32, v33, v91
	v_pk_add_f32 v[32:33], v[34:35], v[6:7]
	s_nop 0
	v_min_f32_e32 v32, v32, v33
	v_min3_f32 v34, v40, v32, v41
	v_lshl_add_u64 v[32:33], v[64:65], 2, v[36:37]
	global_store_dword v[32:33], v34, off
	s_or_b64 exec, exec, s[2:3]
	s_and_b64 s[4:5], s[4:5], s[18:19]
	s_and_saveexec_b64 s[2:3], s[4:5]
	s_cbranch_execz .LBB19_334
.LBB19_345:
	s_and_b64 vcc, exec, s[0:1]
	s_cbranch_vccnz .LBB19_347
; %bb.346:
	v_lshl_add_u64 v[32:33], v[66:67], 2, v[38:39]
	flat_load_dword v32, v[32:33]
	s_waitcnt vmcnt(0) lgkmcnt(0)
	v_mul_f32_e32 v32, s33, v32
	s_branch .LBB19_348
.LBB19_347:
	v_mov_b32_e32 v32, 0
.LBB19_348:
	v_pk_add_f32 v[28:29], v[28:29], v[4:5]
	s_nop 0
	v_min3_f32 v33, v28, v29, v90
	v_pk_add_f32 v[28:29], v[30:31], v[6:7]
	s_nop 0
	v_min_f32_e32 v28, v28, v29
	v_min3_f32 v30, v32, v28, v33
	v_lshl_add_u64 v[28:29], v[66:67], 2, v[36:37]
	global_store_dword v[28:29], v30, off
	s_or_b64 exec, exec, s[2:3]
	s_and_b64 s[4:5], s[6:7], s[18:19]
	s_and_saveexec_b64 s[2:3], s[4:5]
	s_cbranch_execz .LBB19_335
.LBB19_349:
	s_and_b64 vcc, exec, s[0:1]
	s_cbranch_vccnz .LBB19_351
; %bb.350:
	v_lshl_add_u64 v[28:29], v[68:69], 2, v[38:39]
	flat_load_dword v28, v[28:29]
	s_waitcnt vmcnt(0) lgkmcnt(0)
	v_mul_f32_e32 v28, s33, v28
	s_branch .LBB19_352
.LBB19_351:
	v_mov_b32_e32 v28, 0
.LBB19_352:
	v_pk_add_f32 v[24:25], v[24:25], v[4:5]
	s_nop 0
	v_min3_f32 v29, v24, v25, v89
	v_pk_add_f32 v[24:25], v[26:27], v[6:7]
	s_nop 0
	v_min_f32_e32 v24, v24, v25
	v_min3_f32 v26, v28, v24, v29
	v_lshl_add_u64 v[24:25], v[68:69], 2, v[36:37]
	global_store_dword v[24:25], v26, off
	s_or_b64 exec, exec, s[2:3]
	s_and_b64 s[4:5], s[8:9], s[18:19]
	s_and_saveexec_b64 s[2:3], s[4:5]
	s_cbranch_execz .LBB19_336
.LBB19_353:
	s_and_b64 vcc, exec, s[0:1]
	s_cbranch_vccnz .LBB19_355
; %bb.354:
	v_lshl_add_u64 v[24:25], v[70:71], 2, v[38:39]
	flat_load_dword v24, v[24:25]
	s_waitcnt vmcnt(0) lgkmcnt(0)
	v_mul_f32_e32 v24, s33, v24
	s_branch .LBB19_356
.LBB19_355:
	v_mov_b32_e32 v24, 0
.LBB19_356:
	v_pk_add_f32 v[20:21], v[20:21], v[4:5]
	s_nop 0
	v_min3_f32 v25, v20, v21, v87
	v_pk_add_f32 v[20:21], v[22:23], v[6:7]
	s_nop 0
	v_min_f32_e32 v20, v20, v21
	v_min3_f32 v22, v24, v20, v25
	v_lshl_add_u64 v[20:21], v[70:71], 2, v[36:37]
	global_store_dword v[20:21], v22, off
	s_or_b64 exec, exec, s[2:3]
	s_and_b64 s[4:5], s[10:11], s[18:19]
	s_and_saveexec_b64 s[2:3], s[4:5]
	s_cbranch_execz .LBB19_337
.LBB19_357:
	s_and_b64 vcc, exec, s[0:1]
	s_cbranch_vccnz .LBB19_359
; %bb.358:
	v_lshl_add_u64 v[20:21], v[72:73], 2, v[38:39]
	flat_load_dword v20, v[20:21]
	s_waitcnt vmcnt(0) lgkmcnt(0)
	v_mul_f32_e32 v20, s33, v20
	s_branch .LBB19_360
.LBB19_359:
	v_mov_b32_e32 v20, 0
.LBB19_360:
	v_pk_add_f32 v[16:17], v[16:17], v[4:5]
	s_nop 0
	v_min3_f32 v21, v16, v17, v86
	v_pk_add_f32 v[16:17], v[18:19], v[6:7]
	s_nop 0
	v_min_f32_e32 v16, v16, v17
	v_min3_f32 v18, v20, v16, v21
	v_lshl_add_u64 v[16:17], v[72:73], 2, v[36:37]
	global_store_dword v[16:17], v18, off
	s_or_b64 exec, exec, s[2:3]
	s_and_b64 s[4:5], s[12:13], s[18:19]
	s_and_saveexec_b64 s[2:3], s[4:5]
	s_cbranch_execz .LBB19_338
.LBB19_361:
	s_and_b64 vcc, exec, s[0:1]
	s_cbranch_vccnz .LBB19_363
; %bb.362:
	v_lshl_add_u64 v[16:17], v[74:75], 2, v[38:39]
	flat_load_dword v16, v[16:17]
	s_waitcnt vmcnt(0) lgkmcnt(0)
	v_mul_f32_e32 v16, s33, v16
	s_branch .LBB19_364
.LBB19_363:
	v_mov_b32_e32 v16, 0
.LBB19_364:
	v_pk_add_f32 v[12:13], v[12:13], v[4:5]
	s_nop 0
	v_min3_f32 v17, v12, v13, v85
	v_pk_add_f32 v[12:13], v[14:15], v[6:7]
	s_nop 0
	v_min_f32_e32 v12, v12, v13
	v_min3_f32 v14, v16, v12, v17
	v_lshl_add_u64 v[12:13], v[74:75], 2, v[36:37]
	global_store_dword v[12:13], v14, off
	s_or_b64 exec, exec, s[2:3]
	s_and_b64 s[4:5], s[14:15], s[18:19]
	s_and_saveexec_b64 s[2:3], s[4:5]
	s_cbranch_execz .LBB19_339
.LBB19_365:
	s_and_b64 vcc, exec, s[0:1]
	s_cbranch_vccnz .LBB19_367
; %bb.366:
	v_lshl_add_u64 v[12:13], v[76:77], 2, v[38:39]
	flat_load_dword v12, v[12:13]
	s_waitcnt vmcnt(0) lgkmcnt(0)
	v_mul_f32_e32 v12, s33, v12
	s_branch .LBB19_368
.LBB19_367:
	v_mov_b32_e32 v12, 0
.LBB19_368:
	v_pk_add_f32 v[8:9], v[8:9], v[4:5]
	s_nop 0
	v_min3_f32 v13, v8, v9, v84
	v_pk_add_f32 v[8:9], v[10:11], v[6:7]
	s_nop 0
	v_min_f32_e32 v8, v8, v9
	v_min3_f32 v10, v12, v8, v13
	v_lshl_add_u64 v[8:9], v[76:77], 2, v[36:37]
	global_store_dword v[8:9], v10, off
	s_or_b64 exec, exec, s[2:3]
	s_and_b64 s[2:3], s[16:17], s[18:19]
	s_and_saveexec_b64 s[4:5], s[2:3]
	s_cbranch_execz .LBB19_340
.LBB19_369:
	s_and_b64 vcc, exec, s[0:1]
	s_cbranch_vccnz .LBB19_371
; %bb.370:
	v_lshl_add_u64 v[8:9], v[78:79], 2, v[38:39]
	flat_load_dword v8, v[8:9]
	s_waitcnt vmcnt(0) lgkmcnt(0)
	v_mul_f32_e32 v8, s33, v8
	s_branch .LBB19_372
.LBB19_371:
	v_mov_b32_e32 v8, 0
.LBB19_372:
	v_pk_add_f32 v[0:1], v[0:1], v[4:5]
	s_nop 0
	v_min3_f32 v4, v0, v1, v88
	v_pk_add_f32 v[0:1], v[2:3], v[6:7]
	s_nop 0
	v_min_f32_e32 v0, v0, v1
	v_min3_f32 v2, v8, v0, v4
	v_lshl_add_u64 v[0:1], v[78:79], 2, v[36:37]
	global_store_dword v[0:1], v2, off
	s_endpgm
	.section	.rodata,"a",@progbits
	.p2align	6, 0x0
	.amdhsa_kernel _ZN12_GLOBAL__N_120geam_min_plus_kernelIf15HIP_vector_typeIfLj2EEfLi8ELi32ELi64ELi256ELi4ELi64ELi4ELi64ELi4ELc78ELc84ELb1ELb1ELb1EfKPKfKPfEEviiiT16_PT17_ilSA_ilS8_SA_ilPT18_ili26rocblas_geam_ex_operation_
		.amdhsa_group_segment_fixed_size 10240
		.amdhsa_private_segment_fixed_size 0
		.amdhsa_kernarg_size 128
		.amdhsa_user_sgpr_count 2
		.amdhsa_user_sgpr_dispatch_ptr 0
		.amdhsa_user_sgpr_queue_ptr 0
		.amdhsa_user_sgpr_kernarg_segment_ptr 1
		.amdhsa_user_sgpr_dispatch_id 0
		.amdhsa_user_sgpr_kernarg_preload_length 0
		.amdhsa_user_sgpr_kernarg_preload_offset 0
		.amdhsa_user_sgpr_private_segment_size 0
		.amdhsa_uses_dynamic_stack 0
		.amdhsa_enable_private_segment 0
		.amdhsa_system_sgpr_workgroup_id_x 1
		.amdhsa_system_sgpr_workgroup_id_y 0
		.amdhsa_system_sgpr_workgroup_id_z 1
		.amdhsa_system_sgpr_workgroup_info 0
		.amdhsa_system_vgpr_workitem_id 1
		.amdhsa_next_free_vgpr 180
		.amdhsa_next_free_sgpr 38
		.amdhsa_accum_offset 180
		.amdhsa_reserve_vcc 1
		.amdhsa_float_round_mode_32 0
		.amdhsa_float_round_mode_16_64 0
		.amdhsa_float_denorm_mode_32 3
		.amdhsa_float_denorm_mode_16_64 3
		.amdhsa_dx10_clamp 1
		.amdhsa_ieee_mode 1
		.amdhsa_fp16_overflow 0
		.amdhsa_tg_split 0
		.amdhsa_exception_fp_ieee_invalid_op 0
		.amdhsa_exception_fp_denorm_src 0
		.amdhsa_exception_fp_ieee_div_zero 0
		.amdhsa_exception_fp_ieee_overflow 0
		.amdhsa_exception_fp_ieee_underflow 0
		.amdhsa_exception_fp_ieee_inexact 0
		.amdhsa_exception_int_div_zero 0
	.end_amdhsa_kernel
	.section	.text._ZN12_GLOBAL__N_120geam_min_plus_kernelIf15HIP_vector_typeIfLj2EEfLi8ELi32ELi64ELi256ELi4ELi64ELi4ELi64ELi4ELc78ELc84ELb1ELb1ELb1EfKPKfKPfEEviiiT16_PT17_ilSA_ilS8_SA_ilPT18_ili26rocblas_geam_ex_operation_,"axG",@progbits,_ZN12_GLOBAL__N_120geam_min_plus_kernelIf15HIP_vector_typeIfLj2EEfLi8ELi32ELi64ELi256ELi4ELi64ELi4ELi64ELi4ELc78ELc84ELb1ELb1ELb1EfKPKfKPfEEviiiT16_PT17_ilSA_ilS8_SA_ilPT18_ili26rocblas_geam_ex_operation_,comdat
.Lfunc_end19:
	.size	_ZN12_GLOBAL__N_120geam_min_plus_kernelIf15HIP_vector_typeIfLj2EEfLi8ELi32ELi64ELi256ELi4ELi64ELi4ELi64ELi4ELc78ELc84ELb1ELb1ELb1EfKPKfKPfEEviiiT16_PT17_ilSA_ilS8_SA_ilPT18_ili26rocblas_geam_ex_operation_, .Lfunc_end19-_ZN12_GLOBAL__N_120geam_min_plus_kernelIf15HIP_vector_typeIfLj2EEfLi8ELi32ELi64ELi256ELi4ELi64ELi4ELi64ELi4ELc78ELc84ELb1ELb1ELb1EfKPKfKPfEEviiiT16_PT17_ilSA_ilS8_SA_ilPT18_ili26rocblas_geam_ex_operation_
                                        ; -- End function
	.section	.AMDGPU.csdata,"",@progbits
; Kernel info:
; codeLenInByte = 18404
; NumSgprs: 44
; NumVgprs: 180
; NumAgprs: 0
; TotalNumVgprs: 180
; ScratchSize: 0
; MemoryBound: 0
; FloatMode: 240
; IeeeMode: 1
; LDSByteSize: 10240 bytes/workgroup (compile time only)
; SGPRBlocks: 5
; VGPRBlocks: 22
; NumSGPRsForWavesPerEU: 44
; NumVGPRsForWavesPerEU: 180
; AccumOffset: 180
; Occupancy: 2
; WaveLimiterHint : 1
; COMPUTE_PGM_RSRC2:SCRATCH_EN: 0
; COMPUTE_PGM_RSRC2:USER_SGPR: 2
; COMPUTE_PGM_RSRC2:TRAP_HANDLER: 0
; COMPUTE_PGM_RSRC2:TGID_X_EN: 1
; COMPUTE_PGM_RSRC2:TGID_Y_EN: 0
; COMPUTE_PGM_RSRC2:TGID_Z_EN: 1
; COMPUTE_PGM_RSRC2:TIDIG_COMP_CNT: 1
; COMPUTE_PGM_RSRC3_GFX90A:ACCUM_OFFSET: 44
; COMPUTE_PGM_RSRC3_GFX90A:TG_SPLIT: 0
	.section	.text._ZN12_GLOBAL__N_120geam_min_plus_kernelIf15HIP_vector_typeIfLj2EEfLi8ELi32ELi64ELi256ELi4ELi64ELi4ELi64ELi4ELc78ELc84ELb0ELb1ELb1EfKPKfKPfEEviiiT16_PT17_ilSA_ilS8_SA_ilPT18_ili26rocblas_geam_ex_operation_,"axG",@progbits,_ZN12_GLOBAL__N_120geam_min_plus_kernelIf15HIP_vector_typeIfLj2EEfLi8ELi32ELi64ELi256ELi4ELi64ELi4ELi64ELi4ELc78ELc84ELb0ELb1ELb1EfKPKfKPfEEviiiT16_PT17_ilSA_ilS8_SA_ilPT18_ili26rocblas_geam_ex_operation_,comdat
	.globl	_ZN12_GLOBAL__N_120geam_min_plus_kernelIf15HIP_vector_typeIfLj2EEfLi8ELi32ELi64ELi256ELi4ELi64ELi4ELi64ELi4ELc78ELc84ELb0ELb1ELb1EfKPKfKPfEEviiiT16_PT17_ilSA_ilS8_SA_ilPT18_ili26rocblas_geam_ex_operation_ ; -- Begin function _ZN12_GLOBAL__N_120geam_min_plus_kernelIf15HIP_vector_typeIfLj2EEfLi8ELi32ELi64ELi256ELi4ELi64ELi4ELi64ELi4ELc78ELc84ELb0ELb1ELb1EfKPKfKPfEEviiiT16_PT17_ilSA_ilS8_SA_ilPT18_ili26rocblas_geam_ex_operation_
	.p2align	8
	.type	_ZN12_GLOBAL__N_120geam_min_plus_kernelIf15HIP_vector_typeIfLj2EEfLi8ELi32ELi64ELi256ELi4ELi64ELi4ELi64ELi4ELc78ELc84ELb0ELb1ELb1EfKPKfKPfEEviiiT16_PT17_ilSA_ilS8_SA_ilPT18_ili26rocblas_geam_ex_operation_,@function
_ZN12_GLOBAL__N_120geam_min_plus_kernelIf15HIP_vector_typeIfLj2EEfLi8ELi32ELi64ELi256ELi4ELi64ELi4ELi64ELi4ELc78ELc84ELb0ELb1ELb1EfKPKfKPfEEviiiT16_PT17_ilSA_ilS8_SA_ilPT18_ili26rocblas_geam_ex_operation_: ; @_ZN12_GLOBAL__N_120geam_min_plus_kernelIf15HIP_vector_typeIfLj2EEfLi8ELi32ELi64ELi256ELi4ELi64ELi4ELi64ELi4ELc78ELc84ELb0ELb1ELb1EfKPKfKPfEEviiiT16_PT17_ilSA_ilS8_SA_ilPT18_ili26rocblas_geam_ex_operation_
; %bb.0:
	s_load_dwordx4 s[20:23], s[0:1], 0x0
	s_load_dwordx4 s[4:7], s[0:1], 0x20
	s_mov_b32 s8, s3
	s_mov_b32 s9, 0
	s_mov_b64 s[28:29], 0
	s_waitcnt lgkmcnt(0)
	v_cmp_eq_f32_e64 s[18:19], s23, 0
	v_cmp_neq_f32_e64 s[10:11], s23, 0
	s_and_b64 vcc, exec, s[18:19]
	s_cbranch_vccnz .LBB20_2
; %bb.1:
	s_load_dwordx2 s[12:13], s[0:1], 0x10
	s_lshl_b64 s[14:15], s[8:9], 3
	s_waitcnt lgkmcnt(0)
	s_add_u32 s12, s12, s14
	s_addc_u32 s13, s13, s15
	s_load_dwordx2 s[12:13], s[12:13], 0x0
	s_lshl_b64 s[4:5], s[4:5], 2
	s_waitcnt lgkmcnt(0)
	s_add_u32 s28, s12, s4
	s_addc_u32 s29, s13, s5
.LBB20_2:
	s_and_b64 vcc, exec, s[10:11]
	s_cbranch_vccz .LBB20_4
; %bb.3:
	s_lshl_b64 s[10:11], s[8:9], 3
	s_add_u32 s6, s6, s10
	s_load_dwordx2 s[4:5], s[0:1], 0x38
	s_addc_u32 s7, s7, s11
	s_load_dwordx2 s[6:7], s[6:7], 0x0
	s_waitcnt lgkmcnt(0)
	s_lshl_b64 s[4:5], s[4:5], 2
	s_add_u32 s26, s6, s4
	s_addc_u32 s27, s7, s5
	s_cbranch_execz .LBB20_5
	s_branch .LBB20_6
.LBB20_4:
                                        ; implicit-def: $sgpr26_sgpr27
.LBB20_5:
	s_mov_b64 s[26:27], 0
.LBB20_6:
	s_load_dword s33, s[0:1], 0x40
	s_load_dwordx4 s[4:7], s[0:1], 0x58
	s_waitcnt lgkmcnt(0)
	v_cmp_eq_f32_e64 s[10:11], s33, 0
	v_cmp_neq_f32_e64 s[14:15], s33, 0
	s_and_b64 vcc, exec, s[10:11]
	s_cbranch_vccnz .LBB20_8
; %bb.7:
	s_load_dwordx2 s[10:11], s[0:1], 0x48
	s_lshl_b64 s[12:13], s[8:9], 3
	s_waitcnt lgkmcnt(0)
	s_add_u32 s10, s10, s12
	s_addc_u32 s11, s11, s13
	s_load_dwordx2 s[10:11], s[10:11], 0x0
	s_lshl_b64 s[4:5], s[4:5], 2
	s_waitcnt lgkmcnt(0)
	s_add_u32 s24, s10, s4
	s_addc_u32 s25, s11, s5
	s_branch .LBB20_9
.LBB20_8:
	s_mov_b64 s[24:25], 0
.LBB20_9:
	s_load_dword s30, s[0:1], 0x18
	s_lshl_b64 s[4:5], s[8:9], 3
	v_and_b32_e32 v74, 0x3ff, v0
	v_bfe_u32 v75, v0, 10, 10
                                        ; implicit-def: $vgpr3
	s_waitcnt lgkmcnt(0)
	s_ashr_i32 s31, s30, 31
	s_add_u32 s4, s6, s4
	s_addc_u32 s5, s7, s5
	s_add_i32 s3, s20, -1
	s_ashr_i32 s6, s3, 31
	s_lshr_b32 s6, s6, 26
	s_add_i32 s6, s3, s6
	s_ashr_i32 s6, s6, 6
	s_add_i32 s7, s6, 1
	v_cvt_f32_u32_e32 v1, s7
	s_load_dwordx2 s[16:17], s[4:5], 0x0
	s_not_b32 s4, s6
	v_rcp_iflag_f32_e32 v0, v1
	v_lshl_add_u32 v1, v75, 3, v74
	v_and_b32_e32 v2, 63, v1
	v_lshrrev_b32_e32 v76, 6, v1
	v_mul_f32_e32 v0, 0x4f7ffffe, v0
	v_cvt_u32_f32_e32 v0, v0
	v_cmp_le_i32_e64 s[10:11], s22, v76
	v_readfirstlane_b32 s5, v0
	s_mul_i32 s4, s4, s5
	s_mul_hi_u32 s4, s5, s4
	s_add_i32 s5, s5, s4
	s_mul_hi_u32 s4, s2, s5
	s_mul_i32 s5, s4, s7
	s_sub_i32 s5, s2, s5
	s_add_i32 s6, s4, 1
	s_sub_i32 s8, s5, s7
	s_cmp_ge_u32 s5, s7
	s_cselect_b32 s4, s6, s4
	s_cselect_b32 s5, s8, s5
	s_add_i32 s6, s4, 1
	s_cmp_ge_u32 s5, s7
	s_cselect_b32 s6, s6, s4
	s_mul_i32 s4, s6, s7
	s_sub_i32 s2, s2, s4
	s_lshl_b32 s36, s2, 6
	v_or_b32_e32 v0, s36, v2
	v_cmp_le_i32_e32 vcc, s20, v0
	v_min_i32_e32 v56, s3, v0
	s_or_b64 s[2:3], s[10:11], vcc
	s_add_i32 s38, s22, -1
	v_min_i32_e32 v0, s38, v76
	s_or_b64 s[4:5], s[18:19], s[2:3]
	s_xor_b64 s[4:5], s[4:5], -1
	v_ashrrev_i32_e32 v1, 31, v0
	v_ashrrev_i32_e32 v57, 31, v56
	s_and_saveexec_b64 s[8:9], s[4:5]
	s_xor_b64 s[4:5], exec, s[8:9]
	s_cbranch_execz .LBB20_11
; %bb.10:
	v_mad_i64_i32 v[4:5], s[8:9], s30, v0, 0
	v_lshl_add_u64 v[4:5], v[4:5], 2, s[28:29]
	v_lshl_add_u64 v[4:5], v[56:57], 2, v[4:5]
	flat_load_dword v3, v[4:5]
	s_waitcnt vmcnt(0) lgkmcnt(0)
	v_mul_f32_e32 v3, s23, v3
.LBB20_11:
	s_andn2_saveexec_b64 s[4:5], s[4:5]
; %bb.12:
	v_mov_b32_e32 v3, 0x7f7fffff
	v_cndmask_b32_e64 v3, 0, v3, s[2:3]
; %bb.13:
	s_or_b64 exec, exec, s[4:5]
	s_load_dword s39, s[0:1], 0x30
	s_lshl_b32 s37, s6, 8
	v_or_b32_e32 v64, s37, v2
	v_ashrrev_i32_e32 v65, 31, v64
	s_waitcnt lgkmcnt(0)
	s_ashr_i32 s40, s39, 31
	v_mul_lo_u32 v4, v1, s39
	v_mul_lo_u32 v5, v0, s40
	v_mad_u64_u32 v[0:1], s[2:3], v0, s39, 0
	v_cmp_le_i32_e64 s[2:3], s21, v64
	v_add3_u32 v1, v1, v5, v4
	v_mov_b32_e32 v5, 0x7f7fffff
	s_or_b64 s[4:5], s[10:11], s[2:3]
	v_cndmask_b32_e64 v4, 0, v5, s[4:5]
	s_or_b64 s[4:5], s[18:19], s[4:5]
	v_lshl_add_u64 v[0:1], v[0:1], 2, s[26:27]
	s_xor_b64 s[6:7], s[4:5], -1
	s_and_saveexec_b64 s[4:5], s[6:7]
	s_cbranch_execz .LBB20_15
; %bb.14:
	v_lshl_add_u64 v[6:7], v[64:65], 2, v[0:1]
	flat_load_dword v4, v[6:7]
	s_waitcnt vmcnt(0) lgkmcnt(0)
	v_mul_f32_e32 v4, s23, v4
.LBB20_15:
	s_or_b64 exec, exec, s[4:5]
	v_or_b32_e32 v6, 64, v64
	v_cmp_le_i32_e64 s[4:5], s21, v6
	s_or_b64 s[6:7], s[10:11], s[4:5]
	v_cndmask_b32_e64 v5, 0, v5, s[6:7]
	s_or_b64 s[6:7], s[18:19], s[6:7]
	s_xor_b64 s[8:9], s[6:7], -1
	s_and_saveexec_b64 s[6:7], s[8:9]
	s_cbranch_execz .LBB20_17
; %bb.16:
	v_lshl_add_u64 v[6:7], v[64:65], 2, v[0:1]
	flat_load_dword v5, v[6:7] offset:256
	s_waitcnt vmcnt(0) lgkmcnt(0)
	v_mul_f32_e32 v5, s23, v5
.LBB20_17:
	s_or_b64 exec, exec, s[6:7]
	v_or_b32_e32 v6, 0x80, v64
	v_cmp_le_i32_e64 s[6:7], s21, v6
	v_mov_b32_e32 v7, 0x7f7fffff
	s_or_b64 s[8:9], s[10:11], s[6:7]
	v_cndmask_b32_e64 v6, 0, v7, s[8:9]
	s_or_b64 s[8:9], s[18:19], s[8:9]
	s_xor_b64 s[12:13], s[8:9], -1
	s_and_saveexec_b64 s[8:9], s[12:13]
	s_cbranch_execz .LBB20_19
; %bb.18:
	v_lshl_add_u64 v[8:9], v[64:65], 2, v[0:1]
	flat_load_dword v6, v[8:9] offset:512
	s_waitcnt vmcnt(0) lgkmcnt(0)
	v_mul_f32_e32 v6, s23, v6
.LBB20_19:
	s_or_b64 exec, exec, s[8:9]
	v_or_b32_e32 v8, 0xc0, v64
	v_cmp_le_i32_e64 s[8:9], s21, v8
	s_or_b64 s[10:11], s[10:11], s[8:9]
	v_cndmask_b32_e64 v7, 0, v7, s[10:11]
	s_or_b64 s[10:11], s[18:19], s[10:11]
	s_xor_b64 s[12:13], s[10:11], -1
	s_and_saveexec_b64 s[10:11], s[12:13]
	s_cbranch_execz .LBB20_21
; %bb.20:
	v_lshl_add_u64 v[0:1], v[64:65], 2, v[0:1]
	flat_load_dword v0, v[0:1] offset:768
	s_waitcnt vmcnt(0) lgkmcnt(0)
	v_mul_f32_e32 v7, s23, v0
.LBB20_21:
	s_or_b64 exec, exec, s[10:11]
	v_add_u32_e32 v0, 4, v76
	v_cmp_le_i32_e64 s[10:11], s22, v0
	s_or_b64 s[12:13], vcc, s[10:11]
	v_min_i32_e32 v0, s38, v0
	s_or_b64 s[34:35], s[18:19], s[12:13]
	s_xor_b64 s[34:35], s[34:35], -1
	v_ashrrev_i32_e32 v1, 31, v0
                                        ; implicit-def: $vgpr58
	s_and_saveexec_b64 s[42:43], s[34:35]
	s_xor_b64 s[34:35], exec, s[42:43]
	s_cbranch_execz .LBB20_23
; %bb.22:
	v_mad_i64_i32 v[8:9], s[42:43], s30, v0, 0
	v_lshl_add_u64 v[8:9], v[8:9], 2, s[28:29]
	v_lshl_add_u64 v[8:9], v[56:57], 2, v[8:9]
	flat_load_dword v8, v[8:9]
	s_waitcnt vmcnt(0) lgkmcnt(0)
	v_mul_f32_e32 v58, s23, v8
.LBB20_23:
	s_andn2_saveexec_b64 s[34:35], s[34:35]
; %bb.24:
	v_mov_b32_e32 v8, 0x7f7fffff
	v_cndmask_b32_e64 v58, 0, v8, s[12:13]
; %bb.25:
	s_or_b64 exec, exec, s[34:35]
	v_mul_lo_u32 v8, v1, s39
	v_mul_lo_u32 v9, v0, s40
	v_mad_u64_u32 v[0:1], s[12:13], v0, s39, 0
	v_add3_u32 v1, v1, v9, v8
	v_mov_b32_e32 v8, 0x7f7fffff
	s_or_b64 s[12:13], s[2:3], s[10:11]
	v_cndmask_b32_e64 v59, 0, v8, s[12:13]
	s_or_b64 s[12:13], s[18:19], s[12:13]
	v_lshl_add_u64 v[0:1], v[0:1], 2, s[26:27]
	s_xor_b64 s[34:35], s[12:13], -1
	s_and_saveexec_b64 s[12:13], s[34:35]
	s_cbranch_execz .LBB20_27
; %bb.26:
	v_lshl_add_u64 v[10:11], v[64:65], 2, v[0:1]
	flat_load_dword v9, v[10:11]
	s_waitcnt vmcnt(0) lgkmcnt(0)
	v_mul_f32_e32 v59, s23, v9
.LBB20_27:
	s_or_b64 exec, exec, s[12:13]
	s_or_b64 s[12:13], s[4:5], s[10:11]
	v_cndmask_b32_e64 v60, 0, v8, s[12:13]
	s_or_b64 s[12:13], s[18:19], s[12:13]
	s_xor_b64 s[34:35], s[12:13], -1
	s_and_saveexec_b64 s[12:13], s[34:35]
	s_cbranch_execz .LBB20_29
; %bb.28:
	v_lshl_add_u64 v[8:9], v[64:65], 2, v[0:1]
	flat_load_dword v8, v[8:9] offset:256
	s_waitcnt vmcnt(0) lgkmcnt(0)
	v_mul_f32_e32 v60, s23, v8
.LBB20_29:
	s_or_b64 exec, exec, s[12:13]
	v_mov_b32_e32 v8, 0x7f7fffff
	s_or_b64 s[12:13], s[6:7], s[10:11]
	v_cndmask_b32_e64 v61, 0, v8, s[12:13]
	s_or_b64 s[12:13], s[18:19], s[12:13]
	s_xor_b64 s[34:35], s[12:13], -1
	s_and_saveexec_b64 s[12:13], s[34:35]
	s_cbranch_execz .LBB20_31
; %bb.30:
	v_lshl_add_u64 v[10:11], v[64:65], 2, v[0:1]
	flat_load_dword v9, v[10:11] offset:512
	s_waitcnt vmcnt(0) lgkmcnt(0)
	v_mul_f32_e32 v61, s23, v9
.LBB20_31:
	s_or_b64 exec, exec, s[12:13]
	s_or_b64 s[10:11], s[8:9], s[10:11]
	v_cndmask_b32_e64 v62, 0, v8, s[10:11]
	s_or_b64 s[10:11], s[18:19], s[10:11]
	s_xor_b64 s[34:35], s[10:11], -1
	s_mov_b32 s12, 0x7f7fffff
	s_and_saveexec_b64 s[10:11], s[34:35]
	s_cbranch_execz .LBB20_33
; %bb.32:
	v_lshl_add_u64 v[0:1], v[64:65], 2, v[0:1]
	flat_load_dword v0, v[0:1] offset:768
	s_waitcnt vmcnt(0) lgkmcnt(0)
	v_mul_f32_e32 v62, s23, v0
.LBB20_33:
	s_or_b64 exec, exec, s[10:11]
	v_lshlrev_b32_e32 v0, 2, v76
	v_lshl_add_u32 v79, v2, 4, v0
	v_lshlrev_b32_e32 v77, 4, v74
	v_lshlrev_b32_e32 v78, 4, v75
	ds_write_b32 v79, v3 offset:8192
	ds_write2st64_b32 v79, v4, v5 offset1:4
	ds_write2st64_b32 v79, v6, v7 offset0:8 offset1:12
	s_waitcnt lgkmcnt(0)
	s_barrier
	ds_read_b128 v[12:15], v77 offset:8192
	ds_read_b128 v[20:23], v77 offset:8320
	;; [unrolled: 1-line block ×8, first 2 shown]
	ds_read_b128 v[52:55], v78
	ds_read_b128 v[48:51], v78 offset:512
	ds_read_b128 v[44:47], v78 offset:1024
	ds_read_b128 v[40:43], v78 offset:1536
	ds_read_b128 v[36:39], v78 offset:2048
	ds_read_b128 v[32:35], v78 offset:2560
	s_waitcnt lgkmcnt(5)
	v_pk_add_f32 v[66:67], v[12:13], v[52:53]
	s_cmp_lt_i32 s22, 9
	v_min3_f32 v63, v66, v67, s12
	v_pk_add_f32 v[66:67], v[20:21], v[52:53]
	s_nop 0
	v_min3_f32 v68, v66, v67, s12
	v_pk_add_f32 v[66:67], v[24:25], v[52:53]
	s_nop 0
	v_min3_f32 v69, v66, v67, s12
	v_pk_add_f32 v[66:67], v[28:29], v[52:53]
	s_nop 0
	v_min3_f32 v70, v66, v67, s12
	v_pk_add_f32 v[66:67], v[16:17], v[52:53]
	s_nop 0
	v_min3_f32 v71, v66, v67, s12
	v_pk_add_f32 v[66:67], v[8:9], v[52:53]
	s_nop 0
	v_min3_f32 v72, v66, v67, s12
	v_pk_add_f32 v[66:67], v[4:5], v[52:53]
	v_pk_add_f32 v[52:53], v[0:1], v[52:53]
	v_min3_f32 v66, v66, v67, s12
	v_min3_f32 v67, v52, v53, s12
	s_waitcnt lgkmcnt(4)
	v_pk_add_f32 v[52:53], v[12:13], v[48:49]
	s_nop 0
	v_min3_f32 v73, v52, v53, s12
	v_pk_add_f32 v[52:53], v[20:21], v[48:49]
	s_nop 0
	v_min3_f32 v80, v52, v53, s12
	v_pk_add_f32 v[52:53], v[24:25], v[48:49]
	s_nop 0
	v_min3_f32 v81, v52, v53, s12
	v_pk_add_f32 v[52:53], v[28:29], v[48:49]
	s_nop 0
	v_min3_f32 v82, v52, v53, s12
	v_pk_add_f32 v[52:53], v[16:17], v[48:49]
	s_nop 0
	v_min3_f32 v83, v52, v53, s12
	v_pk_add_f32 v[52:53], v[8:9], v[48:49]
	s_nop 0
	v_min3_f32 v84, v52, v53, s12
	v_pk_add_f32 v[52:53], v[4:5], v[48:49]
	v_pk_add_f32 v[48:49], v[0:1], v[48:49]
	v_min3_f32 v85, v52, v53, s12
	v_min3_f32 v86, v48, v49, s12
	s_waitcnt lgkmcnt(3)
	v_pk_add_f32 v[48:49], v[12:13], v[44:45]
	s_nop 0
	;; [unrolled: 23-line block ×5, first 2 shown]
	v_min3_f32 v105, v36, v37, s12
	v_pk_add_f32 v[36:37], v[20:21], v[32:33]
	s_nop 0
	v_min3_f32 v106, v36, v37, s12
	v_pk_add_f32 v[36:37], v[24:25], v[32:33]
	s_nop 0
	;; [unrolled: 3-line block ×5, first 2 shown]
	v_min3_f32 v151, v36, v37, s12
	v_pk_add_f32 v[36:37], v[4:5], v[32:33]
	v_pk_add_f32 v[32:33], v[0:1], v[32:33]
	v_min3_f32 v152, v36, v37, s12
	v_min3_f32 v153, v32, v33, s12
	v_pk_add_f32 v[32:33], v[14:15], v[54:55]
	s_nop 0
	v_min3_f32 v148, v32, v33, v63
	v_pk_add_f32 v[32:33], v[22:23], v[54:55]
	s_nop 0
	;; [unrolled: 3-line block ×7, first 2 shown]
	v_min3_f32 v142, v32, v33, v66
	v_pk_add_f32 v[32:33], v[2:3], v[54:55]
	ds_read_b128 v[52:55], v78 offset:3072
	v_min3_f32 v141, v32, v33, v67
	ds_read_b128 v[66:69], v78 offset:3584
	v_pk_add_f32 v[32:33], v[14:15], v[50:51]
	ds_write_b32 v79, v58 offset:9216
	ds_write2st64_b32 v79, v59, v60 offset0:16 offset1:20
	ds_write2st64_b32 v79, v61, v62 offset0:24 offset1:28
	v_min3_f32 v140, v32, v33, v73
	v_pk_add_f32 v[32:33], v[22:23], v[50:51]
	s_waitcnt lgkmcnt(4)
	v_pk_add_f32 v[36:37], v[24:25], v[52:53]
	v_min3_f32 v139, v32, v33, v80
	v_pk_add_f32 v[32:33], v[26:27], v[50:51]
	s_waitcnt lgkmcnt(0)
	v_min3_f32 v138, v32, v33, v81
	v_pk_add_f32 v[32:33], v[30:31], v[50:51]
	s_barrier
	v_min3_f32 v137, v32, v33, v82
	v_pk_add_f32 v[32:33], v[18:19], v[50:51]
	s_nop 0
	v_min3_f32 v136, v32, v33, v83
	v_pk_add_f32 v[32:33], v[10:11], v[50:51]
	s_nop 0
	;; [unrolled: 3-line block ×3, first 2 shown]
	v_min3_f32 v132, v32, v33, v85
	v_pk_add_f32 v[32:33], v[12:13], v[52:53]
	v_pk_add_f32 v[12:13], v[12:13], v[66:67]
	v_min3_f32 v63, v32, v33, s12
	v_pk_add_f32 v[32:33], v[20:21], v[52:53]
	s_nop 0
	v_min3_f32 v70, v32, v33, s12
	v_pk_add_f32 v[32:33], v[2:3], v[50:51]
	v_min3_f32 v50, v36, v37, s12
	v_min3_f32 v135, v32, v33, v86
	v_pk_add_f32 v[32:33], v[14:15], v[46:47]
	v_pk_add_f32 v[36:37], v[28:29], v[52:53]
	v_min3_f32 v133, v32, v33, v87
	v_pk_add_f32 v[32:33], v[22:23], v[46:47]
	v_min3_f32 v51, v36, v37, s12
	v_min3_f32 v131, v32, v33, v88
	v_pk_add_f32 v[32:33], v[26:27], v[46:47]
	v_pk_add_f32 v[36:37], v[4:5], v[52:53]
	v_min3_f32 v130, v32, v33, v89
	v_pk_add_f32 v[32:33], v[30:31], v[46:47]
	v_pk_add_f32 v[4:5], v[4:5], v[66:67]
	v_min3_f32 v129, v32, v33, v90
	v_pk_add_f32 v[32:33], v[18:19], v[46:47]
	v_min3_f32 v4, v4, v5, s12
	v_min3_f32 v128, v32, v33, v91
	v_pk_add_f32 v[32:33], v[10:11], v[46:47]
	s_nop 0
	v_min3_f32 v127, v32, v33, v92
	v_pk_add_f32 v[32:33], v[6:7], v[46:47]
	s_nop 0
	;; [unrolled: 3-line block ×3, first 2 shown]
	v_min3_f32 v48, v32, v33, s12
	v_pk_add_f32 v[32:33], v[8:9], v[52:53]
	v_pk_add_f32 v[8:9], v[8:9], v[66:67]
	v_min3_f32 v71, v32, v33, s12
	v_pk_add_f32 v[32:33], v[2:3], v[46:47]
	v_min3_f32 v46, v36, v37, s12
	v_min3_f32 v125, v32, v33, v49
	v_pk_add_f32 v[32:33], v[14:15], v[42:43]
	v_pk_add_f32 v[36:37], v[0:1], v[52:53]
	v_min3_f32 v123, v32, v33, v93
	v_pk_add_f32 v[32:33], v[22:23], v[42:43]
	v_pk_add_f32 v[0:1], v[0:1], v[66:67]
	v_min3_f32 v122, v32, v33, v94
	v_pk_add_f32 v[32:33], v[26:27], v[42:43]
	v_min3_f32 v5, v0, v1, s12
	v_min3_f32 v121, v32, v33, v95
	v_pk_add_f32 v[32:33], v[30:31], v[42:43]
	v_pk_add_f32 v[0:1], v[14:15], v[54:55]
	v_min3_f32 v120, v32, v33, v96
	v_pk_add_f32 v[32:33], v[18:19], v[42:43]
	v_min3_f32 v36, v36, v37, s12
	v_min3_f32 v119, v32, v33, v97
	v_pk_add_f32 v[32:33], v[10:11], v[42:43]
	s_nop 0
	v_min3_f32 v118, v32, v33, v98
	v_pk_add_f32 v[32:33], v[6:7], v[42:43]
	s_nop 0
	;; [unrolled: 3-line block ×4, first 2 shown]
	v_min3_f32 v115, v32, v33, v99
	v_pk_add_f32 v[32:33], v[22:23], v[38:39]
	v_min3_f32 v99, v0, v1, v63
	v_min3_f32 v114, v32, v33, v100
	v_pk_add_f32 v[32:33], v[26:27], v[38:39]
	v_pk_add_f32 v[0:1], v[22:23], v[54:55]
	v_min3_f32 v113, v32, v33, v101
	v_pk_add_f32 v[32:33], v[30:31], v[38:39]
	v_min3_f32 v98, v0, v1, v70
	v_min3_f32 v112, v32, v33, v102
	v_pk_add_f32 v[32:33], v[18:19], v[38:39]
	v_pk_add_f32 v[0:1], v[26:27], v[54:55]
	;; [unrolled: 6-line block ×3, first 2 shown]
	v_min3_f32 v109, v32, v33, v40
	v_min3_f32 v32, v12, v13, s12
	v_pk_add_f32 v[12:13], v[20:21], v[66:67]
	v_min3_f32 v96, v0, v1, v51
	v_min3_f32 v33, v12, v13, s12
	v_pk_add_f32 v[12:13], v[2:3], v[38:39]
	v_pk_add_f32 v[0:1], v[18:19], v[54:55]
	v_min3_f32 v108, v12, v13, v41
	v_pk_add_f32 v[12:13], v[14:15], v[34:35]
	v_min3_f32 v95, v0, v1, v48
	v_min3_f32 v107, v12, v13, v105
	v_pk_add_f32 v[12:13], v[22:23], v[34:35]
	v_pk_add_f32 v[0:1], v[10:11], v[54:55]
	v_min3_f32 v106, v12, v13, v106
	v_pk_add_f32 v[12:13], v[26:27], v[34:35]
	v_min3_f32 v94, v0, v1, v71
	;; [unrolled: 2-line block ×6, first 2 shown]
	v_pk_add_f32 v[0:1], v[14:15], v[68:69]
	v_pk_add_f32 v[20:21], v[24:25], v[66:67]
	v_min3_f32 v103, v12, v13, v150
	v_pk_add_f32 v[12:13], v[10:11], v[34:35]
	v_min3_f32 v91, v0, v1, v32
	v_pk_add_f32 v[0:1], v[22:23], v[68:69]
	v_min3_f32 v24, v20, v21, s12
	v_pk_add_f32 v[20:21], v[28:29], v[66:67]
	v_min3_f32 v102, v12, v13, v151
	v_pk_add_f32 v[12:13], v[6:7], v[34:35]
	v_min3_f32 v90, v0, v1, v33
	v_pk_add_f32 v[0:1], v[26:27], v[68:69]
	v_min3_f32 v20, v20, v21, s12
	v_min3_f32 v101, v12, v13, v152
	v_pk_add_f32 v[12:13], v[16:17], v[66:67]
	v_min3_f32 v89, v0, v1, v24
	v_pk_add_f32 v[0:1], v[30:31], v[68:69]
	v_min3_f32 v12, v12, v13, s12
	v_min3_f32 v87, v0, v1, v20
	v_pk_add_f32 v[0:1], v[18:19], v[68:69]
	v_min3_f32 v13, v8, v9, s12
	v_min3_f32 v86, v0, v1, v12
	v_pk_add_f32 v[0:1], v[10:11], v[68:69]
	v_pk_add_f32 v[8:9], v[2:3], v[34:35]
	v_min3_f32 v85, v0, v1, v13
	v_pk_add_f32 v[0:1], v[6:7], v[68:69]
	v_min3_f32 v100, v8, v9, v153
	v_min3_f32 v84, v0, v1, v4
	v_pk_add_f32 v[0:1], v[2:3], v[68:69]
	s_nop 0
	v_min3_f32 v88, v0, v1, v5
	s_cbranch_scc1 .LBB20_56
; %bb.34:
	v_mov_b32_e32 v0, 0x2400
	v_lshl_add_u32 v124, v74, 4, v0
	v_mov_b32_e32 v0, 0x1000
	v_lshl_add_u32 v149, v75, 4, v0
	v_add_u32_e32 v0, 12, v76
	v_mad_i64_i32 v[0:1], s[10:11], v0, s30, 0
	v_lshlrev_b64 v[68:69], 2, v[0:1]
	v_add_u32_e32 v0, 8, v76
	v_mad_i64_i32 v[0:1], s[10:11], v0, s30, 0
	v_or_b32_e32 v80, 0x2000, v79
	v_add_u32_e32 v81, 0x2000, v77
	v_add_u32_e32 v82, 0x2400, v79
	v_or_b32_e32 v83, 0x1000, v79
	s_add_i32 s34, s22, -8
	v_lshl_add_u64 v[66:67], v[56:57], 2, s[28:29]
	s_lshl_b64 s[28:29], s[30:31], 5
	v_lshlrev_b64 v[70:71], 2, v[0:1]
	s_mov_b32 s30, 0
	v_mov_b32_e32 v150, 0x7f7fffff
	s_branch .LBB20_36
.LBB20_35:                              ;   in Loop: Header=BB20_36 Depth=1
	s_or_b64 exec, exec, s[10:11]
	ds_read_b128 v[0:3], v81
	ds_read_b128 v[4:7], v81 offset:128
	ds_read_b128 v[8:11], v81 offset:256
	;; [unrolled: 1-line block ×7, first 2 shown]
	ds_read_b128 v[126:129], v78
	ds_read_b128 v[156:159], v78 offset:512
	ds_read_b128 v[160:163], v78 offset:1024
	;; [unrolled: 1-line block ×7, first 2 shown]
	s_waitcnt lgkmcnt(7)
	v_pk_add_f32 v[72:73], v[0:1], v[126:127]
	s_add_i32 s30, s30, 8
	v_min3_f32 v37, v72, v73, v37
	v_pk_add_f32 v[72:73], v[4:5], v[126:127]
	s_cmp_ge_i32 s30, s34
	v_min3_f32 v121, v72, v73, v40
	v_pk_add_f32 v[72:73], v[8:9], v[126:127]
	v_lshl_add_u64 v[66:67], v[66:67], 0, s[28:29]
	v_min3_f32 v72, v72, v73, v41
	v_pk_add_f32 v[40:41], v[12:13], v[126:127]
	ds_write_b32 v82, v151
	ds_write2st64_b32 v83, v152, v153 offset1:4
	ds_write2st64_b32 v83, v154, v36 offset0:8 offset1:12
	v_min3_f32 v44, v40, v41, v44
	v_pk_add_f32 v[40:41], v[16:17], v[126:127]
	s_waitcnt lgkmcnt(0)
	v_min3_f32 v45, v40, v41, v45
	v_pk_add_f32 v[40:41], v[20:21], v[126:127]
	s_barrier
	v_min3_f32 v48, v40, v41, v48
	v_pk_add_f32 v[40:41], v[24:25], v[126:127]
	s_nop 0
	v_min3_f32 v49, v40, v41, v49
	v_pk_add_f32 v[40:41], v[28:29], v[126:127]
	s_nop 0
	v_min3_f32 v52, v40, v41, v52
	v_pk_add_f32 v[40:41], v[0:1], v[156:157]
	s_nop 0
	v_min3_f32 v53, v40, v41, v53
	v_pk_add_f32 v[40:41], v[4:5], v[156:157]
	s_nop 0
	v_min3_f32 v56, v40, v41, v56
	v_pk_add_f32 v[40:41], v[8:9], v[156:157]
	s_nop 0
	v_min3_f32 v57, v40, v41, v57
	v_pk_add_f32 v[40:41], v[12:13], v[156:157]
	s_nop 0
	v_min3_f32 v60, v40, v41, v60
	v_pk_add_f32 v[40:41], v[16:17], v[156:157]
	s_nop 0
	v_min3_f32 v61, v40, v41, v61
	v_pk_add_f32 v[40:41], v[20:21], v[156:157]
	s_nop 0
	v_min3_f32 v62, v40, v41, v62
	v_pk_add_f32 v[40:41], v[24:25], v[156:157]
	s_nop 0
	v_min3_f32 v63, v40, v41, v63
	v_pk_add_f32 v[40:41], v[28:29], v[156:157]
	s_nop 0
	v_min3_f32 v58, v40, v41, v58
	v_pk_add_f32 v[40:41], v[0:1], v[160:161]
	s_nop 0
	v_min3_f32 v59, v40, v41, v59
	v_pk_add_f32 v[40:41], v[4:5], v[160:161]
	s_nop 0
	v_min3_f32 v73, v40, v41, v84
	v_pk_add_f32 v[40:41], v[8:9], v[160:161]
	s_nop 0
	v_min3_f32 v84, v40, v41, v85
	v_pk_add_f32 v[40:41], v[12:13], v[160:161]
	s_nop 0
	v_min3_f32 v85, v40, v41, v86
	v_pk_add_f32 v[40:41], v[16:17], v[160:161]
	s_nop 0
	v_min3_f32 v86, v40, v41, v87
	v_pk_add_f32 v[40:41], v[20:21], v[160:161]
	s_nop 0
	v_min3_f32 v87, v40, v41, v88
	v_pk_add_f32 v[40:41], v[24:25], v[160:161]
	s_nop 0
	v_min3_f32 v88, v40, v41, v89
	v_pk_add_f32 v[40:41], v[28:29], v[160:161]
	s_nop 0
	v_min3_f32 v54, v40, v41, v54
	v_pk_add_f32 v[40:41], v[0:1], v[164:165]
	s_nop 0
	v_min3_f32 v55, v40, v41, v55
	v_pk_add_f32 v[40:41], v[4:5], v[164:165]
	s_nop 0
	v_min3_f32 v89, v40, v41, v90
	v_pk_add_f32 v[40:41], v[8:9], v[164:165]
	s_nop 0
	v_min3_f32 v90, v40, v41, v91
	v_pk_add_f32 v[40:41], v[12:13], v[164:165]
	s_nop 0
	v_min3_f32 v91, v40, v41, v92
	v_pk_add_f32 v[40:41], v[16:17], v[164:165]
	s_nop 0
	v_min3_f32 v92, v40, v41, v93
	v_pk_add_f32 v[40:41], v[20:21], v[164:165]
	s_nop 0
	v_min3_f32 v93, v40, v41, v94
	v_pk_add_f32 v[40:41], v[24:25], v[164:165]
	s_nop 0
	v_min3_f32 v94, v40, v41, v95
	v_pk_add_f32 v[40:41], v[28:29], v[164:165]
	s_nop 0
	v_min3_f32 v50, v40, v41, v50
	v_pk_add_f32 v[40:41], v[0:1], v[168:169]
	s_nop 0
	v_min3_f32 v51, v40, v41, v51
	v_pk_add_f32 v[40:41], v[4:5], v[168:169]
	s_nop 0
	v_min3_f32 v95, v40, v41, v96
	v_pk_add_f32 v[40:41], v[8:9], v[168:169]
	s_nop 0
	v_min3_f32 v96, v40, v41, v97
	v_pk_add_f32 v[40:41], v[12:13], v[168:169]
	s_nop 0
	v_min3_f32 v97, v40, v41, v98
	v_pk_add_f32 v[40:41], v[16:17], v[168:169]
	s_nop 0
	v_min3_f32 v98, v40, v41, v99
	v_pk_add_f32 v[40:41], v[20:21], v[168:169]
	s_nop 0
	v_min3_f32 v99, v40, v41, v100
	v_pk_add_f32 v[40:41], v[24:25], v[168:169]
	s_nop 0
	v_min3_f32 v100, v40, v41, v101
	v_pk_add_f32 v[40:41], v[28:29], v[168:169]
	s_nop 0
	v_min3_f32 v46, v40, v41, v46
	v_pk_add_f32 v[40:41], v[0:1], v[172:173]
	s_nop 0
	v_min3_f32 v47, v40, v41, v47
	v_pk_add_f32 v[40:41], v[4:5], v[172:173]
	s_nop 0
	v_min3_f32 v101, v40, v41, v102
	v_pk_add_f32 v[40:41], v[8:9], v[172:173]
	s_nop 0
	v_min3_f32 v102, v40, v41, v103
	v_pk_add_f32 v[40:41], v[12:13], v[172:173]
	s_nop 0
	v_min3_f32 v103, v40, v41, v104
	v_pk_add_f32 v[40:41], v[16:17], v[172:173]
	s_nop 0
	v_min3_f32 v155, v40, v41, v105
	v_pk_add_f32 v[40:41], v[20:21], v[172:173]
	s_nop 0
	v_min3_f32 v156, v40, v41, v106
	v_pk_add_f32 v[40:41], v[24:25], v[172:173]
	s_nop 0
	v_min3_f32 v157, v40, v41, v107
	v_pk_add_f32 v[40:41], v[28:29], v[172:173]
	s_nop 0
	v_min3_f32 v42, v40, v41, v42
	v_pk_add_f32 v[40:41], v[0:1], v[176:177]
	v_pk_add_f32 v[0:1], v[0:1], v[32:33]
	v_min3_f32 v43, v40, v41, v43
	v_min3_f32 v39, v0, v1, v39
	v_pk_add_f32 v[0:1], v[4:5], v[32:33]
	v_pk_add_f32 v[40:41], v[4:5], v[176:177]
	v_min3_f32 v4, v0, v1, v114
	v_pk_add_f32 v[0:1], v[8:9], v[32:33]
	v_min3_f32 v160, v40, v41, v108
	v_min3_f32 v5, v0, v1, v115
	v_pk_add_f32 v[0:1], v[12:13], v[32:33]
	v_pk_add_f32 v[40:41], v[8:9], v[176:177]
	v_min3_f32 v8, v0, v1, v116
	;; [unrolled: 6-line block ×7, first 2 shown]
	v_pk_add_f32 v[0:1], v[26:27], v[128:129]
	v_min3_f32 v38, v40, v41, v38
	v_min3_f32 v142, v0, v1, v49
	v_pk_add_f32 v[0:1], v[30:31], v[128:129]
	s_nop 0
	v_min3_f32 v141, v0, v1, v52
	v_pk_add_f32 v[0:1], v[2:3], v[158:159]
	s_nop 0
	;; [unrolled: 3-line block ×57, first 2 shown]
	v_min3_f32 v88, v0, v1, v16
	s_cbranch_scc1 .LBB20_56
.LBB20_36:                              ; =>This Inner Loop Header: Depth=1
	v_add_u32_e32 v72, s30, v76
	v_add_u32_e32 v0, 8, v72
	v_cmp_le_i32_e64 s[10:11], s22, v0
	s_or_b64 s[12:13], vcc, s[10:11]
	v_cndmask_b32_e64 v73, 0, v150, s[12:13]
	s_or_b64 s[12:13], s[18:19], s[12:13]
	s_xor_b64 s[40:41], s[12:13], -1
	s_and_saveexec_b64 s[12:13], s[40:41]
	s_cbranch_execz .LBB20_38
; %bb.37:                               ;   in Loop: Header=BB20_36 Depth=1
	v_lshl_add_u64 v[2:3], v[66:67], 0, v[70:71]
	flat_load_dword v1, v[2:3]
	s_waitcnt vmcnt(0) lgkmcnt(0)
	v_mul_f32_e32 v73, s23, v1
.LBB20_38:                              ;   in Loop: Header=BB20_36 Depth=1
	s_or_b64 exec, exec, s[12:13]
	v_min_i32_e32 v0, s38, v0
	v_mad_i64_i32 v[0:1], s[12:13], v0, s39, 0
	s_or_b64 s[12:13], s[2:3], s[10:11]
	v_lshl_add_u64 v[0:1], v[0:1], 2, s[26:27]
	v_cndmask_b32_e64 v151, 0, v150, s[12:13]
	s_or_b64 s[12:13], s[18:19], s[12:13]
	s_xor_b64 s[40:41], s[12:13], -1
	v_lshl_add_u64 v[0:1], v[64:65], 2, v[0:1]
	s_and_saveexec_b64 s[12:13], s[40:41]
	s_cbranch_execz .LBB20_40
; %bb.39:                               ;   in Loop: Header=BB20_36 Depth=1
	flat_load_dword v2, v[0:1]
	s_waitcnt vmcnt(0) lgkmcnt(0)
	v_mul_f32_e32 v151, s23, v2
.LBB20_40:                              ;   in Loop: Header=BB20_36 Depth=1
	s_or_b64 exec, exec, s[12:13]
	s_or_b64 s[12:13], s[4:5], s[10:11]
	v_cndmask_b32_e64 v152, 0, v150, s[12:13]
	s_or_b64 s[12:13], s[18:19], s[12:13]
	s_xor_b64 s[40:41], s[12:13], -1
	s_and_saveexec_b64 s[12:13], s[40:41]
	s_cbranch_execz .LBB20_42
; %bb.41:                               ;   in Loop: Header=BB20_36 Depth=1
	flat_load_dword v2, v[0:1] offset:256
	s_waitcnt vmcnt(0) lgkmcnt(0)
	v_mul_f32_e32 v152, s23, v2
.LBB20_42:                              ;   in Loop: Header=BB20_36 Depth=1
	s_or_b64 exec, exec, s[12:13]
	s_or_b64 s[12:13], s[6:7], s[10:11]
	v_cndmask_b32_e64 v153, 0, v150, s[12:13]
	s_or_b64 s[12:13], s[18:19], s[12:13]
	s_xor_b64 s[40:41], s[12:13], -1
	s_and_saveexec_b64 s[12:13], s[40:41]
	s_cbranch_execz .LBB20_44
; %bb.43:                               ;   in Loop: Header=BB20_36 Depth=1
	flat_load_dword v2, v[0:1] offset:512
	s_waitcnt vmcnt(0) lgkmcnt(0)
	v_mul_f32_e32 v153, s23, v2
.LBB20_44:                              ;   in Loop: Header=BB20_36 Depth=1
	;; [unrolled: 12-line block ×3, first 2 shown]
	s_or_b64 exec, exec, s[10:11]
	ds_read_b128 v[28:31], v124
	ds_read_b128 v[24:27], v124 offset:128
	ds_read_b128 v[20:23], v124 offset:256
	;; [unrolled: 1-line block ×7, first 2 shown]
	ds_read_b128 v[60:63], v149
	ds_read_b128 v[56:59], v149 offset:512
	ds_read_b128 v[52:55], v149 offset:1024
	ds_read_b128 v[48:51], v149 offset:1536
	ds_read_b128 v[44:47], v149 offset:2048
	ds_read_b128 v[40:43], v149 offset:2560
	ds_read_b128 v[36:39], v149 offset:3072
	ds_read_b128 v[32:35], v149 offset:3584
	v_add_u32_e32 v72, 12, v72
	v_cmp_le_i32_e64 s[10:11], s22, v72
	s_or_b64 s[12:13], vcc, s[10:11]
	ds_write_b32 v80, v73
	ds_write2st64_b32 v79, v151, v152 offset1:4
	ds_write2st64_b32 v79, v153, v154 offset0:8 offset1:12
	v_cndmask_b32_e64 v151, 0, v150, s[12:13]
	s_or_b64 s[12:13], s[18:19], s[12:13]
	s_xor_b64 s[40:41], s[12:13], -1
	s_waitcnt lgkmcnt(0)
	s_barrier
	s_and_saveexec_b64 s[12:13], s[40:41]
	s_cbranch_execz .LBB20_48
; %bb.47:                               ;   in Loop: Header=BB20_36 Depth=1
	v_lshl_add_u64 v[152:153], v[66:67], 0, v[68:69]
	flat_load_dword v73, v[152:153]
	s_waitcnt vmcnt(0) lgkmcnt(0)
	v_mul_f32_e32 v151, s23, v73
.LBB20_48:                              ;   in Loop: Header=BB20_36 Depth=1
	s_or_b64 exec, exec, s[12:13]
	v_min_i32_e32 v72, s38, v72
	v_mad_i64_i32 v[72:73], s[12:13], v72, s39, 0
	s_or_b64 s[12:13], s[2:3], s[10:11]
	v_lshl_add_u64 v[72:73], v[72:73], 2, s[26:27]
	v_cndmask_b32_e64 v152, 0, v150, s[12:13]
	s_or_b64 s[12:13], s[18:19], s[12:13]
	s_xor_b64 s[40:41], s[12:13], -1
	v_lshl_add_u64 v[72:73], v[64:65], 2, v[72:73]
	s_and_saveexec_b64 s[12:13], s[40:41]
	s_cbranch_execz .LBB20_50
; %bb.49:                               ;   in Loop: Header=BB20_36 Depth=1
	flat_load_dword v152, v[72:73]
	s_waitcnt vmcnt(0) lgkmcnt(0)
	v_mul_f32_e32 v152, s23, v152
.LBB20_50:                              ;   in Loop: Header=BB20_36 Depth=1
	s_or_b64 exec, exec, s[12:13]
	s_or_b64 s[12:13], s[4:5], s[10:11]
	v_cndmask_b32_e64 v153, 0, v150, s[12:13]
	s_or_b64 s[12:13], s[18:19], s[12:13]
	s_xor_b64 s[40:41], s[12:13], -1
	s_and_saveexec_b64 s[12:13], s[40:41]
	s_cbranch_execz .LBB20_52
; %bb.51:                               ;   in Loop: Header=BB20_36 Depth=1
	flat_load_dword v153, v[72:73] offset:256
	s_waitcnt vmcnt(0) lgkmcnt(0)
	v_mul_f32_e32 v153, s23, v153
.LBB20_52:                              ;   in Loop: Header=BB20_36 Depth=1
	s_or_b64 exec, exec, s[12:13]
	s_or_b64 s[12:13], s[6:7], s[10:11]
	v_cndmask_b32_e64 v154, 0, v150, s[12:13]
	s_or_b64 s[12:13], s[18:19], s[12:13]
	s_xor_b64 s[40:41], s[12:13], -1
	s_and_saveexec_b64 s[12:13], s[40:41]
	s_cbranch_execz .LBB20_54
; %bb.53:                               ;   in Loop: Header=BB20_36 Depth=1
	flat_load_dword v154, v[72:73] offset:512
	s_waitcnt vmcnt(0) lgkmcnt(0)
	v_mul_f32_e32 v154, s23, v154
.LBB20_54:                              ;   in Loop: Header=BB20_36 Depth=1
	s_or_b64 exec, exec, s[12:13]
	v_pk_add_f32 v[156:157], v[28:29], v[60:61]
	s_or_b64 s[10:11], s[8:9], s[10:11]
	v_min3_f32 v148, v156, v157, v148
	v_pk_add_f32 v[156:157], v[24:25], v[60:61]
	s_nop 0
	v_min3_f32 v155, v156, v157, v147
	v_pk_add_f32 v[156:157], v[20:21], v[60:61]
	s_nop 0
	v_min3_f32 v156, v156, v157, v146
	v_pk_add_f32 v[146:147], v[16:17], v[60:61]
	s_nop 0
	v_min3_f32 v157, v146, v147, v145
	v_pk_add_f32 v[146:147], v[12:13], v[60:61]
	s_nop 0
	v_min3_f32 v146, v146, v147, v144
	v_pk_add_f32 v[144:145], v[8:9], v[60:61]
	s_nop 0
	v_min3_f32 v143, v144, v145, v143
	v_pk_add_f32 v[144:145], v[4:5], v[60:61]
	v_pk_add_f32 v[60:61], v[0:1], v[60:61]
	v_min3_f32 v142, v144, v145, v142
	v_min3_f32 v141, v60, v61, v141
	v_pk_add_f32 v[60:61], v[28:29], v[56:57]
	s_nop 0
	v_min3_f32 v140, v60, v61, v140
	v_pk_add_f32 v[60:61], v[24:25], v[56:57]
	s_nop 0
	v_min3_f32 v139, v60, v61, v139
	v_pk_add_f32 v[60:61], v[20:21], v[56:57]
	s_nop 0
	v_min3_f32 v138, v60, v61, v138
	v_pk_add_f32 v[60:61], v[16:17], v[56:57]
	s_nop 0
	v_min3_f32 v137, v60, v61, v137
	v_pk_add_f32 v[60:61], v[12:13], v[56:57]
	s_nop 0
	v_min3_f32 v136, v60, v61, v136
	v_pk_add_f32 v[60:61], v[8:9], v[56:57]
	s_nop 0
	v_min3_f32 v134, v60, v61, v134
	v_pk_add_f32 v[60:61], v[4:5], v[56:57]
	v_pk_add_f32 v[56:57], v[0:1], v[56:57]
	v_min3_f32 v132, v60, v61, v132
	v_min3_f32 v135, v56, v57, v135
	v_pk_add_f32 v[56:57], v[28:29], v[52:53]
	s_nop 0
	;; [unrolled: 22-line block ×5, first 2 shown]
	v_min3_f32 v107, v44, v45, v107
	v_pk_add_f32 v[44:45], v[24:25], v[40:41]
	s_nop 0
	v_min3_f32 v106, v44, v45, v106
	v_pk_add_f32 v[44:45], v[20:21], v[40:41]
	s_nop 0
	;; [unrolled: 3-line block ×5, first 2 shown]
	v_min3_f32 v145, v44, v45, v102
	v_pk_add_f32 v[44:45], v[4:5], v[40:41]
	v_pk_add_f32 v[40:41], v[0:1], v[40:41]
	v_min3_f32 v147, v44, v45, v101
	v_min3_f32 v158, v40, v41, v100
	v_pk_add_f32 v[40:41], v[28:29], v[36:37]
	v_pk_add_f32 v[28:29], v[28:29], v[32:33]
	v_min3_f32 v159, v40, v41, v99
	v_pk_add_f32 v[40:41], v[24:25], v[36:37]
	v_pk_add_f32 v[24:25], v[24:25], v[32:33]
	;; [unrolled: 3-line block ×7, first 2 shown]
	v_pk_add_f32 v[4:5], v[4:5], v[32:33]
	v_pk_add_f32 v[0:1], v[0:1], v[32:33]
	v_min3_f32 v4, v4, v5, v84
	v_min3_f32 v5, v0, v1, v88
	v_pk_add_f32 v[0:1], v[30:31], v[62:63]
	v_min3_f32 v36, v36, v37, v92
	v_min3_f32 v37, v0, v1, v148
	v_pk_add_f32 v[0:1], v[26:27], v[62:63]
	v_min3_f32 v165, v40, v41, v93
	v_min3_f32 v40, v0, v1, v155
	v_pk_add_f32 v[0:1], v[22:23], v[62:63]
	v_min3_f32 v8, v8, v9, v85
	v_min3_f32 v41, v0, v1, v156
	v_pk_add_f32 v[0:1], v[18:19], v[62:63]
	v_min3_f32 v12, v12, v13, v86
	v_min3_f32 v44, v0, v1, v157
	v_pk_add_f32 v[0:1], v[14:15], v[62:63]
	v_min3_f32 v16, v16, v17, v87
	v_min3_f32 v45, v0, v1, v146
	v_pk_add_f32 v[0:1], v[10:11], v[62:63]
	v_min3_f32 v20, v20, v21, v89
	v_min3_f32 v48, v0, v1, v143
	v_pk_add_f32 v[0:1], v[6:7], v[62:63]
	v_min3_f32 v24, v24, v25, v90
	v_min3_f32 v49, v0, v1, v142
	v_pk_add_f32 v[0:1], v[2:3], v[62:63]
	v_min3_f32 v28, v28, v29, v91
	v_min3_f32 v52, v0, v1, v141
	v_pk_add_f32 v[0:1], v[30:31], v[58:59]
	s_nop 0
	v_min3_f32 v53, v0, v1, v140
	v_pk_add_f32 v[0:1], v[26:27], v[58:59]
	s_nop 0
	v_min3_f32 v56, v0, v1, v139
	;; [unrolled: 3-line block ×48, first 2 shown]
	v_pk_add_f32 v[0:1], v[30:31], v[34:35]
	v_cndmask_b32_e64 v36, 0, v150, s[10:11]
	v_min3_f32 v39, v0, v1, v28
	v_pk_add_f32 v[0:1], v[26:27], v[34:35]
	s_or_b64 s[10:11], s[18:19], s[10:11]
	v_min3_f32 v114, v0, v1, v24
	v_pk_add_f32 v[0:1], v[22:23], v[34:35]
	s_xor_b64 s[12:13], s[10:11], -1
	v_min3_f32 v115, v0, v1, v20
	v_pk_add_f32 v[0:1], v[18:19], v[34:35]
	s_nop 0
	v_min3_f32 v116, v0, v1, v16
	v_pk_add_f32 v[0:1], v[14:15], v[34:35]
	s_nop 0
	;; [unrolled: 3-line block ×5, first 2 shown]
	v_min3_f32 v120, v0, v1, v5
	s_and_saveexec_b64 s[10:11], s[12:13]
	s_cbranch_execz .LBB20_35
; %bb.55:                               ;   in Loop: Header=BB20_36 Depth=1
	flat_load_dword v0, v[72:73] offset:768
	s_waitcnt vmcnt(0) lgkmcnt(0)
	v_mul_f32_e32 v36, s23, v0
	s_branch .LBB20_35
.LBB20_56:
	s_load_dwordx2 s[2:3], s[0:1], 0x70
	s_load_dword s29, s[0:1], 0x50
	s_load_dword s28, s[0:1], 0x68
	ds_read_b128 v[32:35], v77 offset:9216
	ds_read_b128 v[28:31], v77 offset:9344
	;; [unrolled: 1-line block ×16, first 2 shown]
	s_waitcnt lgkmcnt(0)
	s_lshl_b64 s[0:1], s[2:3], 2
	s_add_u32 s22, s16, s0
	v_add_u32_e32 v124, s37, v75
	s_addc_u32 s23, s17, s1
	v_mad_i64_i32 v[66:67], s[0:1], v124, s29, 0
	v_add_u32_e32 v64, s36, v74
	v_lshl_add_u64 v[82:83], v[66:67], 2, s[24:25]
	v_mad_i64_i32 v[66:67], s[0:1], v124, s28, 0
	v_cmp_gt_i32_e64 s[18:19], s21, v124
	v_lshl_add_u64 v[80:81], v[66:67], 2, s[22:23]
	v_cmp_gt_i32_e64 s[2:3], s20, v64
	v_cndmask_b32_e64 v66, 0, 1, s[14:15]
	s_and_b64 s[6:7], s[2:3], s[18:19]
	v_ashrrev_i32_e32 v65, 31, v64
	v_cmp_ne_u32_e64 s[0:1], 1, v66
	s_and_saveexec_b64 s[4:5], s[6:7]
	s_cbranch_execz .LBB20_61
; %bb.57:
	s_and_b64 vcc, exec, s[0:1]
	s_cbranch_vccnz .LBB20_59
; %bb.58:
	v_lshl_add_u64 v[66:67], v[64:65], 2, v[82:83]
	flat_load_dword v66, v[66:67]
	s_waitcnt vmcnt(0) lgkmcnt(0)
	v_mul_f32_e32 v66, s33, v66
	s_branch .LBB20_60
.LBB20_59:
	v_mov_b32_e32 v66, 0
.LBB20_60:
	v_pk_add_f32 v[68:69], v[32:33], v[60:61]
	s_nop 0
	v_min3_f32 v67, v68, v69, v148
	v_pk_add_f32 v[68:69], v[34:35], v[62:63]
	s_nop 0
	v_min_f32_e32 v68, v68, v69
	v_min3_f32 v68, v66, v68, v67
	v_lshl_add_u64 v[66:67], v[64:65], 2, v[80:81]
	global_store_dword v[66:67], v68, off
.LBB20_61:
	s_or_b64 exec, exec, s[4:5]
	v_add_u32_e32 v66, 8, v64
	v_cmp_gt_i32_e64 s[4:5], s20, v66
	s_and_b64 s[8:9], s[4:5], s[18:19]
	v_ashrrev_i32_e32 v67, 31, v66
	s_and_saveexec_b64 s[6:7], s[8:9]
	s_cbranch_execz .LBB20_66
; %bb.62:
	s_and_b64 vcc, exec, s[0:1]
	s_cbranch_vccnz .LBB20_64
; %bb.63:
	v_lshl_add_u64 v[68:69], v[66:67], 2, v[82:83]
	flat_load_dword v68, v[68:69]
	s_waitcnt vmcnt(0) lgkmcnt(0)
	v_mul_f32_e32 v68, s33, v68
	s_branch .LBB20_65
.LBB20_64:
	v_mov_b32_e32 v68, 0
.LBB20_65:
	v_pk_add_f32 v[70:71], v[28:29], v[60:61]
	s_nop 0
	v_min3_f32 v69, v70, v71, v147
	v_pk_add_f32 v[70:71], v[30:31], v[62:63]
	s_nop 0
	v_min_f32_e32 v70, v70, v71
	v_min3_f32 v70, v68, v70, v69
	v_lshl_add_u64 v[68:69], v[66:67], 2, v[80:81]
	global_store_dword v[68:69], v70, off
.LBB20_66:
	s_or_b64 exec, exec, s[6:7]
	v_add_u32_e32 v68, 16, v64
	v_cmp_gt_i32_e64 s[6:7], s20, v68
	s_and_b64 s[10:11], s[6:7], s[18:19]
	v_ashrrev_i32_e32 v69, 31, v68
	;; [unrolled: 29-line block ×7, first 2 shown]
	s_and_saveexec_b64 s[18:19], s[26:27]
	s_cbranch_execz .LBB20_96
; %bb.92:
	s_and_b64 vcc, exec, s[0:1]
	s_cbranch_vccnz .LBB20_94
; %bb.93:
	v_lshl_add_u64 v[82:83], v[78:79], 2, v[82:83]
	flat_load_dword v82, v[82:83]
	s_waitcnt vmcnt(0) lgkmcnt(0)
	v_mul_f32_e32 v82, s33, v82
	s_branch .LBB20_95
.LBB20_94:
	v_mov_b32_e32 v82, 0
.LBB20_95:
	v_pk_add_f32 v[60:61], v[0:1], v[60:61]
	s_nop 0
	v_min3_f32 v83, v60, v61, v141
	v_pk_add_f32 v[60:61], v[2:3], v[62:63]
	s_nop 0
	v_min_f32_e32 v60, v60, v61
	v_min3_f32 v62, v82, v60, v83
	v_lshl_add_u64 v[60:61], v[78:79], 2, v[80:81]
	global_store_dword v[60:61], v62, off
.LBB20_96:
	s_or_b64 exec, exec, s[18:19]
	v_add_u32_e32 v80, 32, v124
	v_mad_i64_i32 v[60:61], s[26:27], v80, s29, 0
	v_cmp_gt_i32_e64 s[18:19], s21, v80
	v_lshl_add_u64 v[62:63], v[60:61], 2, s[24:25]
	v_mad_i64_i32 v[60:61], s[26:27], v80, s28, 0
	v_lshl_add_u64 v[60:61], v[60:61], 2, s[22:23]
	s_and_b64 s[30:31], s[2:3], s[18:19]
	s_and_saveexec_b64 s[26:27], s[30:31]
	s_cbranch_execnz .LBB20_104
; %bb.97:
	s_or_b64 exec, exec, s[26:27]
	s_and_b64 s[30:31], s[4:5], s[18:19]
	s_and_saveexec_b64 s[26:27], s[30:31]
	s_cbranch_execnz .LBB20_108
.LBB20_98:
	s_or_b64 exec, exec, s[26:27]
	s_and_b64 s[30:31], s[6:7], s[18:19]
	s_and_saveexec_b64 s[26:27], s[30:31]
	s_cbranch_execnz .LBB20_112
.LBB20_99:
	s_or_b64 exec, exec, s[26:27]
	s_and_b64 s[30:31], s[8:9], s[18:19]
	s_and_saveexec_b64 s[26:27], s[30:31]
	s_cbranch_execnz .LBB20_116
.LBB20_100:
	s_or_b64 exec, exec, s[26:27]
	s_and_b64 s[30:31], s[10:11], s[18:19]
	s_and_saveexec_b64 s[26:27], s[30:31]
	s_cbranch_execnz .LBB20_120
.LBB20_101:
	s_or_b64 exec, exec, s[26:27]
	s_and_b64 s[30:31], s[12:13], s[18:19]
	s_and_saveexec_b64 s[26:27], s[30:31]
	s_cbranch_execnz .LBB20_124
.LBB20_102:
	s_or_b64 exec, exec, s[26:27]
	s_and_b64 s[30:31], s[14:15], s[18:19]
	s_and_saveexec_b64 s[26:27], s[30:31]
	s_cbranch_execnz .LBB20_128
.LBB20_103:
	s_or_b64 exec, exec, s[26:27]
	s_and_b64 s[26:27], s[16:17], s[18:19]
	s_and_saveexec_b64 s[18:19], s[26:27]
	s_cbranch_execnz .LBB20_132
	s_branch .LBB20_136
.LBB20_104:
	s_and_b64 vcc, exec, s[0:1]
	s_cbranch_vccnz .LBB20_106
; %bb.105:
	v_lshl_add_u64 v[80:81], v[64:65], 2, v[62:63]
	flat_load_dword v80, v[80:81]
	s_waitcnt vmcnt(0) lgkmcnt(0)
	v_mul_f32_e32 v80, s33, v80
	s_branch .LBB20_107
.LBB20_106:
	v_mov_b32_e32 v80, 0
.LBB20_107:
	v_pk_add_f32 v[82:83], v[32:33], v[56:57]
	s_nop 0
	v_min3_f32 v81, v82, v83, v140
	v_pk_add_f32 v[82:83], v[34:35], v[58:59]
	s_nop 0
	v_min_f32_e32 v82, v82, v83
	v_min3_f32 v82, v80, v82, v81
	v_lshl_add_u64 v[80:81], v[64:65], 2, v[60:61]
	global_store_dword v[80:81], v82, off
	s_or_b64 exec, exec, s[26:27]
	s_and_b64 s[30:31], s[4:5], s[18:19]
	s_and_saveexec_b64 s[26:27], s[30:31]
	s_cbranch_execz .LBB20_98
.LBB20_108:
	s_and_b64 vcc, exec, s[0:1]
	s_cbranch_vccnz .LBB20_110
; %bb.109:
	v_lshl_add_u64 v[80:81], v[66:67], 2, v[62:63]
	flat_load_dword v80, v[80:81]
	s_waitcnt vmcnt(0) lgkmcnt(0)
	v_mul_f32_e32 v80, s33, v80
	s_branch .LBB20_111
.LBB20_110:
	v_mov_b32_e32 v80, 0
.LBB20_111:
	v_pk_add_f32 v[82:83], v[28:29], v[56:57]
	s_nop 0
	v_min3_f32 v81, v82, v83, v139
	v_pk_add_f32 v[82:83], v[30:31], v[58:59]
	s_nop 0
	v_min_f32_e32 v82, v82, v83
	v_min3_f32 v82, v80, v82, v81
	v_lshl_add_u64 v[80:81], v[66:67], 2, v[60:61]
	global_store_dword v[80:81], v82, off
	s_or_b64 exec, exec, s[26:27]
	s_and_b64 s[30:31], s[6:7], s[18:19]
	s_and_saveexec_b64 s[26:27], s[30:31]
	s_cbranch_execz .LBB20_99
.LBB20_112:
	s_and_b64 vcc, exec, s[0:1]
	s_cbranch_vccnz .LBB20_114
; %bb.113:
	v_lshl_add_u64 v[80:81], v[68:69], 2, v[62:63]
	flat_load_dword v80, v[80:81]
	s_waitcnt vmcnt(0) lgkmcnt(0)
	v_mul_f32_e32 v80, s33, v80
	s_branch .LBB20_115
.LBB20_114:
	v_mov_b32_e32 v80, 0
.LBB20_115:
	v_pk_add_f32 v[82:83], v[24:25], v[56:57]
	s_nop 0
	v_min3_f32 v81, v82, v83, v138
	v_pk_add_f32 v[82:83], v[26:27], v[58:59]
	s_nop 0
	v_min_f32_e32 v82, v82, v83
	v_min3_f32 v82, v80, v82, v81
	v_lshl_add_u64 v[80:81], v[68:69], 2, v[60:61]
	global_store_dword v[80:81], v82, off
	s_or_b64 exec, exec, s[26:27]
	s_and_b64 s[30:31], s[8:9], s[18:19]
	s_and_saveexec_b64 s[26:27], s[30:31]
	s_cbranch_execz .LBB20_100
.LBB20_116:
	s_and_b64 vcc, exec, s[0:1]
	s_cbranch_vccnz .LBB20_118
; %bb.117:
	v_lshl_add_u64 v[80:81], v[70:71], 2, v[62:63]
	flat_load_dword v80, v[80:81]
	s_waitcnt vmcnt(0) lgkmcnt(0)
	v_mul_f32_e32 v80, s33, v80
	s_branch .LBB20_119
.LBB20_118:
	v_mov_b32_e32 v80, 0
.LBB20_119:
	v_pk_add_f32 v[82:83], v[20:21], v[56:57]
	s_nop 0
	v_min3_f32 v81, v82, v83, v137
	v_pk_add_f32 v[82:83], v[22:23], v[58:59]
	s_nop 0
	v_min_f32_e32 v82, v82, v83
	v_min3_f32 v82, v80, v82, v81
	v_lshl_add_u64 v[80:81], v[70:71], 2, v[60:61]
	global_store_dword v[80:81], v82, off
	s_or_b64 exec, exec, s[26:27]
	s_and_b64 s[30:31], s[10:11], s[18:19]
	s_and_saveexec_b64 s[26:27], s[30:31]
	s_cbranch_execz .LBB20_101
.LBB20_120:
	s_and_b64 vcc, exec, s[0:1]
	s_cbranch_vccnz .LBB20_122
; %bb.121:
	v_lshl_add_u64 v[80:81], v[72:73], 2, v[62:63]
	flat_load_dword v80, v[80:81]
	s_waitcnt vmcnt(0) lgkmcnt(0)
	v_mul_f32_e32 v80, s33, v80
	s_branch .LBB20_123
.LBB20_122:
	v_mov_b32_e32 v80, 0
.LBB20_123:
	v_pk_add_f32 v[82:83], v[16:17], v[56:57]
	s_nop 0
	v_min3_f32 v81, v82, v83, v136
	v_pk_add_f32 v[82:83], v[18:19], v[58:59]
	s_nop 0
	v_min_f32_e32 v82, v82, v83
	v_min3_f32 v82, v80, v82, v81
	v_lshl_add_u64 v[80:81], v[72:73], 2, v[60:61]
	global_store_dword v[80:81], v82, off
	s_or_b64 exec, exec, s[26:27]
	s_and_b64 s[30:31], s[12:13], s[18:19]
	s_and_saveexec_b64 s[26:27], s[30:31]
	s_cbranch_execz .LBB20_102
.LBB20_124:
	s_and_b64 vcc, exec, s[0:1]
	s_cbranch_vccnz .LBB20_126
; %bb.125:
	v_lshl_add_u64 v[80:81], v[74:75], 2, v[62:63]
	flat_load_dword v80, v[80:81]
	s_waitcnt vmcnt(0) lgkmcnt(0)
	v_mul_f32_e32 v80, s33, v80
	s_branch .LBB20_127
.LBB20_126:
	v_mov_b32_e32 v80, 0
.LBB20_127:
	v_pk_add_f32 v[82:83], v[12:13], v[56:57]
	s_nop 0
	v_min3_f32 v81, v82, v83, v134
	v_pk_add_f32 v[82:83], v[14:15], v[58:59]
	s_nop 0
	v_min_f32_e32 v82, v82, v83
	v_min3_f32 v82, v80, v82, v81
	v_lshl_add_u64 v[80:81], v[74:75], 2, v[60:61]
	global_store_dword v[80:81], v82, off
	s_or_b64 exec, exec, s[26:27]
	s_and_b64 s[30:31], s[14:15], s[18:19]
	s_and_saveexec_b64 s[26:27], s[30:31]
	s_cbranch_execz .LBB20_103
.LBB20_128:
	s_and_b64 vcc, exec, s[0:1]
	s_cbranch_vccnz .LBB20_130
; %bb.129:
	v_lshl_add_u64 v[80:81], v[76:77], 2, v[62:63]
	flat_load_dword v80, v[80:81]
	s_waitcnt vmcnt(0) lgkmcnt(0)
	v_mul_f32_e32 v80, s33, v80
	s_branch .LBB20_131
.LBB20_130:
	v_mov_b32_e32 v80, 0
.LBB20_131:
	v_pk_add_f32 v[82:83], v[8:9], v[56:57]
	s_nop 0
	v_min3_f32 v81, v82, v83, v132
	v_pk_add_f32 v[82:83], v[10:11], v[58:59]
	s_nop 0
	v_min_f32_e32 v82, v82, v83
	v_min3_f32 v82, v80, v82, v81
	v_lshl_add_u64 v[80:81], v[76:77], 2, v[60:61]
	global_store_dword v[80:81], v82, off
	s_or_b64 exec, exec, s[26:27]
	s_and_b64 s[26:27], s[16:17], s[18:19]
	s_and_saveexec_b64 s[18:19], s[26:27]
	s_cbranch_execz .LBB20_136
.LBB20_132:
	s_and_b64 vcc, exec, s[0:1]
	s_cbranch_vccnz .LBB20_134
; %bb.133:
	v_lshl_add_u64 v[62:63], v[78:79], 2, v[62:63]
	flat_load_dword v62, v[62:63]
	s_waitcnt vmcnt(0) lgkmcnt(0)
	v_mul_f32_e32 v62, s33, v62
	s_branch .LBB20_135
.LBB20_134:
	v_mov_b32_e32 v62, 0
.LBB20_135:
	v_pk_add_f32 v[56:57], v[0:1], v[56:57]
	s_nop 0
	v_min3_f32 v63, v56, v57, v135
	v_pk_add_f32 v[56:57], v[2:3], v[58:59]
	s_nop 0
	v_min_f32_e32 v56, v56, v57
	v_min3_f32 v58, v62, v56, v63
	v_lshl_add_u64 v[56:57], v[78:79], 2, v[60:61]
	global_store_dword v[56:57], v58, off
.LBB20_136:
	s_or_b64 exec, exec, s[18:19]
	v_add_u32_e32 v60, 64, v124
	v_mad_i64_i32 v[56:57], s[26:27], v60, s29, 0
	v_cmp_gt_i32_e64 s[18:19], s21, v60
	v_lshl_add_u64 v[58:59], v[56:57], 2, s[24:25]
	v_mad_i64_i32 v[56:57], s[26:27], v60, s28, 0
	v_lshl_add_u64 v[56:57], v[56:57], 2, s[22:23]
	s_and_b64 s[30:31], s[2:3], s[18:19]
	s_and_saveexec_b64 s[26:27], s[30:31]
	s_cbranch_execnz .LBB20_144
; %bb.137:
	s_or_b64 exec, exec, s[26:27]
	s_and_b64 s[30:31], s[4:5], s[18:19]
	s_and_saveexec_b64 s[26:27], s[30:31]
	s_cbranch_execnz .LBB20_148
.LBB20_138:
	s_or_b64 exec, exec, s[26:27]
	s_and_b64 s[30:31], s[6:7], s[18:19]
	s_and_saveexec_b64 s[26:27], s[30:31]
	s_cbranch_execnz .LBB20_152
.LBB20_139:
	s_or_b64 exec, exec, s[26:27]
	s_and_b64 s[30:31], s[8:9], s[18:19]
	s_and_saveexec_b64 s[26:27], s[30:31]
	s_cbranch_execnz .LBB20_156
.LBB20_140:
	s_or_b64 exec, exec, s[26:27]
	s_and_b64 s[30:31], s[10:11], s[18:19]
	s_and_saveexec_b64 s[26:27], s[30:31]
	s_cbranch_execnz .LBB20_160
.LBB20_141:
	s_or_b64 exec, exec, s[26:27]
	s_and_b64 s[30:31], s[12:13], s[18:19]
	s_and_saveexec_b64 s[26:27], s[30:31]
	s_cbranch_execnz .LBB20_164
.LBB20_142:
	s_or_b64 exec, exec, s[26:27]
	s_and_b64 s[30:31], s[14:15], s[18:19]
	s_and_saveexec_b64 s[26:27], s[30:31]
	s_cbranch_execnz .LBB20_168
.LBB20_143:
	s_or_b64 exec, exec, s[26:27]
	s_and_b64 s[26:27], s[16:17], s[18:19]
	s_and_saveexec_b64 s[18:19], s[26:27]
	s_cbranch_execnz .LBB20_172
	s_branch .LBB20_176
.LBB20_144:
	s_and_b64 vcc, exec, s[0:1]
	s_cbranch_vccnz .LBB20_146
; %bb.145:
	v_lshl_add_u64 v[60:61], v[64:65], 2, v[58:59]
	flat_load_dword v60, v[60:61]
	s_waitcnt vmcnt(0) lgkmcnt(0)
	v_mul_f32_e32 v60, s33, v60
	s_branch .LBB20_147
.LBB20_146:
	v_mov_b32_e32 v60, 0
.LBB20_147:
	v_pk_add_f32 v[62:63], v[32:33], v[52:53]
	s_nop 0
	v_min3_f32 v61, v62, v63, v133
	v_pk_add_f32 v[62:63], v[34:35], v[54:55]
	s_nop 0
	v_min_f32_e32 v62, v62, v63
	v_min3_f32 v62, v60, v62, v61
	v_lshl_add_u64 v[60:61], v[64:65], 2, v[56:57]
	global_store_dword v[60:61], v62, off
	s_or_b64 exec, exec, s[26:27]
	s_and_b64 s[30:31], s[4:5], s[18:19]
	s_and_saveexec_b64 s[26:27], s[30:31]
	s_cbranch_execz .LBB20_138
.LBB20_148:
	s_and_b64 vcc, exec, s[0:1]
	s_cbranch_vccnz .LBB20_150
; %bb.149:
	v_lshl_add_u64 v[60:61], v[66:67], 2, v[58:59]
	flat_load_dword v60, v[60:61]
	s_waitcnt vmcnt(0) lgkmcnt(0)
	v_mul_f32_e32 v60, s33, v60
	s_branch .LBB20_151
.LBB20_150:
	v_mov_b32_e32 v60, 0
.LBB20_151:
	v_pk_add_f32 v[62:63], v[28:29], v[52:53]
	s_nop 0
	v_min3_f32 v61, v62, v63, v131
	v_pk_add_f32 v[62:63], v[30:31], v[54:55]
	s_nop 0
	v_min_f32_e32 v62, v62, v63
	v_min3_f32 v62, v60, v62, v61
	v_lshl_add_u64 v[60:61], v[66:67], 2, v[56:57]
	global_store_dword v[60:61], v62, off
	s_or_b64 exec, exec, s[26:27]
	s_and_b64 s[30:31], s[6:7], s[18:19]
	s_and_saveexec_b64 s[26:27], s[30:31]
	s_cbranch_execz .LBB20_139
.LBB20_152:
	s_and_b64 vcc, exec, s[0:1]
	s_cbranch_vccnz .LBB20_154
; %bb.153:
	v_lshl_add_u64 v[60:61], v[68:69], 2, v[58:59]
	flat_load_dword v60, v[60:61]
	s_waitcnt vmcnt(0) lgkmcnt(0)
	v_mul_f32_e32 v60, s33, v60
	s_branch .LBB20_155
.LBB20_154:
	v_mov_b32_e32 v60, 0
.LBB20_155:
	v_pk_add_f32 v[62:63], v[24:25], v[52:53]
	s_nop 0
	v_min3_f32 v61, v62, v63, v130
	v_pk_add_f32 v[62:63], v[26:27], v[54:55]
	s_nop 0
	v_min_f32_e32 v62, v62, v63
	v_min3_f32 v62, v60, v62, v61
	v_lshl_add_u64 v[60:61], v[68:69], 2, v[56:57]
	global_store_dword v[60:61], v62, off
	s_or_b64 exec, exec, s[26:27]
	s_and_b64 s[30:31], s[8:9], s[18:19]
	s_and_saveexec_b64 s[26:27], s[30:31]
	s_cbranch_execz .LBB20_140
.LBB20_156:
	s_and_b64 vcc, exec, s[0:1]
	s_cbranch_vccnz .LBB20_158
; %bb.157:
	v_lshl_add_u64 v[60:61], v[70:71], 2, v[58:59]
	flat_load_dword v60, v[60:61]
	s_waitcnt vmcnt(0) lgkmcnt(0)
	v_mul_f32_e32 v60, s33, v60
	s_branch .LBB20_159
.LBB20_158:
	v_mov_b32_e32 v60, 0
.LBB20_159:
	v_pk_add_f32 v[62:63], v[20:21], v[52:53]
	s_nop 0
	v_min3_f32 v61, v62, v63, v129
	v_pk_add_f32 v[62:63], v[22:23], v[54:55]
	s_nop 0
	v_min_f32_e32 v62, v62, v63
	v_min3_f32 v62, v60, v62, v61
	v_lshl_add_u64 v[60:61], v[70:71], 2, v[56:57]
	global_store_dword v[60:61], v62, off
	s_or_b64 exec, exec, s[26:27]
	s_and_b64 s[30:31], s[10:11], s[18:19]
	s_and_saveexec_b64 s[26:27], s[30:31]
	s_cbranch_execz .LBB20_141
.LBB20_160:
	s_and_b64 vcc, exec, s[0:1]
	s_cbranch_vccnz .LBB20_162
; %bb.161:
	v_lshl_add_u64 v[60:61], v[72:73], 2, v[58:59]
	flat_load_dword v60, v[60:61]
	s_waitcnt vmcnt(0) lgkmcnt(0)
	v_mul_f32_e32 v60, s33, v60
	s_branch .LBB20_163
.LBB20_162:
	v_mov_b32_e32 v60, 0
.LBB20_163:
	v_pk_add_f32 v[62:63], v[16:17], v[52:53]
	s_nop 0
	v_min3_f32 v61, v62, v63, v128
	v_pk_add_f32 v[62:63], v[18:19], v[54:55]
	s_nop 0
	v_min_f32_e32 v62, v62, v63
	v_min3_f32 v62, v60, v62, v61
	v_lshl_add_u64 v[60:61], v[72:73], 2, v[56:57]
	global_store_dword v[60:61], v62, off
	s_or_b64 exec, exec, s[26:27]
	s_and_b64 s[30:31], s[12:13], s[18:19]
	s_and_saveexec_b64 s[26:27], s[30:31]
	s_cbranch_execz .LBB20_142
.LBB20_164:
	s_and_b64 vcc, exec, s[0:1]
	s_cbranch_vccnz .LBB20_166
; %bb.165:
	v_lshl_add_u64 v[60:61], v[74:75], 2, v[58:59]
	flat_load_dword v60, v[60:61]
	s_waitcnt vmcnt(0) lgkmcnt(0)
	v_mul_f32_e32 v60, s33, v60
	s_branch .LBB20_167
.LBB20_166:
	v_mov_b32_e32 v60, 0
.LBB20_167:
	v_pk_add_f32 v[62:63], v[12:13], v[52:53]
	s_nop 0
	v_min3_f32 v61, v62, v63, v127
	v_pk_add_f32 v[62:63], v[14:15], v[54:55]
	s_nop 0
	v_min_f32_e32 v62, v62, v63
	v_min3_f32 v62, v60, v62, v61
	v_lshl_add_u64 v[60:61], v[74:75], 2, v[56:57]
	global_store_dword v[60:61], v62, off
	s_or_b64 exec, exec, s[26:27]
	s_and_b64 s[30:31], s[14:15], s[18:19]
	s_and_saveexec_b64 s[26:27], s[30:31]
	s_cbranch_execz .LBB20_143
.LBB20_168:
	s_and_b64 vcc, exec, s[0:1]
	s_cbranch_vccnz .LBB20_170
; %bb.169:
	v_lshl_add_u64 v[60:61], v[76:77], 2, v[58:59]
	flat_load_dword v60, v[60:61]
	s_waitcnt vmcnt(0) lgkmcnt(0)
	v_mul_f32_e32 v60, s33, v60
	s_branch .LBB20_171
.LBB20_170:
	v_mov_b32_e32 v60, 0
.LBB20_171:
	v_pk_add_f32 v[62:63], v[8:9], v[52:53]
	s_nop 0
	v_min3_f32 v61, v62, v63, v126
	v_pk_add_f32 v[62:63], v[10:11], v[54:55]
	s_nop 0
	v_min_f32_e32 v62, v62, v63
	v_min3_f32 v62, v60, v62, v61
	v_lshl_add_u64 v[60:61], v[76:77], 2, v[56:57]
	global_store_dword v[60:61], v62, off
	s_or_b64 exec, exec, s[26:27]
	s_and_b64 s[26:27], s[16:17], s[18:19]
	s_and_saveexec_b64 s[18:19], s[26:27]
	s_cbranch_execz .LBB20_176
.LBB20_172:
	s_and_b64 vcc, exec, s[0:1]
	s_cbranch_vccnz .LBB20_174
; %bb.173:
	v_lshl_add_u64 v[58:59], v[78:79], 2, v[58:59]
	flat_load_dword v58, v[58:59]
	s_waitcnt vmcnt(0) lgkmcnt(0)
	v_mul_f32_e32 v58, s33, v58
	s_branch .LBB20_175
.LBB20_174:
	v_mov_b32_e32 v58, 0
.LBB20_175:
	v_pk_add_f32 v[52:53], v[0:1], v[52:53]
	s_nop 0
	v_min3_f32 v59, v52, v53, v125
	v_pk_add_f32 v[52:53], v[2:3], v[54:55]
	s_nop 0
	v_min_f32_e32 v52, v52, v53
	v_min3_f32 v54, v58, v52, v59
	v_lshl_add_u64 v[52:53], v[78:79], 2, v[56:57]
	global_store_dword v[52:53], v54, off
.LBB20_176:
	s_or_b64 exec, exec, s[18:19]
	v_add_u32_e32 v56, 0x60, v124
	v_mad_i64_i32 v[52:53], s[26:27], v56, s29, 0
	v_cmp_gt_i32_e64 s[18:19], s21, v56
	v_lshl_add_u64 v[54:55], v[52:53], 2, s[24:25]
	v_mad_i64_i32 v[52:53], s[26:27], v56, s28, 0
	v_lshl_add_u64 v[52:53], v[52:53], 2, s[22:23]
	s_and_b64 s[30:31], s[2:3], s[18:19]
	s_and_saveexec_b64 s[26:27], s[30:31]
	s_cbranch_execnz .LBB20_184
; %bb.177:
	s_or_b64 exec, exec, s[26:27]
	s_and_b64 s[30:31], s[4:5], s[18:19]
	s_and_saveexec_b64 s[26:27], s[30:31]
	s_cbranch_execnz .LBB20_188
.LBB20_178:
	s_or_b64 exec, exec, s[26:27]
	s_and_b64 s[30:31], s[6:7], s[18:19]
	s_and_saveexec_b64 s[26:27], s[30:31]
	s_cbranch_execnz .LBB20_192
.LBB20_179:
	s_or_b64 exec, exec, s[26:27]
	s_and_b64 s[30:31], s[8:9], s[18:19]
	s_and_saveexec_b64 s[26:27], s[30:31]
	s_cbranch_execnz .LBB20_196
.LBB20_180:
	s_or_b64 exec, exec, s[26:27]
	s_and_b64 s[30:31], s[10:11], s[18:19]
	s_and_saveexec_b64 s[26:27], s[30:31]
	s_cbranch_execnz .LBB20_200
.LBB20_181:
	s_or_b64 exec, exec, s[26:27]
	s_and_b64 s[30:31], s[12:13], s[18:19]
	s_and_saveexec_b64 s[26:27], s[30:31]
	s_cbranch_execnz .LBB20_204
.LBB20_182:
	s_or_b64 exec, exec, s[26:27]
	s_and_b64 s[30:31], s[14:15], s[18:19]
	s_and_saveexec_b64 s[26:27], s[30:31]
	s_cbranch_execnz .LBB20_208
.LBB20_183:
	s_or_b64 exec, exec, s[26:27]
	s_and_b64 s[26:27], s[16:17], s[18:19]
	s_and_saveexec_b64 s[18:19], s[26:27]
	s_cbranch_execnz .LBB20_212
	s_branch .LBB20_216
.LBB20_184:
	s_and_b64 vcc, exec, s[0:1]
	s_cbranch_vccnz .LBB20_186
; %bb.185:
	v_lshl_add_u64 v[56:57], v[64:65], 2, v[54:55]
	flat_load_dword v56, v[56:57]
	s_waitcnt vmcnt(0) lgkmcnt(0)
	v_mul_f32_e32 v56, s33, v56
	s_branch .LBB20_187
.LBB20_186:
	v_mov_b32_e32 v56, 0
.LBB20_187:
	v_pk_add_f32 v[58:59], v[32:33], v[48:49]
	s_nop 0
	v_min3_f32 v57, v58, v59, v123
	v_pk_add_f32 v[58:59], v[34:35], v[50:51]
	s_nop 0
	v_min_f32_e32 v58, v58, v59
	v_min3_f32 v58, v56, v58, v57
	v_lshl_add_u64 v[56:57], v[64:65], 2, v[52:53]
	global_store_dword v[56:57], v58, off
	s_or_b64 exec, exec, s[26:27]
	s_and_b64 s[30:31], s[4:5], s[18:19]
	s_and_saveexec_b64 s[26:27], s[30:31]
	s_cbranch_execz .LBB20_178
.LBB20_188:
	s_and_b64 vcc, exec, s[0:1]
	s_cbranch_vccnz .LBB20_190
; %bb.189:
	v_lshl_add_u64 v[56:57], v[66:67], 2, v[54:55]
	flat_load_dword v56, v[56:57]
	s_waitcnt vmcnt(0) lgkmcnt(0)
	v_mul_f32_e32 v56, s33, v56
	s_branch .LBB20_191
.LBB20_190:
	v_mov_b32_e32 v56, 0
.LBB20_191:
	v_pk_add_f32 v[58:59], v[28:29], v[48:49]
	s_nop 0
	v_min3_f32 v57, v58, v59, v122
	v_pk_add_f32 v[58:59], v[30:31], v[50:51]
	s_nop 0
	v_min_f32_e32 v58, v58, v59
	v_min3_f32 v58, v56, v58, v57
	v_lshl_add_u64 v[56:57], v[66:67], 2, v[52:53]
	global_store_dword v[56:57], v58, off
	s_or_b64 exec, exec, s[26:27]
	s_and_b64 s[30:31], s[6:7], s[18:19]
	s_and_saveexec_b64 s[26:27], s[30:31]
	s_cbranch_execz .LBB20_179
.LBB20_192:
	s_and_b64 vcc, exec, s[0:1]
	s_cbranch_vccnz .LBB20_194
; %bb.193:
	v_lshl_add_u64 v[56:57], v[68:69], 2, v[54:55]
	flat_load_dword v56, v[56:57]
	s_waitcnt vmcnt(0) lgkmcnt(0)
	v_mul_f32_e32 v56, s33, v56
	s_branch .LBB20_195
.LBB20_194:
	v_mov_b32_e32 v56, 0
.LBB20_195:
	v_pk_add_f32 v[58:59], v[24:25], v[48:49]
	s_nop 0
	v_min3_f32 v57, v58, v59, v121
	v_pk_add_f32 v[58:59], v[26:27], v[50:51]
	s_nop 0
	v_min_f32_e32 v58, v58, v59
	v_min3_f32 v58, v56, v58, v57
	v_lshl_add_u64 v[56:57], v[68:69], 2, v[52:53]
	global_store_dword v[56:57], v58, off
	s_or_b64 exec, exec, s[26:27]
	s_and_b64 s[30:31], s[8:9], s[18:19]
	s_and_saveexec_b64 s[26:27], s[30:31]
	s_cbranch_execz .LBB20_180
.LBB20_196:
	s_and_b64 vcc, exec, s[0:1]
	s_cbranch_vccnz .LBB20_198
; %bb.197:
	v_lshl_add_u64 v[56:57], v[70:71], 2, v[54:55]
	flat_load_dword v56, v[56:57]
	s_waitcnt vmcnt(0) lgkmcnt(0)
	v_mul_f32_e32 v56, s33, v56
	s_branch .LBB20_199
.LBB20_198:
	v_mov_b32_e32 v56, 0
.LBB20_199:
	v_pk_add_f32 v[58:59], v[20:21], v[48:49]
	s_nop 0
	v_min3_f32 v57, v58, v59, v120
	v_pk_add_f32 v[58:59], v[22:23], v[50:51]
	s_nop 0
	v_min_f32_e32 v58, v58, v59
	v_min3_f32 v58, v56, v58, v57
	v_lshl_add_u64 v[56:57], v[70:71], 2, v[52:53]
	global_store_dword v[56:57], v58, off
	s_or_b64 exec, exec, s[26:27]
	s_and_b64 s[30:31], s[10:11], s[18:19]
	s_and_saveexec_b64 s[26:27], s[30:31]
	s_cbranch_execz .LBB20_181
.LBB20_200:
	s_and_b64 vcc, exec, s[0:1]
	s_cbranch_vccnz .LBB20_202
; %bb.201:
	v_lshl_add_u64 v[56:57], v[72:73], 2, v[54:55]
	flat_load_dword v56, v[56:57]
	s_waitcnt vmcnt(0) lgkmcnt(0)
	v_mul_f32_e32 v56, s33, v56
	s_branch .LBB20_203
.LBB20_202:
	v_mov_b32_e32 v56, 0
.LBB20_203:
	v_pk_add_f32 v[58:59], v[16:17], v[48:49]
	s_nop 0
	v_min3_f32 v57, v58, v59, v119
	v_pk_add_f32 v[58:59], v[18:19], v[50:51]
	s_nop 0
	v_min_f32_e32 v58, v58, v59
	v_min3_f32 v58, v56, v58, v57
	v_lshl_add_u64 v[56:57], v[72:73], 2, v[52:53]
	global_store_dword v[56:57], v58, off
	s_or_b64 exec, exec, s[26:27]
	s_and_b64 s[30:31], s[12:13], s[18:19]
	s_and_saveexec_b64 s[26:27], s[30:31]
	s_cbranch_execz .LBB20_182
.LBB20_204:
	s_and_b64 vcc, exec, s[0:1]
	s_cbranch_vccnz .LBB20_206
; %bb.205:
	v_lshl_add_u64 v[56:57], v[74:75], 2, v[54:55]
	flat_load_dword v56, v[56:57]
	s_waitcnt vmcnt(0) lgkmcnt(0)
	v_mul_f32_e32 v56, s33, v56
	s_branch .LBB20_207
.LBB20_206:
	v_mov_b32_e32 v56, 0
.LBB20_207:
	v_pk_add_f32 v[58:59], v[12:13], v[48:49]
	s_nop 0
	v_min3_f32 v57, v58, v59, v118
	v_pk_add_f32 v[58:59], v[14:15], v[50:51]
	s_nop 0
	v_min_f32_e32 v58, v58, v59
	v_min3_f32 v58, v56, v58, v57
	v_lshl_add_u64 v[56:57], v[74:75], 2, v[52:53]
	global_store_dword v[56:57], v58, off
	s_or_b64 exec, exec, s[26:27]
	s_and_b64 s[30:31], s[14:15], s[18:19]
	s_and_saveexec_b64 s[26:27], s[30:31]
	s_cbranch_execz .LBB20_183
.LBB20_208:
	s_and_b64 vcc, exec, s[0:1]
	s_cbranch_vccnz .LBB20_210
; %bb.209:
	v_lshl_add_u64 v[56:57], v[76:77], 2, v[54:55]
	flat_load_dword v56, v[56:57]
	s_waitcnt vmcnt(0) lgkmcnt(0)
	v_mul_f32_e32 v56, s33, v56
	s_branch .LBB20_211
.LBB20_210:
	v_mov_b32_e32 v56, 0
.LBB20_211:
	v_pk_add_f32 v[58:59], v[8:9], v[48:49]
	s_nop 0
	v_min3_f32 v57, v58, v59, v117
	v_pk_add_f32 v[58:59], v[10:11], v[50:51]
	s_nop 0
	v_min_f32_e32 v58, v58, v59
	v_min3_f32 v58, v56, v58, v57
	v_lshl_add_u64 v[56:57], v[76:77], 2, v[52:53]
	global_store_dword v[56:57], v58, off
	s_or_b64 exec, exec, s[26:27]
	s_and_b64 s[26:27], s[16:17], s[18:19]
	s_and_saveexec_b64 s[18:19], s[26:27]
	s_cbranch_execz .LBB20_216
.LBB20_212:
	s_and_b64 vcc, exec, s[0:1]
	s_cbranch_vccnz .LBB20_214
; %bb.213:
	v_lshl_add_u64 v[54:55], v[78:79], 2, v[54:55]
	flat_load_dword v54, v[54:55]
	s_waitcnt vmcnt(0) lgkmcnt(0)
	v_mul_f32_e32 v54, s33, v54
	s_branch .LBB20_215
.LBB20_214:
	v_mov_b32_e32 v54, 0
.LBB20_215:
	v_pk_add_f32 v[48:49], v[0:1], v[48:49]
	s_nop 0
	v_min3_f32 v55, v48, v49, v116
	v_pk_add_f32 v[48:49], v[2:3], v[50:51]
	s_nop 0
	v_min_f32_e32 v48, v48, v49
	v_min3_f32 v50, v54, v48, v55
	v_lshl_add_u64 v[48:49], v[78:79], 2, v[52:53]
	global_store_dword v[48:49], v50, off
.LBB20_216:
	s_or_b64 exec, exec, s[18:19]
	v_add_u32_e32 v52, 0x80, v124
	v_mad_i64_i32 v[48:49], s[26:27], v52, s29, 0
	v_cmp_gt_i32_e64 s[18:19], s21, v52
	v_lshl_add_u64 v[50:51], v[48:49], 2, s[24:25]
	v_mad_i64_i32 v[48:49], s[26:27], v52, s28, 0
	v_lshl_add_u64 v[48:49], v[48:49], 2, s[22:23]
	s_and_b64 s[30:31], s[2:3], s[18:19]
	s_and_saveexec_b64 s[26:27], s[30:31]
	s_cbranch_execnz .LBB20_224
; %bb.217:
	s_or_b64 exec, exec, s[26:27]
	s_and_b64 s[30:31], s[4:5], s[18:19]
	s_and_saveexec_b64 s[26:27], s[30:31]
	s_cbranch_execnz .LBB20_228
.LBB20_218:
	s_or_b64 exec, exec, s[26:27]
	s_and_b64 s[30:31], s[6:7], s[18:19]
	s_and_saveexec_b64 s[26:27], s[30:31]
	s_cbranch_execnz .LBB20_232
.LBB20_219:
	s_or_b64 exec, exec, s[26:27]
	s_and_b64 s[30:31], s[8:9], s[18:19]
	s_and_saveexec_b64 s[26:27], s[30:31]
	s_cbranch_execnz .LBB20_236
.LBB20_220:
	s_or_b64 exec, exec, s[26:27]
	s_and_b64 s[30:31], s[10:11], s[18:19]
	s_and_saveexec_b64 s[26:27], s[30:31]
	s_cbranch_execnz .LBB20_240
.LBB20_221:
	s_or_b64 exec, exec, s[26:27]
	s_and_b64 s[30:31], s[12:13], s[18:19]
	s_and_saveexec_b64 s[26:27], s[30:31]
	s_cbranch_execnz .LBB20_244
.LBB20_222:
	s_or_b64 exec, exec, s[26:27]
	s_and_b64 s[30:31], s[14:15], s[18:19]
	s_and_saveexec_b64 s[26:27], s[30:31]
	s_cbranch_execnz .LBB20_248
.LBB20_223:
	s_or_b64 exec, exec, s[26:27]
	s_and_b64 s[26:27], s[16:17], s[18:19]
	s_and_saveexec_b64 s[18:19], s[26:27]
	s_cbranch_execnz .LBB20_252
	s_branch .LBB20_256
.LBB20_224:
	s_and_b64 vcc, exec, s[0:1]
	s_cbranch_vccnz .LBB20_226
; %bb.225:
	v_lshl_add_u64 v[52:53], v[64:65], 2, v[50:51]
	flat_load_dword v52, v[52:53]
	s_waitcnt vmcnt(0) lgkmcnt(0)
	v_mul_f32_e32 v52, s33, v52
	s_branch .LBB20_227
.LBB20_226:
	v_mov_b32_e32 v52, 0
.LBB20_227:
	v_pk_add_f32 v[54:55], v[32:33], v[44:45]
	s_nop 0
	v_min3_f32 v53, v54, v55, v115
	v_pk_add_f32 v[54:55], v[34:35], v[46:47]
	s_nop 0
	v_min_f32_e32 v54, v54, v55
	v_min3_f32 v54, v52, v54, v53
	v_lshl_add_u64 v[52:53], v[64:65], 2, v[48:49]
	global_store_dword v[52:53], v54, off
	s_or_b64 exec, exec, s[26:27]
	s_and_b64 s[30:31], s[4:5], s[18:19]
	s_and_saveexec_b64 s[26:27], s[30:31]
	s_cbranch_execz .LBB20_218
.LBB20_228:
	s_and_b64 vcc, exec, s[0:1]
	s_cbranch_vccnz .LBB20_230
; %bb.229:
	v_lshl_add_u64 v[52:53], v[66:67], 2, v[50:51]
	flat_load_dword v52, v[52:53]
	s_waitcnt vmcnt(0) lgkmcnt(0)
	v_mul_f32_e32 v52, s33, v52
	s_branch .LBB20_231
.LBB20_230:
	v_mov_b32_e32 v52, 0
.LBB20_231:
	v_pk_add_f32 v[54:55], v[28:29], v[44:45]
	s_nop 0
	v_min3_f32 v53, v54, v55, v114
	v_pk_add_f32 v[54:55], v[30:31], v[46:47]
	s_nop 0
	v_min_f32_e32 v54, v54, v55
	v_min3_f32 v54, v52, v54, v53
	v_lshl_add_u64 v[52:53], v[66:67], 2, v[48:49]
	global_store_dword v[52:53], v54, off
	s_or_b64 exec, exec, s[26:27]
	s_and_b64 s[30:31], s[6:7], s[18:19]
	s_and_saveexec_b64 s[26:27], s[30:31]
	s_cbranch_execz .LBB20_219
.LBB20_232:
	s_and_b64 vcc, exec, s[0:1]
	s_cbranch_vccnz .LBB20_234
; %bb.233:
	v_lshl_add_u64 v[52:53], v[68:69], 2, v[50:51]
	flat_load_dword v52, v[52:53]
	s_waitcnt vmcnt(0) lgkmcnt(0)
	v_mul_f32_e32 v52, s33, v52
	s_branch .LBB20_235
.LBB20_234:
	v_mov_b32_e32 v52, 0
.LBB20_235:
	v_pk_add_f32 v[54:55], v[24:25], v[44:45]
	s_nop 0
	v_min3_f32 v53, v54, v55, v113
	v_pk_add_f32 v[54:55], v[26:27], v[46:47]
	s_nop 0
	v_min_f32_e32 v54, v54, v55
	v_min3_f32 v54, v52, v54, v53
	v_lshl_add_u64 v[52:53], v[68:69], 2, v[48:49]
	global_store_dword v[52:53], v54, off
	s_or_b64 exec, exec, s[26:27]
	s_and_b64 s[30:31], s[8:9], s[18:19]
	s_and_saveexec_b64 s[26:27], s[30:31]
	s_cbranch_execz .LBB20_220
.LBB20_236:
	s_and_b64 vcc, exec, s[0:1]
	s_cbranch_vccnz .LBB20_238
; %bb.237:
	v_lshl_add_u64 v[52:53], v[70:71], 2, v[50:51]
	flat_load_dword v52, v[52:53]
	s_waitcnt vmcnt(0) lgkmcnt(0)
	v_mul_f32_e32 v52, s33, v52
	s_branch .LBB20_239
.LBB20_238:
	v_mov_b32_e32 v52, 0
.LBB20_239:
	v_pk_add_f32 v[54:55], v[20:21], v[44:45]
	s_nop 0
	v_min3_f32 v53, v54, v55, v112
	v_pk_add_f32 v[54:55], v[22:23], v[46:47]
	s_nop 0
	v_min_f32_e32 v54, v54, v55
	v_min3_f32 v54, v52, v54, v53
	v_lshl_add_u64 v[52:53], v[70:71], 2, v[48:49]
	global_store_dword v[52:53], v54, off
	s_or_b64 exec, exec, s[26:27]
	s_and_b64 s[30:31], s[10:11], s[18:19]
	s_and_saveexec_b64 s[26:27], s[30:31]
	s_cbranch_execz .LBB20_221
.LBB20_240:
	s_and_b64 vcc, exec, s[0:1]
	s_cbranch_vccnz .LBB20_242
; %bb.241:
	v_lshl_add_u64 v[52:53], v[72:73], 2, v[50:51]
	flat_load_dword v52, v[52:53]
	s_waitcnt vmcnt(0) lgkmcnt(0)
	v_mul_f32_e32 v52, s33, v52
	s_branch .LBB20_243
.LBB20_242:
	v_mov_b32_e32 v52, 0
.LBB20_243:
	v_pk_add_f32 v[54:55], v[16:17], v[44:45]
	s_nop 0
	v_min3_f32 v53, v54, v55, v111
	v_pk_add_f32 v[54:55], v[18:19], v[46:47]
	s_nop 0
	v_min_f32_e32 v54, v54, v55
	v_min3_f32 v54, v52, v54, v53
	v_lshl_add_u64 v[52:53], v[72:73], 2, v[48:49]
	global_store_dword v[52:53], v54, off
	s_or_b64 exec, exec, s[26:27]
	s_and_b64 s[30:31], s[12:13], s[18:19]
	s_and_saveexec_b64 s[26:27], s[30:31]
	s_cbranch_execz .LBB20_222
.LBB20_244:
	s_and_b64 vcc, exec, s[0:1]
	s_cbranch_vccnz .LBB20_246
; %bb.245:
	v_lshl_add_u64 v[52:53], v[74:75], 2, v[50:51]
	flat_load_dword v52, v[52:53]
	s_waitcnt vmcnt(0) lgkmcnt(0)
	v_mul_f32_e32 v52, s33, v52
	s_branch .LBB20_247
.LBB20_246:
	v_mov_b32_e32 v52, 0
.LBB20_247:
	v_pk_add_f32 v[54:55], v[12:13], v[44:45]
	s_nop 0
	v_min3_f32 v53, v54, v55, v110
	v_pk_add_f32 v[54:55], v[14:15], v[46:47]
	s_nop 0
	v_min_f32_e32 v54, v54, v55
	v_min3_f32 v54, v52, v54, v53
	v_lshl_add_u64 v[52:53], v[74:75], 2, v[48:49]
	global_store_dword v[52:53], v54, off
	s_or_b64 exec, exec, s[26:27]
	s_and_b64 s[30:31], s[14:15], s[18:19]
	s_and_saveexec_b64 s[26:27], s[30:31]
	s_cbranch_execz .LBB20_223
.LBB20_248:
	s_and_b64 vcc, exec, s[0:1]
	s_cbranch_vccnz .LBB20_250
; %bb.249:
	v_lshl_add_u64 v[52:53], v[76:77], 2, v[50:51]
	flat_load_dword v52, v[52:53]
	s_waitcnt vmcnt(0) lgkmcnt(0)
	v_mul_f32_e32 v52, s33, v52
	s_branch .LBB20_251
.LBB20_250:
	v_mov_b32_e32 v52, 0
.LBB20_251:
	v_pk_add_f32 v[54:55], v[8:9], v[44:45]
	s_nop 0
	v_min3_f32 v53, v54, v55, v109
	v_pk_add_f32 v[54:55], v[10:11], v[46:47]
	s_nop 0
	v_min_f32_e32 v54, v54, v55
	v_min3_f32 v54, v52, v54, v53
	v_lshl_add_u64 v[52:53], v[76:77], 2, v[48:49]
	global_store_dword v[52:53], v54, off
	s_or_b64 exec, exec, s[26:27]
	s_and_b64 s[26:27], s[16:17], s[18:19]
	s_and_saveexec_b64 s[18:19], s[26:27]
	s_cbranch_execz .LBB20_256
.LBB20_252:
	s_and_b64 vcc, exec, s[0:1]
	s_cbranch_vccnz .LBB20_254
; %bb.253:
	v_lshl_add_u64 v[50:51], v[78:79], 2, v[50:51]
	flat_load_dword v50, v[50:51]
	s_waitcnt vmcnt(0) lgkmcnt(0)
	v_mul_f32_e32 v50, s33, v50
	s_branch .LBB20_255
.LBB20_254:
	v_mov_b32_e32 v50, 0
.LBB20_255:
	v_pk_add_f32 v[44:45], v[0:1], v[44:45]
	s_nop 0
	v_min3_f32 v51, v44, v45, v108
	v_pk_add_f32 v[44:45], v[2:3], v[46:47]
	s_nop 0
	v_min_f32_e32 v44, v44, v45
	v_min3_f32 v46, v50, v44, v51
	v_lshl_add_u64 v[44:45], v[78:79], 2, v[48:49]
	global_store_dword v[44:45], v46, off
.LBB20_256:
	s_or_b64 exec, exec, s[18:19]
	v_add_u32_e32 v48, 0xa0, v124
	v_mad_i64_i32 v[44:45], s[26:27], v48, s29, 0
	v_cmp_gt_i32_e64 s[18:19], s21, v48
	v_lshl_add_u64 v[46:47], v[44:45], 2, s[24:25]
	v_mad_i64_i32 v[44:45], s[26:27], v48, s28, 0
	v_lshl_add_u64 v[44:45], v[44:45], 2, s[22:23]
	s_and_b64 s[30:31], s[2:3], s[18:19]
	s_and_saveexec_b64 s[26:27], s[30:31]
	s_cbranch_execnz .LBB20_264
; %bb.257:
	s_or_b64 exec, exec, s[26:27]
	s_and_b64 s[30:31], s[4:5], s[18:19]
	s_and_saveexec_b64 s[26:27], s[30:31]
	s_cbranch_execnz .LBB20_268
.LBB20_258:
	s_or_b64 exec, exec, s[26:27]
	s_and_b64 s[30:31], s[6:7], s[18:19]
	s_and_saveexec_b64 s[26:27], s[30:31]
	s_cbranch_execnz .LBB20_272
.LBB20_259:
	s_or_b64 exec, exec, s[26:27]
	s_and_b64 s[30:31], s[8:9], s[18:19]
	s_and_saveexec_b64 s[26:27], s[30:31]
	s_cbranch_execnz .LBB20_276
.LBB20_260:
	s_or_b64 exec, exec, s[26:27]
	s_and_b64 s[30:31], s[10:11], s[18:19]
	s_and_saveexec_b64 s[26:27], s[30:31]
	s_cbranch_execnz .LBB20_280
.LBB20_261:
	s_or_b64 exec, exec, s[26:27]
	s_and_b64 s[30:31], s[12:13], s[18:19]
	s_and_saveexec_b64 s[26:27], s[30:31]
	s_cbranch_execnz .LBB20_284
.LBB20_262:
	s_or_b64 exec, exec, s[26:27]
	s_and_b64 s[30:31], s[14:15], s[18:19]
	s_and_saveexec_b64 s[26:27], s[30:31]
	s_cbranch_execnz .LBB20_288
.LBB20_263:
	s_or_b64 exec, exec, s[26:27]
	s_and_b64 s[26:27], s[16:17], s[18:19]
	s_and_saveexec_b64 s[18:19], s[26:27]
	s_cbranch_execnz .LBB20_292
	s_branch .LBB20_296
.LBB20_264:
	s_and_b64 vcc, exec, s[0:1]
	s_cbranch_vccnz .LBB20_266
; %bb.265:
	v_lshl_add_u64 v[48:49], v[64:65], 2, v[46:47]
	flat_load_dword v48, v[48:49]
	s_waitcnt vmcnt(0) lgkmcnt(0)
	v_mul_f32_e32 v48, s33, v48
	s_branch .LBB20_267
.LBB20_266:
	v_mov_b32_e32 v48, 0
.LBB20_267:
	v_pk_add_f32 v[50:51], v[32:33], v[40:41]
	s_nop 0
	v_min3_f32 v49, v50, v51, v107
	v_pk_add_f32 v[50:51], v[34:35], v[42:43]
	s_nop 0
	v_min_f32_e32 v50, v50, v51
	v_min3_f32 v50, v48, v50, v49
	v_lshl_add_u64 v[48:49], v[64:65], 2, v[44:45]
	global_store_dword v[48:49], v50, off
	s_or_b64 exec, exec, s[26:27]
	s_and_b64 s[30:31], s[4:5], s[18:19]
	s_and_saveexec_b64 s[26:27], s[30:31]
	s_cbranch_execz .LBB20_258
.LBB20_268:
	s_and_b64 vcc, exec, s[0:1]
	s_cbranch_vccnz .LBB20_270
; %bb.269:
	v_lshl_add_u64 v[48:49], v[66:67], 2, v[46:47]
	flat_load_dword v48, v[48:49]
	s_waitcnt vmcnt(0) lgkmcnt(0)
	v_mul_f32_e32 v48, s33, v48
	s_branch .LBB20_271
.LBB20_270:
	v_mov_b32_e32 v48, 0
.LBB20_271:
	v_pk_add_f32 v[50:51], v[28:29], v[40:41]
	s_nop 0
	v_min3_f32 v49, v50, v51, v106
	v_pk_add_f32 v[50:51], v[30:31], v[42:43]
	s_nop 0
	v_min_f32_e32 v50, v50, v51
	v_min3_f32 v50, v48, v50, v49
	v_lshl_add_u64 v[48:49], v[66:67], 2, v[44:45]
	global_store_dword v[48:49], v50, off
	s_or_b64 exec, exec, s[26:27]
	s_and_b64 s[30:31], s[6:7], s[18:19]
	s_and_saveexec_b64 s[26:27], s[30:31]
	s_cbranch_execz .LBB20_259
.LBB20_272:
	s_and_b64 vcc, exec, s[0:1]
	s_cbranch_vccnz .LBB20_274
; %bb.273:
	v_lshl_add_u64 v[48:49], v[68:69], 2, v[46:47]
	flat_load_dword v48, v[48:49]
	s_waitcnt vmcnt(0) lgkmcnt(0)
	v_mul_f32_e32 v48, s33, v48
	s_branch .LBB20_275
.LBB20_274:
	v_mov_b32_e32 v48, 0
.LBB20_275:
	v_pk_add_f32 v[50:51], v[24:25], v[40:41]
	s_nop 0
	v_min3_f32 v49, v50, v51, v105
	v_pk_add_f32 v[50:51], v[26:27], v[42:43]
	s_nop 0
	v_min_f32_e32 v50, v50, v51
	v_min3_f32 v50, v48, v50, v49
	v_lshl_add_u64 v[48:49], v[68:69], 2, v[44:45]
	global_store_dword v[48:49], v50, off
	s_or_b64 exec, exec, s[26:27]
	s_and_b64 s[30:31], s[8:9], s[18:19]
	s_and_saveexec_b64 s[26:27], s[30:31]
	s_cbranch_execz .LBB20_260
.LBB20_276:
	s_and_b64 vcc, exec, s[0:1]
	s_cbranch_vccnz .LBB20_278
; %bb.277:
	v_lshl_add_u64 v[48:49], v[70:71], 2, v[46:47]
	flat_load_dword v48, v[48:49]
	s_waitcnt vmcnt(0) lgkmcnt(0)
	v_mul_f32_e32 v48, s33, v48
	s_branch .LBB20_279
.LBB20_278:
	v_mov_b32_e32 v48, 0
.LBB20_279:
	v_pk_add_f32 v[50:51], v[20:21], v[40:41]
	s_nop 0
	v_min3_f32 v49, v50, v51, v104
	v_pk_add_f32 v[50:51], v[22:23], v[42:43]
	s_nop 0
	v_min_f32_e32 v50, v50, v51
	v_min3_f32 v50, v48, v50, v49
	v_lshl_add_u64 v[48:49], v[70:71], 2, v[44:45]
	global_store_dword v[48:49], v50, off
	s_or_b64 exec, exec, s[26:27]
	s_and_b64 s[30:31], s[10:11], s[18:19]
	s_and_saveexec_b64 s[26:27], s[30:31]
	s_cbranch_execz .LBB20_261
.LBB20_280:
	s_and_b64 vcc, exec, s[0:1]
	s_cbranch_vccnz .LBB20_282
; %bb.281:
	v_lshl_add_u64 v[48:49], v[72:73], 2, v[46:47]
	flat_load_dword v48, v[48:49]
	s_waitcnt vmcnt(0) lgkmcnt(0)
	v_mul_f32_e32 v48, s33, v48
	s_branch .LBB20_283
.LBB20_282:
	v_mov_b32_e32 v48, 0
.LBB20_283:
	v_pk_add_f32 v[50:51], v[16:17], v[40:41]
	s_nop 0
	v_min3_f32 v49, v50, v51, v103
	v_pk_add_f32 v[50:51], v[18:19], v[42:43]
	s_nop 0
	v_min_f32_e32 v50, v50, v51
	v_min3_f32 v50, v48, v50, v49
	v_lshl_add_u64 v[48:49], v[72:73], 2, v[44:45]
	global_store_dword v[48:49], v50, off
	s_or_b64 exec, exec, s[26:27]
	s_and_b64 s[30:31], s[12:13], s[18:19]
	s_and_saveexec_b64 s[26:27], s[30:31]
	s_cbranch_execz .LBB20_262
.LBB20_284:
	s_and_b64 vcc, exec, s[0:1]
	s_cbranch_vccnz .LBB20_286
; %bb.285:
	v_lshl_add_u64 v[48:49], v[74:75], 2, v[46:47]
	flat_load_dword v48, v[48:49]
	s_waitcnt vmcnt(0) lgkmcnt(0)
	v_mul_f32_e32 v48, s33, v48
	s_branch .LBB20_287
.LBB20_286:
	v_mov_b32_e32 v48, 0
.LBB20_287:
	v_pk_add_f32 v[50:51], v[12:13], v[40:41]
	s_nop 0
	v_min3_f32 v49, v50, v51, v102
	v_pk_add_f32 v[50:51], v[14:15], v[42:43]
	s_nop 0
	v_min_f32_e32 v50, v50, v51
	v_min3_f32 v50, v48, v50, v49
	v_lshl_add_u64 v[48:49], v[74:75], 2, v[44:45]
	global_store_dword v[48:49], v50, off
	s_or_b64 exec, exec, s[26:27]
	s_and_b64 s[30:31], s[14:15], s[18:19]
	s_and_saveexec_b64 s[26:27], s[30:31]
	s_cbranch_execz .LBB20_263
.LBB20_288:
	s_and_b64 vcc, exec, s[0:1]
	s_cbranch_vccnz .LBB20_290
; %bb.289:
	v_lshl_add_u64 v[48:49], v[76:77], 2, v[46:47]
	flat_load_dword v48, v[48:49]
	s_waitcnt vmcnt(0) lgkmcnt(0)
	v_mul_f32_e32 v48, s33, v48
	s_branch .LBB20_291
.LBB20_290:
	v_mov_b32_e32 v48, 0
.LBB20_291:
	v_pk_add_f32 v[50:51], v[8:9], v[40:41]
	s_nop 0
	v_min3_f32 v49, v50, v51, v101
	v_pk_add_f32 v[50:51], v[10:11], v[42:43]
	s_nop 0
	v_min_f32_e32 v50, v50, v51
	v_min3_f32 v50, v48, v50, v49
	v_lshl_add_u64 v[48:49], v[76:77], 2, v[44:45]
	global_store_dword v[48:49], v50, off
	s_or_b64 exec, exec, s[26:27]
	s_and_b64 s[26:27], s[16:17], s[18:19]
	s_and_saveexec_b64 s[18:19], s[26:27]
	s_cbranch_execz .LBB20_296
.LBB20_292:
	s_and_b64 vcc, exec, s[0:1]
	s_cbranch_vccnz .LBB20_294
; %bb.293:
	v_lshl_add_u64 v[46:47], v[78:79], 2, v[46:47]
	flat_load_dword v46, v[46:47]
	s_waitcnt vmcnt(0) lgkmcnt(0)
	v_mul_f32_e32 v46, s33, v46
	s_branch .LBB20_295
.LBB20_294:
	v_mov_b32_e32 v46, 0
.LBB20_295:
	v_pk_add_f32 v[40:41], v[0:1], v[40:41]
	s_nop 0
	v_min3_f32 v47, v40, v41, v100
	v_pk_add_f32 v[40:41], v[2:3], v[42:43]
	s_nop 0
	v_min_f32_e32 v40, v40, v41
	v_min3_f32 v42, v46, v40, v47
	v_lshl_add_u64 v[40:41], v[78:79], 2, v[44:45]
	global_store_dword v[40:41], v42, off
.LBB20_296:
	s_or_b64 exec, exec, s[18:19]
	v_add_u32_e32 v44, 0xc0, v124
	v_mad_i64_i32 v[40:41], s[26:27], v44, s29, 0
	v_cmp_gt_i32_e64 s[18:19], s21, v44
	v_lshl_add_u64 v[42:43], v[40:41], 2, s[24:25]
	v_mad_i64_i32 v[40:41], s[26:27], v44, s28, 0
	v_lshl_add_u64 v[40:41], v[40:41], 2, s[22:23]
	s_and_b64 s[30:31], s[2:3], s[18:19]
	s_and_saveexec_b64 s[26:27], s[30:31]
	s_cbranch_execnz .LBB20_304
; %bb.297:
	s_or_b64 exec, exec, s[26:27]
	s_and_b64 s[30:31], s[4:5], s[18:19]
	s_and_saveexec_b64 s[26:27], s[30:31]
	s_cbranch_execnz .LBB20_308
.LBB20_298:
	s_or_b64 exec, exec, s[26:27]
	s_and_b64 s[30:31], s[6:7], s[18:19]
	s_and_saveexec_b64 s[26:27], s[30:31]
	s_cbranch_execnz .LBB20_312
.LBB20_299:
	s_or_b64 exec, exec, s[26:27]
	s_and_b64 s[30:31], s[8:9], s[18:19]
	s_and_saveexec_b64 s[26:27], s[30:31]
	s_cbranch_execnz .LBB20_316
.LBB20_300:
	s_or_b64 exec, exec, s[26:27]
	s_and_b64 s[30:31], s[10:11], s[18:19]
	s_and_saveexec_b64 s[26:27], s[30:31]
	s_cbranch_execnz .LBB20_320
.LBB20_301:
	s_or_b64 exec, exec, s[26:27]
	s_and_b64 s[30:31], s[12:13], s[18:19]
	s_and_saveexec_b64 s[26:27], s[30:31]
	s_cbranch_execnz .LBB20_324
.LBB20_302:
	s_or_b64 exec, exec, s[26:27]
	s_and_b64 s[30:31], s[14:15], s[18:19]
	s_and_saveexec_b64 s[26:27], s[30:31]
	s_cbranch_execnz .LBB20_328
.LBB20_303:
	s_or_b64 exec, exec, s[26:27]
	s_and_b64 s[26:27], s[16:17], s[18:19]
	s_and_saveexec_b64 s[18:19], s[26:27]
	s_cbranch_execnz .LBB20_332
	s_branch .LBB20_336
.LBB20_304:
	s_and_b64 vcc, exec, s[0:1]
	s_cbranch_vccnz .LBB20_306
; %bb.305:
	v_lshl_add_u64 v[44:45], v[64:65], 2, v[42:43]
	flat_load_dword v44, v[44:45]
	s_waitcnt vmcnt(0) lgkmcnt(0)
	v_mul_f32_e32 v44, s33, v44
	s_branch .LBB20_307
.LBB20_306:
	v_mov_b32_e32 v44, 0
.LBB20_307:
	v_pk_add_f32 v[46:47], v[32:33], v[36:37]
	s_nop 0
	v_min3_f32 v45, v46, v47, v99
	v_pk_add_f32 v[46:47], v[34:35], v[38:39]
	s_nop 0
	v_min_f32_e32 v46, v46, v47
	v_min3_f32 v46, v44, v46, v45
	v_lshl_add_u64 v[44:45], v[64:65], 2, v[40:41]
	global_store_dword v[44:45], v46, off
	s_or_b64 exec, exec, s[26:27]
	s_and_b64 s[30:31], s[4:5], s[18:19]
	s_and_saveexec_b64 s[26:27], s[30:31]
	s_cbranch_execz .LBB20_298
.LBB20_308:
	s_and_b64 vcc, exec, s[0:1]
	s_cbranch_vccnz .LBB20_310
; %bb.309:
	v_lshl_add_u64 v[44:45], v[66:67], 2, v[42:43]
	flat_load_dword v44, v[44:45]
	s_waitcnt vmcnt(0) lgkmcnt(0)
	v_mul_f32_e32 v44, s33, v44
	s_branch .LBB20_311
.LBB20_310:
	v_mov_b32_e32 v44, 0
.LBB20_311:
	v_pk_add_f32 v[46:47], v[28:29], v[36:37]
	s_nop 0
	v_min3_f32 v45, v46, v47, v98
	v_pk_add_f32 v[46:47], v[30:31], v[38:39]
	s_nop 0
	v_min_f32_e32 v46, v46, v47
	v_min3_f32 v46, v44, v46, v45
	v_lshl_add_u64 v[44:45], v[66:67], 2, v[40:41]
	global_store_dword v[44:45], v46, off
	s_or_b64 exec, exec, s[26:27]
	s_and_b64 s[30:31], s[6:7], s[18:19]
	s_and_saveexec_b64 s[26:27], s[30:31]
	s_cbranch_execz .LBB20_299
.LBB20_312:
	s_and_b64 vcc, exec, s[0:1]
	s_cbranch_vccnz .LBB20_314
; %bb.313:
	v_lshl_add_u64 v[44:45], v[68:69], 2, v[42:43]
	flat_load_dword v44, v[44:45]
	s_waitcnt vmcnt(0) lgkmcnt(0)
	v_mul_f32_e32 v44, s33, v44
	s_branch .LBB20_315
.LBB20_314:
	v_mov_b32_e32 v44, 0
.LBB20_315:
	v_pk_add_f32 v[46:47], v[24:25], v[36:37]
	s_nop 0
	v_min3_f32 v45, v46, v47, v97
	v_pk_add_f32 v[46:47], v[26:27], v[38:39]
	s_nop 0
	v_min_f32_e32 v46, v46, v47
	v_min3_f32 v46, v44, v46, v45
	v_lshl_add_u64 v[44:45], v[68:69], 2, v[40:41]
	global_store_dword v[44:45], v46, off
	s_or_b64 exec, exec, s[26:27]
	s_and_b64 s[30:31], s[8:9], s[18:19]
	s_and_saveexec_b64 s[26:27], s[30:31]
	s_cbranch_execz .LBB20_300
.LBB20_316:
	s_and_b64 vcc, exec, s[0:1]
	s_cbranch_vccnz .LBB20_318
; %bb.317:
	v_lshl_add_u64 v[44:45], v[70:71], 2, v[42:43]
	flat_load_dword v44, v[44:45]
	s_waitcnt vmcnt(0) lgkmcnt(0)
	v_mul_f32_e32 v44, s33, v44
	s_branch .LBB20_319
.LBB20_318:
	v_mov_b32_e32 v44, 0
.LBB20_319:
	v_pk_add_f32 v[46:47], v[20:21], v[36:37]
	s_nop 0
	v_min3_f32 v45, v46, v47, v96
	v_pk_add_f32 v[46:47], v[22:23], v[38:39]
	s_nop 0
	v_min_f32_e32 v46, v46, v47
	v_min3_f32 v46, v44, v46, v45
	v_lshl_add_u64 v[44:45], v[70:71], 2, v[40:41]
	global_store_dword v[44:45], v46, off
	s_or_b64 exec, exec, s[26:27]
	s_and_b64 s[30:31], s[10:11], s[18:19]
	s_and_saveexec_b64 s[26:27], s[30:31]
	s_cbranch_execz .LBB20_301
.LBB20_320:
	s_and_b64 vcc, exec, s[0:1]
	s_cbranch_vccnz .LBB20_322
; %bb.321:
	v_lshl_add_u64 v[44:45], v[72:73], 2, v[42:43]
	flat_load_dword v44, v[44:45]
	s_waitcnt vmcnt(0) lgkmcnt(0)
	v_mul_f32_e32 v44, s33, v44
	s_branch .LBB20_323
.LBB20_322:
	v_mov_b32_e32 v44, 0
.LBB20_323:
	v_pk_add_f32 v[46:47], v[16:17], v[36:37]
	s_nop 0
	v_min3_f32 v45, v46, v47, v95
	v_pk_add_f32 v[46:47], v[18:19], v[38:39]
	s_nop 0
	v_min_f32_e32 v46, v46, v47
	v_min3_f32 v46, v44, v46, v45
	v_lshl_add_u64 v[44:45], v[72:73], 2, v[40:41]
	global_store_dword v[44:45], v46, off
	s_or_b64 exec, exec, s[26:27]
	s_and_b64 s[30:31], s[12:13], s[18:19]
	s_and_saveexec_b64 s[26:27], s[30:31]
	s_cbranch_execz .LBB20_302
.LBB20_324:
	s_and_b64 vcc, exec, s[0:1]
	s_cbranch_vccnz .LBB20_326
; %bb.325:
	v_lshl_add_u64 v[44:45], v[74:75], 2, v[42:43]
	flat_load_dword v44, v[44:45]
	s_waitcnt vmcnt(0) lgkmcnt(0)
	v_mul_f32_e32 v44, s33, v44
	s_branch .LBB20_327
.LBB20_326:
	v_mov_b32_e32 v44, 0
.LBB20_327:
	v_pk_add_f32 v[46:47], v[12:13], v[36:37]
	s_nop 0
	v_min3_f32 v45, v46, v47, v94
	v_pk_add_f32 v[46:47], v[14:15], v[38:39]
	s_nop 0
	v_min_f32_e32 v46, v46, v47
	v_min3_f32 v46, v44, v46, v45
	v_lshl_add_u64 v[44:45], v[74:75], 2, v[40:41]
	global_store_dword v[44:45], v46, off
	s_or_b64 exec, exec, s[26:27]
	s_and_b64 s[30:31], s[14:15], s[18:19]
	s_and_saveexec_b64 s[26:27], s[30:31]
	s_cbranch_execz .LBB20_303
.LBB20_328:
	s_and_b64 vcc, exec, s[0:1]
	s_cbranch_vccnz .LBB20_330
; %bb.329:
	v_lshl_add_u64 v[44:45], v[76:77], 2, v[42:43]
	flat_load_dword v44, v[44:45]
	s_waitcnt vmcnt(0) lgkmcnt(0)
	v_mul_f32_e32 v44, s33, v44
	s_branch .LBB20_331
.LBB20_330:
	v_mov_b32_e32 v44, 0
.LBB20_331:
	v_pk_add_f32 v[46:47], v[8:9], v[36:37]
	s_nop 0
	v_min3_f32 v45, v46, v47, v93
	v_pk_add_f32 v[46:47], v[10:11], v[38:39]
	s_nop 0
	v_min_f32_e32 v46, v46, v47
	v_min3_f32 v46, v44, v46, v45
	v_lshl_add_u64 v[44:45], v[76:77], 2, v[40:41]
	global_store_dword v[44:45], v46, off
	s_or_b64 exec, exec, s[26:27]
	s_and_b64 s[26:27], s[16:17], s[18:19]
	s_and_saveexec_b64 s[18:19], s[26:27]
	s_cbranch_execz .LBB20_336
.LBB20_332:
	s_and_b64 vcc, exec, s[0:1]
	s_cbranch_vccnz .LBB20_334
; %bb.333:
	v_lshl_add_u64 v[42:43], v[78:79], 2, v[42:43]
	flat_load_dword v42, v[42:43]
	s_waitcnt vmcnt(0) lgkmcnt(0)
	v_mul_f32_e32 v42, s33, v42
	s_branch .LBB20_335
.LBB20_334:
	v_mov_b32_e32 v42, 0
.LBB20_335:
	v_pk_add_f32 v[36:37], v[0:1], v[36:37]
	s_nop 0
	v_min3_f32 v43, v36, v37, v92
	v_pk_add_f32 v[36:37], v[2:3], v[38:39]
	s_nop 0
	v_min_f32_e32 v36, v36, v37
	v_min3_f32 v38, v42, v36, v43
	v_lshl_add_u64 v[36:37], v[78:79], 2, v[40:41]
	global_store_dword v[36:37], v38, off
.LBB20_336:
	s_or_b64 exec, exec, s[18:19]
	v_add_u32_e32 v40, 0xe0, v124
	v_cmp_gt_i32_e64 s[18:19], s21, v40
	v_mad_i64_i32 v[36:37], s[20:21], v40, s29, 0
	v_lshl_add_u64 v[38:39], v[36:37], 2, s[24:25]
	v_mad_i64_i32 v[36:37], s[20:21], v40, s28, 0
	v_lshl_add_u64 v[36:37], v[36:37], 2, s[22:23]
	s_and_b64 s[20:21], s[2:3], s[18:19]
	s_and_saveexec_b64 s[2:3], s[20:21]
	s_cbranch_execnz .LBB20_345
; %bb.337:
	s_or_b64 exec, exec, s[2:3]
	s_and_b64 s[4:5], s[4:5], s[18:19]
	s_and_saveexec_b64 s[2:3], s[4:5]
	s_cbranch_execnz .LBB20_349
.LBB20_338:
	s_or_b64 exec, exec, s[2:3]
	s_and_b64 s[4:5], s[6:7], s[18:19]
	s_and_saveexec_b64 s[2:3], s[4:5]
	s_cbranch_execnz .LBB20_353
.LBB20_339:
	s_or_b64 exec, exec, s[2:3]
	s_and_b64 s[4:5], s[8:9], s[18:19]
	s_and_saveexec_b64 s[2:3], s[4:5]
	s_cbranch_execnz .LBB20_357
.LBB20_340:
	s_or_b64 exec, exec, s[2:3]
	s_and_b64 s[4:5], s[10:11], s[18:19]
	s_and_saveexec_b64 s[2:3], s[4:5]
	s_cbranch_execnz .LBB20_361
.LBB20_341:
	s_or_b64 exec, exec, s[2:3]
	s_and_b64 s[4:5], s[12:13], s[18:19]
	s_and_saveexec_b64 s[2:3], s[4:5]
	s_cbranch_execnz .LBB20_365
.LBB20_342:
	s_or_b64 exec, exec, s[2:3]
	s_and_b64 s[4:5], s[14:15], s[18:19]
	s_and_saveexec_b64 s[2:3], s[4:5]
	s_cbranch_execnz .LBB20_369
.LBB20_343:
	s_or_b64 exec, exec, s[2:3]
	s_and_b64 s[2:3], s[16:17], s[18:19]
	s_and_saveexec_b64 s[4:5], s[2:3]
	s_cbranch_execnz .LBB20_373
.LBB20_344:
	s_endpgm
.LBB20_345:
	s_and_b64 vcc, exec, s[0:1]
	s_cbranch_vccnz .LBB20_347
; %bb.346:
	v_lshl_add_u64 v[40:41], v[64:65], 2, v[38:39]
	flat_load_dword v40, v[40:41]
	s_waitcnt vmcnt(0) lgkmcnt(0)
	v_mul_f32_e32 v40, s33, v40
	s_branch .LBB20_348
.LBB20_347:
	v_mov_b32_e32 v40, 0
.LBB20_348:
	v_pk_add_f32 v[32:33], v[32:33], v[4:5]
	s_nop 0
	v_min3_f32 v41, v32, v33, v91
	v_pk_add_f32 v[32:33], v[34:35], v[6:7]
	s_nop 0
	v_min_f32_e32 v32, v32, v33
	v_min3_f32 v34, v40, v32, v41
	v_lshl_add_u64 v[32:33], v[64:65], 2, v[36:37]
	global_store_dword v[32:33], v34, off
	s_or_b64 exec, exec, s[2:3]
	s_and_b64 s[4:5], s[4:5], s[18:19]
	s_and_saveexec_b64 s[2:3], s[4:5]
	s_cbranch_execz .LBB20_338
.LBB20_349:
	s_and_b64 vcc, exec, s[0:1]
	s_cbranch_vccnz .LBB20_351
; %bb.350:
	v_lshl_add_u64 v[32:33], v[66:67], 2, v[38:39]
	flat_load_dword v32, v[32:33]
	s_waitcnt vmcnt(0) lgkmcnt(0)
	v_mul_f32_e32 v32, s33, v32
	s_branch .LBB20_352
.LBB20_351:
	v_mov_b32_e32 v32, 0
.LBB20_352:
	v_pk_add_f32 v[28:29], v[28:29], v[4:5]
	s_nop 0
	v_min3_f32 v33, v28, v29, v90
	v_pk_add_f32 v[28:29], v[30:31], v[6:7]
	s_nop 0
	v_min_f32_e32 v28, v28, v29
	v_min3_f32 v30, v32, v28, v33
	v_lshl_add_u64 v[28:29], v[66:67], 2, v[36:37]
	global_store_dword v[28:29], v30, off
	s_or_b64 exec, exec, s[2:3]
	s_and_b64 s[4:5], s[6:7], s[18:19]
	s_and_saveexec_b64 s[2:3], s[4:5]
	s_cbranch_execz .LBB20_339
.LBB20_353:
	s_and_b64 vcc, exec, s[0:1]
	s_cbranch_vccnz .LBB20_355
; %bb.354:
	v_lshl_add_u64 v[28:29], v[68:69], 2, v[38:39]
	flat_load_dword v28, v[28:29]
	s_waitcnt vmcnt(0) lgkmcnt(0)
	v_mul_f32_e32 v28, s33, v28
	s_branch .LBB20_356
.LBB20_355:
	v_mov_b32_e32 v28, 0
.LBB20_356:
	v_pk_add_f32 v[24:25], v[24:25], v[4:5]
	s_nop 0
	v_min3_f32 v29, v24, v25, v89
	v_pk_add_f32 v[24:25], v[26:27], v[6:7]
	s_nop 0
	v_min_f32_e32 v24, v24, v25
	v_min3_f32 v26, v28, v24, v29
	v_lshl_add_u64 v[24:25], v[68:69], 2, v[36:37]
	global_store_dword v[24:25], v26, off
	s_or_b64 exec, exec, s[2:3]
	s_and_b64 s[4:5], s[8:9], s[18:19]
	s_and_saveexec_b64 s[2:3], s[4:5]
	s_cbranch_execz .LBB20_340
.LBB20_357:
	s_and_b64 vcc, exec, s[0:1]
	s_cbranch_vccnz .LBB20_359
; %bb.358:
	v_lshl_add_u64 v[24:25], v[70:71], 2, v[38:39]
	flat_load_dword v24, v[24:25]
	s_waitcnt vmcnt(0) lgkmcnt(0)
	v_mul_f32_e32 v24, s33, v24
	s_branch .LBB20_360
.LBB20_359:
	v_mov_b32_e32 v24, 0
.LBB20_360:
	v_pk_add_f32 v[20:21], v[20:21], v[4:5]
	s_nop 0
	v_min3_f32 v25, v20, v21, v87
	v_pk_add_f32 v[20:21], v[22:23], v[6:7]
	s_nop 0
	v_min_f32_e32 v20, v20, v21
	v_min3_f32 v22, v24, v20, v25
	v_lshl_add_u64 v[20:21], v[70:71], 2, v[36:37]
	global_store_dword v[20:21], v22, off
	s_or_b64 exec, exec, s[2:3]
	s_and_b64 s[4:5], s[10:11], s[18:19]
	s_and_saveexec_b64 s[2:3], s[4:5]
	s_cbranch_execz .LBB20_341
.LBB20_361:
	s_and_b64 vcc, exec, s[0:1]
	s_cbranch_vccnz .LBB20_363
; %bb.362:
	v_lshl_add_u64 v[20:21], v[72:73], 2, v[38:39]
	flat_load_dword v20, v[20:21]
	s_waitcnt vmcnt(0) lgkmcnt(0)
	v_mul_f32_e32 v20, s33, v20
	s_branch .LBB20_364
.LBB20_363:
	v_mov_b32_e32 v20, 0
.LBB20_364:
	v_pk_add_f32 v[16:17], v[16:17], v[4:5]
	s_nop 0
	v_min3_f32 v21, v16, v17, v86
	v_pk_add_f32 v[16:17], v[18:19], v[6:7]
	s_nop 0
	v_min_f32_e32 v16, v16, v17
	v_min3_f32 v18, v20, v16, v21
	v_lshl_add_u64 v[16:17], v[72:73], 2, v[36:37]
	global_store_dword v[16:17], v18, off
	s_or_b64 exec, exec, s[2:3]
	s_and_b64 s[4:5], s[12:13], s[18:19]
	s_and_saveexec_b64 s[2:3], s[4:5]
	s_cbranch_execz .LBB20_342
.LBB20_365:
	s_and_b64 vcc, exec, s[0:1]
	s_cbranch_vccnz .LBB20_367
; %bb.366:
	v_lshl_add_u64 v[16:17], v[74:75], 2, v[38:39]
	flat_load_dword v16, v[16:17]
	s_waitcnt vmcnt(0) lgkmcnt(0)
	v_mul_f32_e32 v16, s33, v16
	s_branch .LBB20_368
.LBB20_367:
	v_mov_b32_e32 v16, 0
.LBB20_368:
	v_pk_add_f32 v[12:13], v[12:13], v[4:5]
	s_nop 0
	v_min3_f32 v17, v12, v13, v85
	v_pk_add_f32 v[12:13], v[14:15], v[6:7]
	s_nop 0
	v_min_f32_e32 v12, v12, v13
	v_min3_f32 v14, v16, v12, v17
	v_lshl_add_u64 v[12:13], v[74:75], 2, v[36:37]
	global_store_dword v[12:13], v14, off
	s_or_b64 exec, exec, s[2:3]
	s_and_b64 s[4:5], s[14:15], s[18:19]
	s_and_saveexec_b64 s[2:3], s[4:5]
	s_cbranch_execz .LBB20_343
.LBB20_369:
	s_and_b64 vcc, exec, s[0:1]
	s_cbranch_vccnz .LBB20_371
; %bb.370:
	v_lshl_add_u64 v[12:13], v[76:77], 2, v[38:39]
	flat_load_dword v12, v[12:13]
	s_waitcnt vmcnt(0) lgkmcnt(0)
	v_mul_f32_e32 v12, s33, v12
	s_branch .LBB20_372
.LBB20_371:
	v_mov_b32_e32 v12, 0
.LBB20_372:
	v_pk_add_f32 v[8:9], v[8:9], v[4:5]
	s_nop 0
	v_min3_f32 v13, v8, v9, v84
	v_pk_add_f32 v[8:9], v[10:11], v[6:7]
	s_nop 0
	v_min_f32_e32 v8, v8, v9
	v_min3_f32 v10, v12, v8, v13
	v_lshl_add_u64 v[8:9], v[76:77], 2, v[36:37]
	global_store_dword v[8:9], v10, off
	s_or_b64 exec, exec, s[2:3]
	s_and_b64 s[2:3], s[16:17], s[18:19]
	s_and_saveexec_b64 s[4:5], s[2:3]
	s_cbranch_execz .LBB20_344
.LBB20_373:
	s_and_b64 vcc, exec, s[0:1]
	s_cbranch_vccnz .LBB20_375
; %bb.374:
	v_lshl_add_u64 v[8:9], v[78:79], 2, v[38:39]
	flat_load_dword v8, v[8:9]
	s_waitcnt vmcnt(0) lgkmcnt(0)
	v_mul_f32_e32 v8, s33, v8
	s_branch .LBB20_376
.LBB20_375:
	v_mov_b32_e32 v8, 0
.LBB20_376:
	v_pk_add_f32 v[0:1], v[0:1], v[4:5]
	s_nop 0
	v_min3_f32 v4, v0, v1, v88
	v_pk_add_f32 v[0:1], v[2:3], v[6:7]
	s_nop 0
	v_min_f32_e32 v0, v0, v1
	v_min3_f32 v2, v8, v0, v4
	v_lshl_add_u64 v[0:1], v[78:79], 2, v[36:37]
	global_store_dword v[0:1], v2, off
	s_endpgm
	.section	.rodata,"a",@progbits
	.p2align	6, 0x0
	.amdhsa_kernel _ZN12_GLOBAL__N_120geam_min_plus_kernelIf15HIP_vector_typeIfLj2EEfLi8ELi32ELi64ELi256ELi4ELi64ELi4ELi64ELi4ELc78ELc84ELb0ELb1ELb1EfKPKfKPfEEviiiT16_PT17_ilSA_ilS8_SA_ilPT18_ili26rocblas_geam_ex_operation_
		.amdhsa_group_segment_fixed_size 10240
		.amdhsa_private_segment_fixed_size 0
		.amdhsa_kernarg_size 128
		.amdhsa_user_sgpr_count 2
		.amdhsa_user_sgpr_dispatch_ptr 0
		.amdhsa_user_sgpr_queue_ptr 0
		.amdhsa_user_sgpr_kernarg_segment_ptr 1
		.amdhsa_user_sgpr_dispatch_id 0
		.amdhsa_user_sgpr_kernarg_preload_length 0
		.amdhsa_user_sgpr_kernarg_preload_offset 0
		.amdhsa_user_sgpr_private_segment_size 0
		.amdhsa_uses_dynamic_stack 0
		.amdhsa_enable_private_segment 0
		.amdhsa_system_sgpr_workgroup_id_x 1
		.amdhsa_system_sgpr_workgroup_id_y 0
		.amdhsa_system_sgpr_workgroup_id_z 1
		.amdhsa_system_sgpr_workgroup_info 0
		.amdhsa_system_vgpr_workitem_id 1
		.amdhsa_next_free_vgpr 180
		.amdhsa_next_free_sgpr 44
		.amdhsa_accum_offset 180
		.amdhsa_reserve_vcc 1
		.amdhsa_float_round_mode_32 0
		.amdhsa_float_round_mode_16_64 0
		.amdhsa_float_denorm_mode_32 3
		.amdhsa_float_denorm_mode_16_64 3
		.amdhsa_dx10_clamp 1
		.amdhsa_ieee_mode 1
		.amdhsa_fp16_overflow 0
		.amdhsa_tg_split 0
		.amdhsa_exception_fp_ieee_invalid_op 0
		.amdhsa_exception_fp_denorm_src 0
		.amdhsa_exception_fp_ieee_div_zero 0
		.amdhsa_exception_fp_ieee_overflow 0
		.amdhsa_exception_fp_ieee_underflow 0
		.amdhsa_exception_fp_ieee_inexact 0
		.amdhsa_exception_int_div_zero 0
	.end_amdhsa_kernel
	.section	.text._ZN12_GLOBAL__N_120geam_min_plus_kernelIf15HIP_vector_typeIfLj2EEfLi8ELi32ELi64ELi256ELi4ELi64ELi4ELi64ELi4ELc78ELc84ELb0ELb1ELb1EfKPKfKPfEEviiiT16_PT17_ilSA_ilS8_SA_ilPT18_ili26rocblas_geam_ex_operation_,"axG",@progbits,_ZN12_GLOBAL__N_120geam_min_plus_kernelIf15HIP_vector_typeIfLj2EEfLi8ELi32ELi64ELi256ELi4ELi64ELi4ELi64ELi4ELc78ELc84ELb0ELb1ELb1EfKPKfKPfEEviiiT16_PT17_ilSA_ilS8_SA_ilPT18_ili26rocblas_geam_ex_operation_,comdat
.Lfunc_end20:
	.size	_ZN12_GLOBAL__N_120geam_min_plus_kernelIf15HIP_vector_typeIfLj2EEfLi8ELi32ELi64ELi256ELi4ELi64ELi4ELi64ELi4ELc78ELc84ELb0ELb1ELb1EfKPKfKPfEEviiiT16_PT17_ilSA_ilS8_SA_ilPT18_ili26rocblas_geam_ex_operation_, .Lfunc_end20-_ZN12_GLOBAL__N_120geam_min_plus_kernelIf15HIP_vector_typeIfLj2EEfLi8ELi32ELi64ELi256ELi4ELi64ELi4ELi64ELi4ELc78ELc84ELb0ELb1ELb1EfKPKfKPfEEviiiT16_PT17_ilSA_ilS8_SA_ilPT18_ili26rocblas_geam_ex_operation_
                                        ; -- End function
	.section	.AMDGPU.csdata,"",@progbits
; Kernel info:
; codeLenInByte = 18676
; NumSgprs: 50
; NumVgprs: 180
; NumAgprs: 0
; TotalNumVgprs: 180
; ScratchSize: 0
; MemoryBound: 0
; FloatMode: 240
; IeeeMode: 1
; LDSByteSize: 10240 bytes/workgroup (compile time only)
; SGPRBlocks: 6
; VGPRBlocks: 22
; NumSGPRsForWavesPerEU: 50
; NumVGPRsForWavesPerEU: 180
; AccumOffset: 180
; Occupancy: 2
; WaveLimiterHint : 1
; COMPUTE_PGM_RSRC2:SCRATCH_EN: 0
; COMPUTE_PGM_RSRC2:USER_SGPR: 2
; COMPUTE_PGM_RSRC2:TRAP_HANDLER: 0
; COMPUTE_PGM_RSRC2:TGID_X_EN: 1
; COMPUTE_PGM_RSRC2:TGID_Y_EN: 0
; COMPUTE_PGM_RSRC2:TGID_Z_EN: 1
; COMPUTE_PGM_RSRC2:TIDIG_COMP_CNT: 1
; COMPUTE_PGM_RSRC3_GFX90A:ACCUM_OFFSET: 44
; COMPUTE_PGM_RSRC3_GFX90A:TG_SPLIT: 0
	.section	.text._ZN12_GLOBAL__N_120geam_min_plus_kernelIf15HIP_vector_typeIfLj2EEfLi8ELi32ELi64ELi256ELi4ELi4ELi64ELi64ELi4ELc84ELc84ELb0ELb0ELb1EPKfKS4_KPfEEviiiT16_PT17_ilSA_ilS8_SA_ilPT18_ili26rocblas_geam_ex_operation_,"axG",@progbits,_ZN12_GLOBAL__N_120geam_min_plus_kernelIf15HIP_vector_typeIfLj2EEfLi8ELi32ELi64ELi256ELi4ELi4ELi64ELi64ELi4ELc84ELc84ELb0ELb0ELb1EPKfKS4_KPfEEviiiT16_PT17_ilSA_ilS8_SA_ilPT18_ili26rocblas_geam_ex_operation_,comdat
	.globl	_ZN12_GLOBAL__N_120geam_min_plus_kernelIf15HIP_vector_typeIfLj2EEfLi8ELi32ELi64ELi256ELi4ELi4ELi64ELi64ELi4ELc84ELc84ELb0ELb0ELb1EPKfKS4_KPfEEviiiT16_PT17_ilSA_ilS8_SA_ilPT18_ili26rocblas_geam_ex_operation_ ; -- Begin function _ZN12_GLOBAL__N_120geam_min_plus_kernelIf15HIP_vector_typeIfLj2EEfLi8ELi32ELi64ELi256ELi4ELi4ELi64ELi64ELi4ELc84ELc84ELb0ELb0ELb1EPKfKS4_KPfEEviiiT16_PT17_ilSA_ilS8_SA_ilPT18_ili26rocblas_geam_ex_operation_
	.p2align	8
	.type	_ZN12_GLOBAL__N_120geam_min_plus_kernelIf15HIP_vector_typeIfLj2EEfLi8ELi32ELi64ELi256ELi4ELi4ELi64ELi64ELi4ELc84ELc84ELb0ELb0ELb1EPKfKS4_KPfEEviiiT16_PT17_ilSA_ilS8_SA_ilPT18_ili26rocblas_geam_ex_operation_,@function
_ZN12_GLOBAL__N_120geam_min_plus_kernelIf15HIP_vector_typeIfLj2EEfLi8ELi32ELi64ELi256ELi4ELi4ELi64ELi64ELi4ELc84ELc84ELb0ELb0ELb1EPKfKS4_KPfEEviiiT16_PT17_ilSA_ilS8_SA_ilPT18_ili26rocblas_geam_ex_operation_: ; @_ZN12_GLOBAL__N_120geam_min_plus_kernelIf15HIP_vector_typeIfLj2EEfLi8ELi32ELi64ELi256ELi4ELi4ELi64ELi64ELi4ELc84ELc84ELb0ELb0ELb1EPKfKS4_KPfEEviiiT16_PT17_ilSA_ilS8_SA_ilPT18_ili26rocblas_geam_ex_operation_
; %bb.0:
	s_load_dwordx4 s[12:15], s[0:1], 0x10
	s_load_dwordx4 s[4:7], s[0:1], 0x28
	s_mov_b32 s20, s3
	s_mov_b32 s21, 0
	s_lshl_b64 s[16:17], s[20:21], 2
	s_waitcnt lgkmcnt(0)
	s_add_u32 s18, s12, s16
	s_load_dwordx4 s[8:11], s[0:1], 0x40
	s_addc_u32 s19, s13, s17
	s_load_dword s12, s[18:19], 0x0
	s_load_dwordx2 s[22:23], s[0:1], 0x50
	s_waitcnt lgkmcnt(0)
	s_add_u32 s10, s10, s16
	v_cmp_eq_f32_e64 s[18:19], s12, 0
	s_addc_u32 s11, s11, s17
	v_cmp_neq_f32_e64 s[24:25], s12, 0
	s_mov_b64 s[16:17], 0
	s_and_b64 vcc, exec, s[18:19]
	s_mov_b64 s[18:19], 0
	s_cbranch_vccnz .LBB21_2
; %bb.1:
	s_lshl_b64 s[18:19], s[20:21], 3
	s_add_u32 s14, s14, s18
	s_addc_u32 s15, s15, s19
	s_load_dwordx2 s[14:15], s[14:15], 0x0
	s_lshl_b64 s[4:5], s[4:5], 2
	s_waitcnt lgkmcnt(0)
	s_add_u32 s18, s14, s4
	s_addc_u32 s19, s15, s5
.LBB21_2:
	s_load_dword s26, s[10:11], 0x0
	v_cndmask_b32_e64 v1, 0, 1, s[24:25]
	v_cmp_ne_u32_e64 s[4:5], 1, v1
	s_andn2_b64 vcc, exec, s[24:25]
	s_cbranch_vccnz .LBB21_4
; %bb.3:
	s_lshl_b64 s[10:11], s[20:21], 3
	s_add_u32 s6, s6, s10
	s_addc_u32 s7, s7, s11
	s_load_dwordx2 s[6:7], s[6:7], 0x0
	s_lshl_b64 s[8:9], s[8:9], 2
	s_waitcnt lgkmcnt(0)
	s_add_u32 s16, s6, s8
	s_addc_u32 s17, s7, s9
.LBB21_4:
	s_load_dwordx4 s[8:11], s[0:1], 0x60
	s_waitcnt lgkmcnt(0)
	v_cmp_eq_f32_e64 s[6:7], s26, 0
	s_and_b64 s[6:7], exec, s[6:7]
	s_mov_b64 vcc, s[6:7]
	s_cbranch_vccnz .LBB21_6
; %bb.5:
	s_lshl_b64 s[14:15], s[20:21], 3
	s_add_u32 s14, s22, s14
	s_addc_u32 s15, s23, s15
	s_load_dwordx2 s[14:15], s[14:15], 0x0
	s_lshl_b64 s[8:9], s[8:9], 2
	s_waitcnt lgkmcnt(0)
	s_add_u32 s8, s14, s8
	s_addc_u32 s9, s15, s9
	s_branch .LBB21_7
.LBB21_6:
	s_mov_b64 s[8:9], 0
.LBB21_7:
	s_load_dword s13, s[0:1], 0x0
	s_load_dword s3, s[0:1], 0x20
	s_lshl_b64 s[14:15], s[20:21], 3
	s_add_u32 s10, s10, s14
	s_addc_u32 s11, s11, s15
	s_waitcnt lgkmcnt(0)
	s_add_i32 s13, s13, -1
	s_ashr_i32 s14, s13, 31
	s_lshr_b32 s14, s14, 26
	s_add_i32 s13, s13, s14
	s_ashr_i32 s13, s13, 6
	s_add_i32 s14, s13, 1
	v_cvt_f32_u32_e32 v1, s14
	s_not_b32 s13, s13
	s_load_dwordx2 s[10:11], s[10:11], 0x0
	v_and_b32_e32 v76, 0x3ff, v0
	v_rcp_iflag_f32_e32 v1, v1
	v_bfe_u32 v77, v0, 10, 10
	v_lshl_add_u32 v0, v77, 3, v76
	v_and_b32_e32 v2, 3, v76
	v_mul_f32_e32 v1, 0x4f7ffffe, v1
	v_cvt_u32_f32_e32 v1, v1
	v_lshrrev_b32_e32 v62, 2, v0
	v_lshlrev_b32_e32 v56, 2, v2
	v_readfirstlane_b32 s15, v1
	s_mul_i32 s13, s13, s15
	s_mul_hi_u32 s13, s15, s13
	s_add_i32 s15, s15, s13
	s_mul_hi_u32 s13, s2, s15
	s_mul_i32 s15, s13, s14
	s_sub_i32 s15, s2, s15
	s_add_i32 s20, s13, 1
	s_sub_i32 s21, s15, s14
	s_cmp_ge_u32 s15, s14
	s_cselect_b32 s13, s20, s13
	s_cselect_b32 s15, s21, s15
	s_add_i32 s20, s13, 1
	s_cmp_ge_u32 s15, s14
	s_cselect_b32 s13, s20, s13
	s_mul_i32 s23, s13, s14
	s_sub_i32 s14, s2, s23
	s_lshl_b32 s20, s14, 6
	s_and_b64 vcc, exec, s[4:5]
	v_add_u32_e32 v6, s20, v62
	s_cbranch_vccnz .LBB21_9
; %bb.8:
	v_mad_i64_i32 v[2:3], s[14:15], v6, s3, 0
	v_lshl_add_u64 v[2:3], v[2:3], 2, s[18:19]
	v_mov_b32_e32 v57, 0
	v_lshl_add_u64 v[2:3], v[2:3], 0, v[56:57]
	flat_load_dword v1, v[2:3]
	s_waitcnt vmcnt(0) lgkmcnt(0)
	v_mul_f32_e32 v8, s12, v1
	s_branch .LBB21_10
.LBB21_9:
	v_mov_b32_e32 v8, 0
.LBB21_10:
	s_load_dword s14, s[0:1], 0x38
	v_and_b32_e32 v68, 63, v0
	v_lshrrev_b32_e32 v63, 6, v0
	s_lshl_b32 s21, s13, 8
	v_or_b32_e32 v2, s21, v68
	s_waitcnt lgkmcnt(0)
	v_mad_i64_i32 v[0:1], s[24:25], s14, v63, 0
	s_ashr_i32 s15, s14, 31
	v_lshl_add_u64 v[4:5], v[0:1], 2, s[16:17]
	s_and_b64 vcc, exec, s[4:5]
	v_ashrrev_i32_e32 v3, 31, v2
	s_cbranch_vccnz .LBB21_14
; %bb.11:
	v_lshl_add_u64 v[0:1], v[2:3], 2, v[4:5]
	flat_load_dword v10, v[0:1]
	flat_load_dword v11, v[0:1] offset:256
	s_waitcnt vmcnt(0) lgkmcnt(0)
	v_pk_mul_f32 v[0:1], s[12:13], v[10:11] op_sel_hi:[0,1]
	s_and_b64 vcc, exec, s[4:5]
	s_cbranch_vccnz .LBB21_15
.LBB21_12:
	v_lshl_add_u64 v[4:5], v[2:3], 2, v[4:5]
	flat_load_dword v10, v[4:5] offset:512
	flat_load_dword v11, v[4:5] offset:768
	s_waitcnt vmcnt(0) lgkmcnt(0)
	v_pk_mul_f32 v[4:5], s[12:13], v[10:11] op_sel_hi:[0,1]
	s_and_b64 vcc, exec, s[4:5]
	s_cbranch_vccnz .LBB21_16
.LBB21_13:
	v_mad_i64_i32 v[6:7], s[24:25], v6, s3, 0
	v_lshl_add_u64 v[6:7], v[6:7], 2, s[18:19]
	v_mov_b32_e32 v57, 0
	v_lshl_add_u64 v[6:7], v[6:7], 0, v[56:57]
	flat_load_dword v6, v[6:7] offset:16
	s_waitcnt vmcnt(0) lgkmcnt(0)
	v_mul_f32_e32 v57, s12, v6
	s_branch .LBB21_17
.LBB21_14:
	v_mov_b32_e32 v0, 0
	v_mov_b32_e32 v1, 0
	s_and_b64 vcc, exec, s[4:5]
	s_cbranch_vccz .LBB21_12
.LBB21_15:
	v_mov_b32_e32 v4, 0
	v_mov_b32_e32 v5, 0
	s_and_b64 vcc, exec, s[4:5]
	s_cbranch_vccz .LBB21_13
.LBB21_16:
	v_mov_b32_e32 v57, 0
.LBB21_17:
	v_add_u32_e32 v6, 4, v63
	v_mad_i64_i32 v[6:7], s[24:25], s14, v6, 0
	s_and_b64 vcc, exec, s[4:5]
	v_lshl_add_u64 v[6:7], v[6:7], 2, s[16:17]
	s_cbranch_vccnz .LBB21_20
; %bb.18:
	v_lshl_add_u64 v[10:11], v[2:3], 2, v[6:7]
	flat_load_dword v12, v[10:11]
	flat_load_dword v13, v[10:11] offset:256
	s_waitcnt vmcnt(0) lgkmcnt(0)
	v_pk_mul_f32 v[58:59], s[12:13], v[12:13] op_sel_hi:[0,1]
	s_and_b64 vcc, exec, s[4:5]
	s_cbranch_vccnz .LBB21_21
.LBB21_19:
	v_lshl_add_u64 v[2:3], v[2:3], 2, v[6:7]
	flat_load_dword v6, v[2:3] offset:512
	flat_load_dword v7, v[2:3] offset:768
	s_waitcnt vmcnt(0) lgkmcnt(0)
	v_pk_mul_f32 v[60:61], s[12:13], v[6:7] op_sel_hi:[0,1]
	s_branch .LBB21_22
.LBB21_20:
	v_mov_b32_e32 v58, 0
	v_mov_b32_e32 v59, 0
	s_and_b64 vcc, exec, s[4:5]
	s_cbranch_vccz .LBB21_19
.LBB21_21:
	v_mov_b32_e32 v60, 0
	v_mov_b32_e32 v61, 0
.LBB21_22:
	v_lshlrev_b32_e32 v2, 2, v63
	v_lshl_or_b32 v64, v62, 4, v56
	v_lshl_add_u32 v80, v68, 4, v2
	v_lshlrev_b32_e32 v78, 4, v76
	v_lshlrev_b32_e32 v79, 4, v77
	ds_write_b32 v64, v8 offset:8192
	ds_write2st64_b32 v80, v0, v1 offset1:4
	ds_write2st64_b32 v80, v4, v5 offset0:8 offset1:12
	s_waitcnt lgkmcnt(0)
	s_barrier
	ds_read_b128 v[12:15], v78 offset:8192
	ds_read_b128 v[20:23], v78 offset:8320
	;; [unrolled: 1-line block ×8, first 2 shown]
	ds_read_b128 v[52:55], v79
	ds_read_b128 v[48:51], v79 offset:512
	ds_read_b128 v[44:47], v79 offset:1024
	;; [unrolled: 1-line block ×5, first 2 shown]
	s_waitcnt lgkmcnt(5)
	v_pk_add_f32 v[66:67], v[12:13], v[52:53]
	s_mov_b32 s13, 0x7f7fffff
	v_min3_f32 v65, v66, v67, s13
	v_pk_add_f32 v[66:67], v[20:21], v[52:53]
	s_load_dword s22, s[0:1], 0x8
	v_min3_f32 v69, v66, v67, s13
	v_pk_add_f32 v[66:67], v[24:25], v[52:53]
	s_waitcnt lgkmcnt(0)
	s_cmp_lt_i32 s22, 9
	v_min3_f32 v70, v66, v67, s13
	v_pk_add_f32 v[66:67], v[28:29], v[52:53]
	s_nop 0
	v_min3_f32 v71, v66, v67, s13
	v_pk_add_f32 v[66:67], v[16:17], v[52:53]
	s_nop 0
	v_min3_f32 v72, v66, v67, s13
	v_pk_add_f32 v[66:67], v[8:9], v[52:53]
	s_nop 0
	v_min3_f32 v73, v66, v67, s13
	v_pk_add_f32 v[66:67], v[4:5], v[52:53]
	v_pk_add_f32 v[52:53], v[0:1], v[52:53]
	v_min3_f32 v66, v66, v67, s13
	v_min3_f32 v67, v52, v53, s13
	v_pk_add_f32 v[52:53], v[12:13], v[48:49]
	s_nop 0
	v_min3_f32 v74, v52, v53, s13
	v_pk_add_f32 v[52:53], v[20:21], v[48:49]
	s_nop 0
	v_min3_f32 v75, v52, v53, s13
	v_pk_add_f32 v[52:53], v[24:25], v[48:49]
	s_nop 0
	v_min3_f32 v88, v52, v53, s13
	v_pk_add_f32 v[52:53], v[28:29], v[48:49]
	s_nop 0
	v_min3_f32 v89, v52, v53, s13
	v_pk_add_f32 v[52:53], v[16:17], v[48:49]
	s_nop 0
	v_min3_f32 v90, v52, v53, s13
	v_pk_add_f32 v[52:53], v[8:9], v[48:49]
	s_nop 0
	v_min3_f32 v91, v52, v53, s13
	v_pk_add_f32 v[52:53], v[4:5], v[48:49]
	v_pk_add_f32 v[48:49], v[0:1], v[48:49]
	v_min3_f32 v52, v52, v53, s13
	v_min3_f32 v53, v48, v49, s13
	v_pk_add_f32 v[48:49], v[12:13], v[44:45]
	s_nop 0
	v_min3_f32 v92, v48, v49, s13
	v_pk_add_f32 v[48:49], v[20:21], v[44:45]
	s_nop 0
	v_min3_f32 v93, v48, v49, s13
	v_pk_add_f32 v[48:49], v[24:25], v[44:45]
	s_nop 0
	;; [unrolled: 22-line block ×4, first 2 shown]
	v_min3_f32 v108, v40, v41, s13
	v_pk_add_f32 v[40:41], v[28:29], v[36:37]
	s_nop 0
	v_min3_f32 v109, v40, v41, s13
	v_pk_add_f32 v[40:41], v[16:17], v[36:37]
	s_nop 0
	;; [unrolled: 3-line block ×3, first 2 shown]
	v_min3_f32 v111, v40, v41, s13
	v_pk_add_f32 v[40:41], v[4:5], v[36:37]
	v_pk_add_f32 v[36:37], v[0:1], v[36:37]
	v_min3_f32 v112, v40, v41, s13
	v_min3_f32 v113, v36, v37, s13
	v_pk_add_f32 v[36:37], v[12:13], v[32:33]
	v_pk_add_f32 v[40:41], v[8:9], v[32:33]
	v_min3_f32 v114, v36, v37, s13
	v_pk_add_f32 v[36:37], v[20:21], v[32:33]
	s_nop 0
	v_min3_f32 v141, v36, v37, s13
	v_pk_add_f32 v[36:37], v[24:25], v[32:33]
	s_nop 0
	;; [unrolled: 3-line block ×4, first 2 shown]
	v_min3_f32 v83, v36, v37, v69
	v_pk_add_f32 v[36:37], v[26:27], v[54:55]
	v_min3_f32 v69, v40, v41, s13
	v_min3_f32 v86, v36, v37, v70
	v_pk_add_f32 v[36:37], v[30:31], v[54:55]
	v_pk_add_f32 v[40:41], v[4:5], v[32:33]
	v_min3_f32 v81, v36, v37, v71
	v_pk_add_f32 v[36:37], v[18:19], v[54:55]
	v_min3_f32 v40, v40, v41, s13
	v_min3_f32 v82, v36, v37, v72
	v_pk_add_f32 v[36:37], v[10:11], v[54:55]
	s_nop 0
	v_min3_f32 v84, v36, v37, v73
	v_pk_add_f32 v[36:37], v[6:7], v[54:55]
	s_nop 0
	;; [unrolled: 3-line block ×3, first 2 shown]
	v_min3_f32 v65, v36, v37, s13
	v_pk_add_f32 v[36:37], v[16:17], v[32:33]
	v_pk_add_f32 v[32:33], v[0:1], v[32:33]
	v_min3_f32 v66, v36, v37, s13
	v_pk_add_f32 v[36:37], v[2:3], v[54:55]
	v_min3_f32 v41, v32, v33, s13
	v_min3_f32 v148, v36, v37, v67
	v_pk_add_f32 v[36:37], v[14:15], v[50:51]
	s_nop 0
	v_min3_f32 v149, v36, v37, v74
	v_pk_add_f32 v[36:37], v[22:23], v[50:51]
	s_nop 0
	;; [unrolled: 3-line block ×7, first 2 shown]
	v_min3_f32 v143, v36, v37, v52
	v_pk_add_f32 v[36:37], v[2:3], v[50:51]
	ds_read_b128 v[48:51], v79 offset:3072
	v_min3_f32 v139, v36, v37, v53
	ds_read_b128 v[52:55], v79 offset:3584
	v_pk_add_f32 v[36:37], v[14:15], v[46:47]
	ds_write_b32 v64, v57 offset:9216
	ds_write2st64_b32 v80, v58, v59 offset0:16 offset1:20
	ds_write2st64_b32 v80, v60, v61 offset0:24 offset1:28
	s_waitcnt lgkmcnt(4)
	v_pk_add_f32 v[32:33], v[12:13], v[48:49]
	v_min3_f32 v140, v36, v37, v92
	v_min3_f32 v67, v32, v33, s13
	v_pk_add_f32 v[32:33], v[2:3], v[46:47]
	v_pk_add_f32 v[36:37], v[22:23], v[46:47]
	v_min3_f32 v134, v32, v33, v99
	v_pk_add_f32 v[32:33], v[14:15], v[42:43]
	v_min3_f32 v137, v36, v37, v93
	v_min3_f32 v133, v32, v33, v100
	v_pk_add_f32 v[32:33], v[22:23], v[42:43]
	v_pk_add_f32 v[36:37], v[26:27], v[46:47]
	v_min3_f32 v130, v32, v33, v101
	v_pk_add_f32 v[32:33], v[26:27], v[42:43]
	v_min3_f32 v138, v36, v37, v94
	v_min3_f32 v129, v32, v33, v102
	v_pk_add_f32 v[32:33], v[30:31], v[42:43]
	v_pk_add_f32 v[36:37], v[30:31], v[46:47]
	v_min3_f32 v128, v32, v33, v103
	v_pk_add_f32 v[32:33], v[18:19], v[42:43]
	v_min3_f32 v135, v36, v37, v95
	v_min3_f32 v127, v32, v33, v104
	v_pk_add_f32 v[32:33], v[10:11], v[42:43]
	v_pk_add_f32 v[36:37], v[18:19], v[46:47]
	v_min3_f32 v126, v32, v33, v105
	v_pk_add_f32 v[32:33], v[6:7], v[42:43]
	v_min3_f32 v136, v36, v37, v96
	v_min3_f32 v125, v32, v33, v44
	v_pk_add_f32 v[32:33], v[28:29], v[48:49]
	v_pk_add_f32 v[36:37], v[10:11], v[46:47]
	v_min3_f32 v44, v32, v33, s13
	v_pk_add_f32 v[32:33], v[16:17], v[48:49]
	s_waitcnt lgkmcnt(3)
	v_pk_add_f32 v[12:13], v[12:13], v[52:53]
	v_min3_f32 v70, v32, v33, s13
	v_pk_add_f32 v[32:33], v[2:3], v[42:43]
	v_min3_f32 v131, v36, v37, v97
	v_min3_f32 v124, v32, v33, v45
	v_pk_add_f32 v[32:33], v[14:15], v[38:39]
	v_pk_add_f32 v[36:37], v[6:7], v[46:47]
	v_min3_f32 v123, v32, v33, v106
	v_pk_add_f32 v[32:33], v[22:23], v[38:39]
	v_min3_f32 v132, v36, v37, v98
	v_min3_f32 v122, v32, v33, v107
	v_pk_add_f32 v[32:33], v[26:27], v[38:39]
	;; [unrolled: 6-line block ×5, first 2 shown]
	v_pk_add_f32 v[36:37], v[4:5], v[48:49]
	v_min3_f32 v116, v32, v33, v114
	v_pk_add_f32 v[32:33], v[22:23], v[34:35]
	v_pk_add_f32 v[4:5], v[4:5], v[52:53]
	v_min3_f32 v113, v32, v33, v141
	v_pk_add_f32 v[32:33], v[26:27], v[34:35]
	v_pk_add_f32 v[20:21], v[20:21], v[52:53]
	v_min3_f32 v114, v32, v33, v150
	v_pk_add_f32 v[32:33], v[30:31], v[34:35]
	v_min3_f32 v4, v4, v5, s13
	v_min3_f32 v111, v32, v33, v65
	v_pk_add_f32 v[32:33], v[18:19], v[34:35]
	v_min3_f32 v36, v36, v37, s13
	v_min3_f32 v112, v32, v33, v66
	v_pk_add_f32 v[32:33], v[10:11], v[34:35]
	v_pk_add_f32 v[8:9], v[8:9], v[52:53]
	v_min3_f32 v109, v32, v33, v69
	v_pk_add_f32 v[32:33], v[6:7], v[34:35]
	v_min3_f32 v8, v8, v9, s13
	v_min3_f32 v110, v32, v33, v40
	v_pk_add_f32 v[32:33], v[0:1], v[48:49]
	v_pk_add_f32 v[0:1], v[0:1], v[52:53]
	v_min3_f32 v32, v32, v33, s13
	v_min3_f32 v33, v12, v13, s13
	v_pk_add_f32 v[12:13], v[2:3], v[34:35]
	v_min3_f32 v5, v0, v1, s13
	v_min3_f32 v107, v12, v13, v41
	v_pk_add_f32 v[12:13], v[14:15], v[50:51]
	v_pk_add_f32 v[0:1], v[14:15], v[54:55]
	v_min3_f32 v108, v12, v13, v67
	v_pk_add_f32 v[12:13], v[22:23], v[50:51]
	v_min3_f32 v34, v20, v21, s13
	v_min3_f32 v105, v12, v13, v46
	v_pk_add_f32 v[12:13], v[26:27], v[50:51]
	v_pk_add_f32 v[20:21], v[24:25], v[52:53]
	v_min3_f32 v106, v12, v13, v47
	v_pk_add_f32 v[12:13], v[30:31], v[50:51]
	v_min3_f32 v100, v0, v1, v33
	v_min3_f32 v103, v12, v13, v44
	v_pk_add_f32 v[12:13], v[18:19], v[50:51]
	v_pk_add_f32 v[0:1], v[22:23], v[54:55]
	v_min3_f32 v104, v12, v13, v70
	v_pk_add_f32 v[12:13], v[10:11], v[50:51]
	v_min3_f32 v20, v20, v21, s13
	v_min3_f32 v101, v12, v13, v42
	v_pk_add_f32 v[12:13], v[6:7], v[50:51]
	v_min3_f32 v97, v0, v1, v34
	v_min3_f32 v102, v12, v13, v36
	v_pk_add_f32 v[12:13], v[28:29], v[52:53]
	v_pk_add_f32 v[0:1], v[26:27], v[54:55]
	v_min3_f32 v21, v12, v13, s13
	v_pk_add_f32 v[12:13], v[16:17], v[52:53]
	v_min3_f32 v98, v0, v1, v20
	;; [unrolled: 2-line block ×3, first 2 shown]
	v_min3_f32 v94, v0, v1, v21
	v_pk_add_f32 v[0:1], v[18:19], v[54:55]
	v_pk_add_f32 v[12:13], v[2:3], v[50:51]
	v_min3_f32 v95, v0, v1, v16
	v_pk_add_f32 v[0:1], v[10:11], v[54:55]
	v_min3_f32 v99, v12, v13, v32
	v_min3_f32 v92, v0, v1, v8
	v_pk_add_f32 v[0:1], v[6:7], v[54:55]
	s_waitcnt lgkmcnt(0)
	v_min3_f32 v93, v0, v1, v4
	v_pk_add_f32 v[0:1], v[2:3], v[54:55]
	s_barrier
	v_min3_f32 v96, v0, v1, v5
	s_cbranch_scc1 .LBB21_40
; %bb.23:
	v_mov_b32_e32 v0, 0x2400
	v_lshl_add_u32 v141, v76, 4, v0
	v_mov_b32_e32 v0, 0x1000
	v_lshl_add_u32 v150, v77, 4, v0
	v_lshl_add_u32 v0, s2, 6, v62
	s_lshl_b32 s2, s23, 6
	v_subrev_u32_e32 v0, s2, v0
	v_mad_i64_i32 v[0:1], s[2:3], s3, v0, 0
	v_mov_b32_e32 v57, 0
	v_lshl_add_u64 v[0:1], v[0:1], 2, v[56:57]
	v_lshl_add_u64 v[0:1], v[0:1], 0, s[18:19]
	v_add_u32_e32 v88, 0x2000, v64
	v_add_u32_e32 v90, 0x2400, v64
	v_lshl_add_u64 v[64:65], v[0:1], 0, 32
	v_add_u32_e32 v0, 12, v63
	v_mad_i64_i32 v[0:1], s[2:3], v0, s14, 0
	v_lshlrev_b64 v[66:67], 2, v[0:1]
	v_add_u32_e32 v0, s21, v68
	v_ashrrev_i32_e32 v1, 31, v0
	v_lshl_add_u64 v[68:69], v[0:1], 2, s[16:17]
	v_add_u32_e32 v0, 8, v63
	s_lshl_b64 s[2:3], s[14:15], 5
	v_mad_i64_i32 v[0:1], s[14:15], v0, s14, 0
	v_add_u32_e32 v89, 0x2000, v78
	v_or_b32_e32 v91, 0x1000, v80
	s_add_i32 s22, s22, -8
	s_mov_b32 s13, s12
	v_lshlrev_b64 v[70:71], 2, v[0:1]
	s_mov_b32 s14, 0
	s_branch .LBB21_26
.LBB21_24:                              ;   in Loop: Header=BB21_26 Depth=1
	flat_load_dword v0, v[74:75] offset:512
	flat_load_dword v1, v[74:75] offset:768
	s_waitcnt vmcnt(0) lgkmcnt(0)
	v_pk_mul_f32 v[36:37], s[12:13], v[0:1]
.LBB21_25:                              ;   in Loop: Header=BB21_26 Depth=1
	ds_read_b128 v[0:3], v89
	ds_read_b128 v[4:7], v89 offset:128
	ds_read_b128 v[8:11], v89 offset:256
	;; [unrolled: 1-line block ×7, first 2 shown]
	ds_read_b128 v[124:127], v79
	ds_read_b128 v[128:131], v79 offset:512
	ds_read_b128 v[152:155], v79 offset:1024
	;; [unrolled: 1-line block ×7, first 2 shown]
	s_waitcnt lgkmcnt(7)
	v_pk_add_f32 v[74:75], v[0:1], v[124:125]
	s_add_i32 s14, s14, 8
	v_min3_f32 v123, v74, v75, v40
	v_pk_add_f32 v[74:75], v[4:5], v[124:125]
	v_lshl_add_u64 v[64:65], v[64:65], 0, 32
	v_min3_f32 v74, v74, v75, v41
	v_pk_add_f32 v[40:41], v[8:9], v[124:125]
	s_cmp_ge_i32 s14, s22
	v_min3_f32 v44, v40, v41, v44
	v_pk_add_f32 v[40:41], v[12:13], v[124:125]
	v_lshl_add_u64 v[68:69], v[68:69], 0, s[2:3]
	v_min3_f32 v45, v40, v41, v45
	v_pk_add_f32 v[40:41], v[16:17], v[124:125]
	ds_write_b32 v90, v151
	ds_write2st64_b32 v91, v72, v73 offset1:4
	ds_write2st64_b32 v91, v36, v37 offset0:8 offset1:12
	v_min3_f32 v48, v40, v41, v48
	v_pk_add_f32 v[40:41], v[20:21], v[124:125]
	s_waitcnt lgkmcnt(0)
	v_min3_f32 v49, v40, v41, v49
	v_pk_add_f32 v[40:41], v[24:25], v[124:125]
	s_barrier
	v_min3_f32 v52, v40, v41, v52
	v_pk_add_f32 v[40:41], v[28:29], v[124:125]
	s_nop 0
	v_min3_f32 v53, v40, v41, v53
	v_pk_add_f32 v[40:41], v[0:1], v[128:129]
	s_nop 0
	;; [unrolled: 3-line block ×41, first 2 shown]
	v_min3_f32 v42, v40, v41, v42
	v_pk_add_f32 v[40:41], v[0:1], v[168:169]
	v_pk_add_f32 v[0:1], v[0:1], v[32:33]
	v_min3_f32 v43, v40, v41, v43
	v_min3_f32 v39, v0, v1, v39
	v_pk_add_f32 v[0:1], v[4:5], v[32:33]
	v_pk_add_f32 v[40:41], v[4:5], v[168:169]
	v_min3_f32 v4, v0, v1, v116
	v_pk_add_f32 v[0:1], v[8:9], v[32:33]
	v_min3_f32 v153, v40, v41, v110
	v_min3_f32 v5, v0, v1, v117
	v_pk_add_f32 v[0:1], v[12:13], v[32:33]
	v_pk_add_f32 v[40:41], v[8:9], v[168:169]
	v_min3_f32 v8, v0, v1, v118
	;; [unrolled: 6-line block ×7, first 2 shown]
	v_pk_add_f32 v[0:1], v[26:27], v[126:127]
	v_min3_f32 v38, v40, v41, v38
	v_min3_f32 v85, v0, v1, v52
	v_pk_add_f32 v[0:1], v[30:31], v[126:127]
	s_nop 0
	v_min3_f32 v148, v0, v1, v53
	v_pk_add_f32 v[0:1], v[2:3], v[130:131]
	s_nop 0
	;; [unrolled: 3-line block ×57, first 2 shown]
	v_min3_f32 v96, v0, v1, v16
	s_cbranch_scc1 .LBB21_40
.LBB21_26:                              ; =>This Inner Loop Header: Depth=1
	s_and_b64 vcc, exec, s[4:5]
	v_mov_b32_e32 v151, 0
	s_cbranch_vccnz .LBB21_28
; %bb.27:                               ;   in Loop: Header=BB21_26 Depth=1
	flat_load_dword v0, v[64:65]
	s_waitcnt vmcnt(0) lgkmcnt(0)
	v_mul_f32_e32 v151, s12, v0
.LBB21_28:                              ;   in Loop: Header=BB21_26 Depth=1
	s_and_b64 vcc, exec, s[4:5]
	v_lshl_add_u64 v[0:1], v[68:69], 0, v[70:71]
	s_cbranch_vccnz .LBB21_31
; %bb.29:                               ;   in Loop: Header=BB21_26 Depth=1
	flat_load_dword v2, v[0:1]
	flat_load_dword v3, v[0:1] offset:256
	s_waitcnt vmcnt(0) lgkmcnt(0)
	v_pk_mul_f32 v[72:73], s[12:13], v[2:3]
	s_and_b64 vcc, exec, s[4:5]
	s_cbranch_vccnz .LBB21_32
.LBB21_30:                              ;   in Loop: Header=BB21_26 Depth=1
	flat_load_dword v2, v[0:1] offset:512
	flat_load_dword v3, v[0:1] offset:768
	s_waitcnt vmcnt(0) lgkmcnt(0)
	v_pk_mul_f32 v[74:75], s[12:13], v[2:3]
	s_branch .LBB21_33
.LBB21_31:                              ;   in Loop: Header=BB21_26 Depth=1
	v_mov_b32_e32 v72, 0
	v_mov_b32_e32 v73, 0
	s_and_b64 vcc, exec, s[4:5]
	s_cbranch_vccz .LBB21_30
.LBB21_32:                              ;   in Loop: Header=BB21_26 Depth=1
	v_mov_b32_e32 v74, 0
	v_mov_b32_e32 v75, 0
.LBB21_33:                              ;   in Loop: Header=BB21_26 Depth=1
	ds_read_b128 v[28:31], v141
	ds_read_b128 v[24:27], v141 offset:128
	ds_read_b128 v[20:23], v141 offset:256
	;; [unrolled: 1-line block ×7, first 2 shown]
	ds_read_b128 v[60:63], v150
	ds_read_b128 v[56:59], v150 offset:512
	ds_read_b128 v[52:55], v150 offset:1024
	;; [unrolled: 1-line block ×7, first 2 shown]
	s_and_b64 vcc, exec, s[4:5]
	ds_write_b32 v88, v151
	ds_write2st64_b32 v80, v72, v73 offset1:4
	ds_write2st64_b32 v80, v74, v75 offset0:8 offset1:12
	s_waitcnt lgkmcnt(0)
	s_barrier
	s_cbranch_vccnz .LBB21_36
; %bb.34:                               ;   in Loop: Header=BB21_26 Depth=1
	flat_load_dword v72, v[64:65] offset:16
	s_waitcnt vmcnt(0) lgkmcnt(0)
	v_mul_f32_e32 v151, s12, v72
	s_and_b64 vcc, exec, s[4:5]
	v_lshl_add_u64 v[74:75], v[68:69], 0, v[66:67]
	s_cbranch_vccnz .LBB21_37
.LBB21_35:                              ;   in Loop: Header=BB21_26 Depth=1
	flat_load_dword v72, v[74:75]
	flat_load_dword v73, v[74:75] offset:256
	s_waitcnt vmcnt(0) lgkmcnt(0)
	v_pk_mul_f32 v[72:73], s[12:13], v[72:73]
	s_branch .LBB21_38
.LBB21_36:                              ;   in Loop: Header=BB21_26 Depth=1
	v_mov_b32_e32 v151, 0
	s_and_b64 vcc, exec, s[4:5]
	v_lshl_add_u64 v[74:75], v[68:69], 0, v[66:67]
	s_cbranch_vccz .LBB21_35
.LBB21_37:                              ;   in Loop: Header=BB21_26 Depth=1
	v_mov_b32_e32 v72, 0
	v_mov_b32_e32 v73, 0
.LBB21_38:                              ;   in Loop: Header=BB21_26 Depth=1
	v_pk_add_f32 v[152:153], v[28:29], v[60:61]
	s_and_b64 vcc, exec, s[4:5]
	v_min3_f32 v154, v152, v153, v87
	v_pk_add_f32 v[152:153], v[24:25], v[60:61]
	s_nop 0
	v_min3_f32 v155, v152, v153, v83
	v_pk_add_f32 v[152:153], v[20:21], v[60:61]
	s_nop 0
	v_min3_f32 v152, v152, v153, v86
	v_pk_add_f32 v[86:87], v[16:17], v[60:61]
	s_nop 0
	v_min3_f32 v81, v86, v87, v81
	v_pk_add_f32 v[86:87], v[12:13], v[60:61]
	s_nop 0
	v_min3_f32 v86, v86, v87, v82
	v_pk_add_f32 v[82:83], v[8:9], v[60:61]
	s_nop 0
	v_min3_f32 v84, v82, v83, v84
	v_pk_add_f32 v[82:83], v[4:5], v[60:61]
	v_pk_add_f32 v[60:61], v[0:1], v[60:61]
	v_min3_f32 v82, v82, v83, v85
	v_min3_f32 v83, v60, v61, v148
	v_pk_add_f32 v[60:61], v[28:29], v[56:57]
	s_nop 0
	v_min3_f32 v85, v60, v61, v149
	v_pk_add_f32 v[60:61], v[24:25], v[56:57]
	s_nop 0
	v_min3_f32 v87, v60, v61, v146
	v_pk_add_f32 v[60:61], v[20:21], v[56:57]
	s_nop 0
	v_min3_f32 v146, v60, v61, v147
	v_pk_add_f32 v[60:61], v[16:17], v[56:57]
	s_nop 0
	v_min3_f32 v144, v60, v61, v144
	v_pk_add_f32 v[60:61], v[12:13], v[56:57]
	s_nop 0
	v_min3_f32 v145, v60, v61, v145
	v_pk_add_f32 v[60:61], v[8:9], v[56:57]
	s_nop 0
	v_min3_f32 v142, v60, v61, v142
	v_pk_add_f32 v[60:61], v[4:5], v[56:57]
	v_pk_add_f32 v[56:57], v[0:1], v[56:57]
	v_min3_f32 v143, v60, v61, v143
	v_min3_f32 v139, v56, v57, v139
	v_pk_add_f32 v[56:57], v[28:29], v[52:53]
	s_nop 0
	;; [unrolled: 22-line block ×5, first 2 shown]
	v_min3_f32 v116, v44, v45, v116
	v_pk_add_f32 v[44:45], v[24:25], v[40:41]
	s_nop 0
	v_min3_f32 v113, v44, v45, v113
	v_pk_add_f32 v[44:45], v[20:21], v[40:41]
	s_nop 0
	;; [unrolled: 3-line block ×5, first 2 shown]
	v_min3_f32 v109, v44, v45, v109
	v_pk_add_f32 v[44:45], v[4:5], v[40:41]
	v_pk_add_f32 v[40:41], v[0:1], v[40:41]
	v_min3_f32 v110, v44, v45, v110
	v_min3_f32 v147, v40, v41, v107
	v_pk_add_f32 v[40:41], v[28:29], v[36:37]
	v_pk_add_f32 v[28:29], v[28:29], v[32:33]
	v_min3_f32 v148, v40, v41, v108
	v_pk_add_f32 v[40:41], v[24:25], v[36:37]
	v_pk_add_f32 v[24:25], v[24:25], v[32:33]
	v_min3_f32 v149, v40, v41, v105
	v_pk_add_f32 v[40:41], v[20:21], v[36:37]
	v_min3_f32 v24, v24, v25, v97
	v_min3_f32 v153, v40, v41, v106
	v_pk_add_f32 v[40:41], v[16:17], v[36:37]
	v_pk_add_f32 v[16:17], v[16:17], v[32:33]
	v_min3_f32 v156, v40, v41, v103
	v_pk_add_f32 v[40:41], v[12:13], v[36:37]
	v_min3_f32 v16, v16, v17, v94
	v_min3_f32 v157, v40, v41, v104
	v_pk_add_f32 v[40:41], v[8:9], v[36:37]
	v_pk_add_f32 v[8:9], v[8:9], v[32:33]
	v_min3_f32 v158, v40, v41, v101
	v_pk_add_f32 v[40:41], v[4:5], v[36:37]
	v_pk_add_f32 v[36:37], v[0:1], v[36:37]
	;; [unrolled: 1-line block ×4, first 2 shown]
	v_min3_f32 v4, v4, v5, v93
	v_min3_f32 v5, v0, v1, v96
	v_pk_add_f32 v[0:1], v[30:31], v[62:63]
	v_min3_f32 v159, v40, v41, v102
	v_min3_f32 v40, v0, v1, v154
	v_pk_add_f32 v[0:1], v[26:27], v[62:63]
	;; [unrolled: 3-line block ×3, first 2 shown]
	v_pk_add_f32 v[12:13], v[12:13], v[32:33]
	v_min3_f32 v44, v0, v1, v152
	v_pk_add_f32 v[0:1], v[18:19], v[62:63]
	v_min3_f32 v12, v12, v13, v95
	v_min3_f32 v45, v0, v1, v81
	v_pk_add_f32 v[0:1], v[14:15], v[62:63]
	v_pk_add_f32 v[20:21], v[20:21], v[32:33]
	v_min3_f32 v48, v0, v1, v86
	v_pk_add_f32 v[0:1], v[10:11], v[62:63]
	v_min3_f32 v20, v20, v21, v98
	v_min3_f32 v49, v0, v1, v84
	v_pk_add_f32 v[0:1], v[6:7], v[62:63]
	v_min3_f32 v36, v36, v37, v99
	v_min3_f32 v52, v0, v1, v82
	v_pk_add_f32 v[0:1], v[2:3], v[62:63]
	v_min3_f32 v28, v28, v29, v100
	v_min3_f32 v53, v0, v1, v83
	v_pk_add_f32 v[0:1], v[30:31], v[58:59]
	s_nop 0
	v_min3_f32 v56, v0, v1, v85
	v_pk_add_f32 v[0:1], v[26:27], v[58:59]
	s_nop 0
	;; [unrolled: 3-line block ×56, first 2 shown]
	v_min3_f32 v122, v0, v1, v5
	s_cbranch_vccz .LBB21_24
; %bb.39:                               ;   in Loop: Header=BB21_26 Depth=1
	v_mov_b32_e32 v36, 0
	v_mov_b32_e32 v37, 0
	s_branch .LBB21_25
.LBB21_40:
	s_load_dwordx2 s[2:3], s[0:1], 0x78
	ds_read_b128 v[32:35], v78 offset:9216
	ds_read_b128 v[60:63], v79 offset:4096
	s_load_dword s4, s[0:1], 0x58
	s_load_dword s5, s[0:1], 0x70
	v_add_u32_e32 v68, s20, v76
	v_add_u32_e32 v141, s21, v77
	s_waitcnt lgkmcnt(0)
	s_lshl_b64 s[0:1], s[2:3], 2
	v_pk_add_f32 v[0:1], v[32:33], v[60:61]
	s_add_u32 s0, s10, s0
	v_min3_f32 v2, v0, v1, v87
	v_pk_add_f32 v[0:1], v[34:35], v[62:63]
	s_addc_u32 s1, s11, s1
	v_min3_f32 v2, v0, v1, v2
	v_add_u32_e32 v64, 8, v68
	v_mad_i64_i32 v[0:1], s[2:3], v141, s5, 0
	v_ashrrev_i32_e32 v69, 31, v68
	v_ashrrev_i32_e32 v65, 31, v64
	v_lshl_add_u64 v[88:89], v[0:1], 2, s[0:1]
	v_mad_i64_i32 v[0:1], s[2:3], v141, s4, 0
	v_max_f32_e32 v2, v2, v2
	s_mov_b64 vcc, s[6:7]
	s_cbranch_vccz .LBB21_42
; %bb.41:
	v_min_f32_e32 v3, 0, v2
	v_lshl_add_u64 v[4:5], v[68:69], 2, v[88:89]
	s_mov_b32 s10, 0
	global_store_dword v[4:5], v3, off
	s_mov_b64 s[2:3], 0
	s_branch .LBB21_43
.LBB21_42:
	s_mov_b64 s[2:3], -1
                                        ; implicit-def: $sgpr10
.LBB21_43:
	ds_read_b128 v[28:31], v78 offset:9344
	ds_read_b128 v[24:27], v78 offset:9472
	v_lshl_add_u64 v[90:91], v[0:1], 2, s[8:9]
	s_andn2_b64 vcc, exec, s[2:3]
	v_lshlrev_b64 v[72:73], 2, v[68:69]
	s_cbranch_vccnz .LBB21_45
; %bb.44:
	v_lshl_add_u64 v[0:1], v[90:91], 0, v[72:73]
	flat_load_dword v3, v[0:1]
	v_lshl_add_u64 v[0:1], v[88:89], 0, v[72:73]
	s_waitcnt vmcnt(0) lgkmcnt(0)
	v_mul_f32_e32 v3, s26, v3
	v_min_f32_e32 v2, v3, v2
	global_store_dword v[0:1], v2, off
	v_lshl_add_u64 v[0:1], v[64:65], 2, v[90:91]
	flat_load_dword v0, v[0:1]
	s_waitcnt vmcnt(0) lgkmcnt(0)
	v_mul_f32_e32 v70, s26, v0
	s_branch .LBB21_46
.LBB21_45:
	v_mov_b32_e32 v70, s10
.LBB21_46:
	ds_read_b128 v[16:19], v78 offset:9728
	ds_read_b128 v[12:15], v78 offset:9856
	;; [unrolled: 1-line block ×12, first 2 shown]
	s_waitcnt lgkmcnt(13)
	v_pk_add_f32 v[66:67], v[28:29], v[60:61]
	s_mov_b64 vcc, s[6:7]
	v_min3_f32 v71, v66, v67, v83
	s_waitcnt lgkmcnt(12)
	v_pk_add_f32 v[66:67], v[24:25], v[60:61]
	s_nop 0
	v_min3_f32 v74, v66, v67, v86
	v_pk_add_f32 v[66:67], v[30:31], v[62:63]
	s_nop 0
	v_min_f32_e32 v76, v66, v67
	v_pk_add_f32 v[66:67], v[26:27], v[62:63]
	v_min3_f32 v76, v70, v76, v71
	v_min3_f32 v77, v66, v67, v74
	v_add_u32_e32 v74, 16, v68
	v_add_u32_e32 v66, 24, v68
	v_lshl_add_u64 v[70:71], v[64:65], 2, v[88:89]
	v_ashrrev_i32_e32 v75, 31, v74
	v_ashrrev_i32_e32 v67, 31, v66
	global_store_dword v[70:71], v76, off
	v_max_f32_e32 v70, v77, v77
	s_cbranch_vccz .LBB21_49
; %bb.47:
	v_min_f32_e32 v71, 0, v70
	v_lshl_add_u64 v[76:77], v[74:75], 2, v[88:89]
	s_mov_b32 s10, 0
	global_store_dword v[76:77], v71, off
	v_lshlrev_b64 v[78:79], 2, v[74:75]
	s_cbranch_execz .LBB21_50
; %bb.48:
	v_mov_b32_e32 v76, s10
	s_branch .LBB21_51
.LBB21_49:
                                        ; implicit-def: $sgpr10
	v_lshlrev_b64 v[78:79], 2, v[74:75]
.LBB21_50:
	v_lshl_add_u64 v[76:77], v[90:91], 0, v[78:79]
	flat_load_dword v71, v[76:77]
	v_lshl_add_u64 v[76:77], v[88:89], 0, v[78:79]
	s_waitcnt vmcnt(0) lgkmcnt(0)
	v_mul_f32_e32 v71, s26, v71
	v_min_f32_e32 v70, v71, v70
	global_store_dword v[76:77], v70, off
	v_lshl_add_u64 v[70:71], v[66:67], 2, v[90:91]
	flat_load_dword v70, v[70:71]
	s_waitcnt vmcnt(0) lgkmcnt(0)
	v_mul_f32_e32 v76, s26, v70
.LBB21_51:
	s_waitcnt lgkmcnt(1)
	v_pk_add_f32 v[70:71], v[20:21], v[60:61]
	s_mov_b64 vcc, s[6:7]
	v_min3_f32 v77, v70, v71, v81
	v_pk_add_f32 v[70:71], v[16:17], v[60:61]
	s_nop 0
	v_min3_f32 v80, v70, v71, v82
	v_pk_add_f32 v[70:71], v[22:23], v[62:63]
	s_nop 0
	v_min_f32_e32 v82, v70, v71
	v_pk_add_f32 v[70:71], v[18:19], v[62:63]
	v_min3_f32 v82, v76, v82, v77
	v_min3_f32 v83, v70, v71, v80
	v_add_u32_e32 v80, 32, v68
	v_add_u32_e32 v70, 40, v68
	v_lshl_add_u64 v[76:77], v[66:67], 2, v[88:89]
	v_ashrrev_i32_e32 v81, 31, v80
	v_ashrrev_i32_e32 v71, 31, v70
	global_store_dword v[76:77], v82, off
	v_max_f32_e32 v76, v83, v83
	s_cbranch_vccz .LBB21_54
; %bb.52:
	v_min_f32_e32 v77, 0, v76
	v_lshl_add_u64 v[82:83], v[80:81], 2, v[88:89]
	s_mov_b32 s10, 0
	global_store_dword v[82:83], v77, off
	v_lshlrev_b64 v[82:83], 2, v[80:81]
	s_cbranch_execz .LBB21_55
; %bb.53:
	v_mov_b32_e32 v86, s10
	s_branch .LBB21_56
.LBB21_54:
                                        ; implicit-def: $sgpr10
	v_lshlrev_b64 v[82:83], 2, v[80:81]
.LBB21_55:
	v_lshl_add_u64 v[86:87], v[90:91], 0, v[82:83]
	flat_load_dword v77, v[86:87]
	v_lshl_add_u64 v[86:87], v[88:89], 0, v[82:83]
	s_waitcnt vmcnt(0) lgkmcnt(0)
	v_mul_f32_e32 v77, s26, v77
	v_min_f32_e32 v76, v77, v76
	global_store_dword v[86:87], v76, off
	v_lshl_add_u64 v[76:77], v[70:71], 2, v[90:91]
	flat_load_dword v76, v[76:77]
	s_waitcnt vmcnt(0) lgkmcnt(0)
	v_mul_f32_e32 v86, s26, v76
.LBB21_56:
	v_pk_add_f32 v[76:77], v[12:13], v[60:61]
	s_mov_b64 vcc, s[6:7]
	v_min3_f32 v87, v76, v77, v84
	v_pk_add_f32 v[76:77], v[8:9], v[60:61]
	s_nop 0
	v_min3_f32 v84, v76, v77, v85
	v_pk_add_f32 v[76:77], v[14:15], v[62:63]
	s_nop 0
	v_min_f32_e32 v150, v76, v77
	v_pk_add_f32 v[76:77], v[10:11], v[62:63]
	v_min3_f32 v150, v86, v150, v87
	v_min3_f32 v151, v76, v77, v84
	v_add_u32_e32 v84, 48, v68
	v_add_u32_e32 v76, 56, v68
	v_lshl_add_u64 v[86:87], v[70:71], 2, v[88:89]
	v_ashrrev_i32_e32 v85, 31, v84
	v_ashrrev_i32_e32 v77, 31, v76
	global_store_dword v[86:87], v150, off
	v_max_f32_e32 v150, v151, v151
	s_cbranch_vccz .LBB21_59
; %bb.57:
	v_min_f32_e32 v151, 0, v150
	v_lshl_add_u64 v[86:87], v[84:85], 2, v[88:89]
	s_mov_b32 s10, 0
	global_store_dword v[86:87], v151, off
	v_lshlrev_b64 v[86:87], 2, v[84:85]
	s_cbranch_execz .LBB21_60
; %bb.58:
	v_mov_b32_e32 v90, s10
	s_branch .LBB21_61
.LBB21_59:
                                        ; implicit-def: $sgpr10
	v_lshlrev_b64 v[86:87], 2, v[84:85]
.LBB21_60:
	v_lshl_add_u64 v[152:153], v[90:91], 0, v[86:87]
	flat_load_dword v151, v[152:153]
	v_lshl_add_u64 v[152:153], v[88:89], 0, v[86:87]
	v_lshl_add_u64 v[90:91], v[76:77], 2, v[90:91]
	s_waitcnt vmcnt(0) lgkmcnt(0)
	v_mul_f32_e32 v151, s26, v151
	v_min_f32_e32 v150, v151, v150
	global_store_dword v[152:153], v150, off
	flat_load_dword v90, v[90:91]
	s_waitcnt vmcnt(0) lgkmcnt(0)
	v_mul_f32_e32 v90, s26, v90
.LBB21_61:
	v_pk_add_f32 v[60:61], v[0:1], v[60:61]
	s_mov_b64 vcc, s[6:7]
	v_min3_f32 v91, v60, v61, v148
	v_pk_add_f32 v[60:61], v[32:33], v[56:57]
	s_nop 0
	v_min3_f32 v148, v60, v61, v149
	v_pk_add_f32 v[60:61], v[2:3], v[62:63]
	s_nop 0
	v_min_f32_e32 v62, v60, v61
	v_pk_add_f32 v[60:61], v[34:35], v[58:59]
	v_min3_f32 v62, v90, v62, v91
	v_min3_f32 v148, v60, v61, v148
	v_lshl_add_u64 v[60:61], v[76:77], 2, v[88:89]
	global_store_dword v[60:61], v62, off
	v_add_u32_e32 v62, 32, v141
	v_mad_i64_i32 v[60:61], s[2:3], v62, s5, 0
	v_lshl_add_u64 v[60:61], v[60:61], 2, s[0:1]
	v_mad_i64_i32 v[62:63], s[2:3], v62, s4, 0
	v_max_f32_e32 v88, v148, v148
	s_cbranch_vccz .LBB21_64
; %bb.62:
	v_min_f32_e32 v89, 0, v88
	v_lshl_add_u64 v[90:91], v[68:69], 2, v[60:61]
	s_mov_b32 s10, 0
	global_store_dword v[90:91], v89, off
	v_lshl_add_u64 v[62:63], v[62:63], 2, s[8:9]
	s_cbranch_execz .LBB21_65
; %bb.63:
	v_mov_b32_e32 v88, s10
	s_branch .LBB21_66
.LBB21_64:
                                        ; implicit-def: $sgpr10
	v_lshl_add_u64 v[62:63], v[62:63], 2, s[8:9]
.LBB21_65:
	v_lshl_add_u64 v[90:91], v[62:63], 0, v[72:73]
	flat_load_dword v89, v[90:91]
	v_lshl_add_u64 v[90:91], v[60:61], 0, v[72:73]
	s_waitcnt vmcnt(0) lgkmcnt(0)
	v_mul_f32_e32 v89, s26, v89
	v_min_f32_e32 v88, v89, v88
	global_store_dword v[90:91], v88, off
	v_lshl_add_u64 v[88:89], v[64:65], 2, v[62:63]
	flat_load_dword v88, v[88:89]
	s_waitcnt vmcnt(0) lgkmcnt(0)
	v_mul_f32_e32 v88, s26, v88
.LBB21_66:
	v_pk_add_f32 v[90:91], v[28:29], v[56:57]
	s_mov_b64 vcc, s[6:7]
	v_min3_f32 v89, v90, v91, v146
	v_pk_add_f32 v[90:91], v[24:25], v[56:57]
	s_nop 0
	v_min3_f32 v146, v90, v91, v147
	v_pk_add_f32 v[90:91], v[30:31], v[58:59]
	s_nop 0
	v_min_f32_e32 v147, v90, v91
	v_pk_add_f32 v[90:91], v[26:27], v[58:59]
	s_nop 0
	v_min3_f32 v90, v90, v91, v146
	v_min3_f32 v91, v88, v147, v89
	v_lshl_add_u64 v[88:89], v[64:65], 2, v[60:61]
	global_store_dword v[88:89], v91, off
	v_max_f32_e32 v88, v90, v90
	s_cbranch_vccz .LBB21_69
; %bb.67:
	v_min_f32_e32 v89, 0, v88
	v_lshl_add_u64 v[90:91], v[74:75], 2, v[60:61]
	s_mov_b32 s10, 0
	global_store_dword v[90:91], v89, off
	s_cbranch_execz .LBB21_70
; %bb.68:
	v_mov_b32_e32 v88, s10
	s_branch .LBB21_71
.LBB21_69:
                                        ; implicit-def: $sgpr10
.LBB21_70:
	v_lshl_add_u64 v[90:91], v[62:63], 0, v[78:79]
	flat_load_dword v89, v[90:91]
	v_lshl_add_u64 v[90:91], v[60:61], 0, v[78:79]
	s_waitcnt vmcnt(0) lgkmcnt(0)
	v_mul_f32_e32 v89, s26, v89
	v_min_f32_e32 v88, v89, v88
	global_store_dword v[90:91], v88, off
	v_lshl_add_u64 v[88:89], v[66:67], 2, v[62:63]
	flat_load_dword v88, v[88:89]
	s_waitcnt vmcnt(0) lgkmcnt(0)
	v_mul_f32_e32 v88, s26, v88
.LBB21_71:
	v_pk_add_f32 v[90:91], v[20:21], v[56:57]
	s_mov_b64 vcc, s[6:7]
	v_min3_f32 v89, v90, v91, v144
	v_pk_add_f32 v[90:91], v[16:17], v[56:57]
	s_nop 0
	v_min3_f32 v144, v90, v91, v145
	v_pk_add_f32 v[90:91], v[22:23], v[58:59]
	s_nop 0
	v_min_f32_e32 v145, v90, v91
	v_pk_add_f32 v[90:91], v[18:19], v[58:59]
	s_nop 0
	v_min3_f32 v90, v90, v91, v144
	v_min3_f32 v91, v88, v145, v89
	v_lshl_add_u64 v[88:89], v[66:67], 2, v[60:61]
	global_store_dword v[88:89], v91, off
	v_max_f32_e32 v88, v90, v90
	s_cbranch_vccz .LBB21_74
; %bb.72:
	v_min_f32_e32 v89, 0, v88
	v_lshl_add_u64 v[90:91], v[80:81], 2, v[60:61]
	s_mov_b32 s10, 0
	global_store_dword v[90:91], v89, off
	s_cbranch_execz .LBB21_75
; %bb.73:
	v_mov_b32_e32 v88, s10
	s_branch .LBB21_76
.LBB21_74:
                                        ; implicit-def: $sgpr10
.LBB21_75:
	v_lshl_add_u64 v[90:91], v[62:63], 0, v[82:83]
	flat_load_dword v89, v[90:91]
	v_lshl_add_u64 v[90:91], v[60:61], 0, v[82:83]
	s_waitcnt vmcnt(0) lgkmcnt(0)
	v_mul_f32_e32 v89, s26, v89
	v_min_f32_e32 v88, v89, v88
	global_store_dword v[90:91], v88, off
	v_lshl_add_u64 v[88:89], v[70:71], 2, v[62:63]
	flat_load_dword v88, v[88:89]
	s_waitcnt vmcnt(0) lgkmcnt(0)
	v_mul_f32_e32 v88, s26, v88
.LBB21_76:
	v_pk_add_f32 v[90:91], v[12:13], v[56:57]
	s_mov_b64 vcc, s[6:7]
	v_min3_f32 v89, v90, v91, v142
	v_pk_add_f32 v[90:91], v[8:9], v[56:57]
	s_nop 0
	v_min3_f32 v142, v90, v91, v143
	v_pk_add_f32 v[90:91], v[14:15], v[58:59]
	s_nop 0
	v_min_f32_e32 v143, v90, v91
	v_pk_add_f32 v[90:91], v[10:11], v[58:59]
	s_nop 0
	v_min3_f32 v90, v90, v91, v142
	v_min3_f32 v91, v88, v143, v89
	v_lshl_add_u64 v[88:89], v[70:71], 2, v[60:61]
	global_store_dword v[88:89], v91, off
	v_max_f32_e32 v88, v90, v90
	s_cbranch_vccz .LBB21_79
; %bb.77:
	v_min_f32_e32 v89, 0, v88
	v_lshl_add_u64 v[90:91], v[84:85], 2, v[60:61]
	s_mov_b32 s10, 0
	global_store_dword v[90:91], v89, off
	s_cbranch_execz .LBB21_80
; %bb.78:
	v_mov_b32_e32 v62, s10
	s_branch .LBB21_81
.LBB21_79:
                                        ; implicit-def: $sgpr10
.LBB21_80:
	v_lshl_add_u64 v[90:91], v[62:63], 0, v[86:87]
	flat_load_dword v89, v[90:91]
	v_lshl_add_u64 v[90:91], v[60:61], 0, v[86:87]
	v_lshl_add_u64 v[62:63], v[76:77], 2, v[62:63]
	s_waitcnt vmcnt(0) lgkmcnt(0)
	v_mul_f32_e32 v89, s26, v89
	v_min_f32_e32 v88, v89, v88
	global_store_dword v[90:91], v88, off
	flat_load_dword v62, v[62:63]
	s_waitcnt vmcnt(0) lgkmcnt(0)
	v_mul_f32_e32 v62, s26, v62
.LBB21_81:
	v_pk_add_f32 v[56:57], v[0:1], v[56:57]
	s_mov_b64 vcc, s[6:7]
	v_min3_f32 v63, v56, v57, v139
	v_pk_add_f32 v[56:57], v[32:33], v[52:53]
	s_nop 0
	v_min3_f32 v88, v56, v57, v140
	v_pk_add_f32 v[56:57], v[2:3], v[58:59]
	s_nop 0
	v_min_f32_e32 v58, v56, v57
	v_pk_add_f32 v[56:57], v[34:35], v[54:55]
	v_min3_f32 v58, v62, v58, v63
	v_min3_f32 v88, v56, v57, v88
	v_lshl_add_u64 v[56:57], v[76:77], 2, v[60:61]
	global_store_dword v[56:57], v58, off
	v_add_u32_e32 v58, 64, v141
	v_mad_i64_i32 v[56:57], s[2:3], v58, s5, 0
	v_lshl_add_u64 v[56:57], v[56:57], 2, s[0:1]
	v_mad_i64_i32 v[58:59], s[2:3], v58, s4, 0
	v_max_f32_e32 v60, v88, v88
	s_cbranch_vccz .LBB21_84
; %bb.82:
	v_min_f32_e32 v61, 0, v60
	v_lshl_add_u64 v[62:63], v[68:69], 2, v[56:57]
	s_mov_b32 s10, 0
	global_store_dword v[62:63], v61, off
	v_lshl_add_u64 v[58:59], v[58:59], 2, s[8:9]
	s_cbranch_execz .LBB21_85
; %bb.83:
	v_mov_b32_e32 v60, s10
	s_branch .LBB21_86
.LBB21_84:
                                        ; implicit-def: $sgpr10
	v_lshl_add_u64 v[58:59], v[58:59], 2, s[8:9]
.LBB21_85:
	v_lshl_add_u64 v[62:63], v[58:59], 0, v[72:73]
	flat_load_dword v61, v[62:63]
	v_lshl_add_u64 v[62:63], v[56:57], 0, v[72:73]
	s_waitcnt vmcnt(0) lgkmcnt(0)
	v_mul_f32_e32 v61, s26, v61
	v_min_f32_e32 v60, v61, v60
	global_store_dword v[62:63], v60, off
	v_lshl_add_u64 v[60:61], v[64:65], 2, v[58:59]
	flat_load_dword v60, v[60:61]
	s_waitcnt vmcnt(0) lgkmcnt(0)
	v_mul_f32_e32 v60, s26, v60
.LBB21_86:
	v_pk_add_f32 v[62:63], v[28:29], v[52:53]
	s_mov_b64 vcc, s[6:7]
	v_min3_f32 v61, v62, v63, v137
	v_pk_add_f32 v[62:63], v[24:25], v[52:53]
	s_nop 0
	v_min3_f32 v88, v62, v63, v138
	v_pk_add_f32 v[62:63], v[30:31], v[54:55]
	s_nop 0
	v_min_f32_e32 v89, v62, v63
	v_pk_add_f32 v[62:63], v[26:27], v[54:55]
	s_nop 0
	v_min3_f32 v62, v62, v63, v88
	v_min3_f32 v63, v60, v89, v61
	v_lshl_add_u64 v[60:61], v[64:65], 2, v[56:57]
	global_store_dword v[60:61], v63, off
	v_max_f32_e32 v60, v62, v62
	s_cbranch_vccz .LBB21_89
; %bb.87:
	v_min_f32_e32 v61, 0, v60
	v_lshl_add_u64 v[62:63], v[74:75], 2, v[56:57]
	s_mov_b32 s10, 0
	global_store_dword v[62:63], v61, off
	s_cbranch_execz .LBB21_90
; %bb.88:
	v_mov_b32_e32 v60, s10
	s_branch .LBB21_91
.LBB21_89:
                                        ; implicit-def: $sgpr10
.LBB21_90:
	v_lshl_add_u64 v[62:63], v[58:59], 0, v[78:79]
	flat_load_dword v61, v[62:63]
	v_lshl_add_u64 v[62:63], v[56:57], 0, v[78:79]
	s_waitcnt vmcnt(0) lgkmcnt(0)
	v_mul_f32_e32 v61, s26, v61
	v_min_f32_e32 v60, v61, v60
	global_store_dword v[62:63], v60, off
	v_lshl_add_u64 v[60:61], v[66:67], 2, v[58:59]
	flat_load_dword v60, v[60:61]
	s_waitcnt vmcnt(0) lgkmcnt(0)
	v_mul_f32_e32 v60, s26, v60
.LBB21_91:
	v_pk_add_f32 v[62:63], v[20:21], v[52:53]
	s_mov_b64 vcc, s[6:7]
	v_min3_f32 v61, v62, v63, v135
	v_pk_add_f32 v[62:63], v[16:17], v[52:53]
	s_nop 0
	v_min3_f32 v88, v62, v63, v136
	v_pk_add_f32 v[62:63], v[22:23], v[54:55]
	s_nop 0
	v_min_f32_e32 v89, v62, v63
	v_pk_add_f32 v[62:63], v[18:19], v[54:55]
	s_nop 0
	v_min3_f32 v62, v62, v63, v88
	v_min3_f32 v63, v60, v89, v61
	v_lshl_add_u64 v[60:61], v[66:67], 2, v[56:57]
	global_store_dword v[60:61], v63, off
	v_max_f32_e32 v60, v62, v62
	s_cbranch_vccz .LBB21_94
; %bb.92:
	v_min_f32_e32 v61, 0, v60
	v_lshl_add_u64 v[62:63], v[80:81], 2, v[56:57]
	s_mov_b32 s10, 0
	global_store_dword v[62:63], v61, off
	s_cbranch_execz .LBB21_95
; %bb.93:
	v_mov_b32_e32 v60, s10
	s_branch .LBB21_96
.LBB21_94:
                                        ; implicit-def: $sgpr10
.LBB21_95:
	v_lshl_add_u64 v[62:63], v[58:59], 0, v[82:83]
	flat_load_dword v61, v[62:63]
	v_lshl_add_u64 v[62:63], v[56:57], 0, v[82:83]
	s_waitcnt vmcnt(0) lgkmcnt(0)
	v_mul_f32_e32 v61, s26, v61
	v_min_f32_e32 v60, v61, v60
	global_store_dword v[62:63], v60, off
	v_lshl_add_u64 v[60:61], v[70:71], 2, v[58:59]
	flat_load_dword v60, v[60:61]
	s_waitcnt vmcnt(0) lgkmcnt(0)
	v_mul_f32_e32 v60, s26, v60
.LBB21_96:
	v_pk_add_f32 v[62:63], v[12:13], v[52:53]
	s_mov_b64 vcc, s[6:7]
	v_min3_f32 v61, v62, v63, v131
	v_pk_add_f32 v[62:63], v[8:9], v[52:53]
	s_nop 0
	v_min3_f32 v88, v62, v63, v132
	v_pk_add_f32 v[62:63], v[14:15], v[54:55]
	s_nop 0
	v_min_f32_e32 v89, v62, v63
	v_pk_add_f32 v[62:63], v[10:11], v[54:55]
	s_nop 0
	v_min3_f32 v62, v62, v63, v88
	v_min3_f32 v63, v60, v89, v61
	v_lshl_add_u64 v[60:61], v[70:71], 2, v[56:57]
	global_store_dword v[60:61], v63, off
	v_max_f32_e32 v60, v62, v62
	s_cbranch_vccz .LBB21_99
; %bb.97:
	v_min_f32_e32 v61, 0, v60
	v_lshl_add_u64 v[62:63], v[84:85], 2, v[56:57]
	s_mov_b32 s10, 0
	global_store_dword v[62:63], v61, off
	s_cbranch_execz .LBB21_100
; %bb.98:
	v_mov_b32_e32 v58, s10
	s_branch .LBB21_101
.LBB21_99:
                                        ; implicit-def: $sgpr10
.LBB21_100:
	v_lshl_add_u64 v[62:63], v[58:59], 0, v[86:87]
	flat_load_dword v61, v[62:63]
	v_lshl_add_u64 v[62:63], v[56:57], 0, v[86:87]
	v_lshl_add_u64 v[58:59], v[76:77], 2, v[58:59]
	s_waitcnt vmcnt(0) lgkmcnt(0)
	v_mul_f32_e32 v61, s26, v61
	v_min_f32_e32 v60, v61, v60
	global_store_dword v[62:63], v60, off
	flat_load_dword v58, v[58:59]
	s_waitcnt vmcnt(0) lgkmcnt(0)
	v_mul_f32_e32 v58, s26, v58
.LBB21_101:
	v_pk_add_f32 v[52:53], v[0:1], v[52:53]
	s_mov_b64 vcc, s[6:7]
	v_min3_f32 v59, v52, v53, v134
	v_pk_add_f32 v[52:53], v[32:33], v[48:49]
	s_nop 0
	v_min3_f32 v60, v52, v53, v133
	v_pk_add_f32 v[52:53], v[2:3], v[54:55]
	s_nop 0
	v_min_f32_e32 v54, v52, v53
	v_pk_add_f32 v[52:53], v[34:35], v[50:51]
	v_min3_f32 v54, v58, v54, v59
	v_min3_f32 v60, v52, v53, v60
	v_lshl_add_u64 v[52:53], v[76:77], 2, v[56:57]
	global_store_dword v[52:53], v54, off
	v_add_u32_e32 v54, 0x60, v141
	v_mad_i64_i32 v[52:53], s[2:3], v54, s5, 0
	v_lshl_add_u64 v[52:53], v[52:53], 2, s[0:1]
	v_mad_i64_i32 v[54:55], s[2:3], v54, s4, 0
	v_max_f32_e32 v56, v60, v60
	s_cbranch_vccz .LBB21_104
; %bb.102:
	v_min_f32_e32 v57, 0, v56
	v_lshl_add_u64 v[58:59], v[68:69], 2, v[52:53]
	s_mov_b32 s10, 0
	global_store_dword v[58:59], v57, off
	v_lshl_add_u64 v[54:55], v[54:55], 2, s[8:9]
	s_cbranch_execz .LBB21_105
; %bb.103:
	v_mov_b32_e32 v56, s10
	s_branch .LBB21_106
.LBB21_104:
                                        ; implicit-def: $sgpr10
	v_lshl_add_u64 v[54:55], v[54:55], 2, s[8:9]
.LBB21_105:
	v_lshl_add_u64 v[58:59], v[54:55], 0, v[72:73]
	flat_load_dword v57, v[58:59]
	v_lshl_add_u64 v[58:59], v[52:53], 0, v[72:73]
	s_waitcnt vmcnt(0) lgkmcnt(0)
	v_mul_f32_e32 v57, s26, v57
	v_min_f32_e32 v56, v57, v56
	global_store_dword v[58:59], v56, off
	v_lshl_add_u64 v[56:57], v[64:65], 2, v[54:55]
	flat_load_dword v56, v[56:57]
	s_waitcnt vmcnt(0) lgkmcnt(0)
	v_mul_f32_e32 v56, s26, v56
.LBB21_106:
	v_pk_add_f32 v[58:59], v[28:29], v[48:49]
	s_mov_b64 vcc, s[6:7]
	v_min3_f32 v57, v58, v59, v130
	v_pk_add_f32 v[58:59], v[24:25], v[48:49]
	s_nop 0
	v_min3_f32 v60, v58, v59, v129
	v_pk_add_f32 v[58:59], v[30:31], v[50:51]
	s_nop 0
	v_min_f32_e32 v61, v58, v59
	v_pk_add_f32 v[58:59], v[26:27], v[50:51]
	s_nop 0
	v_min3_f32 v58, v58, v59, v60
	v_min3_f32 v59, v56, v61, v57
	v_lshl_add_u64 v[56:57], v[64:65], 2, v[52:53]
	global_store_dword v[56:57], v59, off
	v_max_f32_e32 v56, v58, v58
	s_cbranch_vccz .LBB21_109
; %bb.107:
	v_min_f32_e32 v57, 0, v56
	v_lshl_add_u64 v[58:59], v[74:75], 2, v[52:53]
	s_mov_b32 s10, 0
	global_store_dword v[58:59], v57, off
	s_cbranch_execz .LBB21_110
; %bb.108:
	v_mov_b32_e32 v56, s10
	s_branch .LBB21_111
.LBB21_109:
                                        ; implicit-def: $sgpr10
.LBB21_110:
	v_lshl_add_u64 v[58:59], v[54:55], 0, v[78:79]
	flat_load_dword v57, v[58:59]
	v_lshl_add_u64 v[58:59], v[52:53], 0, v[78:79]
	s_waitcnt vmcnt(0) lgkmcnt(0)
	v_mul_f32_e32 v57, s26, v57
	v_min_f32_e32 v56, v57, v56
	global_store_dword v[58:59], v56, off
	v_lshl_add_u64 v[56:57], v[66:67], 2, v[54:55]
	flat_load_dword v56, v[56:57]
	s_waitcnt vmcnt(0) lgkmcnt(0)
	v_mul_f32_e32 v56, s26, v56
.LBB21_111:
	v_pk_add_f32 v[58:59], v[20:21], v[48:49]
	s_mov_b64 vcc, s[6:7]
	v_min3_f32 v57, v58, v59, v128
	v_pk_add_f32 v[58:59], v[16:17], v[48:49]
	s_nop 0
	v_min3_f32 v60, v58, v59, v127
	v_pk_add_f32 v[58:59], v[22:23], v[50:51]
	s_nop 0
	v_min_f32_e32 v61, v58, v59
	v_pk_add_f32 v[58:59], v[18:19], v[50:51]
	s_nop 0
	v_min3_f32 v58, v58, v59, v60
	v_min3_f32 v59, v56, v61, v57
	v_lshl_add_u64 v[56:57], v[66:67], 2, v[52:53]
	global_store_dword v[56:57], v59, off
	v_max_f32_e32 v56, v58, v58
	s_cbranch_vccz .LBB21_114
; %bb.112:
	v_min_f32_e32 v57, 0, v56
	v_lshl_add_u64 v[58:59], v[80:81], 2, v[52:53]
	s_mov_b32 s10, 0
	global_store_dword v[58:59], v57, off
	s_cbranch_execz .LBB21_115
; %bb.113:
	v_mov_b32_e32 v56, s10
	s_branch .LBB21_116
.LBB21_114:
                                        ; implicit-def: $sgpr10
.LBB21_115:
	v_lshl_add_u64 v[58:59], v[54:55], 0, v[82:83]
	flat_load_dword v57, v[58:59]
	v_lshl_add_u64 v[58:59], v[52:53], 0, v[82:83]
	s_waitcnt vmcnt(0) lgkmcnt(0)
	v_mul_f32_e32 v57, s26, v57
	v_min_f32_e32 v56, v57, v56
	global_store_dword v[58:59], v56, off
	v_lshl_add_u64 v[56:57], v[70:71], 2, v[54:55]
	flat_load_dword v56, v[56:57]
	s_waitcnt vmcnt(0) lgkmcnt(0)
	v_mul_f32_e32 v56, s26, v56
.LBB21_116:
	v_pk_add_f32 v[58:59], v[12:13], v[48:49]
	s_mov_b64 vcc, s[6:7]
	v_min3_f32 v57, v58, v59, v126
	v_pk_add_f32 v[58:59], v[8:9], v[48:49]
	s_nop 0
	v_min3_f32 v60, v58, v59, v125
	v_pk_add_f32 v[58:59], v[14:15], v[50:51]
	s_nop 0
	v_min_f32_e32 v61, v58, v59
	v_pk_add_f32 v[58:59], v[10:11], v[50:51]
	s_nop 0
	v_min3_f32 v58, v58, v59, v60
	v_min3_f32 v59, v56, v61, v57
	v_lshl_add_u64 v[56:57], v[70:71], 2, v[52:53]
	global_store_dword v[56:57], v59, off
	v_max_f32_e32 v56, v58, v58
	s_cbranch_vccz .LBB21_119
; %bb.117:
	v_min_f32_e32 v57, 0, v56
	v_lshl_add_u64 v[58:59], v[84:85], 2, v[52:53]
	s_mov_b32 s10, 0
	global_store_dword v[58:59], v57, off
	s_cbranch_execz .LBB21_120
; %bb.118:
	v_mov_b32_e32 v54, s10
	s_branch .LBB21_121
.LBB21_119:
                                        ; implicit-def: $sgpr10
.LBB21_120:
	v_lshl_add_u64 v[58:59], v[54:55], 0, v[86:87]
	flat_load_dword v57, v[58:59]
	v_lshl_add_u64 v[58:59], v[52:53], 0, v[86:87]
	v_lshl_add_u64 v[54:55], v[76:77], 2, v[54:55]
	s_waitcnt vmcnt(0) lgkmcnt(0)
	v_mul_f32_e32 v57, s26, v57
	v_min_f32_e32 v56, v57, v56
	global_store_dword v[58:59], v56, off
	flat_load_dword v54, v[54:55]
	s_waitcnt vmcnt(0) lgkmcnt(0)
	v_mul_f32_e32 v54, s26, v54
.LBB21_121:
	v_pk_add_f32 v[48:49], v[0:1], v[48:49]
	s_mov_b64 vcc, s[6:7]
	v_min3_f32 v55, v48, v49, v124
	v_pk_add_f32 v[48:49], v[32:33], v[44:45]
	s_nop 0
	v_min3_f32 v56, v48, v49, v123
	v_pk_add_f32 v[48:49], v[2:3], v[50:51]
	s_nop 0
	v_min_f32_e32 v50, v48, v49
	v_pk_add_f32 v[48:49], v[34:35], v[46:47]
	v_min3_f32 v50, v54, v50, v55
	v_min3_f32 v56, v48, v49, v56
	v_lshl_add_u64 v[48:49], v[76:77], 2, v[52:53]
	global_store_dword v[48:49], v50, off
	v_add_u32_e32 v50, 0x80, v141
	v_mad_i64_i32 v[48:49], s[2:3], v50, s5, 0
	v_lshl_add_u64 v[48:49], v[48:49], 2, s[0:1]
	v_mad_i64_i32 v[50:51], s[2:3], v50, s4, 0
	v_max_f32_e32 v52, v56, v56
	s_cbranch_vccz .LBB21_124
; %bb.122:
	v_min_f32_e32 v53, 0, v52
	v_lshl_add_u64 v[54:55], v[68:69], 2, v[48:49]
	s_mov_b32 s10, 0
	global_store_dword v[54:55], v53, off
	v_lshl_add_u64 v[50:51], v[50:51], 2, s[8:9]
	s_cbranch_execz .LBB21_125
; %bb.123:
	v_mov_b32_e32 v52, s10
	s_branch .LBB21_126
.LBB21_124:
                                        ; implicit-def: $sgpr10
	v_lshl_add_u64 v[50:51], v[50:51], 2, s[8:9]
.LBB21_125:
	v_lshl_add_u64 v[54:55], v[50:51], 0, v[72:73]
	flat_load_dword v53, v[54:55]
	v_lshl_add_u64 v[54:55], v[48:49], 0, v[72:73]
	s_waitcnt vmcnt(0) lgkmcnt(0)
	v_mul_f32_e32 v53, s26, v53
	v_min_f32_e32 v52, v53, v52
	global_store_dword v[54:55], v52, off
	v_lshl_add_u64 v[52:53], v[64:65], 2, v[50:51]
	flat_load_dword v52, v[52:53]
	s_waitcnt vmcnt(0) lgkmcnt(0)
	v_mul_f32_e32 v52, s26, v52
.LBB21_126:
	v_pk_add_f32 v[54:55], v[28:29], v[44:45]
	s_mov_b64 vcc, s[6:7]
	v_min3_f32 v53, v54, v55, v122
	v_pk_add_f32 v[54:55], v[24:25], v[44:45]
	s_nop 0
	v_min3_f32 v56, v54, v55, v121
	v_pk_add_f32 v[54:55], v[30:31], v[46:47]
	s_nop 0
	v_min_f32_e32 v57, v54, v55
	v_pk_add_f32 v[54:55], v[26:27], v[46:47]
	s_nop 0
	v_min3_f32 v54, v54, v55, v56
	v_min3_f32 v55, v52, v57, v53
	v_lshl_add_u64 v[52:53], v[64:65], 2, v[48:49]
	global_store_dword v[52:53], v55, off
	v_max_f32_e32 v52, v54, v54
	s_cbranch_vccz .LBB21_129
; %bb.127:
	v_min_f32_e32 v53, 0, v52
	v_lshl_add_u64 v[54:55], v[74:75], 2, v[48:49]
	s_mov_b32 s10, 0
	global_store_dword v[54:55], v53, off
	s_cbranch_execz .LBB21_130
; %bb.128:
	v_mov_b32_e32 v52, s10
	s_branch .LBB21_131
.LBB21_129:
                                        ; implicit-def: $sgpr10
.LBB21_130:
	v_lshl_add_u64 v[54:55], v[50:51], 0, v[78:79]
	flat_load_dword v53, v[54:55]
	v_lshl_add_u64 v[54:55], v[48:49], 0, v[78:79]
	s_waitcnt vmcnt(0) lgkmcnt(0)
	v_mul_f32_e32 v53, s26, v53
	v_min_f32_e32 v52, v53, v52
	global_store_dword v[54:55], v52, off
	v_lshl_add_u64 v[52:53], v[66:67], 2, v[50:51]
	flat_load_dword v52, v[52:53]
	s_waitcnt vmcnt(0) lgkmcnt(0)
	v_mul_f32_e32 v52, s26, v52
.LBB21_131:
	v_pk_add_f32 v[54:55], v[20:21], v[44:45]
	s_mov_b64 vcc, s[6:7]
	v_min3_f32 v53, v54, v55, v120
	v_pk_add_f32 v[54:55], v[16:17], v[44:45]
	s_nop 0
	v_min3_f32 v56, v54, v55, v119
	v_pk_add_f32 v[54:55], v[22:23], v[46:47]
	s_nop 0
	v_min_f32_e32 v57, v54, v55
	v_pk_add_f32 v[54:55], v[18:19], v[46:47]
	s_nop 0
	v_min3_f32 v54, v54, v55, v56
	v_min3_f32 v55, v52, v57, v53
	v_lshl_add_u64 v[52:53], v[66:67], 2, v[48:49]
	global_store_dword v[52:53], v55, off
	v_max_f32_e32 v52, v54, v54
	s_cbranch_vccz .LBB21_134
; %bb.132:
	v_min_f32_e32 v53, 0, v52
	v_lshl_add_u64 v[54:55], v[80:81], 2, v[48:49]
	s_mov_b32 s10, 0
	global_store_dword v[54:55], v53, off
	s_cbranch_execz .LBB21_135
; %bb.133:
	v_mov_b32_e32 v52, s10
	s_branch .LBB21_136
.LBB21_134:
                                        ; implicit-def: $sgpr10
.LBB21_135:
	v_lshl_add_u64 v[54:55], v[50:51], 0, v[82:83]
	flat_load_dword v53, v[54:55]
	v_lshl_add_u64 v[54:55], v[48:49], 0, v[82:83]
	s_waitcnt vmcnt(0) lgkmcnt(0)
	v_mul_f32_e32 v53, s26, v53
	v_min_f32_e32 v52, v53, v52
	global_store_dword v[54:55], v52, off
	v_lshl_add_u64 v[52:53], v[70:71], 2, v[50:51]
	flat_load_dword v52, v[52:53]
	s_waitcnt vmcnt(0) lgkmcnt(0)
	v_mul_f32_e32 v52, s26, v52
.LBB21_136:
	v_pk_add_f32 v[54:55], v[12:13], v[44:45]
	s_mov_b64 vcc, s[6:7]
	v_min3_f32 v53, v54, v55, v118
	v_pk_add_f32 v[54:55], v[8:9], v[44:45]
	s_nop 0
	v_min3_f32 v56, v54, v55, v117
	v_pk_add_f32 v[54:55], v[14:15], v[46:47]
	s_nop 0
	v_min_f32_e32 v57, v54, v55
	v_pk_add_f32 v[54:55], v[10:11], v[46:47]
	s_nop 0
	v_min3_f32 v54, v54, v55, v56
	v_min3_f32 v55, v52, v57, v53
	v_lshl_add_u64 v[52:53], v[70:71], 2, v[48:49]
	global_store_dword v[52:53], v55, off
	v_max_f32_e32 v52, v54, v54
	s_cbranch_vccz .LBB21_139
; %bb.137:
	v_min_f32_e32 v53, 0, v52
	v_lshl_add_u64 v[54:55], v[84:85], 2, v[48:49]
	s_mov_b32 s10, 0
	global_store_dword v[54:55], v53, off
	s_cbranch_execz .LBB21_140
; %bb.138:
	v_mov_b32_e32 v50, s10
	s_branch .LBB21_141
.LBB21_139:
                                        ; implicit-def: $sgpr10
.LBB21_140:
	v_lshl_add_u64 v[54:55], v[50:51], 0, v[86:87]
	flat_load_dword v53, v[54:55]
	v_lshl_add_u64 v[54:55], v[48:49], 0, v[86:87]
	v_lshl_add_u64 v[50:51], v[76:77], 2, v[50:51]
	s_waitcnt vmcnt(0) lgkmcnt(0)
	v_mul_f32_e32 v53, s26, v53
	v_min_f32_e32 v52, v53, v52
	global_store_dword v[54:55], v52, off
	flat_load_dword v50, v[50:51]
	s_waitcnt vmcnt(0) lgkmcnt(0)
	v_mul_f32_e32 v50, s26, v50
.LBB21_141:
	v_pk_add_f32 v[44:45], v[0:1], v[44:45]
	s_mov_b64 vcc, s[6:7]
	v_min3_f32 v51, v44, v45, v115
	v_pk_add_f32 v[44:45], v[32:33], v[40:41]
	s_nop 0
	v_min3_f32 v52, v44, v45, v116
	v_pk_add_f32 v[44:45], v[2:3], v[46:47]
	s_nop 0
	v_min_f32_e32 v46, v44, v45
	v_pk_add_f32 v[44:45], v[34:35], v[42:43]
	v_min3_f32 v46, v50, v46, v51
	v_min3_f32 v52, v44, v45, v52
	v_lshl_add_u64 v[44:45], v[76:77], 2, v[48:49]
	global_store_dword v[44:45], v46, off
	v_add_u32_e32 v46, 0xa0, v141
	v_mad_i64_i32 v[44:45], s[2:3], v46, s5, 0
	v_lshl_add_u64 v[44:45], v[44:45], 2, s[0:1]
	v_mad_i64_i32 v[46:47], s[2:3], v46, s4, 0
	v_max_f32_e32 v48, v52, v52
	s_cbranch_vccz .LBB21_144
; %bb.142:
	v_min_f32_e32 v49, 0, v48
	v_lshl_add_u64 v[50:51], v[68:69], 2, v[44:45]
	s_mov_b32 s10, 0
	global_store_dword v[50:51], v49, off
	v_lshl_add_u64 v[46:47], v[46:47], 2, s[8:9]
	s_cbranch_execz .LBB21_145
; %bb.143:
	v_mov_b32_e32 v48, s10
	s_branch .LBB21_146
.LBB21_144:
                                        ; implicit-def: $sgpr10
	v_lshl_add_u64 v[46:47], v[46:47], 2, s[8:9]
.LBB21_145:
	v_lshl_add_u64 v[50:51], v[46:47], 0, v[72:73]
	flat_load_dword v49, v[50:51]
	v_lshl_add_u64 v[50:51], v[44:45], 0, v[72:73]
	s_waitcnt vmcnt(0) lgkmcnt(0)
	v_mul_f32_e32 v49, s26, v49
	v_min_f32_e32 v48, v49, v48
	global_store_dword v[50:51], v48, off
	v_lshl_add_u64 v[48:49], v[64:65], 2, v[46:47]
	flat_load_dword v48, v[48:49]
	s_waitcnt vmcnt(0) lgkmcnt(0)
	v_mul_f32_e32 v48, s26, v48
.LBB21_146:
	v_pk_add_f32 v[50:51], v[28:29], v[40:41]
	s_mov_b64 vcc, s[6:7]
	v_min3_f32 v49, v50, v51, v113
	v_pk_add_f32 v[50:51], v[24:25], v[40:41]
	s_nop 0
	v_min3_f32 v52, v50, v51, v114
	v_pk_add_f32 v[50:51], v[30:31], v[42:43]
	s_nop 0
	v_min_f32_e32 v53, v50, v51
	v_pk_add_f32 v[50:51], v[26:27], v[42:43]
	s_nop 0
	v_min3_f32 v50, v50, v51, v52
	v_min3_f32 v51, v48, v53, v49
	v_lshl_add_u64 v[48:49], v[64:65], 2, v[44:45]
	global_store_dword v[48:49], v51, off
	v_max_f32_e32 v48, v50, v50
	s_cbranch_vccz .LBB21_149
; %bb.147:
	v_min_f32_e32 v49, 0, v48
	v_lshl_add_u64 v[50:51], v[74:75], 2, v[44:45]
	s_mov_b32 s10, 0
	global_store_dword v[50:51], v49, off
	s_cbranch_execz .LBB21_150
; %bb.148:
	v_mov_b32_e32 v48, s10
	s_branch .LBB21_151
.LBB21_149:
                                        ; implicit-def: $sgpr10
.LBB21_150:
	v_lshl_add_u64 v[50:51], v[46:47], 0, v[78:79]
	flat_load_dword v49, v[50:51]
	v_lshl_add_u64 v[50:51], v[44:45], 0, v[78:79]
	s_waitcnt vmcnt(0) lgkmcnt(0)
	v_mul_f32_e32 v49, s26, v49
	v_min_f32_e32 v48, v49, v48
	global_store_dword v[50:51], v48, off
	v_lshl_add_u64 v[48:49], v[66:67], 2, v[46:47]
	flat_load_dword v48, v[48:49]
	s_waitcnt vmcnt(0) lgkmcnt(0)
	v_mul_f32_e32 v48, s26, v48
.LBB21_151:
	v_pk_add_f32 v[50:51], v[20:21], v[40:41]
	s_mov_b64 vcc, s[6:7]
	v_min3_f32 v49, v50, v51, v111
	v_pk_add_f32 v[50:51], v[16:17], v[40:41]
	s_nop 0
	v_min3_f32 v52, v50, v51, v112
	v_pk_add_f32 v[50:51], v[22:23], v[42:43]
	s_nop 0
	v_min_f32_e32 v53, v50, v51
	v_pk_add_f32 v[50:51], v[18:19], v[42:43]
	s_nop 0
	v_min3_f32 v50, v50, v51, v52
	v_min3_f32 v51, v48, v53, v49
	v_lshl_add_u64 v[48:49], v[66:67], 2, v[44:45]
	global_store_dword v[48:49], v51, off
	v_max_f32_e32 v48, v50, v50
	s_cbranch_vccz .LBB21_154
; %bb.152:
	v_min_f32_e32 v49, 0, v48
	v_lshl_add_u64 v[50:51], v[80:81], 2, v[44:45]
	s_mov_b32 s10, 0
	global_store_dword v[50:51], v49, off
	s_cbranch_execz .LBB21_155
; %bb.153:
	v_mov_b32_e32 v48, s10
	s_branch .LBB21_156
.LBB21_154:
                                        ; implicit-def: $sgpr10
.LBB21_155:
	v_lshl_add_u64 v[50:51], v[46:47], 0, v[82:83]
	flat_load_dword v49, v[50:51]
	v_lshl_add_u64 v[50:51], v[44:45], 0, v[82:83]
	s_waitcnt vmcnt(0) lgkmcnt(0)
	v_mul_f32_e32 v49, s26, v49
	v_min_f32_e32 v48, v49, v48
	global_store_dword v[50:51], v48, off
	v_lshl_add_u64 v[48:49], v[70:71], 2, v[46:47]
	flat_load_dword v48, v[48:49]
	s_waitcnt vmcnt(0) lgkmcnt(0)
	v_mul_f32_e32 v48, s26, v48
.LBB21_156:
	v_pk_add_f32 v[50:51], v[12:13], v[40:41]
	s_mov_b64 vcc, s[6:7]
	v_min3_f32 v49, v50, v51, v109
	v_pk_add_f32 v[50:51], v[8:9], v[40:41]
	s_nop 0
	v_min3_f32 v52, v50, v51, v110
	v_pk_add_f32 v[50:51], v[14:15], v[42:43]
	s_nop 0
	v_min_f32_e32 v53, v50, v51
	v_pk_add_f32 v[50:51], v[10:11], v[42:43]
	s_nop 0
	v_min3_f32 v50, v50, v51, v52
	v_min3_f32 v51, v48, v53, v49
	v_lshl_add_u64 v[48:49], v[70:71], 2, v[44:45]
	global_store_dword v[48:49], v51, off
	v_max_f32_e32 v48, v50, v50
	s_cbranch_vccz .LBB21_159
; %bb.157:
	v_min_f32_e32 v49, 0, v48
	v_lshl_add_u64 v[50:51], v[84:85], 2, v[44:45]
	s_mov_b32 s10, 0
	global_store_dword v[50:51], v49, off
	s_cbranch_execz .LBB21_160
; %bb.158:
	v_mov_b32_e32 v46, s10
	s_branch .LBB21_161
.LBB21_159:
                                        ; implicit-def: $sgpr10
.LBB21_160:
	v_lshl_add_u64 v[50:51], v[46:47], 0, v[86:87]
	flat_load_dword v49, v[50:51]
	v_lshl_add_u64 v[50:51], v[44:45], 0, v[86:87]
	v_lshl_add_u64 v[46:47], v[76:77], 2, v[46:47]
	s_waitcnt vmcnt(0) lgkmcnt(0)
	v_mul_f32_e32 v49, s26, v49
	v_min_f32_e32 v48, v49, v48
	global_store_dword v[50:51], v48, off
	flat_load_dword v46, v[46:47]
	s_waitcnt vmcnt(0) lgkmcnt(0)
	v_mul_f32_e32 v46, s26, v46
.LBB21_161:
	v_pk_add_f32 v[40:41], v[0:1], v[40:41]
	s_mov_b64 vcc, s[6:7]
	v_min3_f32 v47, v40, v41, v107
	v_pk_add_f32 v[40:41], v[32:33], v[36:37]
	s_nop 0
	v_min3_f32 v48, v40, v41, v108
	v_pk_add_f32 v[40:41], v[2:3], v[42:43]
	s_nop 0
	v_min_f32_e32 v42, v40, v41
	v_pk_add_f32 v[40:41], v[34:35], v[38:39]
	v_min3_f32 v42, v46, v42, v47
	v_min3_f32 v48, v40, v41, v48
	v_lshl_add_u64 v[40:41], v[76:77], 2, v[44:45]
	global_store_dword v[40:41], v42, off
	v_add_u32_e32 v42, 0xc0, v141
	v_mad_i64_i32 v[40:41], s[2:3], v42, s5, 0
	v_lshl_add_u64 v[40:41], v[40:41], 2, s[0:1]
	v_mad_i64_i32 v[42:43], s[2:3], v42, s4, 0
	v_max_f32_e32 v44, v48, v48
	s_cbranch_vccz .LBB21_164
; %bb.162:
	v_min_f32_e32 v45, 0, v44
	v_lshl_add_u64 v[46:47], v[68:69], 2, v[40:41]
	s_mov_b32 s10, 0
	global_store_dword v[46:47], v45, off
	v_lshl_add_u64 v[42:43], v[42:43], 2, s[8:9]
	s_cbranch_execz .LBB21_165
; %bb.163:
	v_mov_b32_e32 v44, s10
	s_branch .LBB21_166
.LBB21_164:
                                        ; implicit-def: $sgpr10
	v_lshl_add_u64 v[42:43], v[42:43], 2, s[8:9]
.LBB21_165:
	v_lshl_add_u64 v[46:47], v[42:43], 0, v[72:73]
	flat_load_dword v45, v[46:47]
	v_lshl_add_u64 v[46:47], v[40:41], 0, v[72:73]
	s_waitcnt vmcnt(0) lgkmcnt(0)
	v_mul_f32_e32 v45, s26, v45
	v_min_f32_e32 v44, v45, v44
	global_store_dword v[46:47], v44, off
	v_lshl_add_u64 v[44:45], v[64:65], 2, v[42:43]
	flat_load_dword v44, v[44:45]
	s_waitcnt vmcnt(0) lgkmcnt(0)
	v_mul_f32_e32 v44, s26, v44
.LBB21_166:
	v_pk_add_f32 v[46:47], v[28:29], v[36:37]
	s_mov_b64 vcc, s[6:7]
	v_min3_f32 v45, v46, v47, v105
	v_pk_add_f32 v[46:47], v[24:25], v[36:37]
	s_nop 0
	v_min3_f32 v48, v46, v47, v106
	v_pk_add_f32 v[46:47], v[30:31], v[38:39]
	s_nop 0
	v_min_f32_e32 v49, v46, v47
	v_pk_add_f32 v[46:47], v[26:27], v[38:39]
	s_nop 0
	v_min3_f32 v46, v46, v47, v48
	v_min3_f32 v47, v44, v49, v45
	v_lshl_add_u64 v[44:45], v[64:65], 2, v[40:41]
	global_store_dword v[44:45], v47, off
	v_max_f32_e32 v44, v46, v46
	s_cbranch_vccz .LBB21_169
; %bb.167:
	v_min_f32_e32 v45, 0, v44
	v_lshl_add_u64 v[46:47], v[74:75], 2, v[40:41]
	s_mov_b32 s10, 0
	global_store_dword v[46:47], v45, off
	s_cbranch_execz .LBB21_170
; %bb.168:
	v_mov_b32_e32 v44, s10
	s_branch .LBB21_171
.LBB21_169:
                                        ; implicit-def: $sgpr10
.LBB21_170:
	v_lshl_add_u64 v[46:47], v[42:43], 0, v[78:79]
	flat_load_dword v45, v[46:47]
	v_lshl_add_u64 v[46:47], v[40:41], 0, v[78:79]
	s_waitcnt vmcnt(0) lgkmcnt(0)
	v_mul_f32_e32 v45, s26, v45
	v_min_f32_e32 v44, v45, v44
	global_store_dword v[46:47], v44, off
	v_lshl_add_u64 v[44:45], v[66:67], 2, v[42:43]
	flat_load_dword v44, v[44:45]
	s_waitcnt vmcnt(0) lgkmcnt(0)
	v_mul_f32_e32 v44, s26, v44
.LBB21_171:
	v_pk_add_f32 v[46:47], v[20:21], v[36:37]
	s_mov_b64 vcc, s[6:7]
	v_min3_f32 v45, v46, v47, v103
	v_pk_add_f32 v[46:47], v[16:17], v[36:37]
	s_nop 0
	v_min3_f32 v48, v46, v47, v104
	v_pk_add_f32 v[46:47], v[22:23], v[38:39]
	s_nop 0
	v_min_f32_e32 v49, v46, v47
	v_pk_add_f32 v[46:47], v[18:19], v[38:39]
	s_nop 0
	v_min3_f32 v46, v46, v47, v48
	v_min3_f32 v47, v44, v49, v45
	v_lshl_add_u64 v[44:45], v[66:67], 2, v[40:41]
	global_store_dword v[44:45], v47, off
	v_max_f32_e32 v44, v46, v46
	s_cbranch_vccz .LBB21_174
; %bb.172:
	v_min_f32_e32 v45, 0, v44
	v_lshl_add_u64 v[46:47], v[80:81], 2, v[40:41]
	s_mov_b32 s10, 0
	global_store_dword v[46:47], v45, off
	s_cbranch_execz .LBB21_175
; %bb.173:
	v_mov_b32_e32 v44, s10
	s_branch .LBB21_176
.LBB21_174:
                                        ; implicit-def: $sgpr10
.LBB21_175:
	v_lshl_add_u64 v[46:47], v[42:43], 0, v[82:83]
	flat_load_dword v45, v[46:47]
	v_lshl_add_u64 v[46:47], v[40:41], 0, v[82:83]
	s_waitcnt vmcnt(0) lgkmcnt(0)
	v_mul_f32_e32 v45, s26, v45
	v_min_f32_e32 v44, v45, v44
	global_store_dword v[46:47], v44, off
	v_lshl_add_u64 v[44:45], v[70:71], 2, v[42:43]
	flat_load_dword v44, v[44:45]
	s_waitcnt vmcnt(0) lgkmcnt(0)
	v_mul_f32_e32 v44, s26, v44
.LBB21_176:
	v_pk_add_f32 v[46:47], v[12:13], v[36:37]
	s_mov_b64 vcc, s[6:7]
	v_min3_f32 v45, v46, v47, v101
	v_pk_add_f32 v[46:47], v[8:9], v[36:37]
	s_nop 0
	v_min3_f32 v48, v46, v47, v102
	v_pk_add_f32 v[46:47], v[14:15], v[38:39]
	s_nop 0
	v_min_f32_e32 v49, v46, v47
	v_pk_add_f32 v[46:47], v[10:11], v[38:39]
	s_nop 0
	v_min3_f32 v46, v46, v47, v48
	v_min3_f32 v47, v44, v49, v45
	v_lshl_add_u64 v[44:45], v[70:71], 2, v[40:41]
	global_store_dword v[44:45], v47, off
	v_max_f32_e32 v44, v46, v46
	s_cbranch_vccz .LBB21_179
; %bb.177:
	v_min_f32_e32 v45, 0, v44
	v_lshl_add_u64 v[46:47], v[84:85], 2, v[40:41]
	s_mov_b32 s10, 0
	global_store_dword v[46:47], v45, off
	s_cbranch_execz .LBB21_180
; %bb.178:
	v_mov_b32_e32 v42, s10
	s_branch .LBB21_181
.LBB21_179:
                                        ; implicit-def: $sgpr10
.LBB21_180:
	v_lshl_add_u64 v[46:47], v[42:43], 0, v[86:87]
	flat_load_dword v45, v[46:47]
	v_lshl_add_u64 v[46:47], v[40:41], 0, v[86:87]
	v_lshl_add_u64 v[42:43], v[76:77], 2, v[42:43]
	s_waitcnt vmcnt(0) lgkmcnt(0)
	v_mul_f32_e32 v45, s26, v45
	v_min_f32_e32 v44, v45, v44
	global_store_dword v[46:47], v44, off
	flat_load_dword v42, v[42:43]
	s_waitcnt vmcnt(0) lgkmcnt(0)
	v_mul_f32_e32 v42, s26, v42
.LBB21_181:
	v_pk_add_f32 v[36:37], v[0:1], v[36:37]
	s_waitcnt lgkmcnt(0)
	v_pk_add_f32 v[32:33], v[32:33], v[4:5]
	v_min3_f32 v36, v36, v37, v99
	v_min3_f32 v37, v32, v33, v100
	v_pk_add_f32 v[32:33], v[2:3], v[38:39]
	s_mov_b64 vcc, s[6:7]
	v_min_f32_e32 v38, v32, v33
	v_pk_add_f32 v[32:33], v[34:35], v[6:7]
	v_min3_f32 v34, v42, v38, v36
	v_min3_f32 v37, v32, v33, v37
	v_lshl_add_u64 v[32:33], v[76:77], 2, v[40:41]
	global_store_dword v[32:33], v34, off
	v_add_u32_e32 v34, 0xe0, v141
	v_mad_i64_i32 v[32:33], s[2:3], v34, s5, 0
	v_lshl_add_u64 v[32:33], v[32:33], 2, s[0:1]
	v_mad_i64_i32 v[34:35], s[0:1], v34, s4, 0
	v_max_f32_e32 v36, v37, v37
	s_cbranch_vccz .LBB21_184
; %bb.182:
	v_min_f32_e32 v37, 0, v36
	v_lshl_add_u64 v[38:39], v[68:69], 2, v[32:33]
	s_mov_b32 s2, 0
	global_store_dword v[38:39], v37, off
	v_lshl_add_u64 v[34:35], v[34:35], 2, s[8:9]
	s_cbranch_execz .LBB21_185
; %bb.183:
	v_mov_b32_e32 v36, s2
	s_branch .LBB21_186
.LBB21_184:
                                        ; implicit-def: $sgpr2
	v_lshl_add_u64 v[34:35], v[34:35], 2, s[8:9]
.LBB21_185:
	v_lshl_add_u64 v[38:39], v[34:35], 0, v[72:73]
	flat_load_dword v37, v[38:39]
	v_lshl_add_u64 v[38:39], v[32:33], 0, v[72:73]
	s_waitcnt vmcnt(0) lgkmcnt(0)
	v_mul_f32_e32 v37, s26, v37
	v_min_f32_e32 v36, v37, v36
	global_store_dword v[38:39], v36, off
	v_lshl_add_u64 v[36:37], v[64:65], 2, v[34:35]
	flat_load_dword v36, v[36:37]
	s_waitcnt vmcnt(0) lgkmcnt(0)
	v_mul_f32_e32 v36, s26, v36
.LBB21_186:
	v_pk_add_f32 v[28:29], v[28:29], v[4:5]
	v_pk_add_f32 v[24:25], v[24:25], v[4:5]
	v_min3_f32 v28, v28, v29, v97
	v_min3_f32 v29, v24, v25, v98
	v_pk_add_f32 v[24:25], v[30:31], v[6:7]
	s_mov_b64 vcc, s[6:7]
	v_min_f32_e32 v30, v24, v25
	v_pk_add_f32 v[24:25], v[26:27], v[6:7]
	v_min3_f32 v27, v36, v30, v28
	v_min3_f32 v26, v24, v25, v29
	v_lshl_add_u64 v[24:25], v[64:65], 2, v[32:33]
	global_store_dword v[24:25], v27, off
	v_max_f32_e32 v24, v26, v26
	s_cbranch_vccz .LBB21_189
; %bb.187:
	v_min_f32_e32 v25, 0, v24
	v_lshl_add_u64 v[26:27], v[74:75], 2, v[32:33]
	s_mov_b32 s2, 0
	global_store_dword v[26:27], v25, off
	s_cbranch_execz .LBB21_190
; %bb.188:
	v_mov_b32_e32 v24, s2
	s_branch .LBB21_191
.LBB21_189:
                                        ; implicit-def: $sgpr2
.LBB21_190:
	v_lshl_add_u64 v[26:27], v[34:35], 0, v[78:79]
	flat_load_dword v25, v[26:27]
	v_lshl_add_u64 v[26:27], v[32:33], 0, v[78:79]
	s_waitcnt vmcnt(0) lgkmcnt(0)
	v_mul_f32_e32 v25, s26, v25
	v_min_f32_e32 v24, v25, v24
	global_store_dword v[26:27], v24, off
	v_lshl_add_u64 v[24:25], v[66:67], 2, v[34:35]
	flat_load_dword v24, v[24:25]
	s_waitcnt vmcnt(0) lgkmcnt(0)
	v_mul_f32_e32 v24, s26, v24
.LBB21_191:
	v_pk_add_f32 v[20:21], v[20:21], v[4:5]
	v_pk_add_f32 v[16:17], v[16:17], v[4:5]
	v_min3_f32 v20, v20, v21, v94
	v_min3_f32 v21, v16, v17, v95
	v_pk_add_f32 v[16:17], v[22:23], v[6:7]
	s_mov_b64 vcc, s[6:7]
	v_min_f32_e32 v22, v16, v17
	v_pk_add_f32 v[16:17], v[18:19], v[6:7]
	v_min3_f32 v19, v24, v22, v20
	v_min3_f32 v18, v16, v17, v21
	v_lshl_add_u64 v[16:17], v[66:67], 2, v[32:33]
	global_store_dword v[16:17], v19, off
	v_max_f32_e32 v16, v18, v18
	s_cbranch_vccz .LBB21_194
; %bb.192:
	v_min_f32_e32 v17, 0, v16
	v_lshl_add_u64 v[18:19], v[80:81], 2, v[32:33]
	s_mov_b32 s2, 0
	global_store_dword v[18:19], v17, off
	s_cbranch_execz .LBB21_195
; %bb.193:
	v_mov_b32_e32 v16, s2
	s_branch .LBB21_196
.LBB21_194:
                                        ; implicit-def: $sgpr2
.LBB21_195:
	v_lshl_add_u64 v[18:19], v[34:35], 0, v[82:83]
	flat_load_dword v17, v[18:19]
	v_lshl_add_u64 v[18:19], v[32:33], 0, v[82:83]
	s_waitcnt vmcnt(0) lgkmcnt(0)
	v_mul_f32_e32 v17, s26, v17
	v_min_f32_e32 v16, v17, v16
	global_store_dword v[18:19], v16, off
	v_lshl_add_u64 v[16:17], v[70:71], 2, v[34:35]
	flat_load_dword v16, v[16:17]
	s_waitcnt vmcnt(0) lgkmcnt(0)
	v_mul_f32_e32 v16, s26, v16
.LBB21_196:
	;; [unrolled: 38-line block ×3, first 2 shown]
	v_pk_add_f32 v[2:3], v[2:3], v[6:7]
	v_pk_add_f32 v[0:1], v[0:1], v[4:5]
	v_min_f32_e32 v2, v2, v3
	v_min3_f32 v0, v0, v1, v96
	v_min3_f32 v2, v8, v2, v0
	v_lshl_add_u64 v[0:1], v[76:77], 2, v[32:33]
	global_store_dword v[0:1], v2, off
	s_endpgm
	.section	.rodata,"a",@progbits
	.p2align	6, 0x0
	.amdhsa_kernel _ZN12_GLOBAL__N_120geam_min_plus_kernelIf15HIP_vector_typeIfLj2EEfLi8ELi32ELi64ELi256ELi4ELi4ELi64ELi64ELi4ELc84ELc84ELb0ELb0ELb1EPKfKS4_KPfEEviiiT16_PT17_ilSA_ilS8_SA_ilPT18_ili26rocblas_geam_ex_operation_
		.amdhsa_group_segment_fixed_size 10240
		.amdhsa_private_segment_fixed_size 0
		.amdhsa_kernarg_size 136
		.amdhsa_user_sgpr_count 2
		.amdhsa_user_sgpr_dispatch_ptr 0
		.amdhsa_user_sgpr_queue_ptr 0
		.amdhsa_user_sgpr_kernarg_segment_ptr 1
		.amdhsa_user_sgpr_dispatch_id 0
		.amdhsa_user_sgpr_kernarg_preload_length 0
		.amdhsa_user_sgpr_kernarg_preload_offset 0
		.amdhsa_user_sgpr_private_segment_size 0
		.amdhsa_uses_dynamic_stack 0
		.amdhsa_enable_private_segment 0
		.amdhsa_system_sgpr_workgroup_id_x 1
		.amdhsa_system_sgpr_workgroup_id_y 0
		.amdhsa_system_sgpr_workgroup_id_z 1
		.amdhsa_system_sgpr_workgroup_info 0
		.amdhsa_system_vgpr_workitem_id 1
		.amdhsa_next_free_vgpr 172
		.amdhsa_next_free_sgpr 27
		.amdhsa_accum_offset 172
		.amdhsa_reserve_vcc 1
		.amdhsa_float_round_mode_32 0
		.amdhsa_float_round_mode_16_64 0
		.amdhsa_float_denorm_mode_32 3
		.amdhsa_float_denorm_mode_16_64 3
		.amdhsa_dx10_clamp 1
		.amdhsa_ieee_mode 1
		.amdhsa_fp16_overflow 0
		.amdhsa_tg_split 0
		.amdhsa_exception_fp_ieee_invalid_op 0
		.amdhsa_exception_fp_denorm_src 0
		.amdhsa_exception_fp_ieee_div_zero 0
		.amdhsa_exception_fp_ieee_overflow 0
		.amdhsa_exception_fp_ieee_underflow 0
		.amdhsa_exception_fp_ieee_inexact 0
		.amdhsa_exception_int_div_zero 0
	.end_amdhsa_kernel
	.section	.text._ZN12_GLOBAL__N_120geam_min_plus_kernelIf15HIP_vector_typeIfLj2EEfLi8ELi32ELi64ELi256ELi4ELi4ELi64ELi64ELi4ELc84ELc84ELb0ELb0ELb1EPKfKS4_KPfEEviiiT16_PT17_ilSA_ilS8_SA_ilPT18_ili26rocblas_geam_ex_operation_,"axG",@progbits,_ZN12_GLOBAL__N_120geam_min_plus_kernelIf15HIP_vector_typeIfLj2EEfLi8ELi32ELi64ELi256ELi4ELi4ELi64ELi64ELi4ELc84ELc84ELb0ELb0ELb1EPKfKS4_KPfEEviiiT16_PT17_ilSA_ilS8_SA_ilPT18_ili26rocblas_geam_ex_operation_,comdat
.Lfunc_end21:
	.size	_ZN12_GLOBAL__N_120geam_min_plus_kernelIf15HIP_vector_typeIfLj2EEfLi8ELi32ELi64ELi256ELi4ELi4ELi64ELi64ELi4ELc84ELc84ELb0ELb0ELb1EPKfKS4_KPfEEviiiT16_PT17_ilSA_ilS8_SA_ilPT18_ili26rocblas_geam_ex_operation_, .Lfunc_end21-_ZN12_GLOBAL__N_120geam_min_plus_kernelIf15HIP_vector_typeIfLj2EEfLi8ELi32ELi64ELi256ELi4ELi4ELi64ELi64ELi4ELc84ELc84ELb0ELb0ELb1EPKfKS4_KPfEEviiiT16_PT17_ilSA_ilS8_SA_ilPT18_ili26rocblas_geam_ex_operation_
                                        ; -- End function
	.section	.AMDGPU.csdata,"",@progbits
; Kernel info:
; codeLenInByte = 16444
; NumSgprs: 33
; NumVgprs: 172
; NumAgprs: 0
; TotalNumVgprs: 172
; ScratchSize: 0
; MemoryBound: 0
; FloatMode: 240
; IeeeMode: 1
; LDSByteSize: 10240 bytes/workgroup (compile time only)
; SGPRBlocks: 4
; VGPRBlocks: 21
; NumSGPRsForWavesPerEU: 33
; NumVGPRsForWavesPerEU: 172
; AccumOffset: 172
; Occupancy: 2
; WaveLimiterHint : 1
; COMPUTE_PGM_RSRC2:SCRATCH_EN: 0
; COMPUTE_PGM_RSRC2:USER_SGPR: 2
; COMPUTE_PGM_RSRC2:TRAP_HANDLER: 0
; COMPUTE_PGM_RSRC2:TGID_X_EN: 1
; COMPUTE_PGM_RSRC2:TGID_Y_EN: 0
; COMPUTE_PGM_RSRC2:TGID_Z_EN: 1
; COMPUTE_PGM_RSRC2:TIDIG_COMP_CNT: 1
; COMPUTE_PGM_RSRC3_GFX90A:ACCUM_OFFSET: 42
; COMPUTE_PGM_RSRC3_GFX90A:TG_SPLIT: 0
	.section	.text._ZN12_GLOBAL__N_120geam_min_plus_kernelIf15HIP_vector_typeIfLj2EEfLi8ELi32ELi64ELi256ELi4ELi4ELi64ELi64ELi4ELc84ELc84ELb1ELb0ELb1EfKPKfKPfEEviiiT16_PT17_ilSA_ilS8_SA_ilPT18_ili26rocblas_geam_ex_operation_,"axG",@progbits,_ZN12_GLOBAL__N_120geam_min_plus_kernelIf15HIP_vector_typeIfLj2EEfLi8ELi32ELi64ELi256ELi4ELi4ELi64ELi64ELi4ELc84ELc84ELb1ELb0ELb1EfKPKfKPfEEviiiT16_PT17_ilSA_ilS8_SA_ilPT18_ili26rocblas_geam_ex_operation_,comdat
	.globl	_ZN12_GLOBAL__N_120geam_min_plus_kernelIf15HIP_vector_typeIfLj2EEfLi8ELi32ELi64ELi256ELi4ELi4ELi64ELi64ELi4ELc84ELc84ELb1ELb0ELb1EfKPKfKPfEEviiiT16_PT17_ilSA_ilS8_SA_ilPT18_ili26rocblas_geam_ex_operation_ ; -- Begin function _ZN12_GLOBAL__N_120geam_min_plus_kernelIf15HIP_vector_typeIfLj2EEfLi8ELi32ELi64ELi256ELi4ELi4ELi64ELi64ELi4ELc84ELc84ELb1ELb0ELb1EfKPKfKPfEEviiiT16_PT17_ilSA_ilS8_SA_ilPT18_ili26rocblas_geam_ex_operation_
	.p2align	8
	.type	_ZN12_GLOBAL__N_120geam_min_plus_kernelIf15HIP_vector_typeIfLj2EEfLi8ELi32ELi64ELi256ELi4ELi4ELi64ELi64ELi4ELc84ELc84ELb1ELb0ELb1EfKPKfKPfEEviiiT16_PT17_ilSA_ilS8_SA_ilPT18_ili26rocblas_geam_ex_operation_,@function
_ZN12_GLOBAL__N_120geam_min_plus_kernelIf15HIP_vector_typeIfLj2EEfLi8ELi32ELi64ELi256ELi4ELi4ELi64ELi64ELi4ELc84ELc84ELb1ELb0ELb1EfKPKfKPfEEviiiT16_PT17_ilSA_ilS8_SA_ilPT18_ili26rocblas_geam_ex_operation_: ; @_ZN12_GLOBAL__N_120geam_min_plus_kernelIf15HIP_vector_typeIfLj2EEfLi8ELi32ELi64ELi256ELi4ELi4ELi64ELi64ELi4ELc84ELc84ELb1ELb0ELb1EfKPKfKPfEEviiiT16_PT17_ilSA_ilS8_SA_ilPT18_ili26rocblas_geam_ex_operation_
; %bb.0:
	s_load_dwordx2 s[12:13], s[0:1], 0x8
	s_load_dwordx4 s[4:7], s[0:1], 0x20
	s_mov_b32 s18, s3
	s_mov_b32 s19, 0
	s_waitcnt lgkmcnt(0)
	v_cmp_eq_f32_e64 s[8:9], s13, 0
	s_and_b64 vcc, exec, s[8:9]
	s_cbranch_vccnz .LBB22_3
; %bb.1:
	s_load_dwordx2 s[10:11], s[0:1], 0x10
	s_lshl_b64 s[14:15], s[18:19], 3
	s_waitcnt lgkmcnt(0)
	s_add_u32 s10, s10, s14
	s_addc_u32 s11, s11, s15
	s_load_dwordx2 s[10:11], s[10:11], 0x0
	s_lshl_b64 s[4:5], s[4:5], 2
	s_waitcnt lgkmcnt(0)
	s_add_u32 s14, s10, s4
	s_addc_u32 s15, s11, s5
	s_andn2_b64 vcc, exec, s[8:9]
	s_cbranch_vccnz .LBB22_4
.LBB22_2:
	s_mov_b64 s[16:17], 0
	s_cbranch_execz .LBB22_5
	s_branch .LBB22_6
.LBB22_3:
	s_mov_b64 s[14:15], 0
	s_andn2_b64 vcc, exec, s[8:9]
	s_cbranch_vccz .LBB22_2
.LBB22_4:
                                        ; implicit-def: $sgpr16_sgpr17
.LBB22_5:
	s_lshl_b64 s[8:9], s[18:19], 3
	s_add_u32 s6, s6, s8
	s_load_dwordx2 s[4:5], s[0:1], 0x38
	s_addc_u32 s7, s7, s9
	s_load_dwordx2 s[6:7], s[6:7], 0x0
	s_waitcnt lgkmcnt(0)
	s_lshl_b64 s[4:5], s[4:5], 2
	s_add_u32 s16, s6, s4
	s_addc_u32 s17, s7, s5
.LBB22_6:
	s_load_dword s13, s[0:1], 0x40
	s_load_dwordx4 s[8:11], s[0:1], 0x58
	s_waitcnt lgkmcnt(0)
	v_cmp_eq_f32_e64 s[4:5], s13, 0
	s_and_b64 s[4:5], exec, s[4:5]
	s_mov_b64 vcc, s[4:5]
	s_cbranch_vccnz .LBB22_8
; %bb.7:
	s_load_dwordx2 s[6:7], s[0:1], 0x48
	s_lshl_b64 s[20:21], s[18:19], 3
	s_waitcnt lgkmcnt(0)
	s_add_u32 s6, s6, s20
	s_addc_u32 s7, s7, s21
	s_load_dwordx2 s[6:7], s[6:7], 0x0
	s_lshl_b64 s[8:9], s[8:9], 2
	s_waitcnt lgkmcnt(0)
	s_add_u32 s6, s6, s8
	s_addc_u32 s7, s7, s9
	s_branch .LBB22_9
.LBB22_8:
	s_mov_b64 s[6:7], 0
.LBB22_9:
	s_load_dword s3, s[0:1], 0x0
	s_lshl_b64 s[8:9], s[18:19], 3
	s_add_u32 s8, s10, s8
	s_addc_u32 s9, s11, s9
	s_load_dword s11, s[0:1], 0x18
	s_load_dword s10, s[0:1], 0x30
	s_waitcnt lgkmcnt(0)
	s_add_i32 s3, s3, -1
	s_ashr_i32 s18, s3, 31
	s_lshr_b32 s18, s18, 26
	s_add_i32 s3, s3, s18
	s_ashr_i32 s3, s3, 6
	s_add_i32 s18, s3, 1
	v_cvt_f32_u32_e32 v1, s18
	s_not_b32 s3, s3
	v_and_b32_e32 v72, 0x3ff, v0
	v_bfe_u32 v73, v0, 10, 10
	v_rcp_iflag_f32_e32 v1, v1
	v_lshl_add_u32 v0, v73, 3, v72
	v_and_b32_e32 v7, 63, v0
	v_and_b32_e32 v2, 3, v72
	v_mul_f32_e32 v1, 0x4f7ffffe, v1
	v_cvt_u32_f32_e32 v1, v1
	v_lshrrev_b32_e32 v6, 2, v0
	v_lshrrev_b32_e32 v62, 6, v0
	v_lshlrev_b32_e32 v58, 2, v2
	v_readfirstlane_b32 s19, v1
	s_mul_i32 s3, s3, s19
	s_mul_hi_u32 s3, s19, s3
	s_add_i32 s19, s19, s3
	s_mul_hi_u32 s3, s2, s19
	s_mul_i32 s19, s3, s18
	s_sub_i32 s19, s2, s19
	s_add_i32 s20, s3, 1
	s_sub_i32 s21, s19, s18
	s_cmp_ge_u32 s19, s18
	s_cselect_b32 s3, s20, s3
	s_cselect_b32 s19, s21, s19
	s_add_i32 s20, s3, 1
	s_cmp_ge_u32 s19, s18
	s_cselect_b32 s3, s20, s3
	s_mul_i32 s18, s3, s18
	s_sub_i32 s2, s2, s18
	s_lshl_b32 s19, s3, 8
	s_lshl_b32 s18, s2, 6
	v_or_b32_e32 v60, s19, v7
	v_add_u32_e32 v0, s18, v6
	v_mad_i64_i32 v[2:3], s[2:3], s10, v62, 0
	v_ashrrev_i32_e32 v61, 31, v60
	v_mad_i64_i32 v[56:57], s[2:3], v0, s11, 0
	v_lshl_add_u64 v[2:3], v[2:3], 2, s[16:17]
	v_lshlrev_b64 v[4:5], 2, v[60:61]
	v_lshl_add_u64 v[0:1], v[56:57], 2, s[14:15]
	v_mov_b32_e32 v59, 0
	v_lshl_add_u64 v[2:3], v[2:3], 0, v[4:5]
	v_lshl_add_u64 v[0:1], v[0:1], 0, v[58:59]
	flat_load_dword v8, v[2:3]
	flat_load_dword v9, v[2:3] offset:256
	flat_load_dword v10, v[2:3] offset:512
	;; [unrolled: 1-line block ×3, first 2 shown]
	flat_load_dword v12, v[0:1]
	v_add_u32_e32 v2, 4, v62
	v_lshlrev_b32_e32 v3, 2, v62
	s_load_dwordx2 s[2:3], s[8:9], 0x0
	v_lshl_add_u32 v76, v7, 4, v3
	v_mad_i64_i32 v[2:3], s[8:9], s10, v2, 0
	v_lshl_add_u64 v[2:3], v[2:3], 2, s[16:17]
	v_lshlrev_b32_e32 v75, 4, v72
	v_lshl_add_u64 v[2:3], v[2:3], 0, v[4:5]
	v_lshlrev_b32_e32 v74, 4, v73
	v_lshl_or_b32 v63, v6, 4, v58
	flat_load_dword v64, v[2:3]
	flat_load_dword v65, v[2:3] offset:256
	flat_load_dword v66, v[2:3] offset:512
	;; [unrolled: 1-line block ×4, first 2 shown]
	s_mov_b32 s11, 0x7f7fffff
	s_cmp_lt_i32 s12, 9
	s_waitcnt vmcnt(0) lgkmcnt(0)
	ds_write2st64_b32 v76, v8, v9 offset1:4
	ds_write2st64_b32 v76, v10, v11 offset0:8 offset1:12
	ds_write_b32 v63, v12 offset:8192
	s_waitcnt lgkmcnt(0)
	s_barrier
	ds_read_b128 v[28:31], v75 offset:8192
	ds_read_b128 v[24:27], v75 offset:8320
	;; [unrolled: 1-line block ×8, first 2 shown]
	ds_read_b128 v[52:55], v74
	ds_read_b128 v[48:51], v74 offset:512
	ds_read_b128 v[44:47], v74 offset:1024
	ds_read_b128 v[40:43], v74 offset:1536
	ds_read_b128 v[36:39], v74 offset:2048
	ds_read_b128 v[32:35], v74 offset:2560
	s_waitcnt lgkmcnt(5)
	v_pk_add_f32 v[70:71], v[28:29], v[52:53]
	v_pk_add_f32 v[80:81], v[20:21], v[52:53]
	s_waitcnt lgkmcnt(4)
	v_pk_add_f32 v[90:91], v[28:29], v[48:49]
	v_pk_add_f32 v[92:93], v[24:25], v[48:49]
	;; [unrolled: 1-line block ×9, first 2 shown]
	v_min3_f32 v69, v70, v71, s11
	v_min3_f32 v71, v80, v81, s11
	;; [unrolled: 1-line block ×4, first 2 shown]
	s_waitcnt lgkmcnt(3)
	v_pk_add_f32 v[48:49], v[28:29], v[44:45]
	v_min3_f32 v77, v82, v83, s11
	v_min3_f32 v82, v94, v95, s11
	;; [unrolled: 1-line block ×3, first 2 shown]
	v_pk_add_f32 v[48:49], v[24:25], v[44:45]
	v_pk_add_f32 v[88:89], v[4:5], v[52:53]
	v_min3_f32 v95, v48, v49, s11
	v_pk_add_f32 v[48:49], v[20:21], v[44:45]
	v_min3_f32 v80, v88, v89, s11
	v_min3_f32 v89, v96, v97, s11
	;; [unrolled: 1-line block ×3, first 2 shown]
	v_pk_add_f32 v[48:49], v[16:17], v[44:45]
	v_pk_add_f32 v[78:79], v[24:25], v[52:53]
	;; [unrolled: 1-line block ×5, first 2 shown]
	v_min3_f32 v97, v48, v49, s11
	v_pk_add_f32 v[48:49], v[12:13], v[44:45]
	v_min3_f32 v52, v52, v53, s11
	v_min3_f32 v53, v90, v91, s11
	;; [unrolled: 1-line block ×4, first 2 shown]
	v_pk_add_f32 v[48:49], v[8:9], v[44:45]
	v_min3_f32 v91, v100, v101, s11
	v_min3_f32 v99, v48, v49, s11
	v_pk_add_f32 v[48:49], v[4:5], v[44:45]
	v_pk_add_f32 v[44:45], v[0:1], v[44:45]
	v_min3_f32 v92, v102, v103, s11
	v_min3_f32 v100, v44, v45, s11
	s_waitcnt lgkmcnt(2)
	v_pk_add_f32 v[44:45], v[28:29], v[40:41]
	v_min3_f32 v70, v78, v79, s11
	v_min3_f32 v101, v44, v45, s11
	v_pk_add_f32 v[44:45], v[24:25], v[40:41]
	v_min3_f32 v79, v86, v87, s11
	v_min3_f32 v102, v44, v45, s11
	;; [unrolled: 3-line block ×4, first 2 shown]
	v_pk_add_f32 v[44:45], v[12:13], v[40:41]
	s_nop 0
	v_min3_f32 v105, v44, v45, s11
	v_pk_add_f32 v[44:45], v[8:9], v[40:41]
	s_nop 0
	v_min3_f32 v106, v44, v45, s11
	v_pk_add_f32 v[44:45], v[4:5], v[40:41]
	v_pk_add_f32 v[40:41], v[0:1], v[40:41]
	v_min3_f32 v107, v44, v45, s11
	v_min3_f32 v108, v40, v41, s11
	s_waitcnt lgkmcnt(1)
	v_pk_add_f32 v[40:41], v[28:29], v[36:37]
	s_nop 0
	v_min3_f32 v109, v40, v41, s11
	v_pk_add_f32 v[40:41], v[24:25], v[36:37]
	s_nop 0
	v_min3_f32 v110, v40, v41, s11
	;; [unrolled: 3-line block ×6, first 2 shown]
	v_pk_add_f32 v[40:41], v[4:5], v[36:37]
	v_pk_add_f32 v[36:37], v[0:1], v[36:37]
	v_min3_f32 v115, v40, v41, s11
	v_min3_f32 v116, v36, v37, s11
	s_waitcnt lgkmcnt(0)
	v_pk_add_f32 v[36:37], v[28:29], v[32:33]
	v_pk_add_f32 v[40:41], v[16:17], v[32:33]
	v_min3_f32 v150, v36, v37, s11
	v_pk_add_f32 v[36:37], v[30:31], v[54:55]
	s_nop 0
	v_min3_f32 v88, v36, v37, v69
	v_pk_add_f32 v[36:37], v[26:27], v[54:55]
	s_nop 0
	v_min3_f32 v87, v36, v37, v70
	v_pk_add_f32 v[36:37], v[22:23], v[54:55]
	s_nop 0
	v_min3_f32 v149, v36, v37, v71
	v_pk_add_f32 v[36:37], v[18:19], v[54:55]
	s_nop 0
	v_min3_f32 v83, v36, v37, v77
	v_pk_add_f32 v[36:37], v[14:15], v[54:55]
	s_nop 0
	v_min3_f32 v86, v36, v37, v78
	v_pk_add_f32 v[36:37], v[10:11], v[54:55]
	s_nop 0
	v_min3_f32 v85, v36, v37, v79
	v_pk_add_f32 v[36:37], v[6:7], v[54:55]
	s_nop 0
	v_min3_f32 v84, v36, v37, v80
	v_pk_add_f32 v[36:37], v[24:25], v[32:33]
	s_nop 0
	v_min3_f32 v69, v36, v37, s11
	v_pk_add_f32 v[36:37], v[20:21], v[32:33]
	s_nop 0
	v_min3_f32 v70, v36, v37, s11
	v_pk_add_f32 v[36:37], v[2:3], v[54:55]
	v_min3_f32 v54, v40, v41, s11
	v_min3_f32 v147, v36, v37, v52
	v_pk_add_f32 v[36:37], v[30:31], v[50:51]
	v_pk_add_f32 v[40:41], v[12:13], v[32:33]
	v_min3_f32 v148, v36, v37, v53
	v_pk_add_f32 v[36:37], v[26:27], v[50:51]
	v_min3_f32 v40, v40, v41, s11
	v_min3_f32 v145, v36, v37, v81
	v_pk_add_f32 v[36:37], v[22:23], v[50:51]
	s_nop 0
	v_min3_f32 v146, v36, v37, v82
	v_pk_add_f32 v[36:37], v[18:19], v[50:51]
	s_nop 0
	;; [unrolled: 3-line block ×6, first 2 shown]
	v_min3_f32 v41, v36, v37, s11
	v_pk_add_f32 v[36:37], v[4:5], v[32:33]
	v_pk_add_f32 v[32:33], v[0:1], v[32:33]
	v_min3_f32 v52, v36, v37, s11
	v_pk_add_f32 v[36:37], v[2:3], v[50:51]
	v_min3_f32 v53, v32, v33, s11
	v_min3_f32 v139, v36, v37, v93
	v_pk_add_f32 v[36:37], v[30:31], v[46:47]
	s_nop 0
	v_min3_f32 v140, v36, v37, v94
	v_pk_add_f32 v[36:37], v[26:27], v[46:47]
	s_nop 0
	;; [unrolled: 3-line block ×7, first 2 shown]
	v_min3_f32 v130, v36, v37, v48
	ds_read_b128 v[48:51], v74 offset:3072
	v_pk_add_f32 v[36:37], v[2:3], v[46:47]
	ds_read_b128 v[44:47], v74 offset:3584
	v_min3_f32 v135, v36, v37, v100
	ds_write_b32 v63, v68 offset:9216
	ds_write2st64_b32 v76, v64, v65 offset0:16 offset1:20
	ds_write2st64_b32 v76, v66, v67 offset0:24 offset1:28
	s_waitcnt lgkmcnt(4)
	v_pk_add_f32 v[32:33], v[28:29], v[48:49]
	v_pk_add_f32 v[36:37], v[16:17], v[48:49]
	v_min3_f32 v55, v32, v33, s11
	v_pk_add_f32 v[32:33], v[30:31], v[42:43]
	s_waitcnt lgkmcnt(3)
	v_pk_add_f32 v[28:29], v[28:29], v[44:45]
	v_min3_f32 v138, v32, v33, v101
	v_pk_add_f32 v[32:33], v[26:27], v[42:43]
	v_pk_add_f32 v[16:17], v[16:17], v[44:45]
	v_min3_f32 v131, v32, v33, v102
	v_pk_add_f32 v[32:33], v[22:23], v[42:43]
	v_min3_f32 v16, v16, v17, s11
	v_min3_f32 v132, v32, v33, v103
	v_pk_add_f32 v[32:33], v[18:19], v[42:43]
	s_waitcnt lgkmcnt(0)
	v_min3_f32 v127, v32, v33, v104
	v_pk_add_f32 v[32:33], v[14:15], v[42:43]
	s_barrier
	v_min3_f32 v128, v32, v33, v105
	v_pk_add_f32 v[32:33], v[10:11], v[42:43]
	s_nop 0
	v_min3_f32 v125, v32, v33, v106
	v_pk_add_f32 v[32:33], v[6:7], v[42:43]
	s_nop 0
	v_min3_f32 v126, v32, v33, v107
	v_pk_add_f32 v[32:33], v[24:25], v[48:49]
	v_pk_add_f32 v[24:25], v[24:25], v[44:45]
	v_min3_f32 v71, v32, v33, s11
	v_pk_add_f32 v[32:33], v[20:21], v[48:49]
	v_min3_f32 v24, v24, v25, s11
	v_min3_f32 v77, v32, v33, s11
	v_pk_add_f32 v[32:33], v[2:3], v[42:43]
	v_min3_f32 v42, v36, v37, s11
	v_min3_f32 v123, v32, v33, v108
	v_pk_add_f32 v[32:33], v[30:31], v[38:39]
	v_pk_add_f32 v[36:37], v[12:13], v[48:49]
	v_min3_f32 v124, v32, v33, v109
	v_pk_add_f32 v[32:33], v[26:27], v[38:39]
	v_min3_f32 v36, v36, v37, s11
	v_min3_f32 v121, v32, v33, v110
	v_pk_add_f32 v[32:33], v[22:23], v[38:39]
	v_pk_add_f32 v[12:13], v[12:13], v[44:45]
	v_min3_f32 v122, v32, v33, v111
	v_pk_add_f32 v[32:33], v[18:19], v[38:39]
	v_pk_add_f32 v[20:21], v[20:21], v[44:45]
	v_min3_f32 v119, v32, v33, v112
	v_pk_add_f32 v[32:33], v[14:15], v[38:39]
	v_min3_f32 v12, v12, v13, s11
	v_min3_f32 v120, v32, v33, v113
	v_pk_add_f32 v[32:33], v[10:11], v[38:39]
	v_min3_f32 v25, v20, v21, s11
	v_min3_f32 v117, v32, v33, v114
	v_pk_add_f32 v[32:33], v[6:7], v[38:39]
	v_pk_add_f32 v[20:21], v[2:3], v[50:51]
	v_min3_f32 v118, v32, v33, v115
	v_pk_add_f32 v[32:33], v[8:9], v[48:49]
	v_pk_add_f32 v[8:9], v[8:9], v[44:45]
	v_min3_f32 v37, v32, v33, s11
	v_pk_add_f32 v[32:33], v[4:5], v[48:49]
	v_min3_f32 v8, v8, v9, s11
	v_min3_f32 v43, v32, v33, s11
	v_pk_add_f32 v[32:33], v[2:3], v[38:39]
	v_pk_add_f32 v[4:5], v[4:5], v[44:45]
	v_min3_f32 v115, v32, v33, v116
	v_pk_add_f32 v[32:33], v[30:31], v[34:35]
	v_min3_f32 v9, v4, v5, s11
	v_min3_f32 v116, v32, v33, v150
	v_pk_add_f32 v[32:33], v[26:27], v[34:35]
	v_pk_add_f32 v[4:5], v[30:31], v[46:47]
	v_min3_f32 v113, v32, v33, v69
	v_pk_add_f32 v[32:33], v[22:23], v[34:35]
	s_nop 0
	v_min3_f32 v114, v32, v33, v70
	v_pk_add_f32 v[32:33], v[18:19], v[34:35]
	s_nop 0
	;; [unrolled: 3-line block ×5, first 2 shown]
	v_min3_f32 v110, v32, v33, v52
	v_pk_add_f32 v[32:33], v[2:3], v[34:35]
	v_pk_add_f32 v[34:35], v[0:1], v[48:49]
	v_pk_add_f32 v[0:1], v[0:1], v[44:45]
	v_min3_f32 v34, v34, v35, s11
	v_min3_f32 v35, v28, v29, s11
	v_pk_add_f32 v[28:29], v[30:31], v[50:51]
	v_min3_f32 v13, v0, v1, s11
	v_pk_add_f32 v[0:1], v[26:27], v[46:47]
	;; [unrolled: 2-line block ×14, first 2 shown]
	v_min3_f32 v107, v32, v33, v53
	v_min3_f32 v102, v28, v29, v43
	v_min3_f32 v99, v20, v21, v34
	v_min3_f32 v100, v4, v5, v35
	v_min3_f32 v98, v0, v1, v13
	s_cbranch_scc1 .LBB22_12
; %bb.10:
	v_mov_b32_e32 v0, 0x2400
	v_lshl_add_u32 v81, v72, 4, v0
	v_mov_b32_e32 v0, 0x1000
	v_lshl_add_u32 v82, v73, 4, v0
	v_add_u32_e32 v0, 12, v62
	v_mad_i64_i32 v[0:1], s[8:9], v0, s10, 0
	v_lshlrev_b64 v[66:67], 2, v[0:1]
	v_lshl_add_u64 v[0:1], v[56:57], 2, v[58:59]
	v_lshl_add_u64 v[0:1], v[0:1], 0, s[14:15]
	s_ashr_i32 s11, s10, 31
	v_lshl_add_u64 v[68:69], v[0:1], 0, 32
	v_add_u32_e32 v0, 8, v62
	s_lshl_b64 s[8:9], s[10:11], 5
	v_mad_i64_i32 v[0:1], s[10:11], v0, s10, 0
	v_add_u32_e32 v77, 0x2000, v63
	v_add_u32_e32 v78, 0x2000, v75
	;; [unrolled: 1-line block ×3, first 2 shown]
	v_or_b32_e32 v80, 0x1000, v76
	s_add_i32 s12, s12, -8
	v_lshl_add_u64 v[64:65], v[60:61], 2, s[16:17]
	v_lshlrev_b64 v[70:71], 2, v[0:1]
	s_mov_b32 s10, 0
.LBB22_11:                              ; =>This Inner Loop Header: Depth=1
	v_lshl_add_u64 v[0:1], v[64:65], 0, v[70:71]
	flat_load_dword v151, v[68:69]
	flat_load_dword v89, v[0:1]
	flat_load_dword v90, v[0:1] offset:256
	flat_load_dword v91, v[0:1] offset:512
	;; [unrolled: 1-line block ×3, first 2 shown]
	ds_read_b128 v[28:31], v81
	ds_read_b128 v[24:27], v81 offset:128
	ds_read_b128 v[20:23], v81 offset:256
	;; [unrolled: 1-line block ×7, first 2 shown]
	ds_read_b128 v[60:63], v82
	ds_read_b128 v[56:59], v82 offset:512
	ds_read_b128 v[52:55], v82 offset:1024
	;; [unrolled: 1-line block ×7, first 2 shown]
	s_waitcnt lgkmcnt(0)
	v_pk_add_f32 v[152:153], v[28:29], v[60:61]
	s_add_i32 s10, s10, 8
	v_min3_f32 v88, v152, v153, v88
	v_pk_add_f32 v[152:153], v[24:25], v[60:61]
	s_cmp_ge_i32 s10, s12
	v_min3_f32 v154, v152, v153, v87
	v_pk_add_f32 v[152:153], v[20:21], v[60:61]
	s_waitcnt vmcnt(0)
	ds_write_b32 v77, v151
	ds_write2st64_b32 v76, v89, v90 offset1:4
	ds_write2st64_b32 v76, v91, v150 offset0:8 offset1:12
	v_min3_f32 v149, v152, v153, v149
	v_pk_add_f32 v[152:153], v[16:17], v[60:61]
	s_waitcnt lgkmcnt(0)
	v_min3_f32 v155, v152, v153, v83
	v_pk_add_f32 v[152:153], v[12:13], v[60:61]
	s_barrier
	v_min3_f32 v152, v152, v153, v86
	v_pk_add_f32 v[86:87], v[8:9], v[60:61]
	s_nop 0
	v_min3_f32 v85, v86, v87, v85
	v_pk_add_f32 v[86:87], v[4:5], v[60:61]
	v_pk_add_f32 v[60:61], v[0:1], v[60:61]
	v_min3_f32 v87, v86, v87, v84
	v_min3_f32 v147, v60, v61, v147
	v_pk_add_f32 v[60:61], v[28:29], v[56:57]
	flat_load_dword v89, v[68:69] offset:16
	v_min3_f32 v148, v60, v61, v148
	v_pk_add_f32 v[60:61], v[24:25], v[56:57]
	v_lshl_add_u64 v[68:69], v[68:69], 0, 32
	v_min3_f32 v153, v60, v61, v145
	v_pk_add_f32 v[60:61], v[20:21], v[56:57]
	s_nop 0
	v_min3_f32 v146, v60, v61, v146
	v_pk_add_f32 v[60:61], v[16:17], v[56:57]
	s_nop 0
	v_min3_f32 v156, v60, v61, v143
	v_pk_add_f32 v[60:61], v[12:13], v[56:57]
	s_nop 0
	v_min3_f32 v157, v60, v61, v144
	v_pk_add_f32 v[60:61], v[8:9], v[56:57]
	s_nop 0
	v_min3_f32 v158, v60, v61, v141
	v_pk_add_f32 v[60:61], v[4:5], v[56:57]
	v_pk_add_f32 v[56:57], v[0:1], v[56:57]
	v_min3_f32 v145, v60, v61, v142
	v_min3_f32 v144, v56, v57, v139
	v_pk_add_f32 v[56:57], v[28:29], v[52:53]
	s_nop 0
	v_min3_f32 v143, v56, v57, v140
	v_pk_add_f32 v[56:57], v[24:25], v[52:53]
	s_nop 0
	v_min3_f32 v142, v56, v57, v136
	v_pk_add_f32 v[56:57], v[20:21], v[52:53]
	s_nop 0
	v_min3_f32 v141, v56, v57, v137
	v_pk_add_f32 v[56:57], v[16:17], v[52:53]
	s_nop 0
	v_min3_f32 v140, v56, v57, v133
	v_pk_add_f32 v[56:57], v[12:13], v[52:53]
	s_nop 0
	v_min3_f32 v139, v56, v57, v134
	v_pk_add_f32 v[56:57], v[8:9], v[52:53]
	s_nop 0
	v_min3_f32 v137, v56, v57, v129
	v_pk_add_f32 v[56:57], v[4:5], v[52:53]
	v_pk_add_f32 v[52:53], v[0:1], v[52:53]
	v_min3_f32 v136, v56, v57, v130
	v_min3_f32 v134, v52, v53, v135
	v_pk_add_f32 v[52:53], v[28:29], v[48:49]
	s_nop 0
	v_min3_f32 v133, v52, v53, v138
	v_pk_add_f32 v[52:53], v[24:25], v[48:49]
	s_nop 0
	;; [unrolled: 22-line block ×4, first 2 shown]
	v_min3_f32 v84, v44, v45, v113
	v_pk_add_f32 v[44:45], v[20:21], v[40:41]
	s_nop 0
	v_min3_f32 v83, v44, v45, v114
	v_pk_add_f32 v[44:45], v[16:17], v[40:41]
	s_nop 0
	;; [unrolled: 3-line block ×4, first 2 shown]
	v_min3_f32 v57, v44, v45, v109
	v_pk_add_f32 v[44:45], v[4:5], v[40:41]
	v_pk_add_f32 v[40:41], v[0:1], v[40:41]
	v_min3_f32 v56, v44, v45, v110
	v_min3_f32 v53, v40, v41, v107
	v_pk_add_f32 v[40:41], v[28:29], v[36:37]
	v_pk_add_f32 v[28:29], v[28:29], v[32:33]
	v_min3_f32 v52, v40, v41, v108
	v_pk_add_f32 v[40:41], v[24:25], v[36:37]
	v_pk_add_f32 v[24:25], v[24:25], v[32:33]
	;; [unrolled: 3-line block ×6, first 2 shown]
	v_pk_add_f32 v[36:37], v[0:1], v[36:37]
	v_pk_add_f32 v[8:9], v[8:9], v[32:33]
	;; [unrolled: 1-line block ×5, first 2 shown]
	v_min3_f32 v24, v24, v25, v96
	v_min3_f32 v96, v32, v33, v88
	v_pk_add_f32 v[32:33], v[26:27], v[62:63]
	v_min3_f32 v12, v12, v13, v95
	v_min3_f32 v95, v32, v33, v154
	v_pk_add_f32 v[32:33], v[22:23], v[62:63]
	;; [unrolled: 3-line block ×11, first 2 shown]
	s_nop 0
	v_min3_f32 v100, v32, v33, v156
	v_pk_add_f32 v[32:33], v[14:15], v[58:59]
	s_nop 0
	v_min3_f32 v101, v32, v33, v157
	v_pk_add_f32 v[32:33], v[10:11], v[58:59]
	;; [unrolled: 3-line block ×37, first 2 shown]
	v_pk_add_f32 v[30:31], v[30:31], v[34:35]
	v_min3_f32 v149, v32, v33, v52
	v_pk_add_f32 v[32:33], v[26:27], v[38:39]
	v_pk_add_f32 v[26:27], v[26:27], v[34:35]
	v_min3_f32 v152, v32, v33, v49
	v_pk_add_f32 v[32:33], v[22:23], v[38:39]
	;; [unrolled: 3-line block ×7, first 2 shown]
	v_pk_add_f32 v[2:3], v[2:3], v[34:35]
	v_min3_f32 v158, v32, v33, v36
	v_min3_f32 v166, v2, v3, v0
	v_lshl_add_u64 v[0:1], v[64:65], 0, v[66:67]
	v_min3_f32 v159, v30, v31, v28
	v_min3_f32 v160, v26, v27, v24
	;; [unrolled: 1-line block ×7, first 2 shown]
	flat_load_dword v90, v[0:1]
	flat_load_dword v91, v[0:1] offset:256
	flat_load_dword v150, v[0:1] offset:512
	;; [unrolled: 1-line block ×3, first 2 shown]
	ds_read_b128 v[28:31], v78
	ds_read_b128 v[24:27], v78 offset:128
	ds_read_b128 v[20:23], v78 offset:256
	;; [unrolled: 1-line block ×7, first 2 shown]
	ds_read_b128 v[60:63], v74
	ds_read_b128 v[56:59], v74 offset:512
	ds_read_b128 v[52:55], v74 offset:1024
	ds_read_b128 v[48:51], v74 offset:1536
	ds_read_b128 v[44:47], v74 offset:2048
	ds_read_b128 v[40:43], v74 offset:2560
	ds_read_b128 v[36:39], v74 offset:3072
	ds_read_b128 v[32:35], v74 offset:3584
	s_waitcnt lgkmcnt(0)
	v_pk_add_f32 v[114:115], v[28:29], v[60:61]
	v_lshl_add_u64 v[64:65], v[64:65], 0, s[8:9]
	v_min3_f32 v167, v114, v115, v96
	v_pk_add_f32 v[114:115], v[24:25], v[60:61]
	s_waitcnt vmcnt(0)
	ds_write_b32 v79, v89
	ds_write2st64_b32 v80, v90, v91 offset1:4
	ds_write2st64_b32 v80, v150, v151 offset0:8 offset1:12
	v_min3_f32 v168, v114, v115, v95
	v_pk_add_f32 v[114:115], v[20:21], v[60:61]
	s_waitcnt lgkmcnt(0)
	v_min3_f32 v169, v114, v115, v94
	v_pk_add_f32 v[94:95], v[16:17], v[60:61]
	s_barrier
	v_min3_f32 v170, v94, v95, v93
	v_pk_add_f32 v[94:95], v[12:13], v[60:61]
	s_nop 0
	v_min3_f32 v171, v94, v95, v92
	v_pk_add_f32 v[92:93], v[8:9], v[60:61]
	s_nop 0
	v_min3_f32 v172, v92, v93, v88
	v_pk_add_f32 v[92:93], v[4:5], v[60:61]
	v_pk_add_f32 v[60:61], v[0:1], v[60:61]
	v_min3_f32 v173, v92, v93, v87
	v_min3_f32 v174, v60, v61, v85
	v_pk_add_f32 v[60:61], v[28:29], v[56:57]
	s_nop 0
	v_min3_f32 v138, v60, v61, v97
	v_pk_add_f32 v[60:61], v[24:25], v[56:57]
	s_nop 0
	v_min3_f32 v136, v60, v61, v98
	v_pk_add_f32 v[60:61], v[20:21], v[56:57]
	s_nop 0
	v_min3_f32 v134, v60, v61, v99
	v_pk_add_f32 v[60:61], v[16:17], v[56:57]
	s_nop 0
	v_min3_f32 v132, v60, v61, v100
	v_pk_add_f32 v[60:61], v[12:13], v[56:57]
	s_nop 0
	v_min3_f32 v124, v60, v61, v101
	v_pk_add_f32 v[60:61], v[8:9], v[56:57]
	s_nop 0
	v_min3_f32 v123, v60, v61, v102
	v_pk_add_f32 v[60:61], v[4:5], v[56:57]
	v_pk_add_f32 v[56:57], v[0:1], v[56:57]
	v_min3_f32 v122, v60, v61, v103
	v_min3_f32 v121, v56, v57, v104
	v_pk_add_f32 v[56:57], v[28:29], v[52:53]
	s_nop 0
	v_min3_f32 v120, v56, v57, v105
	v_pk_add_f32 v[56:57], v[24:25], v[52:53]
	s_nop 0
	v_min3_f32 v119, v56, v57, v106
	v_pk_add_f32 v[56:57], v[20:21], v[52:53]
	s_nop 0
	v_min3_f32 v117, v56, v57, v107
	v_pk_add_f32 v[56:57], v[16:17], v[52:53]
	s_nop 0
	;; [unrolled: 22-line block ×4, first 2 shown]
	v_min3_f32 v99, v48, v49, v139
	v_pk_add_f32 v[48:49], v[12:13], v[44:45]
	s_nop 0
	v_min3_f32 v98, v48, v49, v140
	v_pk_add_f32 v[48:49], v[8:9], v[44:45]
	s_nop 0
	v_min3_f32 v97, v48, v49, v141
	v_pk_add_f32 v[48:49], v[4:5], v[44:45]
	v_pk_add_f32 v[44:45], v[0:1], v[44:45]
	v_min3_f32 v96, v48, v49, v142
	v_min3_f32 v95, v44, v45, v143
	v_pk_add_f32 v[44:45], v[28:29], v[40:41]
	s_nop 0
	v_min3_f32 v94, v44, v45, v86
	v_pk_add_f32 v[44:45], v[24:25], v[40:41]
	s_nop 0
	v_min3_f32 v93, v44, v45, v84
	v_pk_add_f32 v[44:45], v[20:21], v[40:41]
	v_pk_add_f32 v[84:85], v[4:5], v[36:37]
	v_min3_f32 v92, v44, v45, v83
	v_pk_add_f32 v[44:45], v[16:17], v[40:41]
	s_nop 0
	v_min3_f32 v61, v44, v45, v144
	v_pk_add_f32 v[44:45], v[12:13], v[40:41]
	s_nop 0
	;; [unrolled: 3-line block ×3, first 2 shown]
	v_min3_f32 v57, v44, v45, v146
	v_pk_add_f32 v[44:45], v[4:5], v[40:41]
	v_pk_add_f32 v[40:41], v[0:1], v[40:41]
	v_min3_f32 v56, v44, v45, v147
	v_min3_f32 v53, v40, v41, v148
	v_pk_add_f32 v[40:41], v[28:29], v[36:37]
	v_pk_add_f32 v[28:29], v[28:29], v[32:33]
	v_min3_f32 v52, v40, v41, v149
	v_pk_add_f32 v[40:41], v[24:25], v[36:37]
	v_pk_add_f32 v[24:25], v[24:25], v[32:33]
	;; [unrolled: 3-line block ×6, first 2 shown]
	v_pk_add_f32 v[8:9], v[8:9], v[32:33]
	v_pk_add_f32 v[4:5], v[4:5], v[32:33]
	v_pk_add_f32 v[0:1], v[0:1], v[32:33]
	v_pk_add_f32 v[32:33], v[30:31], v[62:63]
	v_min3_f32 v41, v40, v41, v156
	v_min3_f32 v88, v32, v33, v167
	v_pk_add_f32 v[32:33], v[26:27], v[62:63]
	v_min3_f32 v40, v84, v85, v157
	v_min3_f32 v87, v32, v33, v168
	v_pk_add_f32 v[32:33], v[22:23], v[62:63]
	;; [unrolled: 3-line block ×11, first 2 shown]
	s_nop 0
	v_min3_f32 v143, v32, v33, v132
	v_pk_add_f32 v[32:33], v[14:15], v[58:59]
	s_nop 0
	v_min3_f32 v144, v32, v33, v124
	v_pk_add_f32 v[32:33], v[10:11], v[58:59]
	;; [unrolled: 3-line block ×37, first 2 shown]
	v_pk_add_f32 v[30:31], v[30:31], v[34:35]
	v_min3_f32 v108, v32, v33, v52
	v_pk_add_f32 v[32:33], v[26:27], v[38:39]
	v_pk_add_f32 v[26:27], v[26:27], v[34:35]
	v_min3_f32 v105, v32, v33, v49
	v_pk_add_f32 v[32:33], v[22:23], v[38:39]
	v_pk_add_f32 v[22:23], v[22:23], v[34:35]
	v_min3_f32 v106, v32, v33, v48
	v_pk_add_f32 v[32:33], v[18:19], v[38:39]
	v_pk_add_f32 v[18:19], v[18:19], v[34:35]
	v_min3_f32 v103, v32, v33, v45
	v_pk_add_f32 v[32:33], v[14:15], v[38:39]
	v_pk_add_f32 v[14:15], v[14:15], v[34:35]
	v_min3_f32 v104, v32, v33, v44
	v_pk_add_f32 v[32:33], v[10:11], v[38:39]
	v_pk_add_f32 v[10:11], v[10:11], v[34:35]
	v_min3_f32 v101, v32, v33, v41
	v_pk_add_f32 v[32:33], v[6:7], v[38:39]
	v_pk_add_f32 v[6:7], v[6:7], v[34:35]
	v_min3_f32 v102, v32, v33, v40
	v_pk_add_f32 v[32:33], v[2:3], v[38:39]
	v_pk_add_f32 v[2:3], v[2:3], v[34:35]
	v_min3_f32 v99, v32, v33, v36
	v_min3_f32 v100, v30, v31, v28
	;; [unrolled: 1-line block ×9, first 2 shown]
	s_cbranch_scc0 .LBB22_11
.LBB22_12:
	s_load_dwordx2 s[10:11], s[0:1], 0x70
	ds_read_b128 v[32:35], v75 offset:9216
	ds_read_b128 v[60:63], v74 offset:4096
	s_load_dword s8, s[0:1], 0x50
	s_load_dword s9, s[0:1], 0x68
	v_add_u32_e32 v68, s18, v72
	v_add_u32_e32 v150, s19, v73
	s_waitcnt lgkmcnt(0)
	s_lshl_b64 s[0:1], s[10:11], 2
	v_pk_add_f32 v[0:1], v[32:33], v[60:61]
	s_add_u32 s0, s2, s0
	v_min3_f32 v2, v0, v1, v88
	v_pk_add_f32 v[0:1], v[34:35], v[62:63]
	s_addc_u32 s1, s3, s1
	v_min3_f32 v2, v0, v1, v2
	v_add_u32_e32 v64, 8, v68
	v_mad_i64_i32 v[0:1], s[2:3], v150, s9, 0
	v_ashrrev_i32_e32 v69, 31, v68
	v_ashrrev_i32_e32 v65, 31, v64
	v_lshl_add_u64 v[88:89], v[0:1], 2, s[0:1]
	v_mad_i64_i32 v[0:1], s[2:3], v150, s8, 0
	v_max_f32_e32 v2, v2, v2
	s_mov_b64 vcc, s[4:5]
	s_cbranch_vccz .LBB22_14
; %bb.13:
	v_min_f32_e32 v3, 0, v2
	v_lshl_add_u64 v[4:5], v[68:69], 2, v[88:89]
	s_mov_b32 s10, 0
	global_store_dword v[4:5], v3, off
	s_mov_b64 s[2:3], 0
	s_branch .LBB22_15
.LBB22_14:
	s_mov_b64 s[2:3], -1
                                        ; implicit-def: $sgpr10
.LBB22_15:
	ds_read_b128 v[28:31], v75 offset:9344
	ds_read_b128 v[24:27], v75 offset:9472
	v_lshl_add_u64 v[90:91], v[0:1], 2, s[6:7]
	s_andn2_b64 vcc, exec, s[2:3]
	v_lshlrev_b64 v[72:73], 2, v[68:69]
	s_cbranch_vccnz .LBB22_17
; %bb.16:
	v_lshl_add_u64 v[0:1], v[90:91], 0, v[72:73]
	flat_load_dword v3, v[0:1]
	v_lshl_add_u64 v[0:1], v[88:89], 0, v[72:73]
	s_waitcnt vmcnt(0) lgkmcnt(0)
	v_mul_f32_e32 v3, s13, v3
	v_min_f32_e32 v2, v3, v2
	global_store_dword v[0:1], v2, off
	v_lshl_add_u64 v[0:1], v[64:65], 2, v[90:91]
	flat_load_dword v0, v[0:1]
	s_waitcnt vmcnt(0) lgkmcnt(0)
	v_mul_f32_e32 v70, s13, v0
	s_branch .LBB22_18
.LBB22_17:
	v_mov_b32_e32 v70, s10
.LBB22_18:
	ds_read_b128 v[16:19], v75 offset:9728
	ds_read_b128 v[12:15], v75 offset:9856
	ds_read_b128 v[8:11], v75 offset:9984
	ds_read_b128 v[0:3], v75 offset:10112
	ds_read_b128 v[56:59], v74 offset:4608
	ds_read_b128 v[52:55], v74 offset:5120
	ds_read_b128 v[48:51], v74 offset:5632
	ds_read_b128 v[44:47], v74 offset:6144
	ds_read_b128 v[40:43], v74 offset:6656
	ds_read_b128 v[36:39], v74 offset:7168
	ds_read_b128 v[20:23], v75 offset:9600
	ds_read_b128 v[4:7], v74 offset:7680
	s_waitcnt lgkmcnt(13)
	v_pk_add_f32 v[66:67], v[28:29], v[60:61]
	s_mov_b64 vcc, s[4:5]
	v_min3_f32 v71, v66, v67, v87
	s_waitcnt lgkmcnt(12)
	v_pk_add_f32 v[66:67], v[24:25], v[60:61]
	s_nop 0
	v_min3_f32 v74, v66, v67, v149
	v_pk_add_f32 v[66:67], v[30:31], v[62:63]
	s_nop 0
	v_min_f32_e32 v76, v66, v67
	v_pk_add_f32 v[66:67], v[26:27], v[62:63]
	v_min3_f32 v76, v70, v76, v71
	v_min3_f32 v77, v66, v67, v74
	v_add_u32_e32 v74, 16, v68
	v_add_u32_e32 v66, 24, v68
	v_lshl_add_u64 v[70:71], v[64:65], 2, v[88:89]
	v_ashrrev_i32_e32 v75, 31, v74
	v_ashrrev_i32_e32 v67, 31, v66
	global_store_dword v[70:71], v76, off
	v_max_f32_e32 v70, v77, v77
	s_cbranch_vccz .LBB22_21
; %bb.19:
	v_min_f32_e32 v71, 0, v70
	v_lshl_add_u64 v[76:77], v[74:75], 2, v[88:89]
	s_mov_b32 s10, 0
	global_store_dword v[76:77], v71, off
	v_lshlrev_b64 v[78:79], 2, v[74:75]
	s_cbranch_execz .LBB22_22
; %bb.20:
	v_mov_b32_e32 v76, s10
	s_branch .LBB22_23
.LBB22_21:
                                        ; implicit-def: $sgpr10
	v_lshlrev_b64 v[78:79], 2, v[74:75]
.LBB22_22:
	v_lshl_add_u64 v[76:77], v[90:91], 0, v[78:79]
	flat_load_dword v71, v[76:77]
	v_lshl_add_u64 v[76:77], v[88:89], 0, v[78:79]
	s_waitcnt vmcnt(0) lgkmcnt(0)
	v_mul_f32_e32 v71, s13, v71
	v_min_f32_e32 v70, v71, v70
	global_store_dword v[76:77], v70, off
	v_lshl_add_u64 v[70:71], v[66:67], 2, v[90:91]
	flat_load_dword v70, v[70:71]
	s_waitcnt vmcnt(0) lgkmcnt(0)
	v_mul_f32_e32 v76, s13, v70
.LBB22_23:
	s_waitcnt lgkmcnt(1)
	v_pk_add_f32 v[70:71], v[20:21], v[60:61]
	s_mov_b64 vcc, s[4:5]
	v_min3_f32 v77, v70, v71, v83
	v_pk_add_f32 v[70:71], v[16:17], v[60:61]
	s_nop 0
	v_min3_f32 v80, v70, v71, v86
	v_pk_add_f32 v[70:71], v[22:23], v[62:63]
	s_nop 0
	v_min_f32_e32 v82, v70, v71
	v_pk_add_f32 v[70:71], v[18:19], v[62:63]
	v_min3_f32 v82, v76, v82, v77
	v_min3_f32 v83, v70, v71, v80
	v_add_u32_e32 v80, 32, v68
	v_add_u32_e32 v70, 40, v68
	v_lshl_add_u64 v[76:77], v[66:67], 2, v[88:89]
	v_ashrrev_i32_e32 v81, 31, v80
	v_ashrrev_i32_e32 v71, 31, v70
	global_store_dword v[76:77], v82, off
	v_max_f32_e32 v76, v83, v83
	s_cbranch_vccz .LBB22_26
; %bb.24:
	v_min_f32_e32 v77, 0, v76
	v_lshl_add_u64 v[82:83], v[80:81], 2, v[88:89]
	s_mov_b32 s10, 0
	global_store_dword v[82:83], v77, off
	v_lshlrev_b64 v[82:83], 2, v[80:81]
	s_cbranch_execz .LBB22_27
; %bb.25:
	v_mov_b32_e32 v86, s10
	s_branch .LBB22_28
.LBB22_26:
                                        ; implicit-def: $sgpr10
	v_lshlrev_b64 v[82:83], 2, v[80:81]
.LBB22_27:
	v_lshl_add_u64 v[86:87], v[90:91], 0, v[82:83]
	flat_load_dword v77, v[86:87]
	v_lshl_add_u64 v[86:87], v[88:89], 0, v[82:83]
	s_waitcnt vmcnt(0) lgkmcnt(0)
	v_mul_f32_e32 v77, s13, v77
	v_min_f32_e32 v76, v77, v76
	global_store_dword v[86:87], v76, off
	v_lshl_add_u64 v[76:77], v[70:71], 2, v[90:91]
	flat_load_dword v76, v[76:77]
	s_waitcnt vmcnt(0) lgkmcnt(0)
	v_mul_f32_e32 v86, s13, v76
.LBB22_28:
	v_pk_add_f32 v[76:77], v[12:13], v[60:61]
	s_mov_b64 vcc, s[4:5]
	v_min3_f32 v87, v76, v77, v85
	v_pk_add_f32 v[76:77], v[8:9], v[60:61]
	s_nop 0
	v_min3_f32 v84, v76, v77, v84
	v_pk_add_f32 v[76:77], v[14:15], v[62:63]
	s_nop 0
	v_min_f32_e32 v149, v76, v77
	v_pk_add_f32 v[76:77], v[10:11], v[62:63]
	v_min3_f32 v149, v86, v149, v87
	v_min3_f32 v151, v76, v77, v84
	v_add_u32_e32 v84, 48, v68
	v_add_u32_e32 v76, 56, v68
	v_lshl_add_u64 v[86:87], v[70:71], 2, v[88:89]
	v_ashrrev_i32_e32 v85, 31, v84
	v_ashrrev_i32_e32 v77, 31, v76
	global_store_dword v[86:87], v149, off
	v_max_f32_e32 v149, v151, v151
	s_cbranch_vccz .LBB22_31
; %bb.29:
	v_min_f32_e32 v151, 0, v149
	v_lshl_add_u64 v[86:87], v[84:85], 2, v[88:89]
	s_mov_b32 s10, 0
	global_store_dword v[86:87], v151, off
	v_lshlrev_b64 v[86:87], 2, v[84:85]
	s_cbranch_execz .LBB22_32
; %bb.30:
	v_mov_b32_e32 v90, s10
	s_branch .LBB22_33
.LBB22_31:
                                        ; implicit-def: $sgpr10
	v_lshlrev_b64 v[86:87], 2, v[84:85]
.LBB22_32:
	v_lshl_add_u64 v[152:153], v[90:91], 0, v[86:87]
	flat_load_dword v151, v[152:153]
	v_lshl_add_u64 v[152:153], v[88:89], 0, v[86:87]
	v_lshl_add_u64 v[90:91], v[76:77], 2, v[90:91]
	s_waitcnt vmcnt(0) lgkmcnt(0)
	v_mul_f32_e32 v151, s13, v151
	v_min_f32_e32 v149, v151, v149
	global_store_dword v[152:153], v149, off
	flat_load_dword v90, v[90:91]
	s_waitcnt vmcnt(0) lgkmcnt(0)
	v_mul_f32_e32 v90, s13, v90
.LBB22_33:
	v_pk_add_f32 v[60:61], v[0:1], v[60:61]
	s_mov_b64 vcc, s[4:5]
	v_min3_f32 v91, v60, v61, v147
	v_pk_add_f32 v[60:61], v[32:33], v[56:57]
	s_nop 0
	v_min3_f32 v147, v60, v61, v148
	v_pk_add_f32 v[60:61], v[2:3], v[62:63]
	s_nop 0
	v_min_f32_e32 v62, v60, v61
	v_pk_add_f32 v[60:61], v[34:35], v[58:59]
	v_min3_f32 v62, v90, v62, v91
	v_min3_f32 v147, v60, v61, v147
	v_lshl_add_u64 v[60:61], v[76:77], 2, v[88:89]
	global_store_dword v[60:61], v62, off
	v_add_u32_e32 v62, 32, v150
	v_mad_i64_i32 v[60:61], s[2:3], v62, s9, 0
	v_lshl_add_u64 v[60:61], v[60:61], 2, s[0:1]
	v_mad_i64_i32 v[62:63], s[2:3], v62, s8, 0
	v_max_f32_e32 v88, v147, v147
	s_cbranch_vccz .LBB22_36
; %bb.34:
	v_min_f32_e32 v89, 0, v88
	v_lshl_add_u64 v[90:91], v[68:69], 2, v[60:61]
	s_mov_b32 s10, 0
	global_store_dword v[90:91], v89, off
	v_lshl_add_u64 v[62:63], v[62:63], 2, s[6:7]
	s_cbranch_execz .LBB22_37
; %bb.35:
	v_mov_b32_e32 v88, s10
	s_branch .LBB22_38
.LBB22_36:
                                        ; implicit-def: $sgpr10
	v_lshl_add_u64 v[62:63], v[62:63], 2, s[6:7]
.LBB22_37:
	v_lshl_add_u64 v[90:91], v[62:63], 0, v[72:73]
	flat_load_dword v89, v[90:91]
	v_lshl_add_u64 v[90:91], v[60:61], 0, v[72:73]
	s_waitcnt vmcnt(0) lgkmcnt(0)
	v_mul_f32_e32 v89, s13, v89
	v_min_f32_e32 v88, v89, v88
	global_store_dword v[90:91], v88, off
	v_lshl_add_u64 v[88:89], v[64:65], 2, v[62:63]
	flat_load_dword v88, v[88:89]
	s_waitcnt vmcnt(0) lgkmcnt(0)
	v_mul_f32_e32 v88, s13, v88
.LBB22_38:
	v_pk_add_f32 v[90:91], v[28:29], v[56:57]
	s_mov_b64 vcc, s[4:5]
	v_min3_f32 v89, v90, v91, v145
	v_pk_add_f32 v[90:91], v[24:25], v[56:57]
	s_nop 0
	v_min3_f32 v145, v90, v91, v146
	v_pk_add_f32 v[90:91], v[30:31], v[58:59]
	s_nop 0
	v_min_f32_e32 v146, v90, v91
	v_pk_add_f32 v[90:91], v[26:27], v[58:59]
	s_nop 0
	v_min3_f32 v90, v90, v91, v145
	v_min3_f32 v91, v88, v146, v89
	v_lshl_add_u64 v[88:89], v[64:65], 2, v[60:61]
	global_store_dword v[88:89], v91, off
	v_max_f32_e32 v88, v90, v90
	s_cbranch_vccz .LBB22_41
; %bb.39:
	v_min_f32_e32 v89, 0, v88
	v_lshl_add_u64 v[90:91], v[74:75], 2, v[60:61]
	s_mov_b32 s10, 0
	global_store_dword v[90:91], v89, off
	s_cbranch_execz .LBB22_42
; %bb.40:
	v_mov_b32_e32 v88, s10
	s_branch .LBB22_43
.LBB22_41:
                                        ; implicit-def: $sgpr10
.LBB22_42:
	v_lshl_add_u64 v[90:91], v[62:63], 0, v[78:79]
	flat_load_dword v89, v[90:91]
	v_lshl_add_u64 v[90:91], v[60:61], 0, v[78:79]
	s_waitcnt vmcnt(0) lgkmcnt(0)
	v_mul_f32_e32 v89, s13, v89
	v_min_f32_e32 v88, v89, v88
	global_store_dword v[90:91], v88, off
	v_lshl_add_u64 v[88:89], v[66:67], 2, v[62:63]
	flat_load_dword v88, v[88:89]
	s_waitcnt vmcnt(0) lgkmcnt(0)
	v_mul_f32_e32 v88, s13, v88
.LBB22_43:
	v_pk_add_f32 v[90:91], v[20:21], v[56:57]
	s_mov_b64 vcc, s[4:5]
	v_min3_f32 v89, v90, v91, v143
	v_pk_add_f32 v[90:91], v[16:17], v[56:57]
	s_nop 0
	v_min3_f32 v143, v90, v91, v144
	v_pk_add_f32 v[90:91], v[22:23], v[58:59]
	s_nop 0
	v_min_f32_e32 v144, v90, v91
	v_pk_add_f32 v[90:91], v[18:19], v[58:59]
	s_nop 0
	v_min3_f32 v90, v90, v91, v143
	v_min3_f32 v91, v88, v144, v89
	v_lshl_add_u64 v[88:89], v[66:67], 2, v[60:61]
	global_store_dword v[88:89], v91, off
	v_max_f32_e32 v88, v90, v90
	s_cbranch_vccz .LBB22_46
; %bb.44:
	v_min_f32_e32 v89, 0, v88
	v_lshl_add_u64 v[90:91], v[80:81], 2, v[60:61]
	s_mov_b32 s10, 0
	global_store_dword v[90:91], v89, off
	s_cbranch_execz .LBB22_47
; %bb.45:
	v_mov_b32_e32 v88, s10
	s_branch .LBB22_48
.LBB22_46:
                                        ; implicit-def: $sgpr10
.LBB22_47:
	v_lshl_add_u64 v[90:91], v[62:63], 0, v[82:83]
	flat_load_dword v89, v[90:91]
	v_lshl_add_u64 v[90:91], v[60:61], 0, v[82:83]
	s_waitcnt vmcnt(0) lgkmcnt(0)
	v_mul_f32_e32 v89, s13, v89
	v_min_f32_e32 v88, v89, v88
	global_store_dword v[90:91], v88, off
	v_lshl_add_u64 v[88:89], v[70:71], 2, v[62:63]
	flat_load_dword v88, v[88:89]
	s_waitcnt vmcnt(0) lgkmcnt(0)
	v_mul_f32_e32 v88, s13, v88
.LBB22_48:
	v_pk_add_f32 v[90:91], v[12:13], v[56:57]
	s_mov_b64 vcc, s[4:5]
	v_min3_f32 v89, v90, v91, v141
	v_pk_add_f32 v[90:91], v[8:9], v[56:57]
	s_nop 0
	v_min3_f32 v141, v90, v91, v142
	v_pk_add_f32 v[90:91], v[14:15], v[58:59]
	s_nop 0
	v_min_f32_e32 v142, v90, v91
	v_pk_add_f32 v[90:91], v[10:11], v[58:59]
	s_nop 0
	v_min3_f32 v90, v90, v91, v141
	v_min3_f32 v91, v88, v142, v89
	v_lshl_add_u64 v[88:89], v[70:71], 2, v[60:61]
	global_store_dword v[88:89], v91, off
	v_max_f32_e32 v88, v90, v90
	s_cbranch_vccz .LBB22_51
; %bb.49:
	v_min_f32_e32 v89, 0, v88
	v_lshl_add_u64 v[90:91], v[84:85], 2, v[60:61]
	s_mov_b32 s10, 0
	global_store_dword v[90:91], v89, off
	s_cbranch_execz .LBB22_52
; %bb.50:
	v_mov_b32_e32 v62, s10
	s_branch .LBB22_53
.LBB22_51:
                                        ; implicit-def: $sgpr10
.LBB22_52:
	v_lshl_add_u64 v[90:91], v[62:63], 0, v[86:87]
	flat_load_dword v89, v[90:91]
	v_lshl_add_u64 v[90:91], v[60:61], 0, v[86:87]
	v_lshl_add_u64 v[62:63], v[76:77], 2, v[62:63]
	s_waitcnt vmcnt(0) lgkmcnt(0)
	v_mul_f32_e32 v89, s13, v89
	v_min_f32_e32 v88, v89, v88
	global_store_dword v[90:91], v88, off
	flat_load_dword v62, v[62:63]
	s_waitcnt vmcnt(0) lgkmcnt(0)
	v_mul_f32_e32 v62, s13, v62
.LBB22_53:
	v_pk_add_f32 v[56:57], v[0:1], v[56:57]
	s_mov_b64 vcc, s[4:5]
	v_min3_f32 v63, v56, v57, v139
	v_pk_add_f32 v[56:57], v[32:33], v[52:53]
	s_nop 0
	v_min3_f32 v88, v56, v57, v140
	v_pk_add_f32 v[56:57], v[2:3], v[58:59]
	s_nop 0
	v_min_f32_e32 v58, v56, v57
	v_pk_add_f32 v[56:57], v[34:35], v[54:55]
	v_min3_f32 v58, v62, v58, v63
	v_min3_f32 v88, v56, v57, v88
	v_lshl_add_u64 v[56:57], v[76:77], 2, v[60:61]
	global_store_dword v[56:57], v58, off
	v_add_u32_e32 v58, 64, v150
	v_mad_i64_i32 v[56:57], s[2:3], v58, s9, 0
	v_lshl_add_u64 v[56:57], v[56:57], 2, s[0:1]
	v_mad_i64_i32 v[58:59], s[2:3], v58, s8, 0
	v_max_f32_e32 v60, v88, v88
	s_cbranch_vccz .LBB22_56
; %bb.54:
	v_min_f32_e32 v61, 0, v60
	v_lshl_add_u64 v[62:63], v[68:69], 2, v[56:57]
	s_mov_b32 s10, 0
	global_store_dword v[62:63], v61, off
	v_lshl_add_u64 v[58:59], v[58:59], 2, s[6:7]
	s_cbranch_execz .LBB22_57
; %bb.55:
	v_mov_b32_e32 v60, s10
	s_branch .LBB22_58
.LBB22_56:
                                        ; implicit-def: $sgpr10
	v_lshl_add_u64 v[58:59], v[58:59], 2, s[6:7]
.LBB22_57:
	v_lshl_add_u64 v[62:63], v[58:59], 0, v[72:73]
	flat_load_dword v61, v[62:63]
	v_lshl_add_u64 v[62:63], v[56:57], 0, v[72:73]
	s_waitcnt vmcnt(0) lgkmcnt(0)
	v_mul_f32_e32 v61, s13, v61
	v_min_f32_e32 v60, v61, v60
	global_store_dword v[62:63], v60, off
	v_lshl_add_u64 v[60:61], v[64:65], 2, v[58:59]
	flat_load_dword v60, v[60:61]
	s_waitcnt vmcnt(0) lgkmcnt(0)
	v_mul_f32_e32 v60, s13, v60
.LBB22_58:
	v_pk_add_f32 v[62:63], v[28:29], v[52:53]
	s_mov_b64 vcc, s[4:5]
	v_min3_f32 v61, v62, v63, v136
	v_pk_add_f32 v[62:63], v[24:25], v[52:53]
	s_nop 0
	v_min3_f32 v88, v62, v63, v137
	v_pk_add_f32 v[62:63], v[30:31], v[54:55]
	s_nop 0
	v_min_f32_e32 v89, v62, v63
	v_pk_add_f32 v[62:63], v[26:27], v[54:55]
	s_nop 0
	v_min3_f32 v62, v62, v63, v88
	v_min3_f32 v63, v60, v89, v61
	v_lshl_add_u64 v[60:61], v[64:65], 2, v[56:57]
	global_store_dword v[60:61], v63, off
	v_max_f32_e32 v60, v62, v62
	s_cbranch_vccz .LBB22_61
; %bb.59:
	v_min_f32_e32 v61, 0, v60
	v_lshl_add_u64 v[62:63], v[74:75], 2, v[56:57]
	s_mov_b32 s10, 0
	global_store_dword v[62:63], v61, off
	s_cbranch_execz .LBB22_62
; %bb.60:
	v_mov_b32_e32 v60, s10
	s_branch .LBB22_63
.LBB22_61:
                                        ; implicit-def: $sgpr10
.LBB22_62:
	v_lshl_add_u64 v[62:63], v[58:59], 0, v[78:79]
	flat_load_dword v61, v[62:63]
	v_lshl_add_u64 v[62:63], v[56:57], 0, v[78:79]
	s_waitcnt vmcnt(0) lgkmcnt(0)
	v_mul_f32_e32 v61, s13, v61
	v_min_f32_e32 v60, v61, v60
	global_store_dword v[62:63], v60, off
	v_lshl_add_u64 v[60:61], v[66:67], 2, v[58:59]
	flat_load_dword v60, v[60:61]
	s_waitcnt vmcnt(0) lgkmcnt(0)
	v_mul_f32_e32 v60, s13, v60
.LBB22_63:
	v_pk_add_f32 v[62:63], v[20:21], v[52:53]
	s_mov_b64 vcc, s[4:5]
	v_min3_f32 v61, v62, v63, v133
	v_pk_add_f32 v[62:63], v[16:17], v[52:53]
	s_nop 0
	v_min3_f32 v88, v62, v63, v134
	v_pk_add_f32 v[62:63], v[22:23], v[54:55]
	s_nop 0
	v_min_f32_e32 v89, v62, v63
	v_pk_add_f32 v[62:63], v[18:19], v[54:55]
	s_nop 0
	v_min3_f32 v62, v62, v63, v88
	v_min3_f32 v63, v60, v89, v61
	v_lshl_add_u64 v[60:61], v[66:67], 2, v[56:57]
	global_store_dword v[60:61], v63, off
	v_max_f32_e32 v60, v62, v62
	s_cbranch_vccz .LBB22_66
; %bb.64:
	v_min_f32_e32 v61, 0, v60
	v_lshl_add_u64 v[62:63], v[80:81], 2, v[56:57]
	s_mov_b32 s10, 0
	global_store_dword v[62:63], v61, off
	s_cbranch_execz .LBB22_67
; %bb.65:
	v_mov_b32_e32 v60, s10
	s_branch .LBB22_68
.LBB22_66:
                                        ; implicit-def: $sgpr10
.LBB22_67:
	v_lshl_add_u64 v[62:63], v[58:59], 0, v[82:83]
	flat_load_dword v61, v[62:63]
	v_lshl_add_u64 v[62:63], v[56:57], 0, v[82:83]
	s_waitcnt vmcnt(0) lgkmcnt(0)
	v_mul_f32_e32 v61, s13, v61
	v_min_f32_e32 v60, v61, v60
	global_store_dword v[62:63], v60, off
	v_lshl_add_u64 v[60:61], v[70:71], 2, v[58:59]
	flat_load_dword v60, v[60:61]
	s_waitcnt vmcnt(0) lgkmcnt(0)
	v_mul_f32_e32 v60, s13, v60
.LBB22_68:
	v_pk_add_f32 v[62:63], v[12:13], v[52:53]
	s_mov_b64 vcc, s[4:5]
	v_min3_f32 v61, v62, v63, v129
	v_pk_add_f32 v[62:63], v[8:9], v[52:53]
	s_nop 0
	v_min3_f32 v88, v62, v63, v130
	v_pk_add_f32 v[62:63], v[14:15], v[54:55]
	s_nop 0
	v_min_f32_e32 v89, v62, v63
	v_pk_add_f32 v[62:63], v[10:11], v[54:55]
	s_nop 0
	v_min3_f32 v62, v62, v63, v88
	v_min3_f32 v63, v60, v89, v61
	v_lshl_add_u64 v[60:61], v[70:71], 2, v[56:57]
	global_store_dword v[60:61], v63, off
	v_max_f32_e32 v60, v62, v62
	s_cbranch_vccz .LBB22_71
; %bb.69:
	v_min_f32_e32 v61, 0, v60
	v_lshl_add_u64 v[62:63], v[84:85], 2, v[56:57]
	s_mov_b32 s10, 0
	global_store_dword v[62:63], v61, off
	s_cbranch_execz .LBB22_72
; %bb.70:
	v_mov_b32_e32 v58, s10
	s_branch .LBB22_73
.LBB22_71:
                                        ; implicit-def: $sgpr10
.LBB22_72:
	v_lshl_add_u64 v[62:63], v[58:59], 0, v[86:87]
	flat_load_dword v61, v[62:63]
	v_lshl_add_u64 v[62:63], v[56:57], 0, v[86:87]
	v_lshl_add_u64 v[58:59], v[76:77], 2, v[58:59]
	s_waitcnt vmcnt(0) lgkmcnt(0)
	v_mul_f32_e32 v61, s13, v61
	v_min_f32_e32 v60, v61, v60
	global_store_dword v[62:63], v60, off
	flat_load_dword v58, v[58:59]
	s_waitcnt vmcnt(0) lgkmcnt(0)
	v_mul_f32_e32 v58, s13, v58
.LBB22_73:
	v_pk_add_f32 v[52:53], v[0:1], v[52:53]
	s_mov_b64 vcc, s[4:5]
	v_min3_f32 v59, v52, v53, v135
	v_pk_add_f32 v[52:53], v[32:33], v[48:49]
	s_nop 0
	v_min3_f32 v60, v52, v53, v138
	v_pk_add_f32 v[52:53], v[2:3], v[54:55]
	s_nop 0
	v_min_f32_e32 v54, v52, v53
	v_pk_add_f32 v[52:53], v[34:35], v[50:51]
	v_min3_f32 v54, v58, v54, v59
	v_min3_f32 v60, v52, v53, v60
	v_lshl_add_u64 v[52:53], v[76:77], 2, v[56:57]
	global_store_dword v[52:53], v54, off
	v_add_u32_e32 v54, 0x60, v150
	v_mad_i64_i32 v[52:53], s[2:3], v54, s9, 0
	v_lshl_add_u64 v[52:53], v[52:53], 2, s[0:1]
	v_mad_i64_i32 v[54:55], s[2:3], v54, s8, 0
	v_max_f32_e32 v56, v60, v60
	s_cbranch_vccz .LBB22_76
; %bb.74:
	v_min_f32_e32 v57, 0, v56
	v_lshl_add_u64 v[58:59], v[68:69], 2, v[52:53]
	s_mov_b32 s10, 0
	global_store_dword v[58:59], v57, off
	v_lshl_add_u64 v[54:55], v[54:55], 2, s[6:7]
	s_cbranch_execz .LBB22_77
; %bb.75:
	v_mov_b32_e32 v56, s10
	s_branch .LBB22_78
.LBB22_76:
                                        ; implicit-def: $sgpr10
	v_lshl_add_u64 v[54:55], v[54:55], 2, s[6:7]
.LBB22_77:
	v_lshl_add_u64 v[58:59], v[54:55], 0, v[72:73]
	flat_load_dword v57, v[58:59]
	v_lshl_add_u64 v[58:59], v[52:53], 0, v[72:73]
	s_waitcnt vmcnt(0) lgkmcnt(0)
	v_mul_f32_e32 v57, s13, v57
	v_min_f32_e32 v56, v57, v56
	global_store_dword v[58:59], v56, off
	v_lshl_add_u64 v[56:57], v[64:65], 2, v[54:55]
	flat_load_dword v56, v[56:57]
	s_waitcnt vmcnt(0) lgkmcnt(0)
	v_mul_f32_e32 v56, s13, v56
.LBB22_78:
	v_pk_add_f32 v[58:59], v[28:29], v[48:49]
	s_mov_b64 vcc, s[4:5]
	v_min3_f32 v57, v58, v59, v131
	v_pk_add_f32 v[58:59], v[24:25], v[48:49]
	s_nop 0
	v_min3_f32 v60, v58, v59, v132
	v_pk_add_f32 v[58:59], v[30:31], v[50:51]
	s_nop 0
	v_min_f32_e32 v61, v58, v59
	v_pk_add_f32 v[58:59], v[26:27], v[50:51]
	s_nop 0
	v_min3_f32 v58, v58, v59, v60
	v_min3_f32 v59, v56, v61, v57
	v_lshl_add_u64 v[56:57], v[64:65], 2, v[52:53]
	global_store_dword v[56:57], v59, off
	v_max_f32_e32 v56, v58, v58
	s_cbranch_vccz .LBB22_81
; %bb.79:
	v_min_f32_e32 v57, 0, v56
	v_lshl_add_u64 v[58:59], v[74:75], 2, v[52:53]
	s_mov_b32 s10, 0
	global_store_dword v[58:59], v57, off
	s_cbranch_execz .LBB22_82
; %bb.80:
	v_mov_b32_e32 v56, s10
	s_branch .LBB22_83
.LBB22_81:
                                        ; implicit-def: $sgpr10
.LBB22_82:
	v_lshl_add_u64 v[58:59], v[54:55], 0, v[78:79]
	flat_load_dword v57, v[58:59]
	v_lshl_add_u64 v[58:59], v[52:53], 0, v[78:79]
	s_waitcnt vmcnt(0) lgkmcnt(0)
	v_mul_f32_e32 v57, s13, v57
	v_min_f32_e32 v56, v57, v56
	global_store_dword v[58:59], v56, off
	v_lshl_add_u64 v[56:57], v[66:67], 2, v[54:55]
	flat_load_dword v56, v[56:57]
	s_waitcnt vmcnt(0) lgkmcnt(0)
	v_mul_f32_e32 v56, s13, v56
.LBB22_83:
	v_pk_add_f32 v[58:59], v[20:21], v[48:49]
	s_mov_b64 vcc, s[4:5]
	v_min3_f32 v57, v58, v59, v127
	v_pk_add_f32 v[58:59], v[16:17], v[48:49]
	s_nop 0
	v_min3_f32 v60, v58, v59, v128
	v_pk_add_f32 v[58:59], v[22:23], v[50:51]
	s_nop 0
	v_min_f32_e32 v61, v58, v59
	v_pk_add_f32 v[58:59], v[18:19], v[50:51]
	s_nop 0
	v_min3_f32 v58, v58, v59, v60
	v_min3_f32 v59, v56, v61, v57
	v_lshl_add_u64 v[56:57], v[66:67], 2, v[52:53]
	global_store_dword v[56:57], v59, off
	v_max_f32_e32 v56, v58, v58
	s_cbranch_vccz .LBB22_86
; %bb.84:
	v_min_f32_e32 v57, 0, v56
	v_lshl_add_u64 v[58:59], v[80:81], 2, v[52:53]
	s_mov_b32 s10, 0
	global_store_dword v[58:59], v57, off
	s_cbranch_execz .LBB22_87
; %bb.85:
	v_mov_b32_e32 v56, s10
	s_branch .LBB22_88
.LBB22_86:
                                        ; implicit-def: $sgpr10
.LBB22_87:
	v_lshl_add_u64 v[58:59], v[54:55], 0, v[82:83]
	flat_load_dword v57, v[58:59]
	v_lshl_add_u64 v[58:59], v[52:53], 0, v[82:83]
	s_waitcnt vmcnt(0) lgkmcnt(0)
	v_mul_f32_e32 v57, s13, v57
	v_min_f32_e32 v56, v57, v56
	global_store_dword v[58:59], v56, off
	v_lshl_add_u64 v[56:57], v[70:71], 2, v[54:55]
	flat_load_dword v56, v[56:57]
	s_waitcnt vmcnt(0) lgkmcnt(0)
	v_mul_f32_e32 v56, s13, v56
.LBB22_88:
	v_pk_add_f32 v[58:59], v[12:13], v[48:49]
	s_mov_b64 vcc, s[4:5]
	v_min3_f32 v57, v58, v59, v125
	v_pk_add_f32 v[58:59], v[8:9], v[48:49]
	s_nop 0
	v_min3_f32 v60, v58, v59, v126
	v_pk_add_f32 v[58:59], v[14:15], v[50:51]
	s_nop 0
	v_min_f32_e32 v61, v58, v59
	v_pk_add_f32 v[58:59], v[10:11], v[50:51]
	s_nop 0
	v_min3_f32 v58, v58, v59, v60
	v_min3_f32 v59, v56, v61, v57
	v_lshl_add_u64 v[56:57], v[70:71], 2, v[52:53]
	global_store_dword v[56:57], v59, off
	v_max_f32_e32 v56, v58, v58
	s_cbranch_vccz .LBB22_91
; %bb.89:
	v_min_f32_e32 v57, 0, v56
	v_lshl_add_u64 v[58:59], v[84:85], 2, v[52:53]
	s_mov_b32 s10, 0
	global_store_dword v[58:59], v57, off
	s_cbranch_execz .LBB22_92
; %bb.90:
	v_mov_b32_e32 v54, s10
	s_branch .LBB22_93
.LBB22_91:
                                        ; implicit-def: $sgpr10
.LBB22_92:
	v_lshl_add_u64 v[58:59], v[54:55], 0, v[86:87]
	flat_load_dword v57, v[58:59]
	v_lshl_add_u64 v[58:59], v[52:53], 0, v[86:87]
	v_lshl_add_u64 v[54:55], v[76:77], 2, v[54:55]
	s_waitcnt vmcnt(0) lgkmcnt(0)
	v_mul_f32_e32 v57, s13, v57
	v_min_f32_e32 v56, v57, v56
	global_store_dword v[58:59], v56, off
	flat_load_dword v54, v[54:55]
	s_waitcnt vmcnt(0) lgkmcnt(0)
	v_mul_f32_e32 v54, s13, v54
.LBB22_93:
	v_pk_add_f32 v[48:49], v[0:1], v[48:49]
	s_mov_b64 vcc, s[4:5]
	v_min3_f32 v55, v48, v49, v123
	v_pk_add_f32 v[48:49], v[32:33], v[44:45]
	s_nop 0
	v_min3_f32 v56, v48, v49, v124
	v_pk_add_f32 v[48:49], v[2:3], v[50:51]
	s_nop 0
	v_min_f32_e32 v50, v48, v49
	v_pk_add_f32 v[48:49], v[34:35], v[46:47]
	v_min3_f32 v50, v54, v50, v55
	v_min3_f32 v56, v48, v49, v56
	v_lshl_add_u64 v[48:49], v[76:77], 2, v[52:53]
	global_store_dword v[48:49], v50, off
	v_add_u32_e32 v50, 0x80, v150
	v_mad_i64_i32 v[48:49], s[2:3], v50, s9, 0
	v_lshl_add_u64 v[48:49], v[48:49], 2, s[0:1]
	v_mad_i64_i32 v[50:51], s[2:3], v50, s8, 0
	v_max_f32_e32 v52, v56, v56
	s_cbranch_vccz .LBB22_96
; %bb.94:
	v_min_f32_e32 v53, 0, v52
	v_lshl_add_u64 v[54:55], v[68:69], 2, v[48:49]
	s_mov_b32 s10, 0
	global_store_dword v[54:55], v53, off
	v_lshl_add_u64 v[50:51], v[50:51], 2, s[6:7]
	s_cbranch_execz .LBB22_97
; %bb.95:
	v_mov_b32_e32 v52, s10
	s_branch .LBB22_98
.LBB22_96:
                                        ; implicit-def: $sgpr10
	v_lshl_add_u64 v[50:51], v[50:51], 2, s[6:7]
.LBB22_97:
	v_lshl_add_u64 v[54:55], v[50:51], 0, v[72:73]
	flat_load_dword v53, v[54:55]
	v_lshl_add_u64 v[54:55], v[48:49], 0, v[72:73]
	s_waitcnt vmcnt(0) lgkmcnt(0)
	v_mul_f32_e32 v53, s13, v53
	v_min_f32_e32 v52, v53, v52
	global_store_dword v[54:55], v52, off
	v_lshl_add_u64 v[52:53], v[64:65], 2, v[50:51]
	flat_load_dword v52, v[52:53]
	s_waitcnt vmcnt(0) lgkmcnt(0)
	v_mul_f32_e32 v52, s13, v52
.LBB22_98:
	v_pk_add_f32 v[54:55], v[28:29], v[44:45]
	s_mov_b64 vcc, s[4:5]
	v_min3_f32 v53, v54, v55, v121
	v_pk_add_f32 v[54:55], v[24:25], v[44:45]
	s_nop 0
	v_min3_f32 v56, v54, v55, v122
	v_pk_add_f32 v[54:55], v[30:31], v[46:47]
	s_nop 0
	v_min_f32_e32 v57, v54, v55
	v_pk_add_f32 v[54:55], v[26:27], v[46:47]
	s_nop 0
	v_min3_f32 v54, v54, v55, v56
	v_min3_f32 v55, v52, v57, v53
	v_lshl_add_u64 v[52:53], v[64:65], 2, v[48:49]
	global_store_dword v[52:53], v55, off
	v_max_f32_e32 v52, v54, v54
	s_cbranch_vccz .LBB22_101
; %bb.99:
	v_min_f32_e32 v53, 0, v52
	v_lshl_add_u64 v[54:55], v[74:75], 2, v[48:49]
	s_mov_b32 s10, 0
	global_store_dword v[54:55], v53, off
	s_cbranch_execz .LBB22_102
; %bb.100:
	v_mov_b32_e32 v52, s10
	s_branch .LBB22_103
.LBB22_101:
                                        ; implicit-def: $sgpr10
.LBB22_102:
	v_lshl_add_u64 v[54:55], v[50:51], 0, v[78:79]
	flat_load_dword v53, v[54:55]
	v_lshl_add_u64 v[54:55], v[48:49], 0, v[78:79]
	s_waitcnt vmcnt(0) lgkmcnt(0)
	v_mul_f32_e32 v53, s13, v53
	v_min_f32_e32 v52, v53, v52
	global_store_dword v[54:55], v52, off
	v_lshl_add_u64 v[52:53], v[66:67], 2, v[50:51]
	flat_load_dword v52, v[52:53]
	s_waitcnt vmcnt(0) lgkmcnt(0)
	v_mul_f32_e32 v52, s13, v52
.LBB22_103:
	v_pk_add_f32 v[54:55], v[20:21], v[44:45]
	s_mov_b64 vcc, s[4:5]
	v_min3_f32 v53, v54, v55, v119
	v_pk_add_f32 v[54:55], v[16:17], v[44:45]
	s_nop 0
	v_min3_f32 v56, v54, v55, v120
	v_pk_add_f32 v[54:55], v[22:23], v[46:47]
	s_nop 0
	v_min_f32_e32 v57, v54, v55
	v_pk_add_f32 v[54:55], v[18:19], v[46:47]
	s_nop 0
	v_min3_f32 v54, v54, v55, v56
	v_min3_f32 v55, v52, v57, v53
	v_lshl_add_u64 v[52:53], v[66:67], 2, v[48:49]
	global_store_dword v[52:53], v55, off
	v_max_f32_e32 v52, v54, v54
	s_cbranch_vccz .LBB22_106
; %bb.104:
	v_min_f32_e32 v53, 0, v52
	v_lshl_add_u64 v[54:55], v[80:81], 2, v[48:49]
	s_mov_b32 s10, 0
	global_store_dword v[54:55], v53, off
	s_cbranch_execz .LBB22_107
; %bb.105:
	v_mov_b32_e32 v52, s10
	s_branch .LBB22_108
.LBB22_106:
                                        ; implicit-def: $sgpr10
.LBB22_107:
	v_lshl_add_u64 v[54:55], v[50:51], 0, v[82:83]
	flat_load_dword v53, v[54:55]
	v_lshl_add_u64 v[54:55], v[48:49], 0, v[82:83]
	s_waitcnt vmcnt(0) lgkmcnt(0)
	v_mul_f32_e32 v53, s13, v53
	v_min_f32_e32 v52, v53, v52
	global_store_dword v[54:55], v52, off
	v_lshl_add_u64 v[52:53], v[70:71], 2, v[50:51]
	flat_load_dword v52, v[52:53]
	s_waitcnt vmcnt(0) lgkmcnt(0)
	v_mul_f32_e32 v52, s13, v52
.LBB22_108:
	v_pk_add_f32 v[54:55], v[12:13], v[44:45]
	s_mov_b64 vcc, s[4:5]
	v_min3_f32 v53, v54, v55, v117
	v_pk_add_f32 v[54:55], v[8:9], v[44:45]
	s_nop 0
	v_min3_f32 v56, v54, v55, v118
	v_pk_add_f32 v[54:55], v[14:15], v[46:47]
	s_nop 0
	v_min_f32_e32 v57, v54, v55
	v_pk_add_f32 v[54:55], v[10:11], v[46:47]
	s_nop 0
	v_min3_f32 v54, v54, v55, v56
	v_min3_f32 v55, v52, v57, v53
	v_lshl_add_u64 v[52:53], v[70:71], 2, v[48:49]
	global_store_dword v[52:53], v55, off
	v_max_f32_e32 v52, v54, v54
	s_cbranch_vccz .LBB22_111
; %bb.109:
	v_min_f32_e32 v53, 0, v52
	v_lshl_add_u64 v[54:55], v[84:85], 2, v[48:49]
	s_mov_b32 s10, 0
	global_store_dword v[54:55], v53, off
	s_cbranch_execz .LBB22_112
; %bb.110:
	v_mov_b32_e32 v50, s10
	s_branch .LBB22_113
.LBB22_111:
                                        ; implicit-def: $sgpr10
.LBB22_112:
	v_lshl_add_u64 v[54:55], v[50:51], 0, v[86:87]
	flat_load_dword v53, v[54:55]
	v_lshl_add_u64 v[54:55], v[48:49], 0, v[86:87]
	v_lshl_add_u64 v[50:51], v[76:77], 2, v[50:51]
	s_waitcnt vmcnt(0) lgkmcnt(0)
	v_mul_f32_e32 v53, s13, v53
	v_min_f32_e32 v52, v53, v52
	global_store_dword v[54:55], v52, off
	flat_load_dword v50, v[50:51]
	s_waitcnt vmcnt(0) lgkmcnt(0)
	v_mul_f32_e32 v50, s13, v50
.LBB22_113:
	v_pk_add_f32 v[44:45], v[0:1], v[44:45]
	s_mov_b64 vcc, s[4:5]
	v_min3_f32 v51, v44, v45, v115
	v_pk_add_f32 v[44:45], v[32:33], v[40:41]
	s_nop 0
	v_min3_f32 v52, v44, v45, v116
	v_pk_add_f32 v[44:45], v[2:3], v[46:47]
	s_nop 0
	v_min_f32_e32 v46, v44, v45
	v_pk_add_f32 v[44:45], v[34:35], v[42:43]
	v_min3_f32 v46, v50, v46, v51
	v_min3_f32 v52, v44, v45, v52
	v_lshl_add_u64 v[44:45], v[76:77], 2, v[48:49]
	global_store_dword v[44:45], v46, off
	v_add_u32_e32 v46, 0xa0, v150
	v_mad_i64_i32 v[44:45], s[2:3], v46, s9, 0
	v_lshl_add_u64 v[44:45], v[44:45], 2, s[0:1]
	v_mad_i64_i32 v[46:47], s[2:3], v46, s8, 0
	v_max_f32_e32 v48, v52, v52
	s_cbranch_vccz .LBB22_116
; %bb.114:
	v_min_f32_e32 v49, 0, v48
	v_lshl_add_u64 v[50:51], v[68:69], 2, v[44:45]
	s_mov_b32 s10, 0
	global_store_dword v[50:51], v49, off
	v_lshl_add_u64 v[46:47], v[46:47], 2, s[6:7]
	s_cbranch_execz .LBB22_117
; %bb.115:
	v_mov_b32_e32 v48, s10
	s_branch .LBB22_118
.LBB22_116:
                                        ; implicit-def: $sgpr10
	v_lshl_add_u64 v[46:47], v[46:47], 2, s[6:7]
.LBB22_117:
	v_lshl_add_u64 v[50:51], v[46:47], 0, v[72:73]
	flat_load_dword v49, v[50:51]
	v_lshl_add_u64 v[50:51], v[44:45], 0, v[72:73]
	s_waitcnt vmcnt(0) lgkmcnt(0)
	v_mul_f32_e32 v49, s13, v49
	v_min_f32_e32 v48, v49, v48
	global_store_dword v[50:51], v48, off
	v_lshl_add_u64 v[48:49], v[64:65], 2, v[46:47]
	flat_load_dword v48, v[48:49]
	s_waitcnt vmcnt(0) lgkmcnt(0)
	v_mul_f32_e32 v48, s13, v48
.LBB22_118:
	v_pk_add_f32 v[50:51], v[28:29], v[40:41]
	s_mov_b64 vcc, s[4:5]
	v_min3_f32 v49, v50, v51, v113
	v_pk_add_f32 v[50:51], v[24:25], v[40:41]
	s_nop 0
	v_min3_f32 v52, v50, v51, v114
	v_pk_add_f32 v[50:51], v[30:31], v[42:43]
	s_nop 0
	v_min_f32_e32 v53, v50, v51
	v_pk_add_f32 v[50:51], v[26:27], v[42:43]
	s_nop 0
	v_min3_f32 v50, v50, v51, v52
	v_min3_f32 v51, v48, v53, v49
	v_lshl_add_u64 v[48:49], v[64:65], 2, v[44:45]
	global_store_dword v[48:49], v51, off
	v_max_f32_e32 v48, v50, v50
	s_cbranch_vccz .LBB22_121
; %bb.119:
	v_min_f32_e32 v49, 0, v48
	v_lshl_add_u64 v[50:51], v[74:75], 2, v[44:45]
	s_mov_b32 s10, 0
	global_store_dword v[50:51], v49, off
	s_cbranch_execz .LBB22_122
; %bb.120:
	v_mov_b32_e32 v48, s10
	s_branch .LBB22_123
.LBB22_121:
                                        ; implicit-def: $sgpr10
.LBB22_122:
	v_lshl_add_u64 v[50:51], v[46:47], 0, v[78:79]
	flat_load_dword v49, v[50:51]
	v_lshl_add_u64 v[50:51], v[44:45], 0, v[78:79]
	s_waitcnt vmcnt(0) lgkmcnt(0)
	v_mul_f32_e32 v49, s13, v49
	v_min_f32_e32 v48, v49, v48
	global_store_dword v[50:51], v48, off
	v_lshl_add_u64 v[48:49], v[66:67], 2, v[46:47]
	flat_load_dword v48, v[48:49]
	s_waitcnt vmcnt(0) lgkmcnt(0)
	v_mul_f32_e32 v48, s13, v48
.LBB22_123:
	v_pk_add_f32 v[50:51], v[20:21], v[40:41]
	s_mov_b64 vcc, s[4:5]
	v_min3_f32 v49, v50, v51, v111
	v_pk_add_f32 v[50:51], v[16:17], v[40:41]
	s_nop 0
	v_min3_f32 v52, v50, v51, v112
	v_pk_add_f32 v[50:51], v[22:23], v[42:43]
	s_nop 0
	v_min_f32_e32 v53, v50, v51
	v_pk_add_f32 v[50:51], v[18:19], v[42:43]
	s_nop 0
	v_min3_f32 v50, v50, v51, v52
	v_min3_f32 v51, v48, v53, v49
	v_lshl_add_u64 v[48:49], v[66:67], 2, v[44:45]
	global_store_dword v[48:49], v51, off
	v_max_f32_e32 v48, v50, v50
	s_cbranch_vccz .LBB22_126
; %bb.124:
	v_min_f32_e32 v49, 0, v48
	v_lshl_add_u64 v[50:51], v[80:81], 2, v[44:45]
	s_mov_b32 s10, 0
	global_store_dword v[50:51], v49, off
	s_cbranch_execz .LBB22_127
; %bb.125:
	v_mov_b32_e32 v48, s10
	s_branch .LBB22_128
.LBB22_126:
                                        ; implicit-def: $sgpr10
.LBB22_127:
	v_lshl_add_u64 v[50:51], v[46:47], 0, v[82:83]
	flat_load_dword v49, v[50:51]
	v_lshl_add_u64 v[50:51], v[44:45], 0, v[82:83]
	s_waitcnt vmcnt(0) lgkmcnt(0)
	v_mul_f32_e32 v49, s13, v49
	v_min_f32_e32 v48, v49, v48
	global_store_dword v[50:51], v48, off
	v_lshl_add_u64 v[48:49], v[70:71], 2, v[46:47]
	flat_load_dword v48, v[48:49]
	s_waitcnt vmcnt(0) lgkmcnt(0)
	v_mul_f32_e32 v48, s13, v48
.LBB22_128:
	v_pk_add_f32 v[50:51], v[12:13], v[40:41]
	s_mov_b64 vcc, s[4:5]
	v_min3_f32 v49, v50, v51, v109
	v_pk_add_f32 v[50:51], v[8:9], v[40:41]
	s_nop 0
	v_min3_f32 v52, v50, v51, v110
	v_pk_add_f32 v[50:51], v[14:15], v[42:43]
	s_nop 0
	v_min_f32_e32 v53, v50, v51
	v_pk_add_f32 v[50:51], v[10:11], v[42:43]
	s_nop 0
	v_min3_f32 v50, v50, v51, v52
	v_min3_f32 v51, v48, v53, v49
	v_lshl_add_u64 v[48:49], v[70:71], 2, v[44:45]
	global_store_dword v[48:49], v51, off
	v_max_f32_e32 v48, v50, v50
	s_cbranch_vccz .LBB22_131
; %bb.129:
	v_min_f32_e32 v49, 0, v48
	v_lshl_add_u64 v[50:51], v[84:85], 2, v[44:45]
	s_mov_b32 s10, 0
	global_store_dword v[50:51], v49, off
	s_cbranch_execz .LBB22_132
; %bb.130:
	v_mov_b32_e32 v46, s10
	s_branch .LBB22_133
.LBB22_131:
                                        ; implicit-def: $sgpr10
.LBB22_132:
	v_lshl_add_u64 v[50:51], v[46:47], 0, v[86:87]
	flat_load_dword v49, v[50:51]
	v_lshl_add_u64 v[50:51], v[44:45], 0, v[86:87]
	v_lshl_add_u64 v[46:47], v[76:77], 2, v[46:47]
	s_waitcnt vmcnt(0) lgkmcnt(0)
	v_mul_f32_e32 v49, s13, v49
	v_min_f32_e32 v48, v49, v48
	global_store_dword v[50:51], v48, off
	flat_load_dword v46, v[46:47]
	s_waitcnt vmcnt(0) lgkmcnt(0)
	v_mul_f32_e32 v46, s13, v46
.LBB22_133:
	v_pk_add_f32 v[40:41], v[0:1], v[40:41]
	s_mov_b64 vcc, s[4:5]
	v_min3_f32 v47, v40, v41, v107
	v_pk_add_f32 v[40:41], v[32:33], v[36:37]
	s_nop 0
	v_min3_f32 v48, v40, v41, v108
	v_pk_add_f32 v[40:41], v[2:3], v[42:43]
	s_nop 0
	v_min_f32_e32 v42, v40, v41
	v_pk_add_f32 v[40:41], v[34:35], v[38:39]
	v_min3_f32 v42, v46, v42, v47
	v_min3_f32 v48, v40, v41, v48
	v_lshl_add_u64 v[40:41], v[76:77], 2, v[44:45]
	global_store_dword v[40:41], v42, off
	v_add_u32_e32 v42, 0xc0, v150
	v_mad_i64_i32 v[40:41], s[2:3], v42, s9, 0
	v_lshl_add_u64 v[40:41], v[40:41], 2, s[0:1]
	v_mad_i64_i32 v[42:43], s[2:3], v42, s8, 0
	v_max_f32_e32 v44, v48, v48
	s_cbranch_vccz .LBB22_136
; %bb.134:
	v_min_f32_e32 v45, 0, v44
	v_lshl_add_u64 v[46:47], v[68:69], 2, v[40:41]
	s_mov_b32 s10, 0
	global_store_dword v[46:47], v45, off
	v_lshl_add_u64 v[42:43], v[42:43], 2, s[6:7]
	s_cbranch_execz .LBB22_137
; %bb.135:
	v_mov_b32_e32 v44, s10
	s_branch .LBB22_138
.LBB22_136:
                                        ; implicit-def: $sgpr10
	v_lshl_add_u64 v[42:43], v[42:43], 2, s[6:7]
.LBB22_137:
	v_lshl_add_u64 v[46:47], v[42:43], 0, v[72:73]
	flat_load_dword v45, v[46:47]
	v_lshl_add_u64 v[46:47], v[40:41], 0, v[72:73]
	s_waitcnt vmcnt(0) lgkmcnt(0)
	v_mul_f32_e32 v45, s13, v45
	v_min_f32_e32 v44, v45, v44
	global_store_dword v[46:47], v44, off
	v_lshl_add_u64 v[44:45], v[64:65], 2, v[42:43]
	flat_load_dword v44, v[44:45]
	s_waitcnt vmcnt(0) lgkmcnt(0)
	v_mul_f32_e32 v44, s13, v44
.LBB22_138:
	v_pk_add_f32 v[46:47], v[28:29], v[36:37]
	s_mov_b64 vcc, s[4:5]
	v_min3_f32 v45, v46, v47, v105
	v_pk_add_f32 v[46:47], v[24:25], v[36:37]
	s_nop 0
	v_min3_f32 v48, v46, v47, v106
	v_pk_add_f32 v[46:47], v[30:31], v[38:39]
	s_nop 0
	v_min_f32_e32 v49, v46, v47
	v_pk_add_f32 v[46:47], v[26:27], v[38:39]
	s_nop 0
	v_min3_f32 v46, v46, v47, v48
	v_min3_f32 v47, v44, v49, v45
	v_lshl_add_u64 v[44:45], v[64:65], 2, v[40:41]
	global_store_dword v[44:45], v47, off
	v_max_f32_e32 v44, v46, v46
	s_cbranch_vccz .LBB22_141
; %bb.139:
	v_min_f32_e32 v45, 0, v44
	v_lshl_add_u64 v[46:47], v[74:75], 2, v[40:41]
	s_mov_b32 s10, 0
	global_store_dword v[46:47], v45, off
	s_cbranch_execz .LBB22_142
; %bb.140:
	v_mov_b32_e32 v44, s10
	s_branch .LBB22_143
.LBB22_141:
                                        ; implicit-def: $sgpr10
.LBB22_142:
	v_lshl_add_u64 v[46:47], v[42:43], 0, v[78:79]
	flat_load_dword v45, v[46:47]
	v_lshl_add_u64 v[46:47], v[40:41], 0, v[78:79]
	s_waitcnt vmcnt(0) lgkmcnt(0)
	v_mul_f32_e32 v45, s13, v45
	v_min_f32_e32 v44, v45, v44
	global_store_dword v[46:47], v44, off
	v_lshl_add_u64 v[44:45], v[66:67], 2, v[42:43]
	flat_load_dword v44, v[44:45]
	s_waitcnt vmcnt(0) lgkmcnt(0)
	v_mul_f32_e32 v44, s13, v44
.LBB22_143:
	v_pk_add_f32 v[46:47], v[20:21], v[36:37]
	s_mov_b64 vcc, s[4:5]
	v_min3_f32 v45, v46, v47, v103
	v_pk_add_f32 v[46:47], v[16:17], v[36:37]
	s_nop 0
	v_min3_f32 v48, v46, v47, v104
	v_pk_add_f32 v[46:47], v[22:23], v[38:39]
	s_nop 0
	v_min_f32_e32 v49, v46, v47
	v_pk_add_f32 v[46:47], v[18:19], v[38:39]
	s_nop 0
	v_min3_f32 v46, v46, v47, v48
	v_min3_f32 v47, v44, v49, v45
	v_lshl_add_u64 v[44:45], v[66:67], 2, v[40:41]
	global_store_dword v[44:45], v47, off
	v_max_f32_e32 v44, v46, v46
	s_cbranch_vccz .LBB22_146
; %bb.144:
	v_min_f32_e32 v45, 0, v44
	v_lshl_add_u64 v[46:47], v[80:81], 2, v[40:41]
	s_mov_b32 s10, 0
	global_store_dword v[46:47], v45, off
	s_cbranch_execz .LBB22_147
; %bb.145:
	v_mov_b32_e32 v44, s10
	s_branch .LBB22_148
.LBB22_146:
                                        ; implicit-def: $sgpr10
.LBB22_147:
	v_lshl_add_u64 v[46:47], v[42:43], 0, v[82:83]
	flat_load_dword v45, v[46:47]
	v_lshl_add_u64 v[46:47], v[40:41], 0, v[82:83]
	s_waitcnt vmcnt(0) lgkmcnt(0)
	v_mul_f32_e32 v45, s13, v45
	v_min_f32_e32 v44, v45, v44
	global_store_dword v[46:47], v44, off
	v_lshl_add_u64 v[44:45], v[70:71], 2, v[42:43]
	flat_load_dword v44, v[44:45]
	s_waitcnt vmcnt(0) lgkmcnt(0)
	v_mul_f32_e32 v44, s13, v44
.LBB22_148:
	v_pk_add_f32 v[46:47], v[12:13], v[36:37]
	s_mov_b64 vcc, s[4:5]
	v_min3_f32 v45, v46, v47, v101
	v_pk_add_f32 v[46:47], v[8:9], v[36:37]
	s_nop 0
	v_min3_f32 v48, v46, v47, v102
	v_pk_add_f32 v[46:47], v[14:15], v[38:39]
	s_nop 0
	v_min_f32_e32 v49, v46, v47
	v_pk_add_f32 v[46:47], v[10:11], v[38:39]
	s_nop 0
	v_min3_f32 v46, v46, v47, v48
	v_min3_f32 v47, v44, v49, v45
	v_lshl_add_u64 v[44:45], v[70:71], 2, v[40:41]
	global_store_dword v[44:45], v47, off
	v_max_f32_e32 v44, v46, v46
	s_cbranch_vccz .LBB22_151
; %bb.149:
	v_min_f32_e32 v45, 0, v44
	v_lshl_add_u64 v[46:47], v[84:85], 2, v[40:41]
	s_mov_b32 s10, 0
	global_store_dword v[46:47], v45, off
	s_cbranch_execz .LBB22_152
; %bb.150:
	v_mov_b32_e32 v42, s10
	s_branch .LBB22_153
.LBB22_151:
                                        ; implicit-def: $sgpr10
.LBB22_152:
	v_lshl_add_u64 v[46:47], v[42:43], 0, v[86:87]
	flat_load_dword v45, v[46:47]
	v_lshl_add_u64 v[46:47], v[40:41], 0, v[86:87]
	v_lshl_add_u64 v[42:43], v[76:77], 2, v[42:43]
	s_waitcnt vmcnt(0) lgkmcnt(0)
	v_mul_f32_e32 v45, s13, v45
	v_min_f32_e32 v44, v45, v44
	global_store_dword v[46:47], v44, off
	flat_load_dword v42, v[42:43]
	s_waitcnt vmcnt(0) lgkmcnt(0)
	v_mul_f32_e32 v42, s13, v42
.LBB22_153:
	v_pk_add_f32 v[36:37], v[0:1], v[36:37]
	s_waitcnt lgkmcnt(0)
	v_pk_add_f32 v[32:33], v[32:33], v[4:5]
	v_min3_f32 v36, v36, v37, v99
	v_min3_f32 v37, v32, v33, v100
	v_pk_add_f32 v[32:33], v[2:3], v[38:39]
	s_mov_b64 vcc, s[4:5]
	v_min_f32_e32 v38, v32, v33
	v_pk_add_f32 v[32:33], v[34:35], v[6:7]
	v_min3_f32 v34, v42, v38, v36
	v_min3_f32 v37, v32, v33, v37
	v_lshl_add_u64 v[32:33], v[76:77], 2, v[40:41]
	global_store_dword v[32:33], v34, off
	v_add_u32_e32 v34, 0xe0, v150
	v_mad_i64_i32 v[32:33], s[2:3], v34, s9, 0
	v_lshl_add_u64 v[32:33], v[32:33], 2, s[0:1]
	v_mad_i64_i32 v[34:35], s[0:1], v34, s8, 0
	v_max_f32_e32 v36, v37, v37
	s_cbranch_vccz .LBB22_156
; %bb.154:
	v_min_f32_e32 v37, 0, v36
	v_lshl_add_u64 v[38:39], v[68:69], 2, v[32:33]
	s_mov_b32 s2, 0
	global_store_dword v[38:39], v37, off
	v_lshl_add_u64 v[34:35], v[34:35], 2, s[6:7]
	s_cbranch_execz .LBB22_157
; %bb.155:
	v_mov_b32_e32 v36, s2
	s_branch .LBB22_158
.LBB22_156:
                                        ; implicit-def: $sgpr2
	v_lshl_add_u64 v[34:35], v[34:35], 2, s[6:7]
.LBB22_157:
	v_lshl_add_u64 v[38:39], v[34:35], 0, v[72:73]
	flat_load_dword v37, v[38:39]
	v_lshl_add_u64 v[38:39], v[32:33], 0, v[72:73]
	s_waitcnt vmcnt(0) lgkmcnt(0)
	v_mul_f32_e32 v37, s13, v37
	v_min_f32_e32 v36, v37, v36
	global_store_dword v[38:39], v36, off
	v_lshl_add_u64 v[36:37], v[64:65], 2, v[34:35]
	flat_load_dword v36, v[36:37]
	s_waitcnt vmcnt(0) lgkmcnt(0)
	v_mul_f32_e32 v36, s13, v36
.LBB22_158:
	v_pk_add_f32 v[28:29], v[28:29], v[4:5]
	v_pk_add_f32 v[24:25], v[24:25], v[4:5]
	v_min3_f32 v28, v28, v29, v96
	v_min3_f32 v29, v24, v25, v97
	v_pk_add_f32 v[24:25], v[30:31], v[6:7]
	s_mov_b64 vcc, s[4:5]
	v_min_f32_e32 v30, v24, v25
	v_pk_add_f32 v[24:25], v[26:27], v[6:7]
	v_min3_f32 v27, v36, v30, v28
	v_min3_f32 v26, v24, v25, v29
	v_lshl_add_u64 v[24:25], v[64:65], 2, v[32:33]
	global_store_dword v[24:25], v27, off
	v_max_f32_e32 v24, v26, v26
	s_cbranch_vccz .LBB22_161
; %bb.159:
	v_min_f32_e32 v25, 0, v24
	v_lshl_add_u64 v[26:27], v[74:75], 2, v[32:33]
	s_mov_b32 s2, 0
	global_store_dword v[26:27], v25, off
	s_cbranch_execz .LBB22_162
; %bb.160:
	v_mov_b32_e32 v24, s2
	s_branch .LBB22_163
.LBB22_161:
                                        ; implicit-def: $sgpr2
.LBB22_162:
	v_lshl_add_u64 v[26:27], v[34:35], 0, v[78:79]
	flat_load_dword v25, v[26:27]
	v_lshl_add_u64 v[26:27], v[32:33], 0, v[78:79]
	s_waitcnt vmcnt(0) lgkmcnt(0)
	v_mul_f32_e32 v25, s13, v25
	v_min_f32_e32 v24, v25, v24
	global_store_dword v[26:27], v24, off
	v_lshl_add_u64 v[24:25], v[66:67], 2, v[34:35]
	flat_load_dword v24, v[24:25]
	s_waitcnt vmcnt(0) lgkmcnt(0)
	v_mul_f32_e32 v24, s13, v24
.LBB22_163:
	v_pk_add_f32 v[20:21], v[20:21], v[4:5]
	v_pk_add_f32 v[16:17], v[16:17], v[4:5]
	v_min3_f32 v20, v20, v21, v94
	v_min3_f32 v21, v16, v17, v95
	v_pk_add_f32 v[16:17], v[22:23], v[6:7]
	s_mov_b64 vcc, s[4:5]
	v_min_f32_e32 v22, v16, v17
	v_pk_add_f32 v[16:17], v[18:19], v[6:7]
	v_min3_f32 v19, v24, v22, v20
	v_min3_f32 v18, v16, v17, v21
	v_lshl_add_u64 v[16:17], v[66:67], 2, v[32:33]
	global_store_dword v[16:17], v19, off
	v_max_f32_e32 v16, v18, v18
	s_cbranch_vccz .LBB22_166
; %bb.164:
	v_min_f32_e32 v17, 0, v16
	v_lshl_add_u64 v[18:19], v[80:81], 2, v[32:33]
	s_mov_b32 s2, 0
	global_store_dword v[18:19], v17, off
	s_cbranch_execz .LBB22_167
; %bb.165:
	v_mov_b32_e32 v16, s2
	s_branch .LBB22_168
.LBB22_166:
                                        ; implicit-def: $sgpr2
.LBB22_167:
	v_lshl_add_u64 v[18:19], v[34:35], 0, v[82:83]
	flat_load_dword v17, v[18:19]
	v_lshl_add_u64 v[18:19], v[32:33], 0, v[82:83]
	s_waitcnt vmcnt(0) lgkmcnt(0)
	v_mul_f32_e32 v17, s13, v17
	v_min_f32_e32 v16, v17, v16
	global_store_dword v[18:19], v16, off
	v_lshl_add_u64 v[16:17], v[70:71], 2, v[34:35]
	flat_load_dword v16, v[16:17]
	s_waitcnt vmcnt(0) lgkmcnt(0)
	v_mul_f32_e32 v16, s13, v16
.LBB22_168:
	;; [unrolled: 38-line block ×3, first 2 shown]
	v_pk_add_f32 v[2:3], v[2:3], v[6:7]
	v_pk_add_f32 v[0:1], v[0:1], v[4:5]
	v_min_f32_e32 v2, v2, v3
	v_min3_f32 v0, v0, v1, v98
	v_min3_f32 v2, v8, v2, v0
	v_lshl_add_u64 v[0:1], v[76:77], 2, v[32:33]
	global_store_dword v[0:1], v2, off
	s_endpgm
	.section	.rodata,"a",@progbits
	.p2align	6, 0x0
	.amdhsa_kernel _ZN12_GLOBAL__N_120geam_min_plus_kernelIf15HIP_vector_typeIfLj2EEfLi8ELi32ELi64ELi256ELi4ELi4ELi64ELi64ELi4ELc84ELc84ELb1ELb0ELb1EfKPKfKPfEEviiiT16_PT17_ilSA_ilS8_SA_ilPT18_ili26rocblas_geam_ex_operation_
		.amdhsa_group_segment_fixed_size 10240
		.amdhsa_private_segment_fixed_size 0
		.amdhsa_kernarg_size 128
		.amdhsa_user_sgpr_count 2
		.amdhsa_user_sgpr_dispatch_ptr 0
		.amdhsa_user_sgpr_queue_ptr 0
		.amdhsa_user_sgpr_kernarg_segment_ptr 1
		.amdhsa_user_sgpr_dispatch_id 0
		.amdhsa_user_sgpr_kernarg_preload_length 0
		.amdhsa_user_sgpr_kernarg_preload_offset 0
		.amdhsa_user_sgpr_private_segment_size 0
		.amdhsa_uses_dynamic_stack 0
		.amdhsa_enable_private_segment 0
		.amdhsa_system_sgpr_workgroup_id_x 1
		.amdhsa_system_sgpr_workgroup_id_y 0
		.amdhsa_system_sgpr_workgroup_id_z 1
		.amdhsa_system_sgpr_workgroup_info 0
		.amdhsa_system_vgpr_workitem_id 1
		.amdhsa_next_free_vgpr 175
		.amdhsa_next_free_sgpr 22
		.amdhsa_accum_offset 176
		.amdhsa_reserve_vcc 1
		.amdhsa_float_round_mode_32 0
		.amdhsa_float_round_mode_16_64 0
		.amdhsa_float_denorm_mode_32 3
		.amdhsa_float_denorm_mode_16_64 3
		.amdhsa_dx10_clamp 1
		.amdhsa_ieee_mode 1
		.amdhsa_fp16_overflow 0
		.amdhsa_tg_split 0
		.amdhsa_exception_fp_ieee_invalid_op 0
		.amdhsa_exception_fp_denorm_src 0
		.amdhsa_exception_fp_ieee_div_zero 0
		.amdhsa_exception_fp_ieee_overflow 0
		.amdhsa_exception_fp_ieee_underflow 0
		.amdhsa_exception_fp_ieee_inexact 0
		.amdhsa_exception_int_div_zero 0
	.end_amdhsa_kernel
	.section	.text._ZN12_GLOBAL__N_120geam_min_plus_kernelIf15HIP_vector_typeIfLj2EEfLi8ELi32ELi64ELi256ELi4ELi4ELi64ELi64ELi4ELc84ELc84ELb1ELb0ELb1EfKPKfKPfEEviiiT16_PT17_ilSA_ilS8_SA_ilPT18_ili26rocblas_geam_ex_operation_,"axG",@progbits,_ZN12_GLOBAL__N_120geam_min_plus_kernelIf15HIP_vector_typeIfLj2EEfLi8ELi32ELi64ELi256ELi4ELi4ELi64ELi64ELi4ELc84ELc84ELb1ELb0ELb1EfKPKfKPfEEviiiT16_PT17_ilSA_ilS8_SA_ilPT18_ili26rocblas_geam_ex_operation_,comdat
.Lfunc_end22:
	.size	_ZN12_GLOBAL__N_120geam_min_plus_kernelIf15HIP_vector_typeIfLj2EEfLi8ELi32ELi64ELi256ELi4ELi4ELi64ELi64ELi4ELc84ELc84ELb1ELb0ELb1EfKPKfKPfEEviiiT16_PT17_ilSA_ilS8_SA_ilPT18_ili26rocblas_geam_ex_operation_, .Lfunc_end22-_ZN12_GLOBAL__N_120geam_min_plus_kernelIf15HIP_vector_typeIfLj2EEfLi8ELi32ELi64ELi256ELi4ELi4ELi64ELi64ELi4ELc84ELc84ELb1ELb0ELb1EfKPKfKPfEEviiiT16_PT17_ilSA_ilS8_SA_ilPT18_ili26rocblas_geam_ex_operation_
                                        ; -- End function
	.section	.AMDGPU.csdata,"",@progbits
; Kernel info:
; codeLenInByte = 15748
; NumSgprs: 28
; NumVgprs: 175
; NumAgprs: 0
; TotalNumVgprs: 175
; ScratchSize: 0
; MemoryBound: 0
; FloatMode: 240
; IeeeMode: 1
; LDSByteSize: 10240 bytes/workgroup (compile time only)
; SGPRBlocks: 3
; VGPRBlocks: 21
; NumSGPRsForWavesPerEU: 28
; NumVGPRsForWavesPerEU: 175
; AccumOffset: 176
; Occupancy: 2
; WaveLimiterHint : 1
; COMPUTE_PGM_RSRC2:SCRATCH_EN: 0
; COMPUTE_PGM_RSRC2:USER_SGPR: 2
; COMPUTE_PGM_RSRC2:TRAP_HANDLER: 0
; COMPUTE_PGM_RSRC2:TGID_X_EN: 1
; COMPUTE_PGM_RSRC2:TGID_Y_EN: 0
; COMPUTE_PGM_RSRC2:TGID_Z_EN: 1
; COMPUTE_PGM_RSRC2:TIDIG_COMP_CNT: 1
; COMPUTE_PGM_RSRC3_GFX90A:ACCUM_OFFSET: 43
; COMPUTE_PGM_RSRC3_GFX90A:TG_SPLIT: 0
	.section	.text._ZN12_GLOBAL__N_120geam_min_plus_kernelIf15HIP_vector_typeIfLj2EEfLi8ELi32ELi64ELi256ELi4ELi4ELi64ELi64ELi4ELc84ELc84ELb0ELb0ELb1EfKPKfKPfEEviiiT16_PT17_ilSA_ilS8_SA_ilPT18_ili26rocblas_geam_ex_operation_,"axG",@progbits,_ZN12_GLOBAL__N_120geam_min_plus_kernelIf15HIP_vector_typeIfLj2EEfLi8ELi32ELi64ELi256ELi4ELi4ELi64ELi64ELi4ELc84ELc84ELb0ELb0ELb1EfKPKfKPfEEviiiT16_PT17_ilSA_ilS8_SA_ilPT18_ili26rocblas_geam_ex_operation_,comdat
	.globl	_ZN12_GLOBAL__N_120geam_min_plus_kernelIf15HIP_vector_typeIfLj2EEfLi8ELi32ELi64ELi256ELi4ELi4ELi64ELi64ELi4ELc84ELc84ELb0ELb0ELb1EfKPKfKPfEEviiiT16_PT17_ilSA_ilS8_SA_ilPT18_ili26rocblas_geam_ex_operation_ ; -- Begin function _ZN12_GLOBAL__N_120geam_min_plus_kernelIf15HIP_vector_typeIfLj2EEfLi8ELi32ELi64ELi256ELi4ELi4ELi64ELi64ELi4ELc84ELc84ELb0ELb0ELb1EfKPKfKPfEEviiiT16_PT17_ilSA_ilS8_SA_ilPT18_ili26rocblas_geam_ex_operation_
	.p2align	8
	.type	_ZN12_GLOBAL__N_120geam_min_plus_kernelIf15HIP_vector_typeIfLj2EEfLi8ELi32ELi64ELi256ELi4ELi4ELi64ELi64ELi4ELc84ELc84ELb0ELb0ELb1EfKPKfKPfEEviiiT16_PT17_ilSA_ilS8_SA_ilPT18_ili26rocblas_geam_ex_operation_,@function
_ZN12_GLOBAL__N_120geam_min_plus_kernelIf15HIP_vector_typeIfLj2EEfLi8ELi32ELi64ELi256ELi4ELi4ELi64ELi64ELi4ELc84ELc84ELb0ELb0ELb1EfKPKfKPfEEviiiT16_PT17_ilSA_ilS8_SA_ilPT18_ili26rocblas_geam_ex_operation_: ; @_ZN12_GLOBAL__N_120geam_min_plus_kernelIf15HIP_vector_typeIfLj2EEfLi8ELi32ELi64ELi256ELi4ELi4ELi64ELi64ELi4ELc84ELc84ELb0ELb0ELb1EfKPKfKPfEEviiiT16_PT17_ilSA_ilS8_SA_ilPT18_ili26rocblas_geam_ex_operation_
; %bb.0:
	s_load_dwordx2 s[12:13], s[0:1], 0x8
	s_load_dwordx4 s[4:7], s[0:1], 0x20
	s_mov_b32 s18, s3
	s_mov_b32 s19, 0
	s_waitcnt lgkmcnt(0)
	v_cmp_eq_f32_e64 s[8:9], s13, 0
	s_and_b64 vcc, exec, s[8:9]
	s_cbranch_vccnz .LBB23_3
; %bb.1:
	s_load_dwordx2 s[10:11], s[0:1], 0x10
	s_lshl_b64 s[14:15], s[18:19], 3
	s_waitcnt lgkmcnt(0)
	s_add_u32 s10, s10, s14
	s_addc_u32 s11, s11, s15
	s_load_dwordx2 s[10:11], s[10:11], 0x0
	s_lshl_b64 s[4:5], s[4:5], 2
	s_waitcnt lgkmcnt(0)
	s_add_u32 s14, s10, s4
	s_addc_u32 s15, s11, s5
	s_andn2_b64 vcc, exec, s[8:9]
	s_cbranch_vccnz .LBB23_4
.LBB23_2:
	s_mov_b64 s[16:17], 0
	s_cbranch_execz .LBB23_5
	s_branch .LBB23_6
.LBB23_3:
	s_mov_b64 s[14:15], 0
	s_andn2_b64 vcc, exec, s[8:9]
	s_cbranch_vccz .LBB23_2
.LBB23_4:
                                        ; implicit-def: $sgpr16_sgpr17
.LBB23_5:
	s_lshl_b64 s[8:9], s[18:19], 3
	s_add_u32 s6, s6, s8
	s_load_dwordx2 s[4:5], s[0:1], 0x38
	s_addc_u32 s7, s7, s9
	s_load_dwordx2 s[6:7], s[6:7], 0x0
	s_waitcnt lgkmcnt(0)
	s_lshl_b64 s[4:5], s[4:5], 2
	s_add_u32 s16, s6, s4
	s_addc_u32 s17, s7, s5
.LBB23_6:
	s_load_dword s22, s[0:1], 0x40
	s_load_dwordx4 s[8:11], s[0:1], 0x58
	v_cmp_neq_f32_e64 s[20:21], s13, 0
	s_waitcnt lgkmcnt(0)
	v_cmp_eq_f32_e64 s[4:5], s22, 0
	s_and_b64 s[6:7], exec, s[4:5]
	s_mov_b64 vcc, s[6:7]
	s_cbranch_vccnz .LBB23_8
; %bb.7:
	s_load_dwordx2 s[4:5], s[0:1], 0x48
	s_lshl_b64 s[24:25], s[18:19], 3
	s_waitcnt lgkmcnt(0)
	s_add_u32 s4, s4, s24
	s_addc_u32 s5, s5, s25
	s_load_dwordx2 s[4:5], s[4:5], 0x0
	s_lshl_b64 s[8:9], s[8:9], 2
	s_waitcnt lgkmcnt(0)
	s_add_u32 s8, s4, s8
	s_addc_u32 s9, s5, s9
	s_branch .LBB23_9
.LBB23_8:
	s_mov_b64 s[8:9], 0
.LBB23_9:
	s_load_dword s23, s[0:1], 0x0
	s_load_dword s3, s[0:1], 0x18
	s_lshl_b64 s[4:5], s[18:19], 3
	s_add_u32 s4, s10, s4
	s_addc_u32 s5, s11, s5
	s_waitcnt lgkmcnt(0)
	s_add_i32 s10, s23, -1
	s_ashr_i32 s11, s10, 31
	s_lshr_b32 s11, s11, 26
	s_add_i32 s10, s10, s11
	s_ashr_i32 s18, s10, 6
	s_add_i32 s23, s18, 1
	v_cvt_f32_u32_e32 v1, s23
	s_load_dwordx2 s[10:11], s[4:5], 0x0
	s_not_b32 s4, s18
	v_and_b32_e32 v76, 0x3ff, v0
	v_rcp_iflag_f32_e32 v1, v1
	v_bfe_u32 v77, v0, 10, 10
	v_lshl_add_u32 v0, v77, 3, v76
	v_and_b32_e32 v2, 3, v76
	v_mul_f32_e32 v1, 0x4f7ffffe, v1
	v_cvt_u32_f32_e32 v1, v1
	v_lshrrev_b32_e32 v62, 2, v0
	v_lshlrev_b32_e32 v56, 2, v2
	v_readfirstlane_b32 s5, v1
	s_mul_i32 s4, s4, s5
	s_mul_hi_u32 s4, s5, s4
	s_add_i32 s5, s5, s4
	s_mul_hi_u32 s4, s2, s5
	s_mul_i32 s5, s4, s23
	s_sub_i32 s5, s2, s5
	s_add_i32 s18, s4, 1
	s_sub_i32 s19, s5, s23
	s_cmp_ge_u32 s5, s23
	s_cselect_b32 s4, s18, s4
	s_cselect_b32 s5, s19, s5
	s_add_i32 s18, s4, 1
	s_cmp_ge_u32 s5, s23
	s_cselect_b32 s19, s18, s4
	s_mul_i32 s24, s19, s23
	s_sub_i32 s4, s2, s24
	s_lshl_b32 s23, s4, 6
	v_cndmask_b32_e64 v1, 0, 1, s[20:21]
	v_cmp_ne_u32_e64 s[4:5], 1, v1
	s_andn2_b64 vcc, exec, s[20:21]
	v_add_u32_e32 v6, s23, v62
	s_cbranch_vccnz .LBB23_11
; %bb.10:
	v_mad_i64_i32 v[2:3], s[20:21], v6, s3, 0
	v_lshl_add_u64 v[2:3], v[2:3], 2, s[14:15]
	v_mov_b32_e32 v57, 0
	v_lshl_add_u64 v[2:3], v[2:3], 0, v[56:57]
	flat_load_dword v1, v[2:3]
	s_waitcnt vmcnt(0) lgkmcnt(0)
	v_mul_f32_e32 v8, s13, v1
	s_branch .LBB23_12
.LBB23_11:
	v_mov_b32_e32 v8, 0
.LBB23_12:
	s_load_dword s18, s[0:1], 0x30
	v_and_b32_e32 v68, 63, v0
	v_lshrrev_b32_e32 v63, 6, v0
	s_lshl_b32 s20, s19, 8
	v_or_b32_e32 v2, s20, v68
	s_waitcnt lgkmcnt(0)
	v_mad_i64_i32 v[0:1], s[26:27], s18, v63, 0
	s_ashr_i32 s19, s18, 31
	v_lshl_add_u64 v[4:5], v[0:1], 2, s[16:17]
	s_and_b64 vcc, exec, s[4:5]
	v_ashrrev_i32_e32 v3, 31, v2
	s_cbranch_vccnz .LBB23_16
; %bb.13:
	v_lshl_add_u64 v[0:1], v[2:3], 2, v[4:5]
	flat_load_dword v10, v[0:1]
	flat_load_dword v11, v[0:1] offset:256
	s_mov_b32 s26, s13
	s_waitcnt vmcnt(0) lgkmcnt(0)
	v_pk_mul_f32 v[0:1], v[10:11], s[26:27] op_sel_hi:[1,0]
	s_and_b64 vcc, exec, s[4:5]
	s_cbranch_vccnz .LBB23_17
.LBB23_14:
	v_lshl_add_u64 v[4:5], v[2:3], 2, v[4:5]
	flat_load_dword v10, v[4:5] offset:512
	flat_load_dword v11, v[4:5] offset:768
	s_mov_b32 s26, s13
	s_waitcnt vmcnt(0) lgkmcnt(0)
	v_pk_mul_f32 v[4:5], v[10:11], s[26:27] op_sel_hi:[1,0]
	s_and_b64 vcc, exec, s[4:5]
	s_cbranch_vccnz .LBB23_18
.LBB23_15:
	v_mad_i64_i32 v[6:7], s[26:27], v6, s3, 0
	v_lshl_add_u64 v[6:7], v[6:7], 2, s[14:15]
	v_mov_b32_e32 v57, 0
	v_lshl_add_u64 v[6:7], v[6:7], 0, v[56:57]
	flat_load_dword v6, v[6:7] offset:16
	s_waitcnt vmcnt(0) lgkmcnt(0)
	v_mul_f32_e32 v57, s13, v6
	s_branch .LBB23_19
.LBB23_16:
	v_mov_b32_e32 v0, 0
	v_mov_b32_e32 v1, 0
	s_and_b64 vcc, exec, s[4:5]
	s_cbranch_vccz .LBB23_14
.LBB23_17:
	v_mov_b32_e32 v4, 0
	v_mov_b32_e32 v5, 0
	s_and_b64 vcc, exec, s[4:5]
	s_cbranch_vccz .LBB23_15
.LBB23_18:
	v_mov_b32_e32 v57, 0
.LBB23_19:
	v_add_u32_e32 v6, 4, v63
	v_mad_i64_i32 v[6:7], s[26:27], s18, v6, 0
	s_and_b64 vcc, exec, s[4:5]
	v_lshl_add_u64 v[6:7], v[6:7], 2, s[16:17]
	s_cbranch_vccnz .LBB23_22
; %bb.20:
	v_lshl_add_u64 v[10:11], v[2:3], 2, v[6:7]
	flat_load_dword v12, v[10:11]
	flat_load_dword v13, v[10:11] offset:256
	s_mov_b32 s26, s13
	s_waitcnt vmcnt(0) lgkmcnt(0)
	v_pk_mul_f32 v[58:59], v[12:13], s[26:27] op_sel_hi:[1,0]
	s_and_b64 vcc, exec, s[4:5]
	s_cbranch_vccnz .LBB23_23
.LBB23_21:
	v_lshl_add_u64 v[2:3], v[2:3], 2, v[6:7]
	flat_load_dword v6, v[2:3] offset:512
	flat_load_dword v7, v[2:3] offset:768
	s_mov_b32 s26, s13
	s_waitcnt vmcnt(0) lgkmcnt(0)
	v_pk_mul_f32 v[60:61], v[6:7], s[26:27] op_sel_hi:[1,0]
	s_branch .LBB23_24
.LBB23_22:
	v_mov_b32_e32 v58, 0
	v_mov_b32_e32 v59, 0
	s_and_b64 vcc, exec, s[4:5]
	s_cbranch_vccz .LBB23_21
.LBB23_23:
	v_mov_b32_e32 v60, 0
	v_mov_b32_e32 v61, 0
.LBB23_24:
	v_lshlrev_b32_e32 v2, 2, v63
	v_lshl_or_b32 v64, v62, 4, v56
	v_lshl_add_u32 v80, v68, 4, v2
	v_lshlrev_b32_e32 v78, 4, v76
	v_lshlrev_b32_e32 v79, 4, v77
	ds_write_b32 v64, v8 offset:8192
	ds_write2st64_b32 v80, v0, v1 offset1:4
	ds_write2st64_b32 v80, v4, v5 offset0:8 offset1:12
	s_waitcnt lgkmcnt(0)
	s_barrier
	ds_read_b128 v[12:15], v78 offset:8192
	ds_read_b128 v[20:23], v78 offset:8320
	;; [unrolled: 1-line block ×8, first 2 shown]
	ds_read_b128 v[52:55], v79
	ds_read_b128 v[48:51], v79 offset:512
	ds_read_b128 v[44:47], v79 offset:1024
	;; [unrolled: 1-line block ×5, first 2 shown]
	s_waitcnt lgkmcnt(5)
	v_pk_add_f32 v[66:67], v[12:13], v[52:53]
	s_mov_b32 s21, 0x7f7fffff
	v_min3_f32 v65, v66, v67, s21
	v_pk_add_f32 v[66:67], v[20:21], v[52:53]
	s_cmp_lt_i32 s12, 9
	v_min3_f32 v69, v66, v67, s21
	v_pk_add_f32 v[66:67], v[24:25], v[52:53]
	s_nop 0
	v_min3_f32 v70, v66, v67, s21
	v_pk_add_f32 v[66:67], v[28:29], v[52:53]
	s_nop 0
	v_min3_f32 v71, v66, v67, s21
	v_pk_add_f32 v[66:67], v[16:17], v[52:53]
	s_nop 0
	v_min3_f32 v72, v66, v67, s21
	v_pk_add_f32 v[66:67], v[8:9], v[52:53]
	s_nop 0
	v_min3_f32 v73, v66, v67, s21
	v_pk_add_f32 v[66:67], v[4:5], v[52:53]
	v_pk_add_f32 v[52:53], v[0:1], v[52:53]
	v_min3_f32 v66, v66, v67, s21
	v_min3_f32 v67, v52, v53, s21
	s_waitcnt lgkmcnt(4)
	v_pk_add_f32 v[52:53], v[12:13], v[48:49]
	s_nop 0
	v_min3_f32 v74, v52, v53, s21
	v_pk_add_f32 v[52:53], v[20:21], v[48:49]
	s_nop 0
	v_min3_f32 v75, v52, v53, s21
	v_pk_add_f32 v[52:53], v[24:25], v[48:49]
	s_nop 0
	v_min3_f32 v88, v52, v53, s21
	v_pk_add_f32 v[52:53], v[28:29], v[48:49]
	s_nop 0
	v_min3_f32 v89, v52, v53, s21
	v_pk_add_f32 v[52:53], v[16:17], v[48:49]
	s_nop 0
	v_min3_f32 v90, v52, v53, s21
	v_pk_add_f32 v[52:53], v[8:9], v[48:49]
	s_nop 0
	v_min3_f32 v91, v52, v53, s21
	v_pk_add_f32 v[52:53], v[4:5], v[48:49]
	v_pk_add_f32 v[48:49], v[0:1], v[48:49]
	v_min3_f32 v52, v52, v53, s21
	v_min3_f32 v53, v48, v49, s21
	s_waitcnt lgkmcnt(3)
	v_pk_add_f32 v[48:49], v[12:13], v[44:45]
	s_nop 0
	v_min3_f32 v92, v48, v49, s21
	v_pk_add_f32 v[48:49], v[20:21], v[44:45]
	s_nop 0
	;; [unrolled: 23-line block ×4, first 2 shown]
	v_min3_f32 v107, v40, v41, s21
	v_pk_add_f32 v[40:41], v[24:25], v[36:37]
	s_nop 0
	v_min3_f32 v108, v40, v41, s21
	v_pk_add_f32 v[40:41], v[28:29], v[36:37]
	s_nop 0
	;; [unrolled: 3-line block ×4, first 2 shown]
	v_min3_f32 v111, v40, v41, s21
	v_pk_add_f32 v[40:41], v[4:5], v[36:37]
	v_pk_add_f32 v[36:37], v[0:1], v[36:37]
	v_min3_f32 v112, v40, v41, s21
	v_min3_f32 v113, v36, v37, s21
	s_waitcnt lgkmcnt(0)
	v_pk_add_f32 v[36:37], v[12:13], v[32:33]
	v_pk_add_f32 v[40:41], v[8:9], v[32:33]
	v_min3_f32 v114, v36, v37, s21
	v_pk_add_f32 v[36:37], v[20:21], v[32:33]
	s_nop 0
	v_min3_f32 v141, v36, v37, s21
	v_pk_add_f32 v[36:37], v[24:25], v[32:33]
	s_nop 0
	;; [unrolled: 3-line block ×4, first 2 shown]
	v_min3_f32 v83, v36, v37, v69
	v_pk_add_f32 v[36:37], v[26:27], v[54:55]
	v_min3_f32 v69, v40, v41, s21
	v_min3_f32 v86, v36, v37, v70
	v_pk_add_f32 v[36:37], v[30:31], v[54:55]
	v_pk_add_f32 v[40:41], v[4:5], v[32:33]
	v_min3_f32 v81, v36, v37, v71
	v_pk_add_f32 v[36:37], v[18:19], v[54:55]
	v_min3_f32 v40, v40, v41, s21
	v_min3_f32 v82, v36, v37, v72
	v_pk_add_f32 v[36:37], v[10:11], v[54:55]
	s_nop 0
	v_min3_f32 v84, v36, v37, v73
	v_pk_add_f32 v[36:37], v[6:7], v[54:55]
	s_nop 0
	;; [unrolled: 3-line block ×3, first 2 shown]
	v_min3_f32 v65, v36, v37, s21
	v_pk_add_f32 v[36:37], v[16:17], v[32:33]
	v_pk_add_f32 v[32:33], v[0:1], v[32:33]
	v_min3_f32 v66, v36, v37, s21
	v_pk_add_f32 v[36:37], v[2:3], v[54:55]
	v_min3_f32 v41, v32, v33, s21
	v_min3_f32 v148, v36, v37, v67
	v_pk_add_f32 v[36:37], v[14:15], v[50:51]
	s_nop 0
	v_min3_f32 v149, v36, v37, v74
	v_pk_add_f32 v[36:37], v[22:23], v[50:51]
	s_nop 0
	;; [unrolled: 3-line block ×7, first 2 shown]
	v_min3_f32 v143, v36, v37, v52
	v_pk_add_f32 v[36:37], v[2:3], v[50:51]
	ds_read_b128 v[48:51], v79 offset:3072
	v_min3_f32 v139, v36, v37, v53
	ds_read_b128 v[52:55], v79 offset:3584
	v_pk_add_f32 v[36:37], v[14:15], v[46:47]
	ds_write_b32 v64, v57 offset:9216
	ds_write2st64_b32 v80, v58, v59 offset0:16 offset1:20
	ds_write2st64_b32 v80, v60, v61 offset0:24 offset1:28
	s_waitcnt lgkmcnt(4)
	v_pk_add_f32 v[32:33], v[12:13], v[48:49]
	v_min3_f32 v140, v36, v37, v92
	v_min3_f32 v67, v32, v33, s21
	v_pk_add_f32 v[32:33], v[2:3], v[46:47]
	v_pk_add_f32 v[36:37], v[22:23], v[46:47]
	v_min3_f32 v134, v32, v33, v99
	v_pk_add_f32 v[32:33], v[14:15], v[42:43]
	v_min3_f32 v137, v36, v37, v93
	v_min3_f32 v133, v32, v33, v100
	v_pk_add_f32 v[32:33], v[22:23], v[42:43]
	v_pk_add_f32 v[36:37], v[26:27], v[46:47]
	v_min3_f32 v130, v32, v33, v101
	;; [unrolled: 6-line block ×5, first 2 shown]
	v_pk_add_f32 v[32:33], v[16:17], v[48:49]
	s_waitcnt lgkmcnt(3)
	v_pk_add_f32 v[12:13], v[12:13], v[52:53]
	v_min3_f32 v70, v32, v33, s21
	v_pk_add_f32 v[32:33], v[2:3], v[42:43]
	v_min3_f32 v131, v36, v37, v97
	v_min3_f32 v124, v32, v33, v45
	v_pk_add_f32 v[32:33], v[14:15], v[38:39]
	v_pk_add_f32 v[36:37], v[6:7], v[46:47]
	v_min3_f32 v123, v32, v33, v106
	v_pk_add_f32 v[32:33], v[22:23], v[38:39]
	v_min3_f32 v132, v36, v37, v98
	v_min3_f32 v122, v32, v33, v107
	v_pk_add_f32 v[32:33], v[26:27], v[38:39]
	;; [unrolled: 6-line block ×5, first 2 shown]
	v_pk_add_f32 v[36:37], v[4:5], v[48:49]
	v_min3_f32 v116, v32, v33, v114
	v_pk_add_f32 v[32:33], v[22:23], v[34:35]
	v_pk_add_f32 v[4:5], v[4:5], v[52:53]
	v_min3_f32 v113, v32, v33, v141
	v_pk_add_f32 v[32:33], v[26:27], v[34:35]
	v_pk_add_f32 v[20:21], v[20:21], v[52:53]
	v_min3_f32 v114, v32, v33, v150
	v_pk_add_f32 v[32:33], v[30:31], v[34:35]
	v_min3_f32 v4, v4, v5, s21
	v_min3_f32 v111, v32, v33, v65
	v_pk_add_f32 v[32:33], v[18:19], v[34:35]
	v_min3_f32 v36, v36, v37, s21
	v_min3_f32 v112, v32, v33, v66
	v_pk_add_f32 v[32:33], v[10:11], v[34:35]
	v_pk_add_f32 v[8:9], v[8:9], v[52:53]
	v_min3_f32 v109, v32, v33, v69
	v_pk_add_f32 v[32:33], v[6:7], v[34:35]
	v_min3_f32 v8, v8, v9, s21
	v_min3_f32 v110, v32, v33, v40
	v_pk_add_f32 v[32:33], v[0:1], v[48:49]
	v_pk_add_f32 v[0:1], v[0:1], v[52:53]
	v_min3_f32 v32, v32, v33, s21
	v_min3_f32 v33, v12, v13, s21
	v_pk_add_f32 v[12:13], v[2:3], v[34:35]
	v_min3_f32 v5, v0, v1, s21
	v_min3_f32 v107, v12, v13, v41
	v_pk_add_f32 v[12:13], v[14:15], v[50:51]
	v_pk_add_f32 v[0:1], v[14:15], v[54:55]
	v_min3_f32 v108, v12, v13, v67
	v_pk_add_f32 v[12:13], v[22:23], v[50:51]
	v_min3_f32 v34, v20, v21, s21
	v_min3_f32 v105, v12, v13, v46
	v_pk_add_f32 v[12:13], v[26:27], v[50:51]
	v_pk_add_f32 v[20:21], v[24:25], v[52:53]
	;; [unrolled: 6-line block ×3, first 2 shown]
	v_min3_f32 v104, v12, v13, v70
	v_pk_add_f32 v[12:13], v[10:11], v[50:51]
	v_min3_f32 v20, v20, v21, s21
	v_min3_f32 v101, v12, v13, v42
	v_pk_add_f32 v[12:13], v[6:7], v[50:51]
	v_min3_f32 v97, v0, v1, v34
	v_min3_f32 v102, v12, v13, v36
	v_pk_add_f32 v[12:13], v[28:29], v[52:53]
	v_pk_add_f32 v[0:1], v[26:27], v[54:55]
	v_min3_f32 v21, v12, v13, s21
	v_pk_add_f32 v[12:13], v[16:17], v[52:53]
	v_min3_f32 v98, v0, v1, v20
	;; [unrolled: 2-line block ×3, first 2 shown]
	v_min3_f32 v94, v0, v1, v21
	v_pk_add_f32 v[0:1], v[18:19], v[54:55]
	v_pk_add_f32 v[12:13], v[2:3], v[50:51]
	v_min3_f32 v95, v0, v1, v16
	v_pk_add_f32 v[0:1], v[10:11], v[54:55]
	v_min3_f32 v99, v12, v13, v32
	v_min3_f32 v92, v0, v1, v8
	v_pk_add_f32 v[0:1], v[6:7], v[54:55]
	s_waitcnt lgkmcnt(0)
	v_min3_f32 v93, v0, v1, v4
	v_pk_add_f32 v[0:1], v[2:3], v[54:55]
	s_barrier
	v_min3_f32 v96, v0, v1, v5
	s_cbranch_scc1 .LBB23_42
; %bb.25:
	v_mov_b32_e32 v0, 0x2400
	v_lshl_add_u32 v141, v76, 4, v0
	v_mov_b32_e32 v0, 0x1000
	v_lshl_add_u32 v150, v77, 4, v0
	v_lshl_add_u32 v0, s2, 6, v62
	s_lshl_b32 s2, s24, 6
	v_subrev_u32_e32 v0, s2, v0
	v_mad_i64_i32 v[0:1], s[2:3], s3, v0, 0
	v_mov_b32_e32 v57, 0
	v_lshl_add_u64 v[0:1], v[0:1], 2, v[56:57]
	v_lshl_add_u64 v[0:1], v[0:1], 0, s[14:15]
	v_add_u32_e32 v88, 0x2000, v64
	v_add_u32_e32 v90, 0x2400, v64
	v_lshl_add_u64 v[64:65], v[0:1], 0, 32
	v_add_u32_e32 v0, 12, v63
	v_mad_i64_i32 v[0:1], s[2:3], v0, s18, 0
	v_lshlrev_b64 v[66:67], 2, v[0:1]
	v_add_u32_e32 v0, s20, v68
	v_ashrrev_i32_e32 v1, 31, v0
	v_lshl_add_u64 v[68:69], v[0:1], 2, s[16:17]
	v_add_u32_e32 v0, 8, v63
	v_mad_i64_i32 v[0:1], s[14:15], v0, s18, 0
	v_add_u32_e32 v89, 0x2000, v78
	v_or_b32_e32 v91, 0x1000, v80
	s_add_i32 s21, s12, -8
	s_mov_b32 s12, s13
	s_lshl_b64 s[2:3], s[18:19], 5
	v_lshlrev_b64 v[70:71], 2, v[0:1]
	s_mov_b32 s14, 0
	s_branch .LBB23_28
.LBB23_26:                              ;   in Loop: Header=BB23_28 Depth=1
	flat_load_dword v0, v[74:75] offset:512
	flat_load_dword v1, v[74:75] offset:768
	s_waitcnt vmcnt(0) lgkmcnt(0)
	v_pk_mul_f32 v[36:37], v[0:1], s[12:13]
.LBB23_27:                              ;   in Loop: Header=BB23_28 Depth=1
	ds_read_b128 v[0:3], v89
	ds_read_b128 v[4:7], v89 offset:128
	ds_read_b128 v[8:11], v89 offset:256
	;; [unrolled: 1-line block ×7, first 2 shown]
	ds_read_b128 v[124:127], v79
	ds_read_b128 v[128:131], v79 offset:512
	ds_read_b128 v[152:155], v79 offset:1024
	;; [unrolled: 1-line block ×7, first 2 shown]
	s_waitcnt lgkmcnt(7)
	v_pk_add_f32 v[74:75], v[0:1], v[124:125]
	s_add_i32 s14, s14, 8
	v_min3_f32 v123, v74, v75, v40
	v_pk_add_f32 v[74:75], v[4:5], v[124:125]
	v_lshl_add_u64 v[64:65], v[64:65], 0, 32
	v_min3_f32 v74, v74, v75, v41
	v_pk_add_f32 v[40:41], v[8:9], v[124:125]
	s_cmp_ge_i32 s14, s21
	v_min3_f32 v44, v40, v41, v44
	v_pk_add_f32 v[40:41], v[12:13], v[124:125]
	v_lshl_add_u64 v[68:69], v[68:69], 0, s[2:3]
	v_min3_f32 v45, v40, v41, v45
	v_pk_add_f32 v[40:41], v[16:17], v[124:125]
	ds_write_b32 v90, v151
	ds_write2st64_b32 v91, v72, v73 offset1:4
	ds_write2st64_b32 v91, v36, v37 offset0:8 offset1:12
	v_min3_f32 v48, v40, v41, v48
	v_pk_add_f32 v[40:41], v[20:21], v[124:125]
	s_waitcnt lgkmcnt(0)
	v_min3_f32 v49, v40, v41, v49
	v_pk_add_f32 v[40:41], v[24:25], v[124:125]
	s_barrier
	v_min3_f32 v52, v40, v41, v52
	v_pk_add_f32 v[40:41], v[28:29], v[124:125]
	s_nop 0
	v_min3_f32 v53, v40, v41, v53
	v_pk_add_f32 v[40:41], v[0:1], v[128:129]
	s_nop 0
	;; [unrolled: 3-line block ×41, first 2 shown]
	v_min3_f32 v42, v40, v41, v42
	v_pk_add_f32 v[40:41], v[0:1], v[168:169]
	v_pk_add_f32 v[0:1], v[0:1], v[32:33]
	v_min3_f32 v43, v40, v41, v43
	v_min3_f32 v39, v0, v1, v39
	v_pk_add_f32 v[0:1], v[4:5], v[32:33]
	v_pk_add_f32 v[40:41], v[4:5], v[168:169]
	v_min3_f32 v4, v0, v1, v116
	v_pk_add_f32 v[0:1], v[8:9], v[32:33]
	v_min3_f32 v153, v40, v41, v110
	v_min3_f32 v5, v0, v1, v117
	v_pk_add_f32 v[0:1], v[12:13], v[32:33]
	v_pk_add_f32 v[40:41], v[8:9], v[168:169]
	v_min3_f32 v8, v0, v1, v118
	;; [unrolled: 6-line block ×7, first 2 shown]
	v_pk_add_f32 v[0:1], v[26:27], v[126:127]
	v_min3_f32 v38, v40, v41, v38
	v_min3_f32 v85, v0, v1, v52
	v_pk_add_f32 v[0:1], v[30:31], v[126:127]
	s_nop 0
	v_min3_f32 v148, v0, v1, v53
	v_pk_add_f32 v[0:1], v[2:3], v[130:131]
	s_nop 0
	;; [unrolled: 3-line block ×57, first 2 shown]
	v_min3_f32 v96, v0, v1, v16
	s_cbranch_scc1 .LBB23_42
.LBB23_28:                              ; =>This Inner Loop Header: Depth=1
	s_and_b64 vcc, exec, s[4:5]
	v_mov_b32_e32 v151, 0
	s_cbranch_vccnz .LBB23_30
; %bb.29:                               ;   in Loop: Header=BB23_28 Depth=1
	flat_load_dword v0, v[64:65]
	s_waitcnt vmcnt(0) lgkmcnt(0)
	v_mul_f32_e32 v151, s13, v0
.LBB23_30:                              ;   in Loop: Header=BB23_28 Depth=1
	s_and_b64 vcc, exec, s[4:5]
	v_lshl_add_u64 v[0:1], v[68:69], 0, v[70:71]
	s_cbranch_vccnz .LBB23_33
; %bb.31:                               ;   in Loop: Header=BB23_28 Depth=1
	flat_load_dword v2, v[0:1]
	flat_load_dword v3, v[0:1] offset:256
	s_waitcnt vmcnt(0) lgkmcnt(0)
	v_pk_mul_f32 v[72:73], v[2:3], s[12:13]
	s_and_b64 vcc, exec, s[4:5]
	s_cbranch_vccnz .LBB23_34
.LBB23_32:                              ;   in Loop: Header=BB23_28 Depth=1
	flat_load_dword v2, v[0:1] offset:512
	flat_load_dword v3, v[0:1] offset:768
	s_waitcnt vmcnt(0) lgkmcnt(0)
	v_pk_mul_f32 v[74:75], v[2:3], s[12:13]
	s_branch .LBB23_35
.LBB23_33:                              ;   in Loop: Header=BB23_28 Depth=1
	v_mov_b32_e32 v72, 0
	v_mov_b32_e32 v73, 0
	s_and_b64 vcc, exec, s[4:5]
	s_cbranch_vccz .LBB23_32
.LBB23_34:                              ;   in Loop: Header=BB23_28 Depth=1
	v_mov_b32_e32 v74, 0
	v_mov_b32_e32 v75, 0
.LBB23_35:                              ;   in Loop: Header=BB23_28 Depth=1
	ds_read_b128 v[28:31], v141
	ds_read_b128 v[24:27], v141 offset:128
	ds_read_b128 v[20:23], v141 offset:256
	;; [unrolled: 1-line block ×7, first 2 shown]
	ds_read_b128 v[60:63], v150
	ds_read_b128 v[56:59], v150 offset:512
	ds_read_b128 v[52:55], v150 offset:1024
	;; [unrolled: 1-line block ×7, first 2 shown]
	s_and_b64 vcc, exec, s[4:5]
	ds_write_b32 v88, v151
	ds_write2st64_b32 v80, v72, v73 offset1:4
	ds_write2st64_b32 v80, v74, v75 offset0:8 offset1:12
	s_waitcnt lgkmcnt(0)
	s_barrier
	s_cbranch_vccnz .LBB23_38
; %bb.36:                               ;   in Loop: Header=BB23_28 Depth=1
	flat_load_dword v72, v[64:65] offset:16
	s_waitcnt vmcnt(0) lgkmcnt(0)
	v_mul_f32_e32 v151, s13, v72
	s_and_b64 vcc, exec, s[4:5]
	v_lshl_add_u64 v[74:75], v[68:69], 0, v[66:67]
	s_cbranch_vccnz .LBB23_39
.LBB23_37:                              ;   in Loop: Header=BB23_28 Depth=1
	flat_load_dword v72, v[74:75]
	flat_load_dword v73, v[74:75] offset:256
	s_waitcnt vmcnt(0) lgkmcnt(0)
	v_pk_mul_f32 v[72:73], v[72:73], s[12:13]
	s_branch .LBB23_40
.LBB23_38:                              ;   in Loop: Header=BB23_28 Depth=1
	v_mov_b32_e32 v151, 0
	s_and_b64 vcc, exec, s[4:5]
	v_lshl_add_u64 v[74:75], v[68:69], 0, v[66:67]
	s_cbranch_vccz .LBB23_37
.LBB23_39:                              ;   in Loop: Header=BB23_28 Depth=1
	v_mov_b32_e32 v72, 0
	v_mov_b32_e32 v73, 0
.LBB23_40:                              ;   in Loop: Header=BB23_28 Depth=1
	v_pk_add_f32 v[152:153], v[28:29], v[60:61]
	s_and_b64 vcc, exec, s[4:5]
	v_min3_f32 v154, v152, v153, v87
	v_pk_add_f32 v[152:153], v[24:25], v[60:61]
	s_nop 0
	v_min3_f32 v155, v152, v153, v83
	v_pk_add_f32 v[152:153], v[20:21], v[60:61]
	s_nop 0
	v_min3_f32 v152, v152, v153, v86
	v_pk_add_f32 v[86:87], v[16:17], v[60:61]
	s_nop 0
	v_min3_f32 v81, v86, v87, v81
	v_pk_add_f32 v[86:87], v[12:13], v[60:61]
	s_nop 0
	v_min3_f32 v86, v86, v87, v82
	v_pk_add_f32 v[82:83], v[8:9], v[60:61]
	s_nop 0
	v_min3_f32 v84, v82, v83, v84
	v_pk_add_f32 v[82:83], v[4:5], v[60:61]
	v_pk_add_f32 v[60:61], v[0:1], v[60:61]
	v_min3_f32 v82, v82, v83, v85
	v_min3_f32 v83, v60, v61, v148
	v_pk_add_f32 v[60:61], v[28:29], v[56:57]
	s_nop 0
	v_min3_f32 v85, v60, v61, v149
	v_pk_add_f32 v[60:61], v[24:25], v[56:57]
	s_nop 0
	v_min3_f32 v87, v60, v61, v146
	v_pk_add_f32 v[60:61], v[20:21], v[56:57]
	s_nop 0
	v_min3_f32 v146, v60, v61, v147
	v_pk_add_f32 v[60:61], v[16:17], v[56:57]
	s_nop 0
	v_min3_f32 v144, v60, v61, v144
	v_pk_add_f32 v[60:61], v[12:13], v[56:57]
	s_nop 0
	v_min3_f32 v145, v60, v61, v145
	v_pk_add_f32 v[60:61], v[8:9], v[56:57]
	s_nop 0
	v_min3_f32 v142, v60, v61, v142
	v_pk_add_f32 v[60:61], v[4:5], v[56:57]
	v_pk_add_f32 v[56:57], v[0:1], v[56:57]
	v_min3_f32 v143, v60, v61, v143
	v_min3_f32 v139, v56, v57, v139
	v_pk_add_f32 v[56:57], v[28:29], v[52:53]
	s_nop 0
	;; [unrolled: 22-line block ×5, first 2 shown]
	v_min3_f32 v116, v44, v45, v116
	v_pk_add_f32 v[44:45], v[24:25], v[40:41]
	s_nop 0
	v_min3_f32 v113, v44, v45, v113
	v_pk_add_f32 v[44:45], v[20:21], v[40:41]
	s_nop 0
	;; [unrolled: 3-line block ×5, first 2 shown]
	v_min3_f32 v109, v44, v45, v109
	v_pk_add_f32 v[44:45], v[4:5], v[40:41]
	v_pk_add_f32 v[40:41], v[0:1], v[40:41]
	v_min3_f32 v110, v44, v45, v110
	v_min3_f32 v147, v40, v41, v107
	v_pk_add_f32 v[40:41], v[28:29], v[36:37]
	v_pk_add_f32 v[28:29], v[28:29], v[32:33]
	v_min3_f32 v148, v40, v41, v108
	v_pk_add_f32 v[40:41], v[24:25], v[36:37]
	v_pk_add_f32 v[24:25], v[24:25], v[32:33]
	v_min3_f32 v149, v40, v41, v105
	v_pk_add_f32 v[40:41], v[20:21], v[36:37]
	v_min3_f32 v24, v24, v25, v97
	v_min3_f32 v153, v40, v41, v106
	v_pk_add_f32 v[40:41], v[16:17], v[36:37]
	v_pk_add_f32 v[16:17], v[16:17], v[32:33]
	v_min3_f32 v156, v40, v41, v103
	v_pk_add_f32 v[40:41], v[12:13], v[36:37]
	v_min3_f32 v16, v16, v17, v94
	v_min3_f32 v157, v40, v41, v104
	v_pk_add_f32 v[40:41], v[8:9], v[36:37]
	v_pk_add_f32 v[8:9], v[8:9], v[32:33]
	v_min3_f32 v158, v40, v41, v101
	v_pk_add_f32 v[40:41], v[4:5], v[36:37]
	v_pk_add_f32 v[36:37], v[0:1], v[36:37]
	;; [unrolled: 1-line block ×4, first 2 shown]
	v_min3_f32 v4, v4, v5, v93
	v_min3_f32 v5, v0, v1, v96
	v_pk_add_f32 v[0:1], v[30:31], v[62:63]
	v_min3_f32 v159, v40, v41, v102
	v_min3_f32 v40, v0, v1, v154
	v_pk_add_f32 v[0:1], v[26:27], v[62:63]
	;; [unrolled: 3-line block ×3, first 2 shown]
	v_pk_add_f32 v[12:13], v[12:13], v[32:33]
	v_min3_f32 v44, v0, v1, v152
	v_pk_add_f32 v[0:1], v[18:19], v[62:63]
	v_min3_f32 v12, v12, v13, v95
	v_min3_f32 v45, v0, v1, v81
	v_pk_add_f32 v[0:1], v[14:15], v[62:63]
	v_pk_add_f32 v[20:21], v[20:21], v[32:33]
	v_min3_f32 v48, v0, v1, v86
	v_pk_add_f32 v[0:1], v[10:11], v[62:63]
	v_min3_f32 v20, v20, v21, v98
	v_min3_f32 v49, v0, v1, v84
	v_pk_add_f32 v[0:1], v[6:7], v[62:63]
	v_min3_f32 v36, v36, v37, v99
	;; [unrolled: 3-line block ×3, first 2 shown]
	v_min3_f32 v53, v0, v1, v83
	v_pk_add_f32 v[0:1], v[30:31], v[58:59]
	s_nop 0
	v_min3_f32 v56, v0, v1, v85
	v_pk_add_f32 v[0:1], v[26:27], v[58:59]
	s_nop 0
	;; [unrolled: 3-line block ×56, first 2 shown]
	v_min3_f32 v122, v0, v1, v5
	s_cbranch_vccz .LBB23_26
; %bb.41:                               ;   in Loop: Header=BB23_28 Depth=1
	v_mov_b32_e32 v36, 0
	v_mov_b32_e32 v37, 0
	s_branch .LBB23_27
.LBB23_42:
	s_load_dwordx2 s[2:3], s[0:1], 0x70
	ds_read_b128 v[32:35], v78 offset:9216
	ds_read_b128 v[60:63], v79 offset:4096
	s_load_dword s4, s[0:1], 0x50
	s_load_dword s5, s[0:1], 0x68
	v_add_u32_e32 v68, s23, v76
	v_add_u32_e32 v141, s20, v77
	s_waitcnt lgkmcnt(0)
	s_lshl_b64 s[0:1], s[2:3], 2
	v_pk_add_f32 v[0:1], v[32:33], v[60:61]
	s_add_u32 s0, s10, s0
	v_min3_f32 v2, v0, v1, v87
	v_pk_add_f32 v[0:1], v[34:35], v[62:63]
	s_addc_u32 s1, s11, s1
	v_min3_f32 v2, v0, v1, v2
	v_add_u32_e32 v64, 8, v68
	v_mad_i64_i32 v[0:1], s[2:3], v141, s5, 0
	v_ashrrev_i32_e32 v69, 31, v68
	v_ashrrev_i32_e32 v65, 31, v64
	v_lshl_add_u64 v[88:89], v[0:1], 2, s[0:1]
	v_mad_i64_i32 v[0:1], s[2:3], v141, s4, 0
	v_max_f32_e32 v2, v2, v2
	s_mov_b64 vcc, s[6:7]
	s_cbranch_vccz .LBB23_44
; %bb.43:
	v_min_f32_e32 v3, 0, v2
	v_lshl_add_u64 v[4:5], v[68:69], 2, v[88:89]
	s_mov_b32 s10, 0
	global_store_dword v[4:5], v3, off
	s_mov_b64 s[2:3], 0
	s_branch .LBB23_45
.LBB23_44:
	s_mov_b64 s[2:3], -1
                                        ; implicit-def: $sgpr10
.LBB23_45:
	ds_read_b128 v[28:31], v78 offset:9344
	ds_read_b128 v[24:27], v78 offset:9472
	v_lshl_add_u64 v[90:91], v[0:1], 2, s[8:9]
	s_andn2_b64 vcc, exec, s[2:3]
	v_lshlrev_b64 v[72:73], 2, v[68:69]
	s_cbranch_vccnz .LBB23_47
; %bb.46:
	v_lshl_add_u64 v[0:1], v[90:91], 0, v[72:73]
	flat_load_dword v3, v[0:1]
	v_lshl_add_u64 v[0:1], v[88:89], 0, v[72:73]
	s_waitcnt vmcnt(0) lgkmcnt(0)
	v_mul_f32_e32 v3, s22, v3
	v_min_f32_e32 v2, v3, v2
	global_store_dword v[0:1], v2, off
	v_lshl_add_u64 v[0:1], v[64:65], 2, v[90:91]
	flat_load_dword v0, v[0:1]
	s_waitcnt vmcnt(0) lgkmcnt(0)
	v_mul_f32_e32 v70, s22, v0
	s_branch .LBB23_48
.LBB23_47:
	v_mov_b32_e32 v70, s10
.LBB23_48:
	ds_read_b128 v[16:19], v78 offset:9728
	ds_read_b128 v[12:15], v78 offset:9856
	;; [unrolled: 1-line block ×12, first 2 shown]
	s_waitcnt lgkmcnt(13)
	v_pk_add_f32 v[66:67], v[28:29], v[60:61]
	s_mov_b64 vcc, s[6:7]
	v_min3_f32 v71, v66, v67, v83
	s_waitcnt lgkmcnt(12)
	v_pk_add_f32 v[66:67], v[24:25], v[60:61]
	s_nop 0
	v_min3_f32 v74, v66, v67, v86
	v_pk_add_f32 v[66:67], v[30:31], v[62:63]
	s_nop 0
	v_min_f32_e32 v76, v66, v67
	v_pk_add_f32 v[66:67], v[26:27], v[62:63]
	v_min3_f32 v76, v70, v76, v71
	v_min3_f32 v77, v66, v67, v74
	v_add_u32_e32 v74, 16, v68
	v_add_u32_e32 v66, 24, v68
	v_lshl_add_u64 v[70:71], v[64:65], 2, v[88:89]
	v_ashrrev_i32_e32 v75, 31, v74
	v_ashrrev_i32_e32 v67, 31, v66
	global_store_dword v[70:71], v76, off
	v_max_f32_e32 v70, v77, v77
	s_cbranch_vccz .LBB23_51
; %bb.49:
	v_min_f32_e32 v71, 0, v70
	v_lshl_add_u64 v[76:77], v[74:75], 2, v[88:89]
	s_mov_b32 s10, 0
	global_store_dword v[76:77], v71, off
	v_lshlrev_b64 v[78:79], 2, v[74:75]
	s_cbranch_execz .LBB23_52
; %bb.50:
	v_mov_b32_e32 v76, s10
	s_branch .LBB23_53
.LBB23_51:
                                        ; implicit-def: $sgpr10
	v_lshlrev_b64 v[78:79], 2, v[74:75]
.LBB23_52:
	v_lshl_add_u64 v[76:77], v[90:91], 0, v[78:79]
	flat_load_dword v71, v[76:77]
	v_lshl_add_u64 v[76:77], v[88:89], 0, v[78:79]
	s_waitcnt vmcnt(0) lgkmcnt(0)
	v_mul_f32_e32 v71, s22, v71
	v_min_f32_e32 v70, v71, v70
	global_store_dword v[76:77], v70, off
	v_lshl_add_u64 v[70:71], v[66:67], 2, v[90:91]
	flat_load_dword v70, v[70:71]
	s_waitcnt vmcnt(0) lgkmcnt(0)
	v_mul_f32_e32 v76, s22, v70
.LBB23_53:
	s_waitcnt lgkmcnt(1)
	v_pk_add_f32 v[70:71], v[20:21], v[60:61]
	s_mov_b64 vcc, s[6:7]
	v_min3_f32 v77, v70, v71, v81
	v_pk_add_f32 v[70:71], v[16:17], v[60:61]
	s_nop 0
	v_min3_f32 v80, v70, v71, v82
	v_pk_add_f32 v[70:71], v[22:23], v[62:63]
	s_nop 0
	v_min_f32_e32 v82, v70, v71
	v_pk_add_f32 v[70:71], v[18:19], v[62:63]
	v_min3_f32 v82, v76, v82, v77
	v_min3_f32 v83, v70, v71, v80
	v_add_u32_e32 v80, 32, v68
	v_add_u32_e32 v70, 40, v68
	v_lshl_add_u64 v[76:77], v[66:67], 2, v[88:89]
	v_ashrrev_i32_e32 v81, 31, v80
	v_ashrrev_i32_e32 v71, 31, v70
	global_store_dword v[76:77], v82, off
	v_max_f32_e32 v76, v83, v83
	s_cbranch_vccz .LBB23_56
; %bb.54:
	v_min_f32_e32 v77, 0, v76
	v_lshl_add_u64 v[82:83], v[80:81], 2, v[88:89]
	s_mov_b32 s10, 0
	global_store_dword v[82:83], v77, off
	v_lshlrev_b64 v[82:83], 2, v[80:81]
	s_cbranch_execz .LBB23_57
; %bb.55:
	v_mov_b32_e32 v86, s10
	s_branch .LBB23_58
.LBB23_56:
                                        ; implicit-def: $sgpr10
	v_lshlrev_b64 v[82:83], 2, v[80:81]
.LBB23_57:
	v_lshl_add_u64 v[86:87], v[90:91], 0, v[82:83]
	flat_load_dword v77, v[86:87]
	v_lshl_add_u64 v[86:87], v[88:89], 0, v[82:83]
	s_waitcnt vmcnt(0) lgkmcnt(0)
	v_mul_f32_e32 v77, s22, v77
	v_min_f32_e32 v76, v77, v76
	global_store_dword v[86:87], v76, off
	v_lshl_add_u64 v[76:77], v[70:71], 2, v[90:91]
	flat_load_dword v76, v[76:77]
	s_waitcnt vmcnt(0) lgkmcnt(0)
	v_mul_f32_e32 v86, s22, v76
.LBB23_58:
	v_pk_add_f32 v[76:77], v[12:13], v[60:61]
	s_mov_b64 vcc, s[6:7]
	v_min3_f32 v87, v76, v77, v84
	v_pk_add_f32 v[76:77], v[8:9], v[60:61]
	s_nop 0
	v_min3_f32 v84, v76, v77, v85
	v_pk_add_f32 v[76:77], v[14:15], v[62:63]
	s_nop 0
	v_min_f32_e32 v150, v76, v77
	v_pk_add_f32 v[76:77], v[10:11], v[62:63]
	v_min3_f32 v150, v86, v150, v87
	v_min3_f32 v151, v76, v77, v84
	v_add_u32_e32 v84, 48, v68
	v_add_u32_e32 v76, 56, v68
	v_lshl_add_u64 v[86:87], v[70:71], 2, v[88:89]
	v_ashrrev_i32_e32 v85, 31, v84
	v_ashrrev_i32_e32 v77, 31, v76
	global_store_dword v[86:87], v150, off
	v_max_f32_e32 v150, v151, v151
	s_cbranch_vccz .LBB23_61
; %bb.59:
	v_min_f32_e32 v151, 0, v150
	v_lshl_add_u64 v[86:87], v[84:85], 2, v[88:89]
	s_mov_b32 s10, 0
	global_store_dword v[86:87], v151, off
	v_lshlrev_b64 v[86:87], 2, v[84:85]
	s_cbranch_execz .LBB23_62
; %bb.60:
	v_mov_b32_e32 v90, s10
	s_branch .LBB23_63
.LBB23_61:
                                        ; implicit-def: $sgpr10
	v_lshlrev_b64 v[86:87], 2, v[84:85]
.LBB23_62:
	v_lshl_add_u64 v[152:153], v[90:91], 0, v[86:87]
	flat_load_dword v151, v[152:153]
	v_lshl_add_u64 v[152:153], v[88:89], 0, v[86:87]
	v_lshl_add_u64 v[90:91], v[76:77], 2, v[90:91]
	s_waitcnt vmcnt(0) lgkmcnt(0)
	v_mul_f32_e32 v151, s22, v151
	v_min_f32_e32 v150, v151, v150
	global_store_dword v[152:153], v150, off
	flat_load_dword v90, v[90:91]
	s_waitcnt vmcnt(0) lgkmcnt(0)
	v_mul_f32_e32 v90, s22, v90
.LBB23_63:
	v_pk_add_f32 v[60:61], v[0:1], v[60:61]
	s_mov_b64 vcc, s[6:7]
	v_min3_f32 v91, v60, v61, v148
	v_pk_add_f32 v[60:61], v[32:33], v[56:57]
	s_nop 0
	v_min3_f32 v148, v60, v61, v149
	v_pk_add_f32 v[60:61], v[2:3], v[62:63]
	s_nop 0
	v_min_f32_e32 v62, v60, v61
	v_pk_add_f32 v[60:61], v[34:35], v[58:59]
	v_min3_f32 v62, v90, v62, v91
	v_min3_f32 v148, v60, v61, v148
	v_lshl_add_u64 v[60:61], v[76:77], 2, v[88:89]
	global_store_dword v[60:61], v62, off
	v_add_u32_e32 v62, 32, v141
	v_mad_i64_i32 v[60:61], s[2:3], v62, s5, 0
	v_lshl_add_u64 v[60:61], v[60:61], 2, s[0:1]
	v_mad_i64_i32 v[62:63], s[2:3], v62, s4, 0
	v_max_f32_e32 v88, v148, v148
	s_cbranch_vccz .LBB23_66
; %bb.64:
	v_min_f32_e32 v89, 0, v88
	v_lshl_add_u64 v[90:91], v[68:69], 2, v[60:61]
	s_mov_b32 s10, 0
	global_store_dword v[90:91], v89, off
	v_lshl_add_u64 v[62:63], v[62:63], 2, s[8:9]
	s_cbranch_execz .LBB23_67
; %bb.65:
	v_mov_b32_e32 v88, s10
	s_branch .LBB23_68
.LBB23_66:
                                        ; implicit-def: $sgpr10
	v_lshl_add_u64 v[62:63], v[62:63], 2, s[8:9]
.LBB23_67:
	v_lshl_add_u64 v[90:91], v[62:63], 0, v[72:73]
	flat_load_dword v89, v[90:91]
	v_lshl_add_u64 v[90:91], v[60:61], 0, v[72:73]
	s_waitcnt vmcnt(0) lgkmcnt(0)
	v_mul_f32_e32 v89, s22, v89
	v_min_f32_e32 v88, v89, v88
	global_store_dword v[90:91], v88, off
	v_lshl_add_u64 v[88:89], v[64:65], 2, v[62:63]
	flat_load_dword v88, v[88:89]
	s_waitcnt vmcnt(0) lgkmcnt(0)
	v_mul_f32_e32 v88, s22, v88
.LBB23_68:
	v_pk_add_f32 v[90:91], v[28:29], v[56:57]
	s_mov_b64 vcc, s[6:7]
	v_min3_f32 v89, v90, v91, v146
	v_pk_add_f32 v[90:91], v[24:25], v[56:57]
	s_nop 0
	v_min3_f32 v146, v90, v91, v147
	v_pk_add_f32 v[90:91], v[30:31], v[58:59]
	s_nop 0
	v_min_f32_e32 v147, v90, v91
	v_pk_add_f32 v[90:91], v[26:27], v[58:59]
	s_nop 0
	v_min3_f32 v90, v90, v91, v146
	v_min3_f32 v91, v88, v147, v89
	v_lshl_add_u64 v[88:89], v[64:65], 2, v[60:61]
	global_store_dword v[88:89], v91, off
	v_max_f32_e32 v88, v90, v90
	s_cbranch_vccz .LBB23_71
; %bb.69:
	v_min_f32_e32 v89, 0, v88
	v_lshl_add_u64 v[90:91], v[74:75], 2, v[60:61]
	s_mov_b32 s10, 0
	global_store_dword v[90:91], v89, off
	s_cbranch_execz .LBB23_72
; %bb.70:
	v_mov_b32_e32 v88, s10
	s_branch .LBB23_73
.LBB23_71:
                                        ; implicit-def: $sgpr10
.LBB23_72:
	v_lshl_add_u64 v[90:91], v[62:63], 0, v[78:79]
	flat_load_dword v89, v[90:91]
	v_lshl_add_u64 v[90:91], v[60:61], 0, v[78:79]
	s_waitcnt vmcnt(0) lgkmcnt(0)
	v_mul_f32_e32 v89, s22, v89
	v_min_f32_e32 v88, v89, v88
	global_store_dword v[90:91], v88, off
	v_lshl_add_u64 v[88:89], v[66:67], 2, v[62:63]
	flat_load_dword v88, v[88:89]
	s_waitcnt vmcnt(0) lgkmcnt(0)
	v_mul_f32_e32 v88, s22, v88
.LBB23_73:
	v_pk_add_f32 v[90:91], v[20:21], v[56:57]
	s_mov_b64 vcc, s[6:7]
	v_min3_f32 v89, v90, v91, v144
	v_pk_add_f32 v[90:91], v[16:17], v[56:57]
	s_nop 0
	v_min3_f32 v144, v90, v91, v145
	v_pk_add_f32 v[90:91], v[22:23], v[58:59]
	s_nop 0
	v_min_f32_e32 v145, v90, v91
	v_pk_add_f32 v[90:91], v[18:19], v[58:59]
	s_nop 0
	v_min3_f32 v90, v90, v91, v144
	v_min3_f32 v91, v88, v145, v89
	v_lshl_add_u64 v[88:89], v[66:67], 2, v[60:61]
	global_store_dword v[88:89], v91, off
	v_max_f32_e32 v88, v90, v90
	s_cbranch_vccz .LBB23_76
; %bb.74:
	v_min_f32_e32 v89, 0, v88
	v_lshl_add_u64 v[90:91], v[80:81], 2, v[60:61]
	s_mov_b32 s10, 0
	global_store_dword v[90:91], v89, off
	s_cbranch_execz .LBB23_77
; %bb.75:
	v_mov_b32_e32 v88, s10
	s_branch .LBB23_78
.LBB23_76:
                                        ; implicit-def: $sgpr10
.LBB23_77:
	v_lshl_add_u64 v[90:91], v[62:63], 0, v[82:83]
	flat_load_dword v89, v[90:91]
	v_lshl_add_u64 v[90:91], v[60:61], 0, v[82:83]
	s_waitcnt vmcnt(0) lgkmcnt(0)
	v_mul_f32_e32 v89, s22, v89
	v_min_f32_e32 v88, v89, v88
	global_store_dword v[90:91], v88, off
	v_lshl_add_u64 v[88:89], v[70:71], 2, v[62:63]
	flat_load_dword v88, v[88:89]
	s_waitcnt vmcnt(0) lgkmcnt(0)
	v_mul_f32_e32 v88, s22, v88
.LBB23_78:
	v_pk_add_f32 v[90:91], v[12:13], v[56:57]
	s_mov_b64 vcc, s[6:7]
	v_min3_f32 v89, v90, v91, v142
	v_pk_add_f32 v[90:91], v[8:9], v[56:57]
	s_nop 0
	v_min3_f32 v142, v90, v91, v143
	v_pk_add_f32 v[90:91], v[14:15], v[58:59]
	s_nop 0
	v_min_f32_e32 v143, v90, v91
	v_pk_add_f32 v[90:91], v[10:11], v[58:59]
	s_nop 0
	v_min3_f32 v90, v90, v91, v142
	v_min3_f32 v91, v88, v143, v89
	v_lshl_add_u64 v[88:89], v[70:71], 2, v[60:61]
	global_store_dword v[88:89], v91, off
	v_max_f32_e32 v88, v90, v90
	s_cbranch_vccz .LBB23_81
; %bb.79:
	v_min_f32_e32 v89, 0, v88
	v_lshl_add_u64 v[90:91], v[84:85], 2, v[60:61]
	s_mov_b32 s10, 0
	global_store_dword v[90:91], v89, off
	s_cbranch_execz .LBB23_82
; %bb.80:
	v_mov_b32_e32 v62, s10
	s_branch .LBB23_83
.LBB23_81:
                                        ; implicit-def: $sgpr10
.LBB23_82:
	v_lshl_add_u64 v[90:91], v[62:63], 0, v[86:87]
	flat_load_dword v89, v[90:91]
	v_lshl_add_u64 v[90:91], v[60:61], 0, v[86:87]
	v_lshl_add_u64 v[62:63], v[76:77], 2, v[62:63]
	s_waitcnt vmcnt(0) lgkmcnt(0)
	v_mul_f32_e32 v89, s22, v89
	v_min_f32_e32 v88, v89, v88
	global_store_dword v[90:91], v88, off
	flat_load_dword v62, v[62:63]
	s_waitcnt vmcnt(0) lgkmcnt(0)
	v_mul_f32_e32 v62, s22, v62
.LBB23_83:
	v_pk_add_f32 v[56:57], v[0:1], v[56:57]
	s_mov_b64 vcc, s[6:7]
	v_min3_f32 v63, v56, v57, v139
	v_pk_add_f32 v[56:57], v[32:33], v[52:53]
	s_nop 0
	v_min3_f32 v88, v56, v57, v140
	v_pk_add_f32 v[56:57], v[2:3], v[58:59]
	s_nop 0
	v_min_f32_e32 v58, v56, v57
	v_pk_add_f32 v[56:57], v[34:35], v[54:55]
	v_min3_f32 v58, v62, v58, v63
	v_min3_f32 v88, v56, v57, v88
	v_lshl_add_u64 v[56:57], v[76:77], 2, v[60:61]
	global_store_dword v[56:57], v58, off
	v_add_u32_e32 v58, 64, v141
	v_mad_i64_i32 v[56:57], s[2:3], v58, s5, 0
	v_lshl_add_u64 v[56:57], v[56:57], 2, s[0:1]
	v_mad_i64_i32 v[58:59], s[2:3], v58, s4, 0
	v_max_f32_e32 v60, v88, v88
	s_cbranch_vccz .LBB23_86
; %bb.84:
	v_min_f32_e32 v61, 0, v60
	v_lshl_add_u64 v[62:63], v[68:69], 2, v[56:57]
	s_mov_b32 s10, 0
	global_store_dword v[62:63], v61, off
	v_lshl_add_u64 v[58:59], v[58:59], 2, s[8:9]
	s_cbranch_execz .LBB23_87
; %bb.85:
	v_mov_b32_e32 v60, s10
	s_branch .LBB23_88
.LBB23_86:
                                        ; implicit-def: $sgpr10
	v_lshl_add_u64 v[58:59], v[58:59], 2, s[8:9]
.LBB23_87:
	v_lshl_add_u64 v[62:63], v[58:59], 0, v[72:73]
	flat_load_dword v61, v[62:63]
	v_lshl_add_u64 v[62:63], v[56:57], 0, v[72:73]
	s_waitcnt vmcnt(0) lgkmcnt(0)
	v_mul_f32_e32 v61, s22, v61
	v_min_f32_e32 v60, v61, v60
	global_store_dword v[62:63], v60, off
	v_lshl_add_u64 v[60:61], v[64:65], 2, v[58:59]
	flat_load_dword v60, v[60:61]
	s_waitcnt vmcnt(0) lgkmcnt(0)
	v_mul_f32_e32 v60, s22, v60
.LBB23_88:
	v_pk_add_f32 v[62:63], v[28:29], v[52:53]
	s_mov_b64 vcc, s[6:7]
	v_min3_f32 v61, v62, v63, v137
	v_pk_add_f32 v[62:63], v[24:25], v[52:53]
	s_nop 0
	v_min3_f32 v88, v62, v63, v138
	v_pk_add_f32 v[62:63], v[30:31], v[54:55]
	s_nop 0
	v_min_f32_e32 v89, v62, v63
	v_pk_add_f32 v[62:63], v[26:27], v[54:55]
	s_nop 0
	v_min3_f32 v62, v62, v63, v88
	v_min3_f32 v63, v60, v89, v61
	v_lshl_add_u64 v[60:61], v[64:65], 2, v[56:57]
	global_store_dword v[60:61], v63, off
	v_max_f32_e32 v60, v62, v62
	s_cbranch_vccz .LBB23_91
; %bb.89:
	v_min_f32_e32 v61, 0, v60
	v_lshl_add_u64 v[62:63], v[74:75], 2, v[56:57]
	s_mov_b32 s10, 0
	global_store_dword v[62:63], v61, off
	s_cbranch_execz .LBB23_92
; %bb.90:
	v_mov_b32_e32 v60, s10
	s_branch .LBB23_93
.LBB23_91:
                                        ; implicit-def: $sgpr10
.LBB23_92:
	v_lshl_add_u64 v[62:63], v[58:59], 0, v[78:79]
	flat_load_dword v61, v[62:63]
	v_lshl_add_u64 v[62:63], v[56:57], 0, v[78:79]
	s_waitcnt vmcnt(0) lgkmcnt(0)
	v_mul_f32_e32 v61, s22, v61
	v_min_f32_e32 v60, v61, v60
	global_store_dword v[62:63], v60, off
	v_lshl_add_u64 v[60:61], v[66:67], 2, v[58:59]
	flat_load_dword v60, v[60:61]
	s_waitcnt vmcnt(0) lgkmcnt(0)
	v_mul_f32_e32 v60, s22, v60
.LBB23_93:
	v_pk_add_f32 v[62:63], v[20:21], v[52:53]
	s_mov_b64 vcc, s[6:7]
	v_min3_f32 v61, v62, v63, v135
	v_pk_add_f32 v[62:63], v[16:17], v[52:53]
	s_nop 0
	v_min3_f32 v88, v62, v63, v136
	v_pk_add_f32 v[62:63], v[22:23], v[54:55]
	s_nop 0
	v_min_f32_e32 v89, v62, v63
	v_pk_add_f32 v[62:63], v[18:19], v[54:55]
	s_nop 0
	v_min3_f32 v62, v62, v63, v88
	v_min3_f32 v63, v60, v89, v61
	v_lshl_add_u64 v[60:61], v[66:67], 2, v[56:57]
	global_store_dword v[60:61], v63, off
	v_max_f32_e32 v60, v62, v62
	s_cbranch_vccz .LBB23_96
; %bb.94:
	v_min_f32_e32 v61, 0, v60
	v_lshl_add_u64 v[62:63], v[80:81], 2, v[56:57]
	s_mov_b32 s10, 0
	global_store_dword v[62:63], v61, off
	s_cbranch_execz .LBB23_97
; %bb.95:
	v_mov_b32_e32 v60, s10
	s_branch .LBB23_98
.LBB23_96:
                                        ; implicit-def: $sgpr10
.LBB23_97:
	v_lshl_add_u64 v[62:63], v[58:59], 0, v[82:83]
	flat_load_dword v61, v[62:63]
	v_lshl_add_u64 v[62:63], v[56:57], 0, v[82:83]
	s_waitcnt vmcnt(0) lgkmcnt(0)
	v_mul_f32_e32 v61, s22, v61
	v_min_f32_e32 v60, v61, v60
	global_store_dword v[62:63], v60, off
	v_lshl_add_u64 v[60:61], v[70:71], 2, v[58:59]
	flat_load_dword v60, v[60:61]
	s_waitcnt vmcnt(0) lgkmcnt(0)
	v_mul_f32_e32 v60, s22, v60
.LBB23_98:
	v_pk_add_f32 v[62:63], v[12:13], v[52:53]
	s_mov_b64 vcc, s[6:7]
	v_min3_f32 v61, v62, v63, v131
	v_pk_add_f32 v[62:63], v[8:9], v[52:53]
	s_nop 0
	v_min3_f32 v88, v62, v63, v132
	v_pk_add_f32 v[62:63], v[14:15], v[54:55]
	s_nop 0
	v_min_f32_e32 v89, v62, v63
	v_pk_add_f32 v[62:63], v[10:11], v[54:55]
	s_nop 0
	v_min3_f32 v62, v62, v63, v88
	v_min3_f32 v63, v60, v89, v61
	v_lshl_add_u64 v[60:61], v[70:71], 2, v[56:57]
	global_store_dword v[60:61], v63, off
	v_max_f32_e32 v60, v62, v62
	s_cbranch_vccz .LBB23_101
; %bb.99:
	v_min_f32_e32 v61, 0, v60
	v_lshl_add_u64 v[62:63], v[84:85], 2, v[56:57]
	s_mov_b32 s10, 0
	global_store_dword v[62:63], v61, off
	s_cbranch_execz .LBB23_102
; %bb.100:
	v_mov_b32_e32 v58, s10
	s_branch .LBB23_103
.LBB23_101:
                                        ; implicit-def: $sgpr10
.LBB23_102:
	v_lshl_add_u64 v[62:63], v[58:59], 0, v[86:87]
	flat_load_dword v61, v[62:63]
	v_lshl_add_u64 v[62:63], v[56:57], 0, v[86:87]
	v_lshl_add_u64 v[58:59], v[76:77], 2, v[58:59]
	s_waitcnt vmcnt(0) lgkmcnt(0)
	v_mul_f32_e32 v61, s22, v61
	v_min_f32_e32 v60, v61, v60
	global_store_dword v[62:63], v60, off
	flat_load_dword v58, v[58:59]
	s_waitcnt vmcnt(0) lgkmcnt(0)
	v_mul_f32_e32 v58, s22, v58
.LBB23_103:
	v_pk_add_f32 v[52:53], v[0:1], v[52:53]
	s_mov_b64 vcc, s[6:7]
	v_min3_f32 v59, v52, v53, v134
	v_pk_add_f32 v[52:53], v[32:33], v[48:49]
	s_nop 0
	v_min3_f32 v60, v52, v53, v133
	v_pk_add_f32 v[52:53], v[2:3], v[54:55]
	s_nop 0
	v_min_f32_e32 v54, v52, v53
	v_pk_add_f32 v[52:53], v[34:35], v[50:51]
	v_min3_f32 v54, v58, v54, v59
	v_min3_f32 v60, v52, v53, v60
	v_lshl_add_u64 v[52:53], v[76:77], 2, v[56:57]
	global_store_dword v[52:53], v54, off
	v_add_u32_e32 v54, 0x60, v141
	v_mad_i64_i32 v[52:53], s[2:3], v54, s5, 0
	v_lshl_add_u64 v[52:53], v[52:53], 2, s[0:1]
	v_mad_i64_i32 v[54:55], s[2:3], v54, s4, 0
	v_max_f32_e32 v56, v60, v60
	s_cbranch_vccz .LBB23_106
; %bb.104:
	v_min_f32_e32 v57, 0, v56
	v_lshl_add_u64 v[58:59], v[68:69], 2, v[52:53]
	s_mov_b32 s10, 0
	global_store_dword v[58:59], v57, off
	v_lshl_add_u64 v[54:55], v[54:55], 2, s[8:9]
	s_cbranch_execz .LBB23_107
; %bb.105:
	v_mov_b32_e32 v56, s10
	s_branch .LBB23_108
.LBB23_106:
                                        ; implicit-def: $sgpr10
	v_lshl_add_u64 v[54:55], v[54:55], 2, s[8:9]
.LBB23_107:
	v_lshl_add_u64 v[58:59], v[54:55], 0, v[72:73]
	flat_load_dword v57, v[58:59]
	v_lshl_add_u64 v[58:59], v[52:53], 0, v[72:73]
	s_waitcnt vmcnt(0) lgkmcnt(0)
	v_mul_f32_e32 v57, s22, v57
	v_min_f32_e32 v56, v57, v56
	global_store_dword v[58:59], v56, off
	v_lshl_add_u64 v[56:57], v[64:65], 2, v[54:55]
	flat_load_dword v56, v[56:57]
	s_waitcnt vmcnt(0) lgkmcnt(0)
	v_mul_f32_e32 v56, s22, v56
.LBB23_108:
	v_pk_add_f32 v[58:59], v[28:29], v[48:49]
	s_mov_b64 vcc, s[6:7]
	v_min3_f32 v57, v58, v59, v130
	v_pk_add_f32 v[58:59], v[24:25], v[48:49]
	s_nop 0
	v_min3_f32 v60, v58, v59, v129
	v_pk_add_f32 v[58:59], v[30:31], v[50:51]
	s_nop 0
	v_min_f32_e32 v61, v58, v59
	v_pk_add_f32 v[58:59], v[26:27], v[50:51]
	s_nop 0
	v_min3_f32 v58, v58, v59, v60
	v_min3_f32 v59, v56, v61, v57
	v_lshl_add_u64 v[56:57], v[64:65], 2, v[52:53]
	global_store_dword v[56:57], v59, off
	v_max_f32_e32 v56, v58, v58
	s_cbranch_vccz .LBB23_111
; %bb.109:
	v_min_f32_e32 v57, 0, v56
	v_lshl_add_u64 v[58:59], v[74:75], 2, v[52:53]
	s_mov_b32 s10, 0
	global_store_dword v[58:59], v57, off
	s_cbranch_execz .LBB23_112
; %bb.110:
	v_mov_b32_e32 v56, s10
	s_branch .LBB23_113
.LBB23_111:
                                        ; implicit-def: $sgpr10
.LBB23_112:
	v_lshl_add_u64 v[58:59], v[54:55], 0, v[78:79]
	flat_load_dword v57, v[58:59]
	v_lshl_add_u64 v[58:59], v[52:53], 0, v[78:79]
	s_waitcnt vmcnt(0) lgkmcnt(0)
	v_mul_f32_e32 v57, s22, v57
	v_min_f32_e32 v56, v57, v56
	global_store_dword v[58:59], v56, off
	v_lshl_add_u64 v[56:57], v[66:67], 2, v[54:55]
	flat_load_dword v56, v[56:57]
	s_waitcnt vmcnt(0) lgkmcnt(0)
	v_mul_f32_e32 v56, s22, v56
.LBB23_113:
	v_pk_add_f32 v[58:59], v[20:21], v[48:49]
	s_mov_b64 vcc, s[6:7]
	v_min3_f32 v57, v58, v59, v128
	v_pk_add_f32 v[58:59], v[16:17], v[48:49]
	s_nop 0
	v_min3_f32 v60, v58, v59, v127
	v_pk_add_f32 v[58:59], v[22:23], v[50:51]
	s_nop 0
	v_min_f32_e32 v61, v58, v59
	v_pk_add_f32 v[58:59], v[18:19], v[50:51]
	s_nop 0
	v_min3_f32 v58, v58, v59, v60
	v_min3_f32 v59, v56, v61, v57
	v_lshl_add_u64 v[56:57], v[66:67], 2, v[52:53]
	global_store_dword v[56:57], v59, off
	v_max_f32_e32 v56, v58, v58
	s_cbranch_vccz .LBB23_116
; %bb.114:
	v_min_f32_e32 v57, 0, v56
	v_lshl_add_u64 v[58:59], v[80:81], 2, v[52:53]
	s_mov_b32 s10, 0
	global_store_dword v[58:59], v57, off
	s_cbranch_execz .LBB23_117
; %bb.115:
	v_mov_b32_e32 v56, s10
	s_branch .LBB23_118
.LBB23_116:
                                        ; implicit-def: $sgpr10
.LBB23_117:
	v_lshl_add_u64 v[58:59], v[54:55], 0, v[82:83]
	flat_load_dword v57, v[58:59]
	v_lshl_add_u64 v[58:59], v[52:53], 0, v[82:83]
	s_waitcnt vmcnt(0) lgkmcnt(0)
	v_mul_f32_e32 v57, s22, v57
	v_min_f32_e32 v56, v57, v56
	global_store_dword v[58:59], v56, off
	v_lshl_add_u64 v[56:57], v[70:71], 2, v[54:55]
	flat_load_dword v56, v[56:57]
	s_waitcnt vmcnt(0) lgkmcnt(0)
	v_mul_f32_e32 v56, s22, v56
.LBB23_118:
	v_pk_add_f32 v[58:59], v[12:13], v[48:49]
	s_mov_b64 vcc, s[6:7]
	v_min3_f32 v57, v58, v59, v126
	v_pk_add_f32 v[58:59], v[8:9], v[48:49]
	s_nop 0
	v_min3_f32 v60, v58, v59, v125
	v_pk_add_f32 v[58:59], v[14:15], v[50:51]
	s_nop 0
	v_min_f32_e32 v61, v58, v59
	v_pk_add_f32 v[58:59], v[10:11], v[50:51]
	s_nop 0
	v_min3_f32 v58, v58, v59, v60
	v_min3_f32 v59, v56, v61, v57
	v_lshl_add_u64 v[56:57], v[70:71], 2, v[52:53]
	global_store_dword v[56:57], v59, off
	v_max_f32_e32 v56, v58, v58
	s_cbranch_vccz .LBB23_121
; %bb.119:
	v_min_f32_e32 v57, 0, v56
	v_lshl_add_u64 v[58:59], v[84:85], 2, v[52:53]
	s_mov_b32 s10, 0
	global_store_dword v[58:59], v57, off
	s_cbranch_execz .LBB23_122
; %bb.120:
	v_mov_b32_e32 v54, s10
	s_branch .LBB23_123
.LBB23_121:
                                        ; implicit-def: $sgpr10
.LBB23_122:
	v_lshl_add_u64 v[58:59], v[54:55], 0, v[86:87]
	flat_load_dword v57, v[58:59]
	v_lshl_add_u64 v[58:59], v[52:53], 0, v[86:87]
	v_lshl_add_u64 v[54:55], v[76:77], 2, v[54:55]
	s_waitcnt vmcnt(0) lgkmcnt(0)
	v_mul_f32_e32 v57, s22, v57
	v_min_f32_e32 v56, v57, v56
	global_store_dword v[58:59], v56, off
	flat_load_dword v54, v[54:55]
	s_waitcnt vmcnt(0) lgkmcnt(0)
	v_mul_f32_e32 v54, s22, v54
.LBB23_123:
	v_pk_add_f32 v[48:49], v[0:1], v[48:49]
	s_mov_b64 vcc, s[6:7]
	v_min3_f32 v55, v48, v49, v124
	v_pk_add_f32 v[48:49], v[32:33], v[44:45]
	s_nop 0
	v_min3_f32 v56, v48, v49, v123
	v_pk_add_f32 v[48:49], v[2:3], v[50:51]
	s_nop 0
	v_min_f32_e32 v50, v48, v49
	v_pk_add_f32 v[48:49], v[34:35], v[46:47]
	v_min3_f32 v50, v54, v50, v55
	v_min3_f32 v56, v48, v49, v56
	v_lshl_add_u64 v[48:49], v[76:77], 2, v[52:53]
	global_store_dword v[48:49], v50, off
	v_add_u32_e32 v50, 0x80, v141
	v_mad_i64_i32 v[48:49], s[2:3], v50, s5, 0
	v_lshl_add_u64 v[48:49], v[48:49], 2, s[0:1]
	v_mad_i64_i32 v[50:51], s[2:3], v50, s4, 0
	v_max_f32_e32 v52, v56, v56
	s_cbranch_vccz .LBB23_126
; %bb.124:
	v_min_f32_e32 v53, 0, v52
	v_lshl_add_u64 v[54:55], v[68:69], 2, v[48:49]
	s_mov_b32 s10, 0
	global_store_dword v[54:55], v53, off
	v_lshl_add_u64 v[50:51], v[50:51], 2, s[8:9]
	s_cbranch_execz .LBB23_127
; %bb.125:
	v_mov_b32_e32 v52, s10
	s_branch .LBB23_128
.LBB23_126:
                                        ; implicit-def: $sgpr10
	v_lshl_add_u64 v[50:51], v[50:51], 2, s[8:9]
.LBB23_127:
	v_lshl_add_u64 v[54:55], v[50:51], 0, v[72:73]
	flat_load_dword v53, v[54:55]
	v_lshl_add_u64 v[54:55], v[48:49], 0, v[72:73]
	s_waitcnt vmcnt(0) lgkmcnt(0)
	v_mul_f32_e32 v53, s22, v53
	v_min_f32_e32 v52, v53, v52
	global_store_dword v[54:55], v52, off
	v_lshl_add_u64 v[52:53], v[64:65], 2, v[50:51]
	flat_load_dword v52, v[52:53]
	s_waitcnt vmcnt(0) lgkmcnt(0)
	v_mul_f32_e32 v52, s22, v52
.LBB23_128:
	v_pk_add_f32 v[54:55], v[28:29], v[44:45]
	s_mov_b64 vcc, s[6:7]
	v_min3_f32 v53, v54, v55, v122
	v_pk_add_f32 v[54:55], v[24:25], v[44:45]
	s_nop 0
	v_min3_f32 v56, v54, v55, v121
	v_pk_add_f32 v[54:55], v[30:31], v[46:47]
	s_nop 0
	v_min_f32_e32 v57, v54, v55
	v_pk_add_f32 v[54:55], v[26:27], v[46:47]
	s_nop 0
	v_min3_f32 v54, v54, v55, v56
	v_min3_f32 v55, v52, v57, v53
	v_lshl_add_u64 v[52:53], v[64:65], 2, v[48:49]
	global_store_dword v[52:53], v55, off
	v_max_f32_e32 v52, v54, v54
	s_cbranch_vccz .LBB23_131
; %bb.129:
	v_min_f32_e32 v53, 0, v52
	v_lshl_add_u64 v[54:55], v[74:75], 2, v[48:49]
	s_mov_b32 s10, 0
	global_store_dword v[54:55], v53, off
	s_cbranch_execz .LBB23_132
; %bb.130:
	v_mov_b32_e32 v52, s10
	s_branch .LBB23_133
.LBB23_131:
                                        ; implicit-def: $sgpr10
.LBB23_132:
	v_lshl_add_u64 v[54:55], v[50:51], 0, v[78:79]
	flat_load_dword v53, v[54:55]
	v_lshl_add_u64 v[54:55], v[48:49], 0, v[78:79]
	s_waitcnt vmcnt(0) lgkmcnt(0)
	v_mul_f32_e32 v53, s22, v53
	v_min_f32_e32 v52, v53, v52
	global_store_dword v[54:55], v52, off
	v_lshl_add_u64 v[52:53], v[66:67], 2, v[50:51]
	flat_load_dword v52, v[52:53]
	s_waitcnt vmcnt(0) lgkmcnt(0)
	v_mul_f32_e32 v52, s22, v52
.LBB23_133:
	v_pk_add_f32 v[54:55], v[20:21], v[44:45]
	s_mov_b64 vcc, s[6:7]
	v_min3_f32 v53, v54, v55, v120
	v_pk_add_f32 v[54:55], v[16:17], v[44:45]
	s_nop 0
	v_min3_f32 v56, v54, v55, v119
	v_pk_add_f32 v[54:55], v[22:23], v[46:47]
	s_nop 0
	v_min_f32_e32 v57, v54, v55
	v_pk_add_f32 v[54:55], v[18:19], v[46:47]
	s_nop 0
	v_min3_f32 v54, v54, v55, v56
	v_min3_f32 v55, v52, v57, v53
	v_lshl_add_u64 v[52:53], v[66:67], 2, v[48:49]
	global_store_dword v[52:53], v55, off
	v_max_f32_e32 v52, v54, v54
	s_cbranch_vccz .LBB23_136
; %bb.134:
	v_min_f32_e32 v53, 0, v52
	v_lshl_add_u64 v[54:55], v[80:81], 2, v[48:49]
	s_mov_b32 s10, 0
	global_store_dword v[54:55], v53, off
	s_cbranch_execz .LBB23_137
; %bb.135:
	v_mov_b32_e32 v52, s10
	s_branch .LBB23_138
.LBB23_136:
                                        ; implicit-def: $sgpr10
.LBB23_137:
	v_lshl_add_u64 v[54:55], v[50:51], 0, v[82:83]
	flat_load_dword v53, v[54:55]
	v_lshl_add_u64 v[54:55], v[48:49], 0, v[82:83]
	s_waitcnt vmcnt(0) lgkmcnt(0)
	v_mul_f32_e32 v53, s22, v53
	v_min_f32_e32 v52, v53, v52
	global_store_dword v[54:55], v52, off
	v_lshl_add_u64 v[52:53], v[70:71], 2, v[50:51]
	flat_load_dword v52, v[52:53]
	s_waitcnt vmcnt(0) lgkmcnt(0)
	v_mul_f32_e32 v52, s22, v52
.LBB23_138:
	v_pk_add_f32 v[54:55], v[12:13], v[44:45]
	s_mov_b64 vcc, s[6:7]
	v_min3_f32 v53, v54, v55, v118
	v_pk_add_f32 v[54:55], v[8:9], v[44:45]
	s_nop 0
	v_min3_f32 v56, v54, v55, v117
	v_pk_add_f32 v[54:55], v[14:15], v[46:47]
	s_nop 0
	v_min_f32_e32 v57, v54, v55
	v_pk_add_f32 v[54:55], v[10:11], v[46:47]
	s_nop 0
	v_min3_f32 v54, v54, v55, v56
	v_min3_f32 v55, v52, v57, v53
	v_lshl_add_u64 v[52:53], v[70:71], 2, v[48:49]
	global_store_dword v[52:53], v55, off
	v_max_f32_e32 v52, v54, v54
	s_cbranch_vccz .LBB23_141
; %bb.139:
	v_min_f32_e32 v53, 0, v52
	v_lshl_add_u64 v[54:55], v[84:85], 2, v[48:49]
	s_mov_b32 s10, 0
	global_store_dword v[54:55], v53, off
	s_cbranch_execz .LBB23_142
; %bb.140:
	v_mov_b32_e32 v50, s10
	s_branch .LBB23_143
.LBB23_141:
                                        ; implicit-def: $sgpr10
.LBB23_142:
	v_lshl_add_u64 v[54:55], v[50:51], 0, v[86:87]
	flat_load_dword v53, v[54:55]
	v_lshl_add_u64 v[54:55], v[48:49], 0, v[86:87]
	v_lshl_add_u64 v[50:51], v[76:77], 2, v[50:51]
	s_waitcnt vmcnt(0) lgkmcnt(0)
	v_mul_f32_e32 v53, s22, v53
	v_min_f32_e32 v52, v53, v52
	global_store_dword v[54:55], v52, off
	flat_load_dword v50, v[50:51]
	s_waitcnt vmcnt(0) lgkmcnt(0)
	v_mul_f32_e32 v50, s22, v50
.LBB23_143:
	v_pk_add_f32 v[44:45], v[0:1], v[44:45]
	s_mov_b64 vcc, s[6:7]
	v_min3_f32 v51, v44, v45, v115
	v_pk_add_f32 v[44:45], v[32:33], v[40:41]
	s_nop 0
	v_min3_f32 v52, v44, v45, v116
	v_pk_add_f32 v[44:45], v[2:3], v[46:47]
	s_nop 0
	v_min_f32_e32 v46, v44, v45
	v_pk_add_f32 v[44:45], v[34:35], v[42:43]
	v_min3_f32 v46, v50, v46, v51
	v_min3_f32 v52, v44, v45, v52
	v_lshl_add_u64 v[44:45], v[76:77], 2, v[48:49]
	global_store_dword v[44:45], v46, off
	v_add_u32_e32 v46, 0xa0, v141
	v_mad_i64_i32 v[44:45], s[2:3], v46, s5, 0
	v_lshl_add_u64 v[44:45], v[44:45], 2, s[0:1]
	v_mad_i64_i32 v[46:47], s[2:3], v46, s4, 0
	v_max_f32_e32 v48, v52, v52
	s_cbranch_vccz .LBB23_146
; %bb.144:
	v_min_f32_e32 v49, 0, v48
	v_lshl_add_u64 v[50:51], v[68:69], 2, v[44:45]
	s_mov_b32 s10, 0
	global_store_dword v[50:51], v49, off
	v_lshl_add_u64 v[46:47], v[46:47], 2, s[8:9]
	s_cbranch_execz .LBB23_147
; %bb.145:
	v_mov_b32_e32 v48, s10
	s_branch .LBB23_148
.LBB23_146:
                                        ; implicit-def: $sgpr10
	v_lshl_add_u64 v[46:47], v[46:47], 2, s[8:9]
.LBB23_147:
	v_lshl_add_u64 v[50:51], v[46:47], 0, v[72:73]
	flat_load_dword v49, v[50:51]
	v_lshl_add_u64 v[50:51], v[44:45], 0, v[72:73]
	s_waitcnt vmcnt(0) lgkmcnt(0)
	v_mul_f32_e32 v49, s22, v49
	v_min_f32_e32 v48, v49, v48
	global_store_dword v[50:51], v48, off
	v_lshl_add_u64 v[48:49], v[64:65], 2, v[46:47]
	flat_load_dword v48, v[48:49]
	s_waitcnt vmcnt(0) lgkmcnt(0)
	v_mul_f32_e32 v48, s22, v48
.LBB23_148:
	v_pk_add_f32 v[50:51], v[28:29], v[40:41]
	s_mov_b64 vcc, s[6:7]
	v_min3_f32 v49, v50, v51, v113
	v_pk_add_f32 v[50:51], v[24:25], v[40:41]
	s_nop 0
	v_min3_f32 v52, v50, v51, v114
	v_pk_add_f32 v[50:51], v[30:31], v[42:43]
	s_nop 0
	v_min_f32_e32 v53, v50, v51
	v_pk_add_f32 v[50:51], v[26:27], v[42:43]
	s_nop 0
	v_min3_f32 v50, v50, v51, v52
	v_min3_f32 v51, v48, v53, v49
	v_lshl_add_u64 v[48:49], v[64:65], 2, v[44:45]
	global_store_dword v[48:49], v51, off
	v_max_f32_e32 v48, v50, v50
	s_cbranch_vccz .LBB23_151
; %bb.149:
	v_min_f32_e32 v49, 0, v48
	v_lshl_add_u64 v[50:51], v[74:75], 2, v[44:45]
	s_mov_b32 s10, 0
	global_store_dword v[50:51], v49, off
	s_cbranch_execz .LBB23_152
; %bb.150:
	v_mov_b32_e32 v48, s10
	s_branch .LBB23_153
.LBB23_151:
                                        ; implicit-def: $sgpr10
.LBB23_152:
	v_lshl_add_u64 v[50:51], v[46:47], 0, v[78:79]
	flat_load_dword v49, v[50:51]
	v_lshl_add_u64 v[50:51], v[44:45], 0, v[78:79]
	s_waitcnt vmcnt(0) lgkmcnt(0)
	v_mul_f32_e32 v49, s22, v49
	v_min_f32_e32 v48, v49, v48
	global_store_dword v[50:51], v48, off
	v_lshl_add_u64 v[48:49], v[66:67], 2, v[46:47]
	flat_load_dword v48, v[48:49]
	s_waitcnt vmcnt(0) lgkmcnt(0)
	v_mul_f32_e32 v48, s22, v48
.LBB23_153:
	v_pk_add_f32 v[50:51], v[20:21], v[40:41]
	s_mov_b64 vcc, s[6:7]
	v_min3_f32 v49, v50, v51, v111
	v_pk_add_f32 v[50:51], v[16:17], v[40:41]
	s_nop 0
	v_min3_f32 v52, v50, v51, v112
	v_pk_add_f32 v[50:51], v[22:23], v[42:43]
	s_nop 0
	v_min_f32_e32 v53, v50, v51
	v_pk_add_f32 v[50:51], v[18:19], v[42:43]
	s_nop 0
	v_min3_f32 v50, v50, v51, v52
	v_min3_f32 v51, v48, v53, v49
	v_lshl_add_u64 v[48:49], v[66:67], 2, v[44:45]
	global_store_dword v[48:49], v51, off
	v_max_f32_e32 v48, v50, v50
	s_cbranch_vccz .LBB23_156
; %bb.154:
	v_min_f32_e32 v49, 0, v48
	v_lshl_add_u64 v[50:51], v[80:81], 2, v[44:45]
	s_mov_b32 s10, 0
	global_store_dword v[50:51], v49, off
	s_cbranch_execz .LBB23_157
; %bb.155:
	v_mov_b32_e32 v48, s10
	s_branch .LBB23_158
.LBB23_156:
                                        ; implicit-def: $sgpr10
.LBB23_157:
	v_lshl_add_u64 v[50:51], v[46:47], 0, v[82:83]
	flat_load_dword v49, v[50:51]
	v_lshl_add_u64 v[50:51], v[44:45], 0, v[82:83]
	s_waitcnt vmcnt(0) lgkmcnt(0)
	v_mul_f32_e32 v49, s22, v49
	v_min_f32_e32 v48, v49, v48
	global_store_dword v[50:51], v48, off
	v_lshl_add_u64 v[48:49], v[70:71], 2, v[46:47]
	flat_load_dword v48, v[48:49]
	s_waitcnt vmcnt(0) lgkmcnt(0)
	v_mul_f32_e32 v48, s22, v48
.LBB23_158:
	v_pk_add_f32 v[50:51], v[12:13], v[40:41]
	s_mov_b64 vcc, s[6:7]
	v_min3_f32 v49, v50, v51, v109
	v_pk_add_f32 v[50:51], v[8:9], v[40:41]
	s_nop 0
	v_min3_f32 v52, v50, v51, v110
	v_pk_add_f32 v[50:51], v[14:15], v[42:43]
	s_nop 0
	v_min_f32_e32 v53, v50, v51
	v_pk_add_f32 v[50:51], v[10:11], v[42:43]
	s_nop 0
	v_min3_f32 v50, v50, v51, v52
	v_min3_f32 v51, v48, v53, v49
	v_lshl_add_u64 v[48:49], v[70:71], 2, v[44:45]
	global_store_dword v[48:49], v51, off
	v_max_f32_e32 v48, v50, v50
	s_cbranch_vccz .LBB23_161
; %bb.159:
	v_min_f32_e32 v49, 0, v48
	v_lshl_add_u64 v[50:51], v[84:85], 2, v[44:45]
	s_mov_b32 s10, 0
	global_store_dword v[50:51], v49, off
	s_cbranch_execz .LBB23_162
; %bb.160:
	v_mov_b32_e32 v46, s10
	s_branch .LBB23_163
.LBB23_161:
                                        ; implicit-def: $sgpr10
.LBB23_162:
	v_lshl_add_u64 v[50:51], v[46:47], 0, v[86:87]
	flat_load_dword v49, v[50:51]
	v_lshl_add_u64 v[50:51], v[44:45], 0, v[86:87]
	v_lshl_add_u64 v[46:47], v[76:77], 2, v[46:47]
	s_waitcnt vmcnt(0) lgkmcnt(0)
	v_mul_f32_e32 v49, s22, v49
	v_min_f32_e32 v48, v49, v48
	global_store_dword v[50:51], v48, off
	flat_load_dword v46, v[46:47]
	s_waitcnt vmcnt(0) lgkmcnt(0)
	v_mul_f32_e32 v46, s22, v46
.LBB23_163:
	v_pk_add_f32 v[40:41], v[0:1], v[40:41]
	s_mov_b64 vcc, s[6:7]
	v_min3_f32 v47, v40, v41, v107
	v_pk_add_f32 v[40:41], v[32:33], v[36:37]
	s_nop 0
	v_min3_f32 v48, v40, v41, v108
	v_pk_add_f32 v[40:41], v[2:3], v[42:43]
	s_nop 0
	v_min_f32_e32 v42, v40, v41
	v_pk_add_f32 v[40:41], v[34:35], v[38:39]
	v_min3_f32 v42, v46, v42, v47
	v_min3_f32 v48, v40, v41, v48
	v_lshl_add_u64 v[40:41], v[76:77], 2, v[44:45]
	global_store_dword v[40:41], v42, off
	v_add_u32_e32 v42, 0xc0, v141
	v_mad_i64_i32 v[40:41], s[2:3], v42, s5, 0
	v_lshl_add_u64 v[40:41], v[40:41], 2, s[0:1]
	v_mad_i64_i32 v[42:43], s[2:3], v42, s4, 0
	v_max_f32_e32 v44, v48, v48
	s_cbranch_vccz .LBB23_166
; %bb.164:
	v_min_f32_e32 v45, 0, v44
	v_lshl_add_u64 v[46:47], v[68:69], 2, v[40:41]
	s_mov_b32 s10, 0
	global_store_dword v[46:47], v45, off
	v_lshl_add_u64 v[42:43], v[42:43], 2, s[8:9]
	s_cbranch_execz .LBB23_167
; %bb.165:
	v_mov_b32_e32 v44, s10
	s_branch .LBB23_168
.LBB23_166:
                                        ; implicit-def: $sgpr10
	v_lshl_add_u64 v[42:43], v[42:43], 2, s[8:9]
.LBB23_167:
	v_lshl_add_u64 v[46:47], v[42:43], 0, v[72:73]
	flat_load_dword v45, v[46:47]
	v_lshl_add_u64 v[46:47], v[40:41], 0, v[72:73]
	s_waitcnt vmcnt(0) lgkmcnt(0)
	v_mul_f32_e32 v45, s22, v45
	v_min_f32_e32 v44, v45, v44
	global_store_dword v[46:47], v44, off
	v_lshl_add_u64 v[44:45], v[64:65], 2, v[42:43]
	flat_load_dword v44, v[44:45]
	s_waitcnt vmcnt(0) lgkmcnt(0)
	v_mul_f32_e32 v44, s22, v44
.LBB23_168:
	v_pk_add_f32 v[46:47], v[28:29], v[36:37]
	s_mov_b64 vcc, s[6:7]
	v_min3_f32 v45, v46, v47, v105
	v_pk_add_f32 v[46:47], v[24:25], v[36:37]
	s_nop 0
	v_min3_f32 v48, v46, v47, v106
	v_pk_add_f32 v[46:47], v[30:31], v[38:39]
	s_nop 0
	v_min_f32_e32 v49, v46, v47
	v_pk_add_f32 v[46:47], v[26:27], v[38:39]
	s_nop 0
	v_min3_f32 v46, v46, v47, v48
	v_min3_f32 v47, v44, v49, v45
	v_lshl_add_u64 v[44:45], v[64:65], 2, v[40:41]
	global_store_dword v[44:45], v47, off
	v_max_f32_e32 v44, v46, v46
	s_cbranch_vccz .LBB23_171
; %bb.169:
	v_min_f32_e32 v45, 0, v44
	v_lshl_add_u64 v[46:47], v[74:75], 2, v[40:41]
	s_mov_b32 s10, 0
	global_store_dword v[46:47], v45, off
	s_cbranch_execz .LBB23_172
; %bb.170:
	v_mov_b32_e32 v44, s10
	s_branch .LBB23_173
.LBB23_171:
                                        ; implicit-def: $sgpr10
.LBB23_172:
	v_lshl_add_u64 v[46:47], v[42:43], 0, v[78:79]
	flat_load_dword v45, v[46:47]
	v_lshl_add_u64 v[46:47], v[40:41], 0, v[78:79]
	s_waitcnt vmcnt(0) lgkmcnt(0)
	v_mul_f32_e32 v45, s22, v45
	v_min_f32_e32 v44, v45, v44
	global_store_dword v[46:47], v44, off
	v_lshl_add_u64 v[44:45], v[66:67], 2, v[42:43]
	flat_load_dword v44, v[44:45]
	s_waitcnt vmcnt(0) lgkmcnt(0)
	v_mul_f32_e32 v44, s22, v44
.LBB23_173:
	v_pk_add_f32 v[46:47], v[20:21], v[36:37]
	s_mov_b64 vcc, s[6:7]
	v_min3_f32 v45, v46, v47, v103
	v_pk_add_f32 v[46:47], v[16:17], v[36:37]
	s_nop 0
	v_min3_f32 v48, v46, v47, v104
	v_pk_add_f32 v[46:47], v[22:23], v[38:39]
	s_nop 0
	v_min_f32_e32 v49, v46, v47
	v_pk_add_f32 v[46:47], v[18:19], v[38:39]
	s_nop 0
	v_min3_f32 v46, v46, v47, v48
	v_min3_f32 v47, v44, v49, v45
	v_lshl_add_u64 v[44:45], v[66:67], 2, v[40:41]
	global_store_dword v[44:45], v47, off
	v_max_f32_e32 v44, v46, v46
	s_cbranch_vccz .LBB23_176
; %bb.174:
	v_min_f32_e32 v45, 0, v44
	v_lshl_add_u64 v[46:47], v[80:81], 2, v[40:41]
	s_mov_b32 s10, 0
	global_store_dword v[46:47], v45, off
	s_cbranch_execz .LBB23_177
; %bb.175:
	v_mov_b32_e32 v44, s10
	s_branch .LBB23_178
.LBB23_176:
                                        ; implicit-def: $sgpr10
.LBB23_177:
	v_lshl_add_u64 v[46:47], v[42:43], 0, v[82:83]
	flat_load_dword v45, v[46:47]
	v_lshl_add_u64 v[46:47], v[40:41], 0, v[82:83]
	s_waitcnt vmcnt(0) lgkmcnt(0)
	v_mul_f32_e32 v45, s22, v45
	v_min_f32_e32 v44, v45, v44
	global_store_dword v[46:47], v44, off
	v_lshl_add_u64 v[44:45], v[70:71], 2, v[42:43]
	flat_load_dword v44, v[44:45]
	s_waitcnt vmcnt(0) lgkmcnt(0)
	v_mul_f32_e32 v44, s22, v44
.LBB23_178:
	v_pk_add_f32 v[46:47], v[12:13], v[36:37]
	s_mov_b64 vcc, s[6:7]
	v_min3_f32 v45, v46, v47, v101
	v_pk_add_f32 v[46:47], v[8:9], v[36:37]
	s_nop 0
	v_min3_f32 v48, v46, v47, v102
	v_pk_add_f32 v[46:47], v[14:15], v[38:39]
	s_nop 0
	v_min_f32_e32 v49, v46, v47
	v_pk_add_f32 v[46:47], v[10:11], v[38:39]
	s_nop 0
	v_min3_f32 v46, v46, v47, v48
	v_min3_f32 v47, v44, v49, v45
	v_lshl_add_u64 v[44:45], v[70:71], 2, v[40:41]
	global_store_dword v[44:45], v47, off
	v_max_f32_e32 v44, v46, v46
	s_cbranch_vccz .LBB23_181
; %bb.179:
	v_min_f32_e32 v45, 0, v44
	v_lshl_add_u64 v[46:47], v[84:85], 2, v[40:41]
	s_mov_b32 s10, 0
	global_store_dword v[46:47], v45, off
	s_cbranch_execz .LBB23_182
; %bb.180:
	v_mov_b32_e32 v42, s10
	s_branch .LBB23_183
.LBB23_181:
                                        ; implicit-def: $sgpr10
.LBB23_182:
	v_lshl_add_u64 v[46:47], v[42:43], 0, v[86:87]
	flat_load_dword v45, v[46:47]
	v_lshl_add_u64 v[46:47], v[40:41], 0, v[86:87]
	v_lshl_add_u64 v[42:43], v[76:77], 2, v[42:43]
	s_waitcnt vmcnt(0) lgkmcnt(0)
	v_mul_f32_e32 v45, s22, v45
	v_min_f32_e32 v44, v45, v44
	global_store_dword v[46:47], v44, off
	flat_load_dword v42, v[42:43]
	s_waitcnt vmcnt(0) lgkmcnt(0)
	v_mul_f32_e32 v42, s22, v42
.LBB23_183:
	v_pk_add_f32 v[36:37], v[0:1], v[36:37]
	s_waitcnt lgkmcnt(0)
	v_pk_add_f32 v[32:33], v[32:33], v[4:5]
	v_min3_f32 v36, v36, v37, v99
	v_min3_f32 v37, v32, v33, v100
	v_pk_add_f32 v[32:33], v[2:3], v[38:39]
	s_mov_b64 vcc, s[6:7]
	v_min_f32_e32 v38, v32, v33
	v_pk_add_f32 v[32:33], v[34:35], v[6:7]
	v_min3_f32 v34, v42, v38, v36
	v_min3_f32 v37, v32, v33, v37
	v_lshl_add_u64 v[32:33], v[76:77], 2, v[40:41]
	global_store_dword v[32:33], v34, off
	v_add_u32_e32 v34, 0xe0, v141
	v_mad_i64_i32 v[32:33], s[2:3], v34, s5, 0
	v_lshl_add_u64 v[32:33], v[32:33], 2, s[0:1]
	v_mad_i64_i32 v[34:35], s[0:1], v34, s4, 0
	v_max_f32_e32 v36, v37, v37
	s_cbranch_vccz .LBB23_186
; %bb.184:
	v_min_f32_e32 v37, 0, v36
	v_lshl_add_u64 v[38:39], v[68:69], 2, v[32:33]
	s_mov_b32 s2, 0
	global_store_dword v[38:39], v37, off
	v_lshl_add_u64 v[34:35], v[34:35], 2, s[8:9]
	s_cbranch_execz .LBB23_187
; %bb.185:
	v_mov_b32_e32 v36, s2
	s_branch .LBB23_188
.LBB23_186:
                                        ; implicit-def: $sgpr2
	v_lshl_add_u64 v[34:35], v[34:35], 2, s[8:9]
.LBB23_187:
	v_lshl_add_u64 v[38:39], v[34:35], 0, v[72:73]
	flat_load_dword v37, v[38:39]
	v_lshl_add_u64 v[38:39], v[32:33], 0, v[72:73]
	s_waitcnt vmcnt(0) lgkmcnt(0)
	v_mul_f32_e32 v37, s22, v37
	v_min_f32_e32 v36, v37, v36
	global_store_dword v[38:39], v36, off
	v_lshl_add_u64 v[36:37], v[64:65], 2, v[34:35]
	flat_load_dword v36, v[36:37]
	s_waitcnt vmcnt(0) lgkmcnt(0)
	v_mul_f32_e32 v36, s22, v36
.LBB23_188:
	v_pk_add_f32 v[28:29], v[28:29], v[4:5]
	v_pk_add_f32 v[24:25], v[24:25], v[4:5]
	v_min3_f32 v28, v28, v29, v97
	v_min3_f32 v29, v24, v25, v98
	v_pk_add_f32 v[24:25], v[30:31], v[6:7]
	s_mov_b64 vcc, s[6:7]
	v_min_f32_e32 v30, v24, v25
	v_pk_add_f32 v[24:25], v[26:27], v[6:7]
	v_min3_f32 v27, v36, v30, v28
	v_min3_f32 v26, v24, v25, v29
	v_lshl_add_u64 v[24:25], v[64:65], 2, v[32:33]
	global_store_dword v[24:25], v27, off
	v_max_f32_e32 v24, v26, v26
	s_cbranch_vccz .LBB23_191
; %bb.189:
	v_min_f32_e32 v25, 0, v24
	v_lshl_add_u64 v[26:27], v[74:75], 2, v[32:33]
	s_mov_b32 s2, 0
	global_store_dword v[26:27], v25, off
	s_cbranch_execz .LBB23_192
; %bb.190:
	v_mov_b32_e32 v24, s2
	s_branch .LBB23_193
.LBB23_191:
                                        ; implicit-def: $sgpr2
.LBB23_192:
	v_lshl_add_u64 v[26:27], v[34:35], 0, v[78:79]
	flat_load_dword v25, v[26:27]
	v_lshl_add_u64 v[26:27], v[32:33], 0, v[78:79]
	s_waitcnt vmcnt(0) lgkmcnt(0)
	v_mul_f32_e32 v25, s22, v25
	v_min_f32_e32 v24, v25, v24
	global_store_dword v[26:27], v24, off
	v_lshl_add_u64 v[24:25], v[66:67], 2, v[34:35]
	flat_load_dword v24, v[24:25]
	s_waitcnt vmcnt(0) lgkmcnt(0)
	v_mul_f32_e32 v24, s22, v24
.LBB23_193:
	v_pk_add_f32 v[20:21], v[20:21], v[4:5]
	v_pk_add_f32 v[16:17], v[16:17], v[4:5]
	v_min3_f32 v20, v20, v21, v94
	v_min3_f32 v21, v16, v17, v95
	v_pk_add_f32 v[16:17], v[22:23], v[6:7]
	s_mov_b64 vcc, s[6:7]
	v_min_f32_e32 v22, v16, v17
	v_pk_add_f32 v[16:17], v[18:19], v[6:7]
	v_min3_f32 v19, v24, v22, v20
	v_min3_f32 v18, v16, v17, v21
	v_lshl_add_u64 v[16:17], v[66:67], 2, v[32:33]
	global_store_dword v[16:17], v19, off
	v_max_f32_e32 v16, v18, v18
	s_cbranch_vccz .LBB23_196
; %bb.194:
	v_min_f32_e32 v17, 0, v16
	v_lshl_add_u64 v[18:19], v[80:81], 2, v[32:33]
	s_mov_b32 s2, 0
	global_store_dword v[18:19], v17, off
	s_cbranch_execz .LBB23_197
; %bb.195:
	v_mov_b32_e32 v16, s2
	s_branch .LBB23_198
.LBB23_196:
                                        ; implicit-def: $sgpr2
.LBB23_197:
	v_lshl_add_u64 v[18:19], v[34:35], 0, v[82:83]
	flat_load_dword v17, v[18:19]
	v_lshl_add_u64 v[18:19], v[32:33], 0, v[82:83]
	s_waitcnt vmcnt(0) lgkmcnt(0)
	v_mul_f32_e32 v17, s22, v17
	v_min_f32_e32 v16, v17, v16
	global_store_dword v[18:19], v16, off
	v_lshl_add_u64 v[16:17], v[70:71], 2, v[34:35]
	flat_load_dword v16, v[16:17]
	s_waitcnt vmcnt(0) lgkmcnt(0)
	v_mul_f32_e32 v16, s22, v16
.LBB23_198:
	;; [unrolled: 38-line block ×3, first 2 shown]
	v_pk_add_f32 v[2:3], v[2:3], v[6:7]
	v_pk_add_f32 v[0:1], v[0:1], v[4:5]
	v_min_f32_e32 v2, v2, v3
	v_min3_f32 v0, v0, v1, v96
	v_min3_f32 v2, v8, v2, v0
	v_lshl_add_u64 v[0:1], v[76:77], 2, v[32:33]
	global_store_dword v[0:1], v2, off
	s_endpgm
	.section	.rodata,"a",@progbits
	.p2align	6, 0x0
	.amdhsa_kernel _ZN12_GLOBAL__N_120geam_min_plus_kernelIf15HIP_vector_typeIfLj2EEfLi8ELi32ELi64ELi256ELi4ELi4ELi64ELi64ELi4ELc84ELc84ELb0ELb0ELb1EfKPKfKPfEEviiiT16_PT17_ilSA_ilS8_SA_ilPT18_ili26rocblas_geam_ex_operation_
		.amdhsa_group_segment_fixed_size 10240
		.amdhsa_private_segment_fixed_size 0
		.amdhsa_kernarg_size 128
		.amdhsa_user_sgpr_count 2
		.amdhsa_user_sgpr_dispatch_ptr 0
		.amdhsa_user_sgpr_queue_ptr 0
		.amdhsa_user_sgpr_kernarg_segment_ptr 1
		.amdhsa_user_sgpr_dispatch_id 0
		.amdhsa_user_sgpr_kernarg_preload_length 0
		.amdhsa_user_sgpr_kernarg_preload_offset 0
		.amdhsa_user_sgpr_private_segment_size 0
		.amdhsa_uses_dynamic_stack 0
		.amdhsa_enable_private_segment 0
		.amdhsa_system_sgpr_workgroup_id_x 1
		.amdhsa_system_sgpr_workgroup_id_y 0
		.amdhsa_system_sgpr_workgroup_id_z 1
		.amdhsa_system_sgpr_workgroup_info 0
		.amdhsa_system_vgpr_workitem_id 1
		.amdhsa_next_free_vgpr 172
		.amdhsa_next_free_sgpr 28
		.amdhsa_accum_offset 172
		.amdhsa_reserve_vcc 1
		.amdhsa_float_round_mode_32 0
		.amdhsa_float_round_mode_16_64 0
		.amdhsa_float_denorm_mode_32 3
		.amdhsa_float_denorm_mode_16_64 3
		.amdhsa_dx10_clamp 1
		.amdhsa_ieee_mode 1
		.amdhsa_fp16_overflow 0
		.amdhsa_tg_split 0
		.amdhsa_exception_fp_ieee_invalid_op 0
		.amdhsa_exception_fp_denorm_src 0
		.amdhsa_exception_fp_ieee_div_zero 0
		.amdhsa_exception_fp_ieee_overflow 0
		.amdhsa_exception_fp_ieee_underflow 0
		.amdhsa_exception_fp_ieee_inexact 0
		.amdhsa_exception_int_div_zero 0
	.end_amdhsa_kernel
	.section	.text._ZN12_GLOBAL__N_120geam_min_plus_kernelIf15HIP_vector_typeIfLj2EEfLi8ELi32ELi64ELi256ELi4ELi4ELi64ELi64ELi4ELc84ELc84ELb0ELb0ELb1EfKPKfKPfEEviiiT16_PT17_ilSA_ilS8_SA_ilPT18_ili26rocblas_geam_ex_operation_,"axG",@progbits,_ZN12_GLOBAL__N_120geam_min_plus_kernelIf15HIP_vector_typeIfLj2EEfLi8ELi32ELi64ELi256ELi4ELi4ELi64ELi64ELi4ELc84ELc84ELb0ELb0ELb1EfKPKfKPfEEviiiT16_PT17_ilSA_ilS8_SA_ilPT18_ili26rocblas_geam_ex_operation_,comdat
.Lfunc_end23:
	.size	_ZN12_GLOBAL__N_120geam_min_plus_kernelIf15HIP_vector_typeIfLj2EEfLi8ELi32ELi64ELi256ELi4ELi4ELi64ELi64ELi4ELc84ELc84ELb0ELb0ELb1EfKPKfKPfEEviiiT16_PT17_ilSA_ilS8_SA_ilPT18_ili26rocblas_geam_ex_operation_, .Lfunc_end23-_ZN12_GLOBAL__N_120geam_min_plus_kernelIf15HIP_vector_typeIfLj2EEfLi8ELi32ELi64ELi256ELi4ELi4ELi64ELi64ELi4ELc84ELc84ELb0ELb0ELb1EfKPKfKPfEEviiiT16_PT17_ilSA_ilS8_SA_ilPT18_ili26rocblas_geam_ex_operation_
                                        ; -- End function
	.section	.AMDGPU.csdata,"",@progbits
; Kernel info:
; codeLenInByte = 16472
; NumSgprs: 34
; NumVgprs: 172
; NumAgprs: 0
; TotalNumVgprs: 172
; ScratchSize: 0
; MemoryBound: 0
; FloatMode: 240
; IeeeMode: 1
; LDSByteSize: 10240 bytes/workgroup (compile time only)
; SGPRBlocks: 4
; VGPRBlocks: 21
; NumSGPRsForWavesPerEU: 34
; NumVGPRsForWavesPerEU: 172
; AccumOffset: 172
; Occupancy: 2
; WaveLimiterHint : 1
; COMPUTE_PGM_RSRC2:SCRATCH_EN: 0
; COMPUTE_PGM_RSRC2:USER_SGPR: 2
; COMPUTE_PGM_RSRC2:TRAP_HANDLER: 0
; COMPUTE_PGM_RSRC2:TGID_X_EN: 1
; COMPUTE_PGM_RSRC2:TGID_Y_EN: 0
; COMPUTE_PGM_RSRC2:TGID_Z_EN: 1
; COMPUTE_PGM_RSRC2:TIDIG_COMP_CNT: 1
; COMPUTE_PGM_RSRC3_GFX90A:ACCUM_OFFSET: 42
; COMPUTE_PGM_RSRC3_GFX90A:TG_SPLIT: 0
	.section	.text._ZN12_GLOBAL__N_120geam_min_plus_kernelIf15HIP_vector_typeIfLj2EEfLi8ELi32ELi64ELi256ELi4ELi4ELi64ELi64ELi4ELc84ELc84ELb0ELb1ELb1EPKfKS4_KPfEEviiiT16_PT17_ilSA_ilS8_SA_ilPT18_ili26rocblas_geam_ex_operation_,"axG",@progbits,_ZN12_GLOBAL__N_120geam_min_plus_kernelIf15HIP_vector_typeIfLj2EEfLi8ELi32ELi64ELi256ELi4ELi4ELi64ELi64ELi4ELc84ELc84ELb0ELb1ELb1EPKfKS4_KPfEEviiiT16_PT17_ilSA_ilS8_SA_ilPT18_ili26rocblas_geam_ex_operation_,comdat
	.globl	_ZN12_GLOBAL__N_120geam_min_plus_kernelIf15HIP_vector_typeIfLj2EEfLi8ELi32ELi64ELi256ELi4ELi4ELi64ELi64ELi4ELc84ELc84ELb0ELb1ELb1EPKfKS4_KPfEEviiiT16_PT17_ilSA_ilS8_SA_ilPT18_ili26rocblas_geam_ex_operation_ ; -- Begin function _ZN12_GLOBAL__N_120geam_min_plus_kernelIf15HIP_vector_typeIfLj2EEfLi8ELi32ELi64ELi256ELi4ELi4ELi64ELi64ELi4ELc84ELc84ELb0ELb1ELb1EPKfKS4_KPfEEviiiT16_PT17_ilSA_ilS8_SA_ilPT18_ili26rocblas_geam_ex_operation_
	.p2align	8
	.type	_ZN12_GLOBAL__N_120geam_min_plus_kernelIf15HIP_vector_typeIfLj2EEfLi8ELi32ELi64ELi256ELi4ELi4ELi64ELi64ELi4ELc84ELc84ELb0ELb1ELb1EPKfKS4_KPfEEviiiT16_PT17_ilSA_ilS8_SA_ilPT18_ili26rocblas_geam_ex_operation_,@function
_ZN12_GLOBAL__N_120geam_min_plus_kernelIf15HIP_vector_typeIfLj2EEfLi8ELi32ELi64ELi256ELi4ELi4ELi64ELi64ELi4ELc84ELc84ELb0ELb1ELb1EPKfKS4_KPfEEviiiT16_PT17_ilSA_ilS8_SA_ilPT18_ili26rocblas_geam_ex_operation_: ; @_ZN12_GLOBAL__N_120geam_min_plus_kernelIf15HIP_vector_typeIfLj2EEfLi8ELi32ELi64ELi256ELi4ELi4ELi64ELi64ELi4ELc84ELc84ELb0ELb1ELb1EPKfKS4_KPfEEviiiT16_PT17_ilSA_ilS8_SA_ilPT18_ili26rocblas_geam_ex_operation_
; %bb.0:
	s_load_dwordx4 s[12:15], s[0:1], 0x10
	s_load_dwordx4 s[4:7], s[0:1], 0x28
	s_mov_b32 s16, s3
	s_mov_b32 s17, 0
	s_lshl_b64 s[18:19], s[16:17], 2
	s_waitcnt lgkmcnt(0)
	s_add_u32 s20, s12, s18
	s_load_dwordx4 s[8:11], s[0:1], 0x40
	s_addc_u32 s21, s13, s19
	s_load_dword s34, s[20:21], 0x0
	s_load_dwordx2 s[12:13], s[0:1], 0x50
	s_mov_b64 s[26:27], 0
	s_mov_b64 s[28:29], 0
	s_waitcnt lgkmcnt(0)
	s_add_u32 s10, s10, s18
	s_addc_u32 s11, s11, s19
	v_cmp_eq_f32_e64 s[18:19], s34, 0
	v_cmp_neq_f32_e64 s[20:21], s34, 0
	s_and_b64 vcc, exec, s[18:19]
	s_cbranch_vccnz .LBB24_2
; %bb.1:
	s_lshl_b64 s[22:23], s[16:17], 3
	s_add_u32 s14, s14, s22
	s_addc_u32 s15, s15, s23
	s_load_dwordx2 s[14:15], s[14:15], 0x0
	s_lshl_b64 s[4:5], s[4:5], 2
	s_waitcnt lgkmcnt(0)
	s_add_u32 s28, s14, s4
	s_addc_u32 s29, s15, s5
.LBB24_2:
	s_load_dword s30, s[10:11], 0x0
	s_andn2_b64 vcc, exec, s[20:21]
	s_cbranch_vccnz .LBB24_4
; %bb.3:
	s_lshl_b64 s[4:5], s[16:17], 3
	s_add_u32 s4, s6, s4
	s_addc_u32 s5, s7, s5
	s_load_dwordx2 s[4:5], s[4:5], 0x0
	s_lshl_b64 s[6:7], s[8:9], 2
	s_waitcnt lgkmcnt(0)
	s_add_u32 s26, s4, s6
	s_addc_u32 s27, s5, s7
.LBB24_4:
	s_load_dwordx4 s[4:7], s[0:1], 0x60
	s_waitcnt lgkmcnt(0)
	v_cmp_eq_f32_e64 s[8:9], s30, 0
	v_cmp_neq_f32_e64 s[14:15], s30, 0
	s_and_b64 vcc, exec, s[8:9]
	s_cbranch_vccnz .LBB24_6
; %bb.5:
	s_lshl_b64 s[8:9], s[16:17], 3
	s_add_u32 s8, s12, s8
	s_addc_u32 s9, s13, s9
	s_load_dwordx2 s[8:9], s[8:9], 0x0
	s_lshl_b64 s[4:5], s[4:5], 2
	s_waitcnt lgkmcnt(0)
	s_add_u32 s24, s8, s4
	s_addc_u32 s25, s9, s5
	s_branch .LBB24_7
.LBB24_6:
	s_mov_b64 s[24:25], 0
.LBB24_7:
	s_load_dwordx4 s[20:23], s[0:1], 0x0
	s_load_dword s36, s[0:1], 0x20
	s_lshl_b64 s[4:5], s[16:17], 3
	s_add_u32 s4, s6, s4
	s_addc_u32 s5, s7, s5
	s_waitcnt lgkmcnt(0)
	s_add_i32 s6, s20, -1
	s_ashr_i32 s3, s6, 31
	s_lshr_b32 s3, s3, 26
	s_add_i32 s3, s6, s3
	s_ashr_i32 s3, s3, 6
	s_add_i32 s7, s3, 1
	v_cvt_f32_u32_e32 v1, s7
	s_load_dwordx2 s[16:17], s[4:5], 0x0
	s_not_b32 s3, s3
	v_and_b32_e32 v70, 0x3ff, v0
	v_rcp_iflag_f32_e32 v1, v1
	v_bfe_u32 v71, v0, 10, 10
	v_lshl_add_u32 v0, v71, 3, v70
	v_lshrrev_b32_e32 v2, 2, v0
	v_mul_f32_e32 v1, 0x4f7ffffe, v1
	v_cvt_u32_f32_e32 v1, v1
	v_and_b32_e32 v72, 3, v70
	v_mov_b32_e32 v5, 0x7f7fffff
	v_lshlrev_b32_e32 v56, 2, v72
	v_readfirstlane_b32 s4, v1
	s_mul_i32 s3, s3, s4
	s_mul_hi_u32 s3, s4, s3
	s_add_i32 s4, s4, s3
	s_mul_hi_u32 s3, s2, s4
	s_mul_i32 s4, s3, s7
	s_sub_i32 s4, s2, s4
	s_add_i32 s5, s3, 1
	s_sub_i32 s8, s4, s7
	s_cmp_ge_u32 s4, s7
	s_cselect_b32 s3, s5, s3
	s_cselect_b32 s4, s8, s4
	s_add_i32 s5, s3, 1
	s_cmp_ge_u32 s4, s7
	s_cselect_b32 s4, s5, s3
	s_mul_i32 s3, s4, s7
	s_sub_i32 s2, s2, s3
	s_lshl_b32 s31, s2, 6
	v_add_u32_e32 v1, s31, v2
	v_cmp_le_i32_e64 s[2:3], s22, v72
	v_cmp_le_i32_e32 vcc, s20, v1
	s_or_b64 s[2:3], s[2:3], vcc
	v_cndmask_b32_e64 v3, 0, v5, s[2:3]
	s_or_b64 s[2:3], s[18:19], s[2:3]
	v_min_i32_e32 v58, s6, v1
	s_xor_b64 s[6:7], s[2:3], -1
	s_and_saveexec_b64 s[2:3], s[6:7]
	s_cbranch_execz .LBB24_9
; %bb.8:
	v_mad_i64_i32 v[6:7], s[6:7], v58, s36, 0
	v_lshl_add_u64 v[6:7], v[6:7], 2, s[28:29]
	v_mov_b32_e32 v57, 0
	v_lshl_add_u64 v[6:7], v[6:7], 0, v[56:57]
	flat_load_dword v1, v[6:7]
	s_waitcnt vmcnt(0) lgkmcnt(0)
	v_mul_f32_e32 v3, s34, v1
.LBB24_9:
	s_or_b64 exec, exec, s[2:3]
	s_load_dword s23, s[0:1], 0x38
	v_lshrrev_b32_e32 v73, 6, v0
	s_add_i32 s35, s22, -1
	v_and_b32_e32 v4, 63, v0
	s_lshl_b32 s33, s4, 8
	v_min_i32_e32 v0, s35, v73
	v_or_b32_e32 v64, s33, v4
	s_waitcnt lgkmcnt(0)
	v_mad_i64_i32 v[0:1], s[2:3], s23, v0, 0
	v_cmp_le_i32_e64 s[10:11], s22, v73
	v_cmp_le_i32_e64 s[2:3], s21, v64
	s_or_b64 s[4:5], s[2:3], s[10:11]
	v_cndmask_b32_e64 v5, 0, v5, s[4:5]
	s_or_b64 s[4:5], s[18:19], s[4:5]
	v_lshl_add_u64 v[0:1], v[0:1], 2, s[26:27]
	s_xor_b64 s[6:7], s[4:5], -1
	v_ashrrev_i32_e32 v65, 31, v64
	s_and_saveexec_b64 s[4:5], s[6:7]
	s_cbranch_execz .LBB24_11
; %bb.10:
	v_lshl_add_u64 v[6:7], v[64:65], 2, v[0:1]
	flat_load_dword v5, v[6:7]
	s_waitcnt vmcnt(0) lgkmcnt(0)
	v_mul_f32_e32 v5, s34, v5
.LBB24_11:
	s_or_b64 exec, exec, s[4:5]
	v_or_b32_e32 v6, 64, v64
	v_cmp_le_i32_e64 s[4:5], s21, v6
	v_mov_b32_e32 v7, 0x7f7fffff
	s_or_b64 s[6:7], s[4:5], s[10:11]
	v_cndmask_b32_e64 v6, 0, v7, s[6:7]
	s_or_b64 s[6:7], s[18:19], s[6:7]
	s_xor_b64 s[8:9], s[6:7], -1
	s_and_saveexec_b64 s[6:7], s[8:9]
	s_cbranch_execz .LBB24_13
; %bb.12:
	v_lshl_add_u64 v[8:9], v[64:65], 2, v[0:1]
	flat_load_dword v6, v[8:9] offset:256
	s_waitcnt vmcnt(0) lgkmcnt(0)
	v_mul_f32_e32 v6, s34, v6
.LBB24_13:
	s_or_b64 exec, exec, s[6:7]
	v_or_b32_e32 v8, 0x80, v64
	v_cmp_le_i32_e64 s[6:7], s21, v8
	s_or_b64 s[8:9], s[6:7], s[10:11]
	v_cndmask_b32_e64 v7, 0, v7, s[8:9]
	s_or_b64 s[8:9], s[18:19], s[8:9]
	s_xor_b64 s[12:13], s[8:9], -1
	s_and_saveexec_b64 s[8:9], s[12:13]
	s_cbranch_execz .LBB24_15
; %bb.14:
	v_lshl_add_u64 v[8:9], v[64:65], 2, v[0:1]
	flat_load_dword v7, v[8:9] offset:512
	s_waitcnt vmcnt(0) lgkmcnt(0)
	v_mul_f32_e32 v7, s34, v7
.LBB24_15:
	s_or_b64 exec, exec, s[8:9]
	v_or_b32_e32 v8, 0xc0, v64
	v_cmp_le_i32_e64 s[8:9], s21, v8
	v_mov_b32_e32 v9, 0x7f7fffff
	s_or_b64 s[10:11], s[8:9], s[10:11]
	v_cndmask_b32_e64 v8, 0, v9, s[10:11]
	s_or_b64 s[10:11], s[18:19], s[10:11]
	s_xor_b64 s[12:13], s[10:11], -1
	s_and_saveexec_b64 s[10:11], s[12:13]
	s_cbranch_execz .LBB24_17
; %bb.16:
	v_lshl_add_u64 v[0:1], v[64:65], 2, v[0:1]
	flat_load_dword v0, v[0:1] offset:768
	s_waitcnt vmcnt(0) lgkmcnt(0)
	v_mul_f32_e32 v8, s34, v0
.LBB24_17:
	s_or_b64 exec, exec, s[10:11]
	v_or_b32_e32 v0, 4, v72
	v_cmp_le_i32_e64 s[10:11], s22, v0
	s_or_b64 s[10:11], s[10:11], vcc
	s_nop 0
	v_cndmask_b32_e64 v57, 0, v9, s[10:11]
	s_or_b64 s[10:11], s[18:19], s[10:11]
	s_xor_b64 s[12:13], s[10:11], -1
	s_and_saveexec_b64 s[10:11], s[12:13]
	s_cbranch_execz .LBB24_19
; %bb.18:
	v_mad_i64_i32 v[0:1], s[12:13], v58, s36, 0
	v_lshl_add_u64 v[0:1], v[0:1], 2, s[28:29]
	v_mov_b32_e32 v57, 0
	v_lshl_add_u64 v[0:1], v[0:1], 0, v[56:57]
	flat_load_dword v0, v[0:1] offset:16
	s_waitcnt vmcnt(0) lgkmcnt(0)
	v_mul_f32_e32 v57, s34, v0
.LBB24_19:
	s_or_b64 exec, exec, s[10:11]
	v_add_u32_e32 v0, 4, v73
	v_cmp_le_i32_e64 s[10:11], s22, v0
	v_min_i32_e32 v0, s35, v0
	v_mad_i64_i32 v[0:1], s[12:13], s23, v0, 0
	v_mov_b32_e32 v9, 0x7f7fffff
	s_or_b64 s[12:13], s[2:3], s[10:11]
	v_cndmask_b32_e64 v59, 0, v9, s[12:13]
	s_or_b64 s[12:13], s[18:19], s[12:13]
	v_lshl_add_u64 v[0:1], v[0:1], 2, s[26:27]
	s_xor_b64 s[38:39], s[12:13], -1
	s_and_saveexec_b64 s[12:13], s[38:39]
	s_cbranch_execz .LBB24_21
; %bb.20:
	v_lshl_add_u64 v[10:11], v[64:65], 2, v[0:1]
	flat_load_dword v10, v[10:11]
	s_waitcnt vmcnt(0) lgkmcnt(0)
	v_mul_f32_e32 v59, s34, v10
.LBB24_21:
	s_or_b64 exec, exec, s[12:13]
	s_or_b64 s[12:13], s[4:5], s[10:11]
	v_cndmask_b32_e64 v60, 0, v9, s[12:13]
	s_or_b64 s[12:13], s[18:19], s[12:13]
	s_xor_b64 s[38:39], s[12:13], -1
	s_and_saveexec_b64 s[12:13], s[38:39]
	s_cbranch_execz .LBB24_23
; %bb.22:
	v_lshl_add_u64 v[10:11], v[64:65], 2, v[0:1]
	flat_load_dword v9, v[10:11] offset:256
	s_waitcnt vmcnt(0) lgkmcnt(0)
	v_mul_f32_e32 v60, s34, v9
.LBB24_23:
	s_or_b64 exec, exec, s[12:13]
	v_mov_b32_e32 v9, 0x7f7fffff
	s_or_b64 s[12:13], s[6:7], s[10:11]
	v_cndmask_b32_e64 v61, 0, v9, s[12:13]
	s_or_b64 s[12:13], s[18:19], s[12:13]
	s_xor_b64 s[38:39], s[12:13], -1
	s_and_saveexec_b64 s[12:13], s[38:39]
	s_cbranch_execz .LBB24_25
; %bb.24:
	v_lshl_add_u64 v[10:11], v[64:65], 2, v[0:1]
	flat_load_dword v10, v[10:11] offset:512
	s_waitcnt vmcnt(0) lgkmcnt(0)
	v_mul_f32_e32 v61, s34, v10
.LBB24_25:
	s_or_b64 exec, exec, s[12:13]
	s_or_b64 s[10:11], s[8:9], s[10:11]
	v_cndmask_b32_e64 v62, 0, v9, s[10:11]
	s_or_b64 s[10:11], s[18:19], s[10:11]
	s_xor_b64 s[38:39], s[10:11], -1
	s_mov_b32 s12, 0x7f7fffff
	s_and_saveexec_b64 s[10:11], s[38:39]
	s_cbranch_execz .LBB24_27
; %bb.26:
	v_lshl_add_u64 v[0:1], v[64:65], 2, v[0:1]
	flat_load_dword v0, v[0:1] offset:768
	s_waitcnt vmcnt(0) lgkmcnt(0)
	v_mul_f32_e32 v62, s34, v0
.LBB24_27:
	s_or_b64 exec, exec, s[10:11]
	v_lshlrev_b32_e32 v0, 2, v73
	v_lshl_or_b32 v63, v2, 4, v56
	v_lshl_add_u32 v76, v4, 4, v0
	v_lshlrev_b32_e32 v74, 4, v70
	v_lshlrev_b32_e32 v75, 4, v71
	ds_write_b32 v63, v3 offset:8192
	ds_write2st64_b32 v76, v5, v6 offset1:4
	ds_write2st64_b32 v76, v7, v8 offset0:8 offset1:12
	s_waitcnt lgkmcnt(0)
	s_barrier
	ds_read_b128 v[12:15], v74 offset:8192
	ds_read_b128 v[20:23], v74 offset:8320
	;; [unrolled: 1-line block ×8, first 2 shown]
	ds_read_b128 v[52:55], v75
	ds_read_b128 v[48:51], v75 offset:512
	ds_read_b128 v[44:47], v75 offset:1024
	;; [unrolled: 1-line block ×5, first 2 shown]
	s_waitcnt lgkmcnt(5)
	v_pk_add_f32 v[66:67], v[12:13], v[52:53]
	s_cmp_lt_i32 s22, 9
	v_min3_f32 v68, v66, v67, s12
	v_pk_add_f32 v[66:67], v[20:21], v[52:53]
	s_nop 0
	v_min3_f32 v69, v66, v67, s12
	v_pk_add_f32 v[66:67], v[24:25], v[52:53]
	s_nop 0
	v_min3_f32 v77, v66, v67, s12
	v_pk_add_f32 v[66:67], v[28:29], v[52:53]
	s_nop 0
	v_min3_f32 v78, v66, v67, s12
	v_pk_add_f32 v[66:67], v[16:17], v[52:53]
	s_nop 0
	v_min3_f32 v79, v66, v67, s12
	v_pk_add_f32 v[66:67], v[8:9], v[52:53]
	s_nop 0
	v_min3_f32 v80, v66, v67, s12
	v_pk_add_f32 v[66:67], v[4:5], v[52:53]
	v_pk_add_f32 v[52:53], v[0:1], v[52:53]
	v_min3_f32 v66, v66, v67, s12
	v_min3_f32 v67, v52, v53, s12
	s_waitcnt lgkmcnt(4)
	v_pk_add_f32 v[52:53], v[12:13], v[48:49]
	s_nop 0
	v_min3_f32 v81, v52, v53, s12
	v_pk_add_f32 v[52:53], v[20:21], v[48:49]
	s_nop 0
	v_min3_f32 v82, v52, v53, s12
	v_pk_add_f32 v[52:53], v[24:25], v[48:49]
	s_nop 0
	v_min3_f32 v83, v52, v53, s12
	v_pk_add_f32 v[52:53], v[28:29], v[48:49]
	s_nop 0
	v_min3_f32 v84, v52, v53, s12
	v_pk_add_f32 v[52:53], v[16:17], v[48:49]
	s_nop 0
	v_min3_f32 v85, v52, v53, s12
	v_pk_add_f32 v[52:53], v[8:9], v[48:49]
	s_nop 0
	v_min3_f32 v86, v52, v53, s12
	v_pk_add_f32 v[52:53], v[4:5], v[48:49]
	v_pk_add_f32 v[48:49], v[0:1], v[48:49]
	v_min3_f32 v52, v52, v53, s12
	v_min3_f32 v87, v48, v49, s12
	s_waitcnt lgkmcnt(3)
	v_pk_add_f32 v[48:49], v[12:13], v[44:45]
	s_nop 0
	;; [unrolled: 23-line block ×5, first 2 shown]
	v_min3_f32 v124, v36, v37, s12
	v_pk_add_f32 v[36:37], v[20:21], v[32:33]
	s_nop 0
	v_min3_f32 v146, v36, v37, s12
	v_pk_add_f32 v[36:37], v[24:25], v[32:33]
	s_nop 0
	;; [unrolled: 3-line block ×12, first 2 shown]
	v_min3_f32 v66, v36, v37, s12
	v_pk_add_f32 v[36:37], v[4:5], v[32:33]
	v_pk_add_f32 v[32:33], v[0:1], v[32:33]
	v_min3_f32 v68, v36, v37, s12
	v_pk_add_f32 v[36:37], v[2:3], v[54:55]
	s_nop 0
	v_min3_f32 v141, v36, v37, v67
	v_pk_add_f32 v[36:37], v[14:15], v[50:51]
	v_min3_f32 v67, v32, v33, s12
	v_min3_f32 v140, v36, v37, v81
	v_pk_add_f32 v[36:37], v[22:23], v[50:51]
	s_nop 0
	v_min3_f32 v139, v36, v37, v82
	v_pk_add_f32 v[36:37], v[26:27], v[50:51]
	s_nop 0
	v_min3_f32 v138, v36, v37, v83
	v_pk_add_f32 v[36:37], v[30:31], v[50:51]
	s_nop 0
	v_min3_f32 v137, v36, v37, v84
	v_pk_add_f32 v[36:37], v[18:19], v[50:51]
	s_nop 0
	v_min3_f32 v135, v36, v37, v85
	v_pk_add_f32 v[36:37], v[10:11], v[50:51]
	s_nop 0
	v_min3_f32 v133, v36, v37, v86
	v_pk_add_f32 v[36:37], v[6:7], v[50:51]
	s_nop 0
	v_min3_f32 v131, v36, v37, v52
	ds_read_b128 v[52:55], v75 offset:3072
	v_pk_add_f32 v[36:37], v[2:3], v[50:51]
	ds_read_b128 v[48:51], v75 offset:3584
	v_min3_f32 v136, v36, v37, v87
	ds_write_b32 v63, v57 offset:9216
	ds_write2st64_b32 v76, v59, v60 offset0:16 offset1:20
	ds_write2st64_b32 v76, v61, v62 offset0:24 offset1:28
	s_waitcnt lgkmcnt(4)
	v_pk_add_f32 v[32:33], v[12:13], v[52:53]
	v_pk_add_f32 v[36:37], v[28:29], v[52:53]
	v_min3_f32 v69, v32, v33, s12
	v_pk_add_f32 v[32:33], v[14:15], v[46:47]
	s_waitcnt lgkmcnt(3)
	v_pk_add_f32 v[12:13], v[12:13], v[48:49]
	v_min3_f32 v134, v32, v33, v88
	v_pk_add_f32 v[32:33], v[22:23], v[46:47]
	s_waitcnt lgkmcnt(0)
	v_min3_f32 v132, v32, v33, v89
	v_pk_add_f32 v[32:33], v[26:27], v[46:47]
	s_barrier
	v_min3_f32 v130, v32, v33, v90
	v_pk_add_f32 v[32:33], v[30:31], v[46:47]
	s_nop 0
	v_min3_f32 v129, v32, v33, v91
	v_pk_add_f32 v[32:33], v[18:19], v[46:47]
	s_nop 0
	;; [unrolled: 3-line block ×6, first 2 shown]
	v_min3_f32 v81, v32, v33, s12
	v_pk_add_f32 v[32:33], v[2:3], v[46:47]
	v_min3_f32 v46, v36, v37, s12
	v_min3_f32 v125, v32, v33, v95
	v_pk_add_f32 v[32:33], v[14:15], v[42:43]
	v_pk_add_f32 v[36:37], v[16:17], v[52:53]
	v_min3_f32 v123, v32, v33, v96
	v_pk_add_f32 v[32:33], v[22:23], v[42:43]
	v_min3_f32 v47, v36, v37, s12
	v_min3_f32 v122, v32, v33, v97
	v_pk_add_f32 v[32:33], v[26:27], v[42:43]
	v_pk_add_f32 v[36:37], v[0:1], v[52:53]
	v_min3_f32 v121, v32, v33, v98
	v_pk_add_f32 v[32:33], v[30:31], v[42:43]
	v_min3_f32 v36, v36, v37, s12
	v_min3_f32 v120, v32, v33, v99
	v_pk_add_f32 v[32:33], v[18:19], v[42:43]
	v_min3_f32 v37, v12, v13, s12
	v_min3_f32 v119, v32, v33, v100
	v_pk_add_f32 v[32:33], v[10:11], v[42:43]
	v_pk_add_f32 v[12:13], v[14:15], v[34:35]
	v_min3_f32 v118, v32, v33, v101
	v_pk_add_f32 v[32:33], v[6:7], v[42:43]
	v_pk_add_f32 v[0:1], v[0:1], v[48:49]
	;; [unrolled: 3-line block ×3, first 2 shown]
	v_min3_f32 v44, v32, v33, s12
	v_pk_add_f32 v[32:33], v[4:5], v[52:53]
	v_min3_f32 v16, v16, v17, s12
	v_min3_f32 v82, v32, v33, s12
	v_pk_add_f32 v[32:33], v[2:3], v[42:43]
	v_pk_add_f32 v[8:9], v[8:9], v[48:49]
	v_min3_f32 v116, v32, v33, v45
	v_pk_add_f32 v[32:33], v[14:15], v[38:39]
	v_min3_f32 v8, v8, v9, s12
	v_min3_f32 v115, v32, v33, v102
	v_pk_add_f32 v[32:33], v[22:23], v[38:39]
	v_pk_add_f32 v[4:5], v[4:5], v[48:49]
	;; [unrolled: 6-line block ×3, first 2 shown]
	v_min3_f32 v112, v32, v33, v105
	v_pk_add_f32 v[32:33], v[18:19], v[38:39]
	v_min3_f32 v92, v4, v5, v36
	v_min3_f32 v111, v32, v33, v106
	v_pk_add_f32 v[32:33], v[10:11], v[38:39]
	s_nop 0
	v_min3_f32 v110, v32, v33, v107
	v_min3_f32 v107, v12, v13, v124
	v_pk_add_f32 v[12:13], v[22:23], v[34:35]
	v_pk_add_f32 v[32:33], v[6:7], v[38:39]
	v_min3_f32 v106, v12, v13, v146
	v_pk_add_f32 v[12:13], v[26:27], v[34:35]
	v_min3_f32 v109, v32, v33, v40
	v_min3_f32 v105, v12, v13, v147
	v_pk_add_f32 v[12:13], v[30:31], v[34:35]
	v_pk_add_f32 v[32:33], v[2:3], v[38:39]
	v_min3_f32 v104, v12, v13, v148
	v_pk_add_f32 v[12:13], v[18:19], v[34:35]
	v_min3_f32 v108, v32, v33, v41
	v_min3_f32 v103, v12, v13, v149
	v_pk_add_f32 v[12:13], v[10:11], v[34:35]
	s_nop 0
	v_min3_f32 v102, v12, v13, v66
	v_pk_add_f32 v[12:13], v[6:7], v[34:35]
	s_nop 0
	v_min3_f32 v101, v12, v13, v68
	v_pk_add_f32 v[12:13], v[20:21], v[48:49]
	v_pk_add_f32 v[20:21], v[28:29], v[48:49]
	v_min3_f32 v32, v12, v13, s12
	v_pk_add_f32 v[12:13], v[24:25], v[48:49]
	v_min3_f32 v20, v20, v21, s12
	v_min3_f32 v24, v12, v13, s12
	v_pk_add_f32 v[12:13], v[2:3], v[34:35]
	s_nop 0
	v_min3_f32 v100, v12, v13, v67
	v_pk_add_f32 v[12:13], v[14:15], v[54:55]
	s_nop 0
	;; [unrolled: 3-line block ×8, first 2 shown]
	v_min3_f32 v93, v12, v13, v82
	v_min3_f32 v12, v0, v1, s12
	v_pk_add_f32 v[0:1], v[14:15], v[50:51]
	s_nop 0
	v_min3_f32 v91, v0, v1, v37
	v_pk_add_f32 v[0:1], v[22:23], v[50:51]
	s_nop 0
	;; [unrolled: 3-line block ×8, first 2 shown]
	v_min3_f32 v88, v0, v1, v12
	s_cbranch_scc1 .LBB24_50
; %bb.28:
	v_mov_b32_e32 v0, 0x2400
	v_lshl_add_u32 v124, v70, 4, v0
	v_mov_b32_e32 v0, 0x1000
	v_lshl_add_u32 v146, v71, 4, v0
	v_mad_i64_i32 v[0:1], s[10:11], v58, s36, 0
	v_mov_b32_e32 v57, 0
	v_lshl_add_u64 v[0:1], v[0:1], 2, v[56:57]
	v_lshl_add_u64 v[0:1], v[0:1], 0, s[28:29]
	v_add_u32_e32 v80, 0x2000, v63
	v_add_u32_e32 v81, 0x2000, v74
	;; [unrolled: 1-line block ×3, first 2 shown]
	v_or_b32_e32 v83, 0x1000, v76
	s_add_i32 s37, s22, -8
	v_lshl_add_u64 v[66:67], v[0:1], 0, 48
	s_mov_b32 s28, 0
	v_mov_b32_e32 v147, 0x7f7fffff
	s_branch .LBB24_30
.LBB24_29:                              ;   in Loop: Header=BB24_30 Depth=1
	s_or_b64 exec, exec, s[10:11]
	ds_read_b128 v[0:3], v81
	ds_read_b128 v[4:7], v81 offset:128
	ds_read_b128 v[8:11], v81 offset:256
	;; [unrolled: 1-line block ×7, first 2 shown]
	ds_read_b128 v[118:121], v75
	ds_read_b128 v[126:129], v75 offset:512
	ds_read_b128 v[152:155], v75 offset:1024
	;; [unrolled: 1-line block ×7, first 2 shown]
	s_waitcnt lgkmcnt(7)
	v_pk_add_f32 v[68:69], v[0:1], v[118:119]
	s_add_i32 s28, s28, 8
	v_min3_f32 v37, v68, v69, v37
	v_pk_add_f32 v[68:69], v[4:5], v[118:119]
	s_cmp_ge_i32 s28, s37
	v_min3_f32 v122, v68, v69, v40
	v_pk_add_f32 v[68:69], v[8:9], v[118:119]
	v_lshl_add_u64 v[66:67], v[66:67], 0, 32
	v_min3_f32 v68, v68, v69, v41
	v_pk_add_f32 v[40:41], v[12:13], v[118:119]
	ds_write_b32 v82, v148
	ds_write2st64_b32 v83, v149, v150 offset1:4
	ds_write2st64_b32 v83, v151, v36 offset0:8 offset1:12
	v_min3_f32 v44, v40, v41, v44
	v_pk_add_f32 v[40:41], v[16:17], v[118:119]
	s_waitcnt lgkmcnt(0)
	v_min3_f32 v45, v40, v41, v45
	v_pk_add_f32 v[40:41], v[20:21], v[118:119]
	s_barrier
	v_min3_f32 v48, v40, v41, v48
	v_pk_add_f32 v[40:41], v[24:25], v[118:119]
	s_nop 0
	v_min3_f32 v49, v40, v41, v49
	v_pk_add_f32 v[40:41], v[28:29], v[118:119]
	s_nop 0
	;; [unrolled: 3-line block ×42, first 2 shown]
	v_min3_f32 v42, v40, v41, v42
	v_pk_add_f32 v[40:41], v[0:1], v[168:169]
	v_pk_add_f32 v[0:1], v[0:1], v[32:33]
	v_min3_f32 v43, v40, v41, v43
	v_min3_f32 v39, v0, v1, v39
	v_pk_add_f32 v[0:1], v[4:5], v[32:33]
	v_pk_add_f32 v[40:41], v[4:5], v[168:169]
	v_min3_f32 v4, v0, v1, v111
	v_pk_add_f32 v[0:1], v[8:9], v[32:33]
	v_min3_f32 v156, v40, v41, v105
	v_min3_f32 v5, v0, v1, v112
	v_pk_add_f32 v[0:1], v[12:13], v[32:33]
	v_pk_add_f32 v[40:41], v[8:9], v[168:169]
	v_min3_f32 v8, v0, v1, v113
	;; [unrolled: 6-line block ×7, first 2 shown]
	v_pk_add_f32 v[0:1], v[26:27], v[120:121]
	v_min3_f32 v38, v40, v41, v38
	v_min3_f32 v78, v0, v1, v49
	v_pk_add_f32 v[0:1], v[30:31], v[120:121]
	s_nop 0
	v_min3_f32 v141, v0, v1, v52
	v_pk_add_f32 v[0:1], v[2:3], v[128:129]
	s_nop 0
	;; [unrolled: 3-line block ×57, first 2 shown]
	v_min3_f32 v88, v0, v1, v16
	s_cbranch_scc1 .LBB24_50
.LBB24_30:                              ; =>This Inner Loop Header: Depth=1
	v_add_u32_e32 v68, s28, v72
	v_add_u32_e32 v0, 8, v68
	v_cmp_le_i32_e64 s[10:11], s22, v0
	s_or_b64 s[10:11], s[10:11], vcc
	s_nop 0
	v_cndmask_b32_e64 v148, 0, v147, s[10:11]
	s_or_b64 s[10:11], s[18:19], s[10:11]
	s_xor_b64 s[10:11], s[10:11], -1
	s_and_saveexec_b64 s[12:13], s[10:11]
	s_cbranch_execz .LBB24_32
; %bb.31:                               ;   in Loop: Header=BB24_30 Depth=1
	v_add_co_u32_e64 v0, s[10:11], -16, v66
	s_nop 1
	v_addc_co_u32_e64 v1, s[10:11], -1, v67, s[10:11]
	flat_load_dword v0, v[0:1]
	s_waitcnt vmcnt(0) lgkmcnt(0)
	v_mul_f32_e32 v148, s34, v0
.LBB24_32:                              ;   in Loop: Header=BB24_30 Depth=1
	s_or_b64 exec, exec, s[12:13]
	v_add_u32_e32 v69, s28, v73
	v_add_u32_e32 v0, 8, v69
	v_cmp_le_i32_e64 s[10:11], s22, v0
	v_min_i32_e32 v0, s35, v0
	v_mad_i64_i32 v[0:1], s[12:13], v0, s23, 0
	s_or_b64 s[12:13], s[2:3], s[10:11]
	v_lshl_add_u64 v[0:1], v[0:1], 2, s[26:27]
	v_cndmask_b32_e64 v149, 0, v147, s[12:13]
	s_or_b64 s[12:13], s[18:19], s[12:13]
	s_xor_b64 s[38:39], s[12:13], -1
	v_lshl_add_u64 v[0:1], v[64:65], 2, v[0:1]
	s_and_saveexec_b64 s[12:13], s[38:39]
	s_cbranch_execz .LBB24_34
; %bb.33:                               ;   in Loop: Header=BB24_30 Depth=1
	flat_load_dword v2, v[0:1]
	s_waitcnt vmcnt(0) lgkmcnt(0)
	v_mul_f32_e32 v149, s34, v2
.LBB24_34:                              ;   in Loop: Header=BB24_30 Depth=1
	s_or_b64 exec, exec, s[12:13]
	s_or_b64 s[12:13], s[4:5], s[10:11]
	v_cndmask_b32_e64 v150, 0, v147, s[12:13]
	s_or_b64 s[12:13], s[18:19], s[12:13]
	s_xor_b64 s[38:39], s[12:13], -1
	s_and_saveexec_b64 s[12:13], s[38:39]
	s_cbranch_execz .LBB24_36
; %bb.35:                               ;   in Loop: Header=BB24_30 Depth=1
	flat_load_dword v2, v[0:1] offset:256
	s_waitcnt vmcnt(0) lgkmcnt(0)
	v_mul_f32_e32 v150, s34, v2
.LBB24_36:                              ;   in Loop: Header=BB24_30 Depth=1
	s_or_b64 exec, exec, s[12:13]
	s_or_b64 s[12:13], s[6:7], s[10:11]
	v_cndmask_b32_e64 v151, 0, v147, s[12:13]
	s_or_b64 s[12:13], s[18:19], s[12:13]
	s_xor_b64 s[38:39], s[12:13], -1
	s_and_saveexec_b64 s[12:13], s[38:39]
	s_cbranch_execz .LBB24_38
; %bb.37:                               ;   in Loop: Header=BB24_30 Depth=1
	flat_load_dword v2, v[0:1] offset:512
	s_waitcnt vmcnt(0) lgkmcnt(0)
	v_mul_f32_e32 v151, s34, v2
.LBB24_38:                              ;   in Loop: Header=BB24_30 Depth=1
	;; [unrolled: 12-line block ×3, first 2 shown]
	s_or_b64 exec, exec, s[10:11]
	ds_read_b128 v[28:31], v124
	ds_read_b128 v[24:27], v124 offset:128
	ds_read_b128 v[20:23], v124 offset:256
	;; [unrolled: 1-line block ×7, first 2 shown]
	ds_read_b128 v[60:63], v146
	ds_read_b128 v[56:59], v146 offset:512
	ds_read_b128 v[52:55], v146 offset:1024
	;; [unrolled: 1-line block ×7, first 2 shown]
	v_add_u32_e32 v68, 12, v68
	v_cmp_le_i32_e64 s[10:11], s22, v68
	s_or_b64 s[10:11], s[10:11], vcc
	ds_write_b32 v80, v148
	ds_write2st64_b32 v76, v149, v150 offset1:4
	ds_write2st64_b32 v76, v151, v152 offset0:8 offset1:12
	v_cndmask_b32_e64 v148, 0, v147, s[10:11]
	s_or_b64 s[10:11], s[18:19], s[10:11]
	s_xor_b64 s[12:13], s[10:11], -1
	s_waitcnt lgkmcnt(0)
	s_barrier
	s_and_saveexec_b64 s[10:11], s[12:13]
	s_cbranch_execz .LBB24_42
; %bb.41:                               ;   in Loop: Header=BB24_30 Depth=1
	flat_load_dword v68, v[66:67]
	s_waitcnt vmcnt(0) lgkmcnt(0)
	v_mul_f32_e32 v148, s34, v68
.LBB24_42:                              ;   in Loop: Header=BB24_30 Depth=1
	s_or_b64 exec, exec, s[10:11]
	v_add_u32_e32 v68, 12, v69
	v_cmp_le_i32_e64 s[10:11], s22, v68
	v_min_i32_e32 v68, s35, v68
	v_mad_i64_i32 v[68:69], s[12:13], v68, s23, 0
	s_or_b64 s[12:13], s[2:3], s[10:11]
	v_lshl_add_u64 v[68:69], v[68:69], 2, s[26:27]
	v_cndmask_b32_e64 v149, 0, v147, s[12:13]
	s_or_b64 s[12:13], s[18:19], s[12:13]
	s_xor_b64 s[38:39], s[12:13], -1
	v_lshl_add_u64 v[68:69], v[64:65], 2, v[68:69]
	s_and_saveexec_b64 s[12:13], s[38:39]
	s_cbranch_execz .LBB24_44
; %bb.43:                               ;   in Loop: Header=BB24_30 Depth=1
	flat_load_dword v149, v[68:69]
	s_waitcnt vmcnt(0) lgkmcnt(0)
	v_mul_f32_e32 v149, s34, v149
.LBB24_44:                              ;   in Loop: Header=BB24_30 Depth=1
	s_or_b64 exec, exec, s[12:13]
	s_or_b64 s[12:13], s[4:5], s[10:11]
	v_cndmask_b32_e64 v150, 0, v147, s[12:13]
	s_or_b64 s[12:13], s[18:19], s[12:13]
	s_xor_b64 s[38:39], s[12:13], -1
	s_and_saveexec_b64 s[12:13], s[38:39]
	s_cbranch_execz .LBB24_46
; %bb.45:                               ;   in Loop: Header=BB24_30 Depth=1
	flat_load_dword v150, v[68:69] offset:256
	s_waitcnt vmcnt(0) lgkmcnt(0)
	v_mul_f32_e32 v150, s34, v150
.LBB24_46:                              ;   in Loop: Header=BB24_30 Depth=1
	s_or_b64 exec, exec, s[12:13]
	s_or_b64 s[12:13], s[6:7], s[10:11]
	v_cndmask_b32_e64 v151, 0, v147, s[12:13]
	s_or_b64 s[12:13], s[18:19], s[12:13]
	s_xor_b64 s[38:39], s[12:13], -1
	s_and_saveexec_b64 s[12:13], s[38:39]
	s_cbranch_execz .LBB24_48
; %bb.47:                               ;   in Loop: Header=BB24_30 Depth=1
	flat_load_dword v151, v[68:69] offset:512
	s_waitcnt vmcnt(0) lgkmcnt(0)
	v_mul_f32_e32 v151, s34, v151
.LBB24_48:                              ;   in Loop: Header=BB24_30 Depth=1
	s_or_b64 exec, exec, s[12:13]
	v_pk_add_f32 v[152:153], v[28:29], v[60:61]
	s_or_b64 s[10:11], s[8:9], s[10:11]
	v_min3_f32 v154, v152, v153, v145
	v_pk_add_f32 v[152:153], v[24:25], v[60:61]
	s_nop 0
	v_min3_f32 v152, v152, v153, v144
	v_pk_add_f32 v[144:145], v[20:21], v[60:61]
	s_nop 0
	v_min3_f32 v153, v144, v145, v143
	v_pk_add_f32 v[144:145], v[16:17], v[60:61]
	s_nop 0
	v_min3_f32 v144, v144, v145, v142
	v_pk_add_f32 v[142:143], v[12:13], v[60:61]
	s_nop 0
	v_min3_f32 v79, v142, v143, v79
	v_pk_add_f32 v[142:143], v[8:9], v[60:61]
	s_nop 0
	v_min3_f32 v77, v142, v143, v77
	v_pk_add_f32 v[142:143], v[4:5], v[60:61]
	v_pk_add_f32 v[60:61], v[0:1], v[60:61]
	v_min3_f32 v78, v142, v143, v78
	v_min3_f32 v141, v60, v61, v141
	v_pk_add_f32 v[60:61], v[28:29], v[56:57]
	s_nop 0
	v_min3_f32 v140, v60, v61, v140
	v_pk_add_f32 v[60:61], v[24:25], v[56:57]
	s_nop 0
	v_min3_f32 v139, v60, v61, v139
	v_pk_add_f32 v[60:61], v[20:21], v[56:57]
	s_nop 0
	v_min3_f32 v138, v60, v61, v138
	v_pk_add_f32 v[60:61], v[16:17], v[56:57]
	s_nop 0
	v_min3_f32 v137, v60, v61, v137
	v_pk_add_f32 v[60:61], v[12:13], v[56:57]
	s_nop 0
	v_min3_f32 v135, v60, v61, v135
	v_pk_add_f32 v[60:61], v[8:9], v[56:57]
	s_nop 0
	v_min3_f32 v133, v60, v61, v133
	v_pk_add_f32 v[60:61], v[4:5], v[56:57]
	v_pk_add_f32 v[56:57], v[0:1], v[56:57]
	v_min3_f32 v131, v60, v61, v131
	v_min3_f32 v136, v56, v57, v136
	v_pk_add_f32 v[56:57], v[28:29], v[52:53]
	s_nop 0
	;; [unrolled: 22-line block ×5, first 2 shown]
	v_min3_f32 v107, v44, v45, v107
	v_pk_add_f32 v[44:45], v[24:25], v[40:41]
	s_nop 0
	v_min3_f32 v106, v44, v45, v106
	v_pk_add_f32 v[44:45], v[20:21], v[40:41]
	s_nop 0
	;; [unrolled: 3-line block ×5, first 2 shown]
	v_min3_f32 v142, v44, v45, v102
	v_pk_add_f32 v[44:45], v[4:5], v[40:41]
	v_pk_add_f32 v[40:41], v[0:1], v[40:41]
	v_min3_f32 v143, v44, v45, v101
	v_min3_f32 v145, v40, v41, v100
	v_pk_add_f32 v[40:41], v[28:29], v[36:37]
	v_pk_add_f32 v[28:29], v[28:29], v[32:33]
	v_min3_f32 v155, v40, v41, v99
	v_pk_add_f32 v[40:41], v[24:25], v[36:37]
	v_pk_add_f32 v[24:25], v[24:25], v[32:33]
	;; [unrolled: 3-line block ×7, first 2 shown]
	v_pk_add_f32 v[4:5], v[4:5], v[32:33]
	v_pk_add_f32 v[0:1], v[0:1], v[32:33]
	v_min3_f32 v4, v4, v5, v84
	v_min3_f32 v5, v0, v1, v88
	v_pk_add_f32 v[0:1], v[30:31], v[62:63]
	v_min3_f32 v36, v36, v37, v92
	v_min3_f32 v37, v0, v1, v154
	v_pk_add_f32 v[0:1], v[26:27], v[62:63]
	v_min3_f32 v161, v40, v41, v93
	v_min3_f32 v40, v0, v1, v152
	v_pk_add_f32 v[0:1], v[22:23], v[62:63]
	v_min3_f32 v8, v8, v9, v85
	v_min3_f32 v41, v0, v1, v153
	v_pk_add_f32 v[0:1], v[18:19], v[62:63]
	v_min3_f32 v12, v12, v13, v86
	v_min3_f32 v44, v0, v1, v144
	v_pk_add_f32 v[0:1], v[14:15], v[62:63]
	v_min3_f32 v16, v16, v17, v87
	v_min3_f32 v45, v0, v1, v79
	v_pk_add_f32 v[0:1], v[10:11], v[62:63]
	v_min3_f32 v20, v20, v21, v89
	v_min3_f32 v48, v0, v1, v77
	v_pk_add_f32 v[0:1], v[6:7], v[62:63]
	v_min3_f32 v24, v24, v25, v90
	v_min3_f32 v49, v0, v1, v78
	v_pk_add_f32 v[0:1], v[2:3], v[62:63]
	v_min3_f32 v28, v28, v29, v91
	v_min3_f32 v52, v0, v1, v141
	v_pk_add_f32 v[0:1], v[30:31], v[58:59]
	s_nop 0
	v_min3_f32 v53, v0, v1, v140
	v_pk_add_f32 v[0:1], v[26:27], v[58:59]
	s_nop 0
	v_min3_f32 v56, v0, v1, v139
	;; [unrolled: 3-line block ×48, first 2 shown]
	v_pk_add_f32 v[0:1], v[30:31], v[34:35]
	v_cndmask_b32_e64 v36, 0, v147, s[10:11]
	v_min3_f32 v39, v0, v1, v28
	v_pk_add_f32 v[0:1], v[26:27], v[34:35]
	s_or_b64 s[10:11], s[18:19], s[10:11]
	v_min3_f32 v111, v0, v1, v24
	v_pk_add_f32 v[0:1], v[22:23], v[34:35]
	s_xor_b64 s[12:13], s[10:11], -1
	v_min3_f32 v112, v0, v1, v20
	v_pk_add_f32 v[0:1], v[18:19], v[34:35]
	s_nop 0
	v_min3_f32 v113, v0, v1, v16
	v_pk_add_f32 v[0:1], v[14:15], v[34:35]
	s_nop 0
	;; [unrolled: 3-line block ×5, first 2 shown]
	v_min3_f32 v117, v0, v1, v5
	s_and_saveexec_b64 s[10:11], s[12:13]
	s_cbranch_execz .LBB24_29
; %bb.49:                               ;   in Loop: Header=BB24_30 Depth=1
	flat_load_dword v0, v[68:69] offset:768
	s_waitcnt vmcnt(0) lgkmcnt(0)
	v_mul_f32_e32 v36, s34, v0
	s_branch .LBB24_29
.LBB24_50:
	s_load_dwordx2 s[2:3], s[0:1], 0x78
	s_load_dword s29, s[0:1], 0x58
	s_load_dword s28, s[0:1], 0x70
	ds_read_b128 v[32:35], v74 offset:9216
	ds_read_b128 v[28:31], v74 offset:9344
	ds_read_b128 v[24:27], v74 offset:9472
	ds_read_b128 v[20:23], v74 offset:9600
	ds_read_b128 v[16:19], v74 offset:9728
	ds_read_b128 v[12:15], v74 offset:9856
	ds_read_b128 v[8:11], v74 offset:9984
	ds_read_b128 v[0:3], v74 offset:10112
	ds_read_b128 v[60:63], v75 offset:4096
	ds_read_b128 v[56:59], v75 offset:4608
	ds_read_b128 v[52:55], v75 offset:5120
	ds_read_b128 v[48:51], v75 offset:5632
	ds_read_b128 v[44:47], v75 offset:6144
	ds_read_b128 v[40:43], v75 offset:6656
	ds_read_b128 v[36:39], v75 offset:7168
	ds_read_b128 v[4:7], v75 offset:7680
	s_waitcnt lgkmcnt(0)
	s_lshl_b64 s[0:1], s[2:3], 2
	s_add_u32 s22, s16, s0
	v_add_u32_e32 v124, s33, v71
	s_addc_u32 s23, s17, s1
	v_mad_i64_i32 v[66:67], s[0:1], v124, s29, 0
	v_add_u32_e32 v64, s31, v70
	v_lshl_add_u64 v[82:83], v[66:67], 2, s[24:25]
	v_mad_i64_i32 v[66:67], s[0:1], v124, s28, 0
	v_cmp_gt_i32_e64 s[18:19], s21, v124
	v_lshl_add_u64 v[80:81], v[66:67], 2, s[22:23]
	v_cmp_gt_i32_e64 s[2:3], s20, v64
	v_cndmask_b32_e64 v66, 0, 1, s[14:15]
	s_and_b64 s[6:7], s[2:3], s[18:19]
	v_ashrrev_i32_e32 v65, 31, v64
	v_cmp_ne_u32_e64 s[0:1], 1, v66
	s_and_saveexec_b64 s[4:5], s[6:7]
	s_cbranch_execz .LBB24_55
; %bb.51:
	s_and_b64 vcc, exec, s[0:1]
	s_cbranch_vccnz .LBB24_53
; %bb.52:
	v_lshl_add_u64 v[66:67], v[64:65], 2, v[82:83]
	flat_load_dword v66, v[66:67]
	s_waitcnt vmcnt(0) lgkmcnt(0)
	v_mul_f32_e32 v66, s30, v66
	s_branch .LBB24_54
.LBB24_53:
	v_mov_b32_e32 v66, 0
.LBB24_54:
	v_pk_add_f32 v[68:69], v[32:33], v[60:61]
	s_nop 0
	v_min3_f32 v67, v68, v69, v145
	v_pk_add_f32 v[68:69], v[34:35], v[62:63]
	s_nop 0
	v_min_f32_e32 v68, v68, v69
	v_min3_f32 v68, v66, v68, v67
	v_lshl_add_u64 v[66:67], v[64:65], 2, v[80:81]
	global_store_dword v[66:67], v68, off
.LBB24_55:
	s_or_b64 exec, exec, s[4:5]
	v_add_u32_e32 v66, 8, v64
	v_cmp_gt_i32_e64 s[4:5], s20, v66
	s_and_b64 s[8:9], s[4:5], s[18:19]
	v_ashrrev_i32_e32 v67, 31, v66
	s_and_saveexec_b64 s[6:7], s[8:9]
	s_cbranch_execz .LBB24_60
; %bb.56:
	s_and_b64 vcc, exec, s[0:1]
	s_cbranch_vccnz .LBB24_58
; %bb.57:
	v_lshl_add_u64 v[68:69], v[66:67], 2, v[82:83]
	flat_load_dword v68, v[68:69]
	s_waitcnt vmcnt(0) lgkmcnt(0)
	v_mul_f32_e32 v68, s30, v68
	s_branch .LBB24_59
.LBB24_58:
	v_mov_b32_e32 v68, 0
.LBB24_59:
	v_pk_add_f32 v[70:71], v[28:29], v[60:61]
	s_nop 0
	v_min3_f32 v69, v70, v71, v144
	v_pk_add_f32 v[70:71], v[30:31], v[62:63]
	s_nop 0
	v_min_f32_e32 v70, v70, v71
	v_min3_f32 v70, v68, v70, v69
	v_lshl_add_u64 v[68:69], v[66:67], 2, v[80:81]
	global_store_dword v[68:69], v70, off
.LBB24_60:
	s_or_b64 exec, exec, s[6:7]
	v_add_u32_e32 v68, 16, v64
	v_cmp_gt_i32_e64 s[6:7], s20, v68
	s_and_b64 s[10:11], s[6:7], s[18:19]
	v_ashrrev_i32_e32 v69, 31, v68
	s_and_saveexec_b64 s[8:9], s[10:11]
	s_cbranch_execz .LBB24_65
; %bb.61:
	s_and_b64 vcc, exec, s[0:1]
	s_cbranch_vccnz .LBB24_63
; %bb.62:
	v_lshl_add_u64 v[70:71], v[68:69], 2, v[82:83]
	flat_load_dword v70, v[70:71]
	s_waitcnt vmcnt(0) lgkmcnt(0)
	v_mul_f32_e32 v70, s30, v70
	s_branch .LBB24_64
.LBB24_63:
	v_mov_b32_e32 v70, 0
.LBB24_64:
	v_pk_add_f32 v[72:73], v[24:25], v[60:61]
	s_nop 0
	v_min3_f32 v71, v72, v73, v143
	v_pk_add_f32 v[72:73], v[26:27], v[62:63]
	s_nop 0
	v_min_f32_e32 v72, v72, v73
	v_min3_f32 v72, v70, v72, v71
	v_lshl_add_u64 v[70:71], v[68:69], 2, v[80:81]
	global_store_dword v[70:71], v72, off
.LBB24_65:
	s_or_b64 exec, exec, s[8:9]
	v_add_u32_e32 v70, 24, v64
	v_cmp_gt_i32_e64 s[8:9], s20, v70
	s_and_b64 s[12:13], s[8:9], s[18:19]
	v_ashrrev_i32_e32 v71, 31, v70
	s_and_saveexec_b64 s[10:11], s[12:13]
	s_cbranch_execz .LBB24_70
; %bb.66:
	s_and_b64 vcc, exec, s[0:1]
	s_cbranch_vccnz .LBB24_68
; %bb.67:
	v_lshl_add_u64 v[72:73], v[70:71], 2, v[82:83]
	flat_load_dword v72, v[72:73]
	s_waitcnt vmcnt(0) lgkmcnt(0)
	v_mul_f32_e32 v72, s30, v72
	s_branch .LBB24_69
.LBB24_68:
	v_mov_b32_e32 v72, 0
.LBB24_69:
	v_pk_add_f32 v[74:75], v[20:21], v[60:61]
	s_nop 0
	v_min3_f32 v73, v74, v75, v142
	v_pk_add_f32 v[74:75], v[22:23], v[62:63]
	s_nop 0
	v_min_f32_e32 v74, v74, v75
	v_min3_f32 v74, v72, v74, v73
	v_lshl_add_u64 v[72:73], v[70:71], 2, v[80:81]
	global_store_dword v[72:73], v74, off
.LBB24_70:
	s_or_b64 exec, exec, s[10:11]
	v_add_u32_e32 v72, 32, v64
	v_cmp_gt_i32_e64 s[10:11], s20, v72
	s_and_b64 s[14:15], s[10:11], s[18:19]
	v_ashrrev_i32_e32 v73, 31, v72
	s_and_saveexec_b64 s[12:13], s[14:15]
	s_cbranch_execz .LBB24_75
; %bb.71:
	s_and_b64 vcc, exec, s[0:1]
	s_cbranch_vccnz .LBB24_73
; %bb.72:
	v_lshl_add_u64 v[74:75], v[72:73], 2, v[82:83]
	flat_load_dword v74, v[74:75]
	s_waitcnt vmcnt(0) lgkmcnt(0)
	v_mul_f32_e32 v74, s30, v74
	s_branch .LBB24_74
.LBB24_73:
	v_mov_b32_e32 v74, 0
.LBB24_74:
	v_pk_add_f32 v[142:143], v[16:17], v[60:61]
	s_nop 0
	v_min3_f32 v75, v142, v143, v79
	v_pk_add_f32 v[142:143], v[18:19], v[62:63]
	s_nop 0
	v_min_f32_e32 v76, v142, v143
	v_min3_f32 v76, v74, v76, v75
	v_lshl_add_u64 v[74:75], v[72:73], 2, v[80:81]
	global_store_dword v[74:75], v76, off
.LBB24_75:
	s_or_b64 exec, exec, s[12:13]
	v_add_u32_e32 v74, 40, v64
	v_cmp_gt_i32_e64 s[12:13], s20, v74
	s_and_b64 s[16:17], s[12:13], s[18:19]
	v_ashrrev_i32_e32 v75, 31, v74
	s_and_saveexec_b64 s[14:15], s[16:17]
	s_cbranch_execz .LBB24_80
; %bb.76:
	s_and_b64 vcc, exec, s[0:1]
	s_cbranch_vccnz .LBB24_78
; %bb.77:
	v_lshl_add_u64 v[142:143], v[74:75], 2, v[82:83]
	flat_load_dword v76, v[142:143]
	s_waitcnt vmcnt(0) lgkmcnt(0)
	v_mul_f32_e32 v76, s30, v76
	s_branch .LBB24_79
.LBB24_78:
	v_mov_b32_e32 v76, 0
.LBB24_79:
	v_pk_add_f32 v[142:143], v[12:13], v[60:61]
	s_nop 0
	v_min3_f32 v77, v142, v143, v77
	v_pk_add_f32 v[142:143], v[14:15], v[62:63]
	s_nop 0
	v_min_f32_e32 v79, v142, v143
	v_min3_f32 v79, v76, v79, v77
	v_lshl_add_u64 v[76:77], v[74:75], 2, v[80:81]
	global_store_dword v[76:77], v79, off
.LBB24_80:
	s_or_b64 exec, exec, s[14:15]
	v_add_u32_e32 v76, 48, v64
	v_cmp_gt_i32_e64 s[14:15], s20, v76
	s_and_b64 s[26:27], s[14:15], s[18:19]
	v_ashrrev_i32_e32 v77, 31, v76
	s_and_saveexec_b64 s[16:17], s[26:27]
	s_cbranch_execz .LBB24_85
; %bb.81:
	s_and_b64 vcc, exec, s[0:1]
	s_cbranch_vccnz .LBB24_83
; %bb.82:
	v_lshl_add_u64 v[142:143], v[76:77], 2, v[82:83]
	flat_load_dword v79, v[142:143]
	s_waitcnt vmcnt(0) lgkmcnt(0)
	v_mul_f32_e32 v79, s30, v79
	s_branch .LBB24_84
.LBB24_83:
	v_mov_b32_e32 v79, 0
.LBB24_84:
	v_pk_add_f32 v[142:143], v[8:9], v[60:61]
	s_nop 0
	v_min3_f32 v78, v142, v143, v78
	v_pk_add_f32 v[142:143], v[10:11], v[62:63]
	s_nop 0
	v_min_f32_e32 v142, v142, v143
	v_min3_f32 v142, v79, v142, v78
	v_lshl_add_u64 v[78:79], v[76:77], 2, v[80:81]
	global_store_dword v[78:79], v142, off
.LBB24_85:
	s_or_b64 exec, exec, s[16:17]
	v_add_u32_e32 v78, 56, v64
	v_cmp_gt_i32_e64 s[16:17], s20, v78
	s_and_b64 s[26:27], s[16:17], s[18:19]
	v_ashrrev_i32_e32 v79, 31, v78
	s_and_saveexec_b64 s[18:19], s[26:27]
	s_cbranch_execz .LBB24_90
; %bb.86:
	s_and_b64 vcc, exec, s[0:1]
	s_cbranch_vccnz .LBB24_88
; %bb.87:
	v_lshl_add_u64 v[82:83], v[78:79], 2, v[82:83]
	flat_load_dword v82, v[82:83]
	s_waitcnt vmcnt(0) lgkmcnt(0)
	v_mul_f32_e32 v82, s30, v82
	s_branch .LBB24_89
.LBB24_88:
	v_mov_b32_e32 v82, 0
.LBB24_89:
	v_pk_add_f32 v[60:61], v[0:1], v[60:61]
	s_nop 0
	v_min3_f32 v83, v60, v61, v141
	v_pk_add_f32 v[60:61], v[2:3], v[62:63]
	s_nop 0
	v_min_f32_e32 v60, v60, v61
	v_min3_f32 v62, v82, v60, v83
	v_lshl_add_u64 v[60:61], v[78:79], 2, v[80:81]
	global_store_dword v[60:61], v62, off
.LBB24_90:
	s_or_b64 exec, exec, s[18:19]
	v_add_u32_e32 v80, 32, v124
	v_mad_i64_i32 v[60:61], s[26:27], v80, s29, 0
	v_cmp_gt_i32_e64 s[18:19], s21, v80
	v_lshl_add_u64 v[62:63], v[60:61], 2, s[24:25]
	v_mad_i64_i32 v[60:61], s[26:27], v80, s28, 0
	v_lshl_add_u64 v[60:61], v[60:61], 2, s[22:23]
	s_and_b64 s[34:35], s[2:3], s[18:19]
	s_and_saveexec_b64 s[26:27], s[34:35]
	s_cbranch_execnz .LBB24_98
; %bb.91:
	s_or_b64 exec, exec, s[26:27]
	s_and_b64 s[34:35], s[4:5], s[18:19]
	s_and_saveexec_b64 s[26:27], s[34:35]
	s_cbranch_execnz .LBB24_102
.LBB24_92:
	s_or_b64 exec, exec, s[26:27]
	s_and_b64 s[34:35], s[6:7], s[18:19]
	s_and_saveexec_b64 s[26:27], s[34:35]
	s_cbranch_execnz .LBB24_106
.LBB24_93:
	s_or_b64 exec, exec, s[26:27]
	s_and_b64 s[34:35], s[8:9], s[18:19]
	s_and_saveexec_b64 s[26:27], s[34:35]
	s_cbranch_execnz .LBB24_110
.LBB24_94:
	s_or_b64 exec, exec, s[26:27]
	s_and_b64 s[34:35], s[10:11], s[18:19]
	s_and_saveexec_b64 s[26:27], s[34:35]
	s_cbranch_execnz .LBB24_114
.LBB24_95:
	s_or_b64 exec, exec, s[26:27]
	s_and_b64 s[34:35], s[12:13], s[18:19]
	s_and_saveexec_b64 s[26:27], s[34:35]
	s_cbranch_execnz .LBB24_118
.LBB24_96:
	s_or_b64 exec, exec, s[26:27]
	s_and_b64 s[34:35], s[14:15], s[18:19]
	s_and_saveexec_b64 s[26:27], s[34:35]
	s_cbranch_execnz .LBB24_122
.LBB24_97:
	s_or_b64 exec, exec, s[26:27]
	s_and_b64 s[26:27], s[16:17], s[18:19]
	s_and_saveexec_b64 s[18:19], s[26:27]
	s_cbranch_execnz .LBB24_126
	s_branch .LBB24_130
.LBB24_98:
	s_and_b64 vcc, exec, s[0:1]
	s_cbranch_vccnz .LBB24_100
; %bb.99:
	v_lshl_add_u64 v[80:81], v[64:65], 2, v[62:63]
	flat_load_dword v80, v[80:81]
	s_waitcnt vmcnt(0) lgkmcnt(0)
	v_mul_f32_e32 v80, s30, v80
	s_branch .LBB24_101
.LBB24_100:
	v_mov_b32_e32 v80, 0
.LBB24_101:
	v_pk_add_f32 v[82:83], v[32:33], v[56:57]
	s_nop 0
	v_min3_f32 v81, v82, v83, v140
	v_pk_add_f32 v[82:83], v[34:35], v[58:59]
	s_nop 0
	v_min_f32_e32 v82, v82, v83
	v_min3_f32 v82, v80, v82, v81
	v_lshl_add_u64 v[80:81], v[64:65], 2, v[60:61]
	global_store_dword v[80:81], v82, off
	s_or_b64 exec, exec, s[26:27]
	s_and_b64 s[34:35], s[4:5], s[18:19]
	s_and_saveexec_b64 s[26:27], s[34:35]
	s_cbranch_execz .LBB24_92
.LBB24_102:
	s_and_b64 vcc, exec, s[0:1]
	s_cbranch_vccnz .LBB24_104
; %bb.103:
	v_lshl_add_u64 v[80:81], v[66:67], 2, v[62:63]
	flat_load_dword v80, v[80:81]
	s_waitcnt vmcnt(0) lgkmcnt(0)
	v_mul_f32_e32 v80, s30, v80
	s_branch .LBB24_105
.LBB24_104:
	v_mov_b32_e32 v80, 0
.LBB24_105:
	v_pk_add_f32 v[82:83], v[28:29], v[56:57]
	s_nop 0
	v_min3_f32 v81, v82, v83, v139
	v_pk_add_f32 v[82:83], v[30:31], v[58:59]
	s_nop 0
	v_min_f32_e32 v82, v82, v83
	v_min3_f32 v82, v80, v82, v81
	v_lshl_add_u64 v[80:81], v[66:67], 2, v[60:61]
	global_store_dword v[80:81], v82, off
	s_or_b64 exec, exec, s[26:27]
	s_and_b64 s[34:35], s[6:7], s[18:19]
	s_and_saveexec_b64 s[26:27], s[34:35]
	s_cbranch_execz .LBB24_93
.LBB24_106:
	s_and_b64 vcc, exec, s[0:1]
	s_cbranch_vccnz .LBB24_108
; %bb.107:
	v_lshl_add_u64 v[80:81], v[68:69], 2, v[62:63]
	flat_load_dword v80, v[80:81]
	s_waitcnt vmcnt(0) lgkmcnt(0)
	v_mul_f32_e32 v80, s30, v80
	s_branch .LBB24_109
.LBB24_108:
	v_mov_b32_e32 v80, 0
.LBB24_109:
	v_pk_add_f32 v[82:83], v[24:25], v[56:57]
	s_nop 0
	v_min3_f32 v81, v82, v83, v138
	v_pk_add_f32 v[82:83], v[26:27], v[58:59]
	s_nop 0
	v_min_f32_e32 v82, v82, v83
	v_min3_f32 v82, v80, v82, v81
	v_lshl_add_u64 v[80:81], v[68:69], 2, v[60:61]
	global_store_dword v[80:81], v82, off
	s_or_b64 exec, exec, s[26:27]
	s_and_b64 s[34:35], s[8:9], s[18:19]
	s_and_saveexec_b64 s[26:27], s[34:35]
	s_cbranch_execz .LBB24_94
.LBB24_110:
	s_and_b64 vcc, exec, s[0:1]
	s_cbranch_vccnz .LBB24_112
; %bb.111:
	v_lshl_add_u64 v[80:81], v[70:71], 2, v[62:63]
	flat_load_dword v80, v[80:81]
	s_waitcnt vmcnt(0) lgkmcnt(0)
	v_mul_f32_e32 v80, s30, v80
	s_branch .LBB24_113
.LBB24_112:
	v_mov_b32_e32 v80, 0
.LBB24_113:
	v_pk_add_f32 v[82:83], v[20:21], v[56:57]
	s_nop 0
	v_min3_f32 v81, v82, v83, v137
	v_pk_add_f32 v[82:83], v[22:23], v[58:59]
	s_nop 0
	v_min_f32_e32 v82, v82, v83
	v_min3_f32 v82, v80, v82, v81
	v_lshl_add_u64 v[80:81], v[70:71], 2, v[60:61]
	global_store_dword v[80:81], v82, off
	s_or_b64 exec, exec, s[26:27]
	s_and_b64 s[34:35], s[10:11], s[18:19]
	s_and_saveexec_b64 s[26:27], s[34:35]
	s_cbranch_execz .LBB24_95
.LBB24_114:
	s_and_b64 vcc, exec, s[0:1]
	s_cbranch_vccnz .LBB24_116
; %bb.115:
	v_lshl_add_u64 v[80:81], v[72:73], 2, v[62:63]
	flat_load_dword v80, v[80:81]
	s_waitcnt vmcnt(0) lgkmcnt(0)
	v_mul_f32_e32 v80, s30, v80
	s_branch .LBB24_117
.LBB24_116:
	v_mov_b32_e32 v80, 0
.LBB24_117:
	v_pk_add_f32 v[82:83], v[16:17], v[56:57]
	s_nop 0
	v_min3_f32 v81, v82, v83, v135
	v_pk_add_f32 v[82:83], v[18:19], v[58:59]
	s_nop 0
	v_min_f32_e32 v82, v82, v83
	v_min3_f32 v82, v80, v82, v81
	v_lshl_add_u64 v[80:81], v[72:73], 2, v[60:61]
	global_store_dword v[80:81], v82, off
	s_or_b64 exec, exec, s[26:27]
	s_and_b64 s[34:35], s[12:13], s[18:19]
	s_and_saveexec_b64 s[26:27], s[34:35]
	s_cbranch_execz .LBB24_96
.LBB24_118:
	s_and_b64 vcc, exec, s[0:1]
	s_cbranch_vccnz .LBB24_120
; %bb.119:
	v_lshl_add_u64 v[80:81], v[74:75], 2, v[62:63]
	flat_load_dword v80, v[80:81]
	s_waitcnt vmcnt(0) lgkmcnt(0)
	v_mul_f32_e32 v80, s30, v80
	s_branch .LBB24_121
.LBB24_120:
	v_mov_b32_e32 v80, 0
.LBB24_121:
	v_pk_add_f32 v[82:83], v[12:13], v[56:57]
	s_nop 0
	v_min3_f32 v81, v82, v83, v133
	v_pk_add_f32 v[82:83], v[14:15], v[58:59]
	s_nop 0
	v_min_f32_e32 v82, v82, v83
	v_min3_f32 v82, v80, v82, v81
	v_lshl_add_u64 v[80:81], v[74:75], 2, v[60:61]
	global_store_dword v[80:81], v82, off
	s_or_b64 exec, exec, s[26:27]
	s_and_b64 s[34:35], s[14:15], s[18:19]
	s_and_saveexec_b64 s[26:27], s[34:35]
	s_cbranch_execz .LBB24_97
.LBB24_122:
	s_and_b64 vcc, exec, s[0:1]
	s_cbranch_vccnz .LBB24_124
; %bb.123:
	v_lshl_add_u64 v[80:81], v[76:77], 2, v[62:63]
	flat_load_dword v80, v[80:81]
	s_waitcnt vmcnt(0) lgkmcnt(0)
	v_mul_f32_e32 v80, s30, v80
	s_branch .LBB24_125
.LBB24_124:
	v_mov_b32_e32 v80, 0
.LBB24_125:
	v_pk_add_f32 v[82:83], v[8:9], v[56:57]
	s_nop 0
	v_min3_f32 v81, v82, v83, v131
	v_pk_add_f32 v[82:83], v[10:11], v[58:59]
	s_nop 0
	v_min_f32_e32 v82, v82, v83
	v_min3_f32 v82, v80, v82, v81
	v_lshl_add_u64 v[80:81], v[76:77], 2, v[60:61]
	global_store_dword v[80:81], v82, off
	s_or_b64 exec, exec, s[26:27]
	s_and_b64 s[26:27], s[16:17], s[18:19]
	s_and_saveexec_b64 s[18:19], s[26:27]
	s_cbranch_execz .LBB24_130
.LBB24_126:
	s_and_b64 vcc, exec, s[0:1]
	s_cbranch_vccnz .LBB24_128
; %bb.127:
	v_lshl_add_u64 v[62:63], v[78:79], 2, v[62:63]
	flat_load_dword v62, v[62:63]
	s_waitcnt vmcnt(0) lgkmcnt(0)
	v_mul_f32_e32 v62, s30, v62
	s_branch .LBB24_129
.LBB24_128:
	v_mov_b32_e32 v62, 0
.LBB24_129:
	v_pk_add_f32 v[56:57], v[0:1], v[56:57]
	s_nop 0
	v_min3_f32 v63, v56, v57, v136
	v_pk_add_f32 v[56:57], v[2:3], v[58:59]
	s_nop 0
	v_min_f32_e32 v56, v56, v57
	v_min3_f32 v58, v62, v56, v63
	v_lshl_add_u64 v[56:57], v[78:79], 2, v[60:61]
	global_store_dword v[56:57], v58, off
.LBB24_130:
	s_or_b64 exec, exec, s[18:19]
	v_add_u32_e32 v60, 64, v124
	v_mad_i64_i32 v[56:57], s[26:27], v60, s29, 0
	v_cmp_gt_i32_e64 s[18:19], s21, v60
	v_lshl_add_u64 v[58:59], v[56:57], 2, s[24:25]
	v_mad_i64_i32 v[56:57], s[26:27], v60, s28, 0
	v_lshl_add_u64 v[56:57], v[56:57], 2, s[22:23]
	s_and_b64 s[34:35], s[2:3], s[18:19]
	s_and_saveexec_b64 s[26:27], s[34:35]
	s_cbranch_execnz .LBB24_138
; %bb.131:
	s_or_b64 exec, exec, s[26:27]
	s_and_b64 s[34:35], s[4:5], s[18:19]
	s_and_saveexec_b64 s[26:27], s[34:35]
	s_cbranch_execnz .LBB24_142
.LBB24_132:
	s_or_b64 exec, exec, s[26:27]
	s_and_b64 s[34:35], s[6:7], s[18:19]
	s_and_saveexec_b64 s[26:27], s[34:35]
	s_cbranch_execnz .LBB24_146
.LBB24_133:
	s_or_b64 exec, exec, s[26:27]
	s_and_b64 s[34:35], s[8:9], s[18:19]
	s_and_saveexec_b64 s[26:27], s[34:35]
	s_cbranch_execnz .LBB24_150
.LBB24_134:
	s_or_b64 exec, exec, s[26:27]
	s_and_b64 s[34:35], s[10:11], s[18:19]
	s_and_saveexec_b64 s[26:27], s[34:35]
	s_cbranch_execnz .LBB24_154
.LBB24_135:
	s_or_b64 exec, exec, s[26:27]
	s_and_b64 s[34:35], s[12:13], s[18:19]
	s_and_saveexec_b64 s[26:27], s[34:35]
	s_cbranch_execnz .LBB24_158
.LBB24_136:
	s_or_b64 exec, exec, s[26:27]
	s_and_b64 s[34:35], s[14:15], s[18:19]
	s_and_saveexec_b64 s[26:27], s[34:35]
	s_cbranch_execnz .LBB24_162
.LBB24_137:
	s_or_b64 exec, exec, s[26:27]
	s_and_b64 s[26:27], s[16:17], s[18:19]
	s_and_saveexec_b64 s[18:19], s[26:27]
	s_cbranch_execnz .LBB24_166
	s_branch .LBB24_170
.LBB24_138:
	s_and_b64 vcc, exec, s[0:1]
	s_cbranch_vccnz .LBB24_140
; %bb.139:
	v_lshl_add_u64 v[60:61], v[64:65], 2, v[58:59]
	flat_load_dword v60, v[60:61]
	s_waitcnt vmcnt(0) lgkmcnt(0)
	v_mul_f32_e32 v60, s30, v60
	s_branch .LBB24_141
.LBB24_140:
	v_mov_b32_e32 v60, 0
.LBB24_141:
	v_pk_add_f32 v[62:63], v[32:33], v[52:53]
	s_nop 0
	v_min3_f32 v61, v62, v63, v134
	v_pk_add_f32 v[62:63], v[34:35], v[54:55]
	s_nop 0
	v_min_f32_e32 v62, v62, v63
	v_min3_f32 v62, v60, v62, v61
	v_lshl_add_u64 v[60:61], v[64:65], 2, v[56:57]
	global_store_dword v[60:61], v62, off
	s_or_b64 exec, exec, s[26:27]
	s_and_b64 s[34:35], s[4:5], s[18:19]
	s_and_saveexec_b64 s[26:27], s[34:35]
	s_cbranch_execz .LBB24_132
.LBB24_142:
	s_and_b64 vcc, exec, s[0:1]
	s_cbranch_vccnz .LBB24_144
; %bb.143:
	v_lshl_add_u64 v[60:61], v[66:67], 2, v[58:59]
	flat_load_dword v60, v[60:61]
	s_waitcnt vmcnt(0) lgkmcnt(0)
	v_mul_f32_e32 v60, s30, v60
	s_branch .LBB24_145
.LBB24_144:
	v_mov_b32_e32 v60, 0
.LBB24_145:
	v_pk_add_f32 v[62:63], v[28:29], v[52:53]
	s_nop 0
	v_min3_f32 v61, v62, v63, v132
	v_pk_add_f32 v[62:63], v[30:31], v[54:55]
	s_nop 0
	v_min_f32_e32 v62, v62, v63
	v_min3_f32 v62, v60, v62, v61
	v_lshl_add_u64 v[60:61], v[66:67], 2, v[56:57]
	global_store_dword v[60:61], v62, off
	s_or_b64 exec, exec, s[26:27]
	s_and_b64 s[34:35], s[6:7], s[18:19]
	s_and_saveexec_b64 s[26:27], s[34:35]
	s_cbranch_execz .LBB24_133
.LBB24_146:
	s_and_b64 vcc, exec, s[0:1]
	s_cbranch_vccnz .LBB24_148
; %bb.147:
	v_lshl_add_u64 v[60:61], v[68:69], 2, v[58:59]
	flat_load_dword v60, v[60:61]
	s_waitcnt vmcnt(0) lgkmcnt(0)
	v_mul_f32_e32 v60, s30, v60
	s_branch .LBB24_149
.LBB24_148:
	v_mov_b32_e32 v60, 0
.LBB24_149:
	v_pk_add_f32 v[62:63], v[24:25], v[52:53]
	s_nop 0
	v_min3_f32 v61, v62, v63, v130
	v_pk_add_f32 v[62:63], v[26:27], v[54:55]
	s_nop 0
	v_min_f32_e32 v62, v62, v63
	v_min3_f32 v62, v60, v62, v61
	v_lshl_add_u64 v[60:61], v[68:69], 2, v[56:57]
	global_store_dword v[60:61], v62, off
	s_or_b64 exec, exec, s[26:27]
	s_and_b64 s[34:35], s[8:9], s[18:19]
	s_and_saveexec_b64 s[26:27], s[34:35]
	s_cbranch_execz .LBB24_134
.LBB24_150:
	s_and_b64 vcc, exec, s[0:1]
	s_cbranch_vccnz .LBB24_152
; %bb.151:
	v_lshl_add_u64 v[60:61], v[70:71], 2, v[58:59]
	flat_load_dword v60, v[60:61]
	s_waitcnt vmcnt(0) lgkmcnt(0)
	v_mul_f32_e32 v60, s30, v60
	s_branch .LBB24_153
.LBB24_152:
	v_mov_b32_e32 v60, 0
.LBB24_153:
	v_pk_add_f32 v[62:63], v[20:21], v[52:53]
	s_nop 0
	v_min3_f32 v61, v62, v63, v129
	v_pk_add_f32 v[62:63], v[22:23], v[54:55]
	s_nop 0
	v_min_f32_e32 v62, v62, v63
	v_min3_f32 v62, v60, v62, v61
	v_lshl_add_u64 v[60:61], v[70:71], 2, v[56:57]
	global_store_dword v[60:61], v62, off
	s_or_b64 exec, exec, s[26:27]
	s_and_b64 s[34:35], s[10:11], s[18:19]
	s_and_saveexec_b64 s[26:27], s[34:35]
	s_cbranch_execz .LBB24_135
.LBB24_154:
	s_and_b64 vcc, exec, s[0:1]
	s_cbranch_vccnz .LBB24_156
; %bb.155:
	v_lshl_add_u64 v[60:61], v[72:73], 2, v[58:59]
	flat_load_dword v60, v[60:61]
	s_waitcnt vmcnt(0) lgkmcnt(0)
	v_mul_f32_e32 v60, s30, v60
	s_branch .LBB24_157
.LBB24_156:
	v_mov_b32_e32 v60, 0
.LBB24_157:
	v_pk_add_f32 v[62:63], v[16:17], v[52:53]
	s_nop 0
	v_min3_f32 v61, v62, v63, v128
	v_pk_add_f32 v[62:63], v[18:19], v[54:55]
	s_nop 0
	v_min_f32_e32 v62, v62, v63
	v_min3_f32 v62, v60, v62, v61
	v_lshl_add_u64 v[60:61], v[72:73], 2, v[56:57]
	global_store_dword v[60:61], v62, off
	s_or_b64 exec, exec, s[26:27]
	s_and_b64 s[34:35], s[12:13], s[18:19]
	s_and_saveexec_b64 s[26:27], s[34:35]
	s_cbranch_execz .LBB24_136
.LBB24_158:
	s_and_b64 vcc, exec, s[0:1]
	s_cbranch_vccnz .LBB24_160
; %bb.159:
	v_lshl_add_u64 v[60:61], v[74:75], 2, v[58:59]
	flat_load_dword v60, v[60:61]
	s_waitcnt vmcnt(0) lgkmcnt(0)
	v_mul_f32_e32 v60, s30, v60
	s_branch .LBB24_161
.LBB24_160:
	v_mov_b32_e32 v60, 0
.LBB24_161:
	v_pk_add_f32 v[62:63], v[12:13], v[52:53]
	s_nop 0
	v_min3_f32 v61, v62, v63, v127
	v_pk_add_f32 v[62:63], v[14:15], v[54:55]
	s_nop 0
	v_min_f32_e32 v62, v62, v63
	v_min3_f32 v62, v60, v62, v61
	v_lshl_add_u64 v[60:61], v[74:75], 2, v[56:57]
	global_store_dword v[60:61], v62, off
	s_or_b64 exec, exec, s[26:27]
	s_and_b64 s[34:35], s[14:15], s[18:19]
	s_and_saveexec_b64 s[26:27], s[34:35]
	s_cbranch_execz .LBB24_137
.LBB24_162:
	s_and_b64 vcc, exec, s[0:1]
	s_cbranch_vccnz .LBB24_164
; %bb.163:
	v_lshl_add_u64 v[60:61], v[76:77], 2, v[58:59]
	flat_load_dword v60, v[60:61]
	s_waitcnt vmcnt(0) lgkmcnt(0)
	v_mul_f32_e32 v60, s30, v60
	s_branch .LBB24_165
.LBB24_164:
	v_mov_b32_e32 v60, 0
.LBB24_165:
	v_pk_add_f32 v[62:63], v[8:9], v[52:53]
	s_nop 0
	v_min3_f32 v61, v62, v63, v126
	v_pk_add_f32 v[62:63], v[10:11], v[54:55]
	s_nop 0
	v_min_f32_e32 v62, v62, v63
	v_min3_f32 v62, v60, v62, v61
	v_lshl_add_u64 v[60:61], v[76:77], 2, v[56:57]
	global_store_dword v[60:61], v62, off
	s_or_b64 exec, exec, s[26:27]
	s_and_b64 s[26:27], s[16:17], s[18:19]
	s_and_saveexec_b64 s[18:19], s[26:27]
	s_cbranch_execz .LBB24_170
.LBB24_166:
	s_and_b64 vcc, exec, s[0:1]
	s_cbranch_vccnz .LBB24_168
; %bb.167:
	v_lshl_add_u64 v[58:59], v[78:79], 2, v[58:59]
	flat_load_dword v58, v[58:59]
	s_waitcnt vmcnt(0) lgkmcnt(0)
	v_mul_f32_e32 v58, s30, v58
	s_branch .LBB24_169
.LBB24_168:
	v_mov_b32_e32 v58, 0
.LBB24_169:
	v_pk_add_f32 v[52:53], v[0:1], v[52:53]
	s_nop 0
	v_min3_f32 v59, v52, v53, v125
	v_pk_add_f32 v[52:53], v[2:3], v[54:55]
	s_nop 0
	v_min_f32_e32 v52, v52, v53
	v_min3_f32 v54, v58, v52, v59
	v_lshl_add_u64 v[52:53], v[78:79], 2, v[56:57]
	global_store_dword v[52:53], v54, off
.LBB24_170:
	s_or_b64 exec, exec, s[18:19]
	v_add_u32_e32 v56, 0x60, v124
	v_mad_i64_i32 v[52:53], s[26:27], v56, s29, 0
	v_cmp_gt_i32_e64 s[18:19], s21, v56
	v_lshl_add_u64 v[54:55], v[52:53], 2, s[24:25]
	v_mad_i64_i32 v[52:53], s[26:27], v56, s28, 0
	v_lshl_add_u64 v[52:53], v[52:53], 2, s[22:23]
	s_and_b64 s[34:35], s[2:3], s[18:19]
	s_and_saveexec_b64 s[26:27], s[34:35]
	s_cbranch_execnz .LBB24_178
; %bb.171:
	s_or_b64 exec, exec, s[26:27]
	s_and_b64 s[34:35], s[4:5], s[18:19]
	s_and_saveexec_b64 s[26:27], s[34:35]
	s_cbranch_execnz .LBB24_182
.LBB24_172:
	s_or_b64 exec, exec, s[26:27]
	s_and_b64 s[34:35], s[6:7], s[18:19]
	s_and_saveexec_b64 s[26:27], s[34:35]
	s_cbranch_execnz .LBB24_186
.LBB24_173:
	s_or_b64 exec, exec, s[26:27]
	s_and_b64 s[34:35], s[8:9], s[18:19]
	s_and_saveexec_b64 s[26:27], s[34:35]
	s_cbranch_execnz .LBB24_190
.LBB24_174:
	s_or_b64 exec, exec, s[26:27]
	s_and_b64 s[34:35], s[10:11], s[18:19]
	s_and_saveexec_b64 s[26:27], s[34:35]
	s_cbranch_execnz .LBB24_194
.LBB24_175:
	s_or_b64 exec, exec, s[26:27]
	s_and_b64 s[34:35], s[12:13], s[18:19]
	s_and_saveexec_b64 s[26:27], s[34:35]
	s_cbranch_execnz .LBB24_198
.LBB24_176:
	s_or_b64 exec, exec, s[26:27]
	s_and_b64 s[34:35], s[14:15], s[18:19]
	s_and_saveexec_b64 s[26:27], s[34:35]
	s_cbranch_execnz .LBB24_202
.LBB24_177:
	s_or_b64 exec, exec, s[26:27]
	s_and_b64 s[26:27], s[16:17], s[18:19]
	s_and_saveexec_b64 s[18:19], s[26:27]
	s_cbranch_execnz .LBB24_206
	s_branch .LBB24_210
.LBB24_178:
	s_and_b64 vcc, exec, s[0:1]
	s_cbranch_vccnz .LBB24_180
; %bb.179:
	v_lshl_add_u64 v[56:57], v[64:65], 2, v[54:55]
	flat_load_dword v56, v[56:57]
	s_waitcnt vmcnt(0) lgkmcnt(0)
	v_mul_f32_e32 v56, s30, v56
	s_branch .LBB24_181
.LBB24_180:
	v_mov_b32_e32 v56, 0
.LBB24_181:
	v_pk_add_f32 v[58:59], v[32:33], v[48:49]
	s_nop 0
	v_min3_f32 v57, v58, v59, v123
	v_pk_add_f32 v[58:59], v[34:35], v[50:51]
	s_nop 0
	v_min_f32_e32 v58, v58, v59
	v_min3_f32 v58, v56, v58, v57
	v_lshl_add_u64 v[56:57], v[64:65], 2, v[52:53]
	global_store_dword v[56:57], v58, off
	s_or_b64 exec, exec, s[26:27]
	s_and_b64 s[34:35], s[4:5], s[18:19]
	s_and_saveexec_b64 s[26:27], s[34:35]
	s_cbranch_execz .LBB24_172
.LBB24_182:
	s_and_b64 vcc, exec, s[0:1]
	s_cbranch_vccnz .LBB24_184
; %bb.183:
	v_lshl_add_u64 v[56:57], v[66:67], 2, v[54:55]
	flat_load_dword v56, v[56:57]
	s_waitcnt vmcnt(0) lgkmcnt(0)
	v_mul_f32_e32 v56, s30, v56
	s_branch .LBB24_185
.LBB24_184:
	v_mov_b32_e32 v56, 0
.LBB24_185:
	v_pk_add_f32 v[58:59], v[28:29], v[48:49]
	s_nop 0
	v_min3_f32 v57, v58, v59, v122
	v_pk_add_f32 v[58:59], v[30:31], v[50:51]
	s_nop 0
	v_min_f32_e32 v58, v58, v59
	v_min3_f32 v58, v56, v58, v57
	v_lshl_add_u64 v[56:57], v[66:67], 2, v[52:53]
	global_store_dword v[56:57], v58, off
	s_or_b64 exec, exec, s[26:27]
	s_and_b64 s[34:35], s[6:7], s[18:19]
	s_and_saveexec_b64 s[26:27], s[34:35]
	s_cbranch_execz .LBB24_173
.LBB24_186:
	s_and_b64 vcc, exec, s[0:1]
	s_cbranch_vccnz .LBB24_188
; %bb.187:
	v_lshl_add_u64 v[56:57], v[68:69], 2, v[54:55]
	flat_load_dword v56, v[56:57]
	s_waitcnt vmcnt(0) lgkmcnt(0)
	v_mul_f32_e32 v56, s30, v56
	s_branch .LBB24_189
.LBB24_188:
	v_mov_b32_e32 v56, 0
.LBB24_189:
	v_pk_add_f32 v[58:59], v[24:25], v[48:49]
	s_nop 0
	v_min3_f32 v57, v58, v59, v121
	v_pk_add_f32 v[58:59], v[26:27], v[50:51]
	s_nop 0
	v_min_f32_e32 v58, v58, v59
	v_min3_f32 v58, v56, v58, v57
	v_lshl_add_u64 v[56:57], v[68:69], 2, v[52:53]
	global_store_dword v[56:57], v58, off
	s_or_b64 exec, exec, s[26:27]
	s_and_b64 s[34:35], s[8:9], s[18:19]
	s_and_saveexec_b64 s[26:27], s[34:35]
	s_cbranch_execz .LBB24_174
.LBB24_190:
	s_and_b64 vcc, exec, s[0:1]
	s_cbranch_vccnz .LBB24_192
; %bb.191:
	v_lshl_add_u64 v[56:57], v[70:71], 2, v[54:55]
	flat_load_dword v56, v[56:57]
	s_waitcnt vmcnt(0) lgkmcnt(0)
	v_mul_f32_e32 v56, s30, v56
	s_branch .LBB24_193
.LBB24_192:
	v_mov_b32_e32 v56, 0
.LBB24_193:
	v_pk_add_f32 v[58:59], v[20:21], v[48:49]
	s_nop 0
	v_min3_f32 v57, v58, v59, v120
	v_pk_add_f32 v[58:59], v[22:23], v[50:51]
	s_nop 0
	v_min_f32_e32 v58, v58, v59
	v_min3_f32 v58, v56, v58, v57
	v_lshl_add_u64 v[56:57], v[70:71], 2, v[52:53]
	global_store_dword v[56:57], v58, off
	s_or_b64 exec, exec, s[26:27]
	s_and_b64 s[34:35], s[10:11], s[18:19]
	s_and_saveexec_b64 s[26:27], s[34:35]
	s_cbranch_execz .LBB24_175
.LBB24_194:
	s_and_b64 vcc, exec, s[0:1]
	s_cbranch_vccnz .LBB24_196
; %bb.195:
	v_lshl_add_u64 v[56:57], v[72:73], 2, v[54:55]
	flat_load_dword v56, v[56:57]
	s_waitcnt vmcnt(0) lgkmcnt(0)
	v_mul_f32_e32 v56, s30, v56
	s_branch .LBB24_197
.LBB24_196:
	v_mov_b32_e32 v56, 0
.LBB24_197:
	v_pk_add_f32 v[58:59], v[16:17], v[48:49]
	s_nop 0
	v_min3_f32 v57, v58, v59, v119
	v_pk_add_f32 v[58:59], v[18:19], v[50:51]
	s_nop 0
	v_min_f32_e32 v58, v58, v59
	v_min3_f32 v58, v56, v58, v57
	v_lshl_add_u64 v[56:57], v[72:73], 2, v[52:53]
	global_store_dword v[56:57], v58, off
	s_or_b64 exec, exec, s[26:27]
	s_and_b64 s[34:35], s[12:13], s[18:19]
	s_and_saveexec_b64 s[26:27], s[34:35]
	s_cbranch_execz .LBB24_176
.LBB24_198:
	s_and_b64 vcc, exec, s[0:1]
	s_cbranch_vccnz .LBB24_200
; %bb.199:
	v_lshl_add_u64 v[56:57], v[74:75], 2, v[54:55]
	flat_load_dword v56, v[56:57]
	s_waitcnt vmcnt(0) lgkmcnt(0)
	v_mul_f32_e32 v56, s30, v56
	s_branch .LBB24_201
.LBB24_200:
	v_mov_b32_e32 v56, 0
.LBB24_201:
	v_pk_add_f32 v[58:59], v[12:13], v[48:49]
	s_nop 0
	v_min3_f32 v57, v58, v59, v118
	v_pk_add_f32 v[58:59], v[14:15], v[50:51]
	s_nop 0
	v_min_f32_e32 v58, v58, v59
	v_min3_f32 v58, v56, v58, v57
	v_lshl_add_u64 v[56:57], v[74:75], 2, v[52:53]
	global_store_dword v[56:57], v58, off
	s_or_b64 exec, exec, s[26:27]
	s_and_b64 s[34:35], s[14:15], s[18:19]
	s_and_saveexec_b64 s[26:27], s[34:35]
	s_cbranch_execz .LBB24_177
.LBB24_202:
	s_and_b64 vcc, exec, s[0:1]
	s_cbranch_vccnz .LBB24_204
; %bb.203:
	v_lshl_add_u64 v[56:57], v[76:77], 2, v[54:55]
	flat_load_dword v56, v[56:57]
	s_waitcnt vmcnt(0) lgkmcnt(0)
	v_mul_f32_e32 v56, s30, v56
	s_branch .LBB24_205
.LBB24_204:
	v_mov_b32_e32 v56, 0
.LBB24_205:
	v_pk_add_f32 v[58:59], v[8:9], v[48:49]
	s_nop 0
	v_min3_f32 v57, v58, v59, v117
	v_pk_add_f32 v[58:59], v[10:11], v[50:51]
	s_nop 0
	v_min_f32_e32 v58, v58, v59
	v_min3_f32 v58, v56, v58, v57
	v_lshl_add_u64 v[56:57], v[76:77], 2, v[52:53]
	global_store_dword v[56:57], v58, off
	s_or_b64 exec, exec, s[26:27]
	s_and_b64 s[26:27], s[16:17], s[18:19]
	s_and_saveexec_b64 s[18:19], s[26:27]
	s_cbranch_execz .LBB24_210
.LBB24_206:
	s_and_b64 vcc, exec, s[0:1]
	s_cbranch_vccnz .LBB24_208
; %bb.207:
	v_lshl_add_u64 v[54:55], v[78:79], 2, v[54:55]
	flat_load_dword v54, v[54:55]
	s_waitcnt vmcnt(0) lgkmcnt(0)
	v_mul_f32_e32 v54, s30, v54
	s_branch .LBB24_209
.LBB24_208:
	v_mov_b32_e32 v54, 0
.LBB24_209:
	v_pk_add_f32 v[48:49], v[0:1], v[48:49]
	s_nop 0
	v_min3_f32 v55, v48, v49, v116
	v_pk_add_f32 v[48:49], v[2:3], v[50:51]
	s_nop 0
	v_min_f32_e32 v48, v48, v49
	v_min3_f32 v50, v54, v48, v55
	v_lshl_add_u64 v[48:49], v[78:79], 2, v[52:53]
	global_store_dword v[48:49], v50, off
.LBB24_210:
	s_or_b64 exec, exec, s[18:19]
	v_add_u32_e32 v52, 0x80, v124
	v_mad_i64_i32 v[48:49], s[26:27], v52, s29, 0
	v_cmp_gt_i32_e64 s[18:19], s21, v52
	v_lshl_add_u64 v[50:51], v[48:49], 2, s[24:25]
	v_mad_i64_i32 v[48:49], s[26:27], v52, s28, 0
	v_lshl_add_u64 v[48:49], v[48:49], 2, s[22:23]
	s_and_b64 s[34:35], s[2:3], s[18:19]
	s_and_saveexec_b64 s[26:27], s[34:35]
	s_cbranch_execnz .LBB24_218
; %bb.211:
	s_or_b64 exec, exec, s[26:27]
	s_and_b64 s[34:35], s[4:5], s[18:19]
	s_and_saveexec_b64 s[26:27], s[34:35]
	s_cbranch_execnz .LBB24_222
.LBB24_212:
	s_or_b64 exec, exec, s[26:27]
	s_and_b64 s[34:35], s[6:7], s[18:19]
	s_and_saveexec_b64 s[26:27], s[34:35]
	s_cbranch_execnz .LBB24_226
.LBB24_213:
	s_or_b64 exec, exec, s[26:27]
	s_and_b64 s[34:35], s[8:9], s[18:19]
	s_and_saveexec_b64 s[26:27], s[34:35]
	s_cbranch_execnz .LBB24_230
.LBB24_214:
	s_or_b64 exec, exec, s[26:27]
	s_and_b64 s[34:35], s[10:11], s[18:19]
	s_and_saveexec_b64 s[26:27], s[34:35]
	s_cbranch_execnz .LBB24_234
.LBB24_215:
	s_or_b64 exec, exec, s[26:27]
	s_and_b64 s[34:35], s[12:13], s[18:19]
	s_and_saveexec_b64 s[26:27], s[34:35]
	s_cbranch_execnz .LBB24_238
.LBB24_216:
	s_or_b64 exec, exec, s[26:27]
	s_and_b64 s[34:35], s[14:15], s[18:19]
	s_and_saveexec_b64 s[26:27], s[34:35]
	s_cbranch_execnz .LBB24_242
.LBB24_217:
	s_or_b64 exec, exec, s[26:27]
	s_and_b64 s[26:27], s[16:17], s[18:19]
	s_and_saveexec_b64 s[18:19], s[26:27]
	s_cbranch_execnz .LBB24_246
	s_branch .LBB24_250
.LBB24_218:
	s_and_b64 vcc, exec, s[0:1]
	s_cbranch_vccnz .LBB24_220
; %bb.219:
	v_lshl_add_u64 v[52:53], v[64:65], 2, v[50:51]
	flat_load_dword v52, v[52:53]
	s_waitcnt vmcnt(0) lgkmcnt(0)
	v_mul_f32_e32 v52, s30, v52
	s_branch .LBB24_221
.LBB24_220:
	v_mov_b32_e32 v52, 0
.LBB24_221:
	v_pk_add_f32 v[54:55], v[32:33], v[44:45]
	s_nop 0
	v_min3_f32 v53, v54, v55, v115
	v_pk_add_f32 v[54:55], v[34:35], v[46:47]
	s_nop 0
	v_min_f32_e32 v54, v54, v55
	v_min3_f32 v54, v52, v54, v53
	v_lshl_add_u64 v[52:53], v[64:65], 2, v[48:49]
	global_store_dword v[52:53], v54, off
	s_or_b64 exec, exec, s[26:27]
	s_and_b64 s[34:35], s[4:5], s[18:19]
	s_and_saveexec_b64 s[26:27], s[34:35]
	s_cbranch_execz .LBB24_212
.LBB24_222:
	s_and_b64 vcc, exec, s[0:1]
	s_cbranch_vccnz .LBB24_224
; %bb.223:
	v_lshl_add_u64 v[52:53], v[66:67], 2, v[50:51]
	flat_load_dword v52, v[52:53]
	s_waitcnt vmcnt(0) lgkmcnt(0)
	v_mul_f32_e32 v52, s30, v52
	s_branch .LBB24_225
.LBB24_224:
	v_mov_b32_e32 v52, 0
.LBB24_225:
	v_pk_add_f32 v[54:55], v[28:29], v[44:45]
	s_nop 0
	v_min3_f32 v53, v54, v55, v114
	v_pk_add_f32 v[54:55], v[30:31], v[46:47]
	s_nop 0
	v_min_f32_e32 v54, v54, v55
	v_min3_f32 v54, v52, v54, v53
	v_lshl_add_u64 v[52:53], v[66:67], 2, v[48:49]
	global_store_dword v[52:53], v54, off
	s_or_b64 exec, exec, s[26:27]
	s_and_b64 s[34:35], s[6:7], s[18:19]
	s_and_saveexec_b64 s[26:27], s[34:35]
	s_cbranch_execz .LBB24_213
.LBB24_226:
	s_and_b64 vcc, exec, s[0:1]
	s_cbranch_vccnz .LBB24_228
; %bb.227:
	v_lshl_add_u64 v[52:53], v[68:69], 2, v[50:51]
	flat_load_dword v52, v[52:53]
	s_waitcnt vmcnt(0) lgkmcnt(0)
	v_mul_f32_e32 v52, s30, v52
	s_branch .LBB24_229
.LBB24_228:
	v_mov_b32_e32 v52, 0
.LBB24_229:
	v_pk_add_f32 v[54:55], v[24:25], v[44:45]
	s_nop 0
	v_min3_f32 v53, v54, v55, v113
	v_pk_add_f32 v[54:55], v[26:27], v[46:47]
	s_nop 0
	v_min_f32_e32 v54, v54, v55
	v_min3_f32 v54, v52, v54, v53
	v_lshl_add_u64 v[52:53], v[68:69], 2, v[48:49]
	global_store_dword v[52:53], v54, off
	s_or_b64 exec, exec, s[26:27]
	s_and_b64 s[34:35], s[8:9], s[18:19]
	s_and_saveexec_b64 s[26:27], s[34:35]
	s_cbranch_execz .LBB24_214
.LBB24_230:
	s_and_b64 vcc, exec, s[0:1]
	s_cbranch_vccnz .LBB24_232
; %bb.231:
	v_lshl_add_u64 v[52:53], v[70:71], 2, v[50:51]
	flat_load_dword v52, v[52:53]
	s_waitcnt vmcnt(0) lgkmcnt(0)
	v_mul_f32_e32 v52, s30, v52
	s_branch .LBB24_233
.LBB24_232:
	v_mov_b32_e32 v52, 0
.LBB24_233:
	v_pk_add_f32 v[54:55], v[20:21], v[44:45]
	s_nop 0
	v_min3_f32 v53, v54, v55, v112
	v_pk_add_f32 v[54:55], v[22:23], v[46:47]
	s_nop 0
	v_min_f32_e32 v54, v54, v55
	v_min3_f32 v54, v52, v54, v53
	v_lshl_add_u64 v[52:53], v[70:71], 2, v[48:49]
	global_store_dword v[52:53], v54, off
	s_or_b64 exec, exec, s[26:27]
	s_and_b64 s[34:35], s[10:11], s[18:19]
	s_and_saveexec_b64 s[26:27], s[34:35]
	s_cbranch_execz .LBB24_215
.LBB24_234:
	s_and_b64 vcc, exec, s[0:1]
	s_cbranch_vccnz .LBB24_236
; %bb.235:
	v_lshl_add_u64 v[52:53], v[72:73], 2, v[50:51]
	flat_load_dword v52, v[52:53]
	s_waitcnt vmcnt(0) lgkmcnt(0)
	v_mul_f32_e32 v52, s30, v52
	s_branch .LBB24_237
.LBB24_236:
	v_mov_b32_e32 v52, 0
.LBB24_237:
	v_pk_add_f32 v[54:55], v[16:17], v[44:45]
	s_nop 0
	v_min3_f32 v53, v54, v55, v111
	v_pk_add_f32 v[54:55], v[18:19], v[46:47]
	s_nop 0
	v_min_f32_e32 v54, v54, v55
	v_min3_f32 v54, v52, v54, v53
	v_lshl_add_u64 v[52:53], v[72:73], 2, v[48:49]
	global_store_dword v[52:53], v54, off
	s_or_b64 exec, exec, s[26:27]
	s_and_b64 s[34:35], s[12:13], s[18:19]
	s_and_saveexec_b64 s[26:27], s[34:35]
	s_cbranch_execz .LBB24_216
.LBB24_238:
	s_and_b64 vcc, exec, s[0:1]
	s_cbranch_vccnz .LBB24_240
; %bb.239:
	v_lshl_add_u64 v[52:53], v[74:75], 2, v[50:51]
	flat_load_dword v52, v[52:53]
	s_waitcnt vmcnt(0) lgkmcnt(0)
	v_mul_f32_e32 v52, s30, v52
	s_branch .LBB24_241
.LBB24_240:
	v_mov_b32_e32 v52, 0
.LBB24_241:
	v_pk_add_f32 v[54:55], v[12:13], v[44:45]
	s_nop 0
	v_min3_f32 v53, v54, v55, v110
	v_pk_add_f32 v[54:55], v[14:15], v[46:47]
	s_nop 0
	v_min_f32_e32 v54, v54, v55
	v_min3_f32 v54, v52, v54, v53
	v_lshl_add_u64 v[52:53], v[74:75], 2, v[48:49]
	global_store_dword v[52:53], v54, off
	s_or_b64 exec, exec, s[26:27]
	s_and_b64 s[34:35], s[14:15], s[18:19]
	s_and_saveexec_b64 s[26:27], s[34:35]
	s_cbranch_execz .LBB24_217
.LBB24_242:
	s_and_b64 vcc, exec, s[0:1]
	s_cbranch_vccnz .LBB24_244
; %bb.243:
	v_lshl_add_u64 v[52:53], v[76:77], 2, v[50:51]
	flat_load_dword v52, v[52:53]
	s_waitcnt vmcnt(0) lgkmcnt(0)
	v_mul_f32_e32 v52, s30, v52
	s_branch .LBB24_245
.LBB24_244:
	v_mov_b32_e32 v52, 0
.LBB24_245:
	v_pk_add_f32 v[54:55], v[8:9], v[44:45]
	s_nop 0
	v_min3_f32 v53, v54, v55, v109
	v_pk_add_f32 v[54:55], v[10:11], v[46:47]
	s_nop 0
	v_min_f32_e32 v54, v54, v55
	v_min3_f32 v54, v52, v54, v53
	v_lshl_add_u64 v[52:53], v[76:77], 2, v[48:49]
	global_store_dword v[52:53], v54, off
	s_or_b64 exec, exec, s[26:27]
	s_and_b64 s[26:27], s[16:17], s[18:19]
	s_and_saveexec_b64 s[18:19], s[26:27]
	s_cbranch_execz .LBB24_250
.LBB24_246:
	s_and_b64 vcc, exec, s[0:1]
	s_cbranch_vccnz .LBB24_248
; %bb.247:
	v_lshl_add_u64 v[50:51], v[78:79], 2, v[50:51]
	flat_load_dword v50, v[50:51]
	s_waitcnt vmcnt(0) lgkmcnt(0)
	v_mul_f32_e32 v50, s30, v50
	s_branch .LBB24_249
.LBB24_248:
	v_mov_b32_e32 v50, 0
.LBB24_249:
	v_pk_add_f32 v[44:45], v[0:1], v[44:45]
	s_nop 0
	v_min3_f32 v51, v44, v45, v108
	v_pk_add_f32 v[44:45], v[2:3], v[46:47]
	s_nop 0
	v_min_f32_e32 v44, v44, v45
	v_min3_f32 v46, v50, v44, v51
	v_lshl_add_u64 v[44:45], v[78:79], 2, v[48:49]
	global_store_dword v[44:45], v46, off
.LBB24_250:
	s_or_b64 exec, exec, s[18:19]
	v_add_u32_e32 v48, 0xa0, v124
	v_mad_i64_i32 v[44:45], s[26:27], v48, s29, 0
	v_cmp_gt_i32_e64 s[18:19], s21, v48
	v_lshl_add_u64 v[46:47], v[44:45], 2, s[24:25]
	v_mad_i64_i32 v[44:45], s[26:27], v48, s28, 0
	v_lshl_add_u64 v[44:45], v[44:45], 2, s[22:23]
	s_and_b64 s[34:35], s[2:3], s[18:19]
	s_and_saveexec_b64 s[26:27], s[34:35]
	s_cbranch_execnz .LBB24_258
; %bb.251:
	s_or_b64 exec, exec, s[26:27]
	s_and_b64 s[34:35], s[4:5], s[18:19]
	s_and_saveexec_b64 s[26:27], s[34:35]
	s_cbranch_execnz .LBB24_262
.LBB24_252:
	s_or_b64 exec, exec, s[26:27]
	s_and_b64 s[34:35], s[6:7], s[18:19]
	s_and_saveexec_b64 s[26:27], s[34:35]
	s_cbranch_execnz .LBB24_266
.LBB24_253:
	s_or_b64 exec, exec, s[26:27]
	s_and_b64 s[34:35], s[8:9], s[18:19]
	s_and_saveexec_b64 s[26:27], s[34:35]
	s_cbranch_execnz .LBB24_270
.LBB24_254:
	s_or_b64 exec, exec, s[26:27]
	s_and_b64 s[34:35], s[10:11], s[18:19]
	s_and_saveexec_b64 s[26:27], s[34:35]
	s_cbranch_execnz .LBB24_274
.LBB24_255:
	s_or_b64 exec, exec, s[26:27]
	s_and_b64 s[34:35], s[12:13], s[18:19]
	s_and_saveexec_b64 s[26:27], s[34:35]
	s_cbranch_execnz .LBB24_278
.LBB24_256:
	s_or_b64 exec, exec, s[26:27]
	s_and_b64 s[34:35], s[14:15], s[18:19]
	s_and_saveexec_b64 s[26:27], s[34:35]
	s_cbranch_execnz .LBB24_282
.LBB24_257:
	s_or_b64 exec, exec, s[26:27]
	s_and_b64 s[26:27], s[16:17], s[18:19]
	s_and_saveexec_b64 s[18:19], s[26:27]
	s_cbranch_execnz .LBB24_286
	s_branch .LBB24_290
.LBB24_258:
	s_and_b64 vcc, exec, s[0:1]
	s_cbranch_vccnz .LBB24_260
; %bb.259:
	v_lshl_add_u64 v[48:49], v[64:65], 2, v[46:47]
	flat_load_dword v48, v[48:49]
	s_waitcnt vmcnt(0) lgkmcnt(0)
	v_mul_f32_e32 v48, s30, v48
	s_branch .LBB24_261
.LBB24_260:
	v_mov_b32_e32 v48, 0
.LBB24_261:
	v_pk_add_f32 v[50:51], v[32:33], v[40:41]
	s_nop 0
	v_min3_f32 v49, v50, v51, v107
	v_pk_add_f32 v[50:51], v[34:35], v[42:43]
	s_nop 0
	v_min_f32_e32 v50, v50, v51
	v_min3_f32 v50, v48, v50, v49
	v_lshl_add_u64 v[48:49], v[64:65], 2, v[44:45]
	global_store_dword v[48:49], v50, off
	s_or_b64 exec, exec, s[26:27]
	s_and_b64 s[34:35], s[4:5], s[18:19]
	s_and_saveexec_b64 s[26:27], s[34:35]
	s_cbranch_execz .LBB24_252
.LBB24_262:
	s_and_b64 vcc, exec, s[0:1]
	s_cbranch_vccnz .LBB24_264
; %bb.263:
	v_lshl_add_u64 v[48:49], v[66:67], 2, v[46:47]
	flat_load_dword v48, v[48:49]
	s_waitcnt vmcnt(0) lgkmcnt(0)
	v_mul_f32_e32 v48, s30, v48
	s_branch .LBB24_265
.LBB24_264:
	v_mov_b32_e32 v48, 0
.LBB24_265:
	v_pk_add_f32 v[50:51], v[28:29], v[40:41]
	s_nop 0
	v_min3_f32 v49, v50, v51, v106
	v_pk_add_f32 v[50:51], v[30:31], v[42:43]
	s_nop 0
	v_min_f32_e32 v50, v50, v51
	v_min3_f32 v50, v48, v50, v49
	v_lshl_add_u64 v[48:49], v[66:67], 2, v[44:45]
	global_store_dword v[48:49], v50, off
	s_or_b64 exec, exec, s[26:27]
	s_and_b64 s[34:35], s[6:7], s[18:19]
	s_and_saveexec_b64 s[26:27], s[34:35]
	s_cbranch_execz .LBB24_253
.LBB24_266:
	s_and_b64 vcc, exec, s[0:1]
	s_cbranch_vccnz .LBB24_268
; %bb.267:
	v_lshl_add_u64 v[48:49], v[68:69], 2, v[46:47]
	flat_load_dword v48, v[48:49]
	s_waitcnt vmcnt(0) lgkmcnt(0)
	v_mul_f32_e32 v48, s30, v48
	s_branch .LBB24_269
.LBB24_268:
	v_mov_b32_e32 v48, 0
.LBB24_269:
	v_pk_add_f32 v[50:51], v[24:25], v[40:41]
	s_nop 0
	v_min3_f32 v49, v50, v51, v105
	v_pk_add_f32 v[50:51], v[26:27], v[42:43]
	s_nop 0
	v_min_f32_e32 v50, v50, v51
	v_min3_f32 v50, v48, v50, v49
	v_lshl_add_u64 v[48:49], v[68:69], 2, v[44:45]
	global_store_dword v[48:49], v50, off
	s_or_b64 exec, exec, s[26:27]
	s_and_b64 s[34:35], s[8:9], s[18:19]
	s_and_saveexec_b64 s[26:27], s[34:35]
	s_cbranch_execz .LBB24_254
.LBB24_270:
	s_and_b64 vcc, exec, s[0:1]
	s_cbranch_vccnz .LBB24_272
; %bb.271:
	v_lshl_add_u64 v[48:49], v[70:71], 2, v[46:47]
	flat_load_dword v48, v[48:49]
	s_waitcnt vmcnt(0) lgkmcnt(0)
	v_mul_f32_e32 v48, s30, v48
	s_branch .LBB24_273
.LBB24_272:
	v_mov_b32_e32 v48, 0
.LBB24_273:
	v_pk_add_f32 v[50:51], v[20:21], v[40:41]
	s_nop 0
	v_min3_f32 v49, v50, v51, v104
	v_pk_add_f32 v[50:51], v[22:23], v[42:43]
	s_nop 0
	v_min_f32_e32 v50, v50, v51
	v_min3_f32 v50, v48, v50, v49
	v_lshl_add_u64 v[48:49], v[70:71], 2, v[44:45]
	global_store_dword v[48:49], v50, off
	s_or_b64 exec, exec, s[26:27]
	s_and_b64 s[34:35], s[10:11], s[18:19]
	s_and_saveexec_b64 s[26:27], s[34:35]
	s_cbranch_execz .LBB24_255
.LBB24_274:
	s_and_b64 vcc, exec, s[0:1]
	s_cbranch_vccnz .LBB24_276
; %bb.275:
	v_lshl_add_u64 v[48:49], v[72:73], 2, v[46:47]
	flat_load_dword v48, v[48:49]
	s_waitcnt vmcnt(0) lgkmcnt(0)
	v_mul_f32_e32 v48, s30, v48
	s_branch .LBB24_277
.LBB24_276:
	v_mov_b32_e32 v48, 0
.LBB24_277:
	v_pk_add_f32 v[50:51], v[16:17], v[40:41]
	s_nop 0
	v_min3_f32 v49, v50, v51, v103
	v_pk_add_f32 v[50:51], v[18:19], v[42:43]
	s_nop 0
	v_min_f32_e32 v50, v50, v51
	v_min3_f32 v50, v48, v50, v49
	v_lshl_add_u64 v[48:49], v[72:73], 2, v[44:45]
	global_store_dword v[48:49], v50, off
	s_or_b64 exec, exec, s[26:27]
	s_and_b64 s[34:35], s[12:13], s[18:19]
	s_and_saveexec_b64 s[26:27], s[34:35]
	s_cbranch_execz .LBB24_256
.LBB24_278:
	s_and_b64 vcc, exec, s[0:1]
	s_cbranch_vccnz .LBB24_280
; %bb.279:
	v_lshl_add_u64 v[48:49], v[74:75], 2, v[46:47]
	flat_load_dword v48, v[48:49]
	s_waitcnt vmcnt(0) lgkmcnt(0)
	v_mul_f32_e32 v48, s30, v48
	s_branch .LBB24_281
.LBB24_280:
	v_mov_b32_e32 v48, 0
.LBB24_281:
	v_pk_add_f32 v[50:51], v[12:13], v[40:41]
	s_nop 0
	v_min3_f32 v49, v50, v51, v102
	v_pk_add_f32 v[50:51], v[14:15], v[42:43]
	s_nop 0
	v_min_f32_e32 v50, v50, v51
	v_min3_f32 v50, v48, v50, v49
	v_lshl_add_u64 v[48:49], v[74:75], 2, v[44:45]
	global_store_dword v[48:49], v50, off
	s_or_b64 exec, exec, s[26:27]
	s_and_b64 s[34:35], s[14:15], s[18:19]
	s_and_saveexec_b64 s[26:27], s[34:35]
	s_cbranch_execz .LBB24_257
.LBB24_282:
	s_and_b64 vcc, exec, s[0:1]
	s_cbranch_vccnz .LBB24_284
; %bb.283:
	v_lshl_add_u64 v[48:49], v[76:77], 2, v[46:47]
	flat_load_dword v48, v[48:49]
	s_waitcnt vmcnt(0) lgkmcnt(0)
	v_mul_f32_e32 v48, s30, v48
	s_branch .LBB24_285
.LBB24_284:
	v_mov_b32_e32 v48, 0
.LBB24_285:
	v_pk_add_f32 v[50:51], v[8:9], v[40:41]
	s_nop 0
	v_min3_f32 v49, v50, v51, v101
	v_pk_add_f32 v[50:51], v[10:11], v[42:43]
	s_nop 0
	v_min_f32_e32 v50, v50, v51
	v_min3_f32 v50, v48, v50, v49
	v_lshl_add_u64 v[48:49], v[76:77], 2, v[44:45]
	global_store_dword v[48:49], v50, off
	s_or_b64 exec, exec, s[26:27]
	s_and_b64 s[26:27], s[16:17], s[18:19]
	s_and_saveexec_b64 s[18:19], s[26:27]
	s_cbranch_execz .LBB24_290
.LBB24_286:
	s_and_b64 vcc, exec, s[0:1]
	s_cbranch_vccnz .LBB24_288
; %bb.287:
	v_lshl_add_u64 v[46:47], v[78:79], 2, v[46:47]
	flat_load_dword v46, v[46:47]
	s_waitcnt vmcnt(0) lgkmcnt(0)
	v_mul_f32_e32 v46, s30, v46
	s_branch .LBB24_289
.LBB24_288:
	v_mov_b32_e32 v46, 0
.LBB24_289:
	v_pk_add_f32 v[40:41], v[0:1], v[40:41]
	s_nop 0
	v_min3_f32 v47, v40, v41, v100
	v_pk_add_f32 v[40:41], v[2:3], v[42:43]
	s_nop 0
	v_min_f32_e32 v40, v40, v41
	v_min3_f32 v42, v46, v40, v47
	v_lshl_add_u64 v[40:41], v[78:79], 2, v[44:45]
	global_store_dword v[40:41], v42, off
.LBB24_290:
	s_or_b64 exec, exec, s[18:19]
	v_add_u32_e32 v44, 0xc0, v124
	v_mad_i64_i32 v[40:41], s[26:27], v44, s29, 0
	v_cmp_gt_i32_e64 s[18:19], s21, v44
	v_lshl_add_u64 v[42:43], v[40:41], 2, s[24:25]
	v_mad_i64_i32 v[40:41], s[26:27], v44, s28, 0
	v_lshl_add_u64 v[40:41], v[40:41], 2, s[22:23]
	s_and_b64 s[34:35], s[2:3], s[18:19]
	s_and_saveexec_b64 s[26:27], s[34:35]
	s_cbranch_execnz .LBB24_298
; %bb.291:
	s_or_b64 exec, exec, s[26:27]
	s_and_b64 s[34:35], s[4:5], s[18:19]
	s_and_saveexec_b64 s[26:27], s[34:35]
	s_cbranch_execnz .LBB24_302
.LBB24_292:
	s_or_b64 exec, exec, s[26:27]
	s_and_b64 s[34:35], s[6:7], s[18:19]
	s_and_saveexec_b64 s[26:27], s[34:35]
	s_cbranch_execnz .LBB24_306
.LBB24_293:
	s_or_b64 exec, exec, s[26:27]
	s_and_b64 s[34:35], s[8:9], s[18:19]
	s_and_saveexec_b64 s[26:27], s[34:35]
	s_cbranch_execnz .LBB24_310
.LBB24_294:
	s_or_b64 exec, exec, s[26:27]
	s_and_b64 s[34:35], s[10:11], s[18:19]
	s_and_saveexec_b64 s[26:27], s[34:35]
	s_cbranch_execnz .LBB24_314
.LBB24_295:
	s_or_b64 exec, exec, s[26:27]
	s_and_b64 s[34:35], s[12:13], s[18:19]
	s_and_saveexec_b64 s[26:27], s[34:35]
	s_cbranch_execnz .LBB24_318
.LBB24_296:
	s_or_b64 exec, exec, s[26:27]
	s_and_b64 s[34:35], s[14:15], s[18:19]
	s_and_saveexec_b64 s[26:27], s[34:35]
	s_cbranch_execnz .LBB24_322
.LBB24_297:
	s_or_b64 exec, exec, s[26:27]
	s_and_b64 s[26:27], s[16:17], s[18:19]
	s_and_saveexec_b64 s[18:19], s[26:27]
	s_cbranch_execnz .LBB24_326
	s_branch .LBB24_330
.LBB24_298:
	s_and_b64 vcc, exec, s[0:1]
	s_cbranch_vccnz .LBB24_300
; %bb.299:
	v_lshl_add_u64 v[44:45], v[64:65], 2, v[42:43]
	flat_load_dword v44, v[44:45]
	s_waitcnt vmcnt(0) lgkmcnt(0)
	v_mul_f32_e32 v44, s30, v44
	s_branch .LBB24_301
.LBB24_300:
	v_mov_b32_e32 v44, 0
.LBB24_301:
	v_pk_add_f32 v[46:47], v[32:33], v[36:37]
	s_nop 0
	v_min3_f32 v45, v46, v47, v99
	v_pk_add_f32 v[46:47], v[34:35], v[38:39]
	s_nop 0
	v_min_f32_e32 v46, v46, v47
	v_min3_f32 v46, v44, v46, v45
	v_lshl_add_u64 v[44:45], v[64:65], 2, v[40:41]
	global_store_dword v[44:45], v46, off
	s_or_b64 exec, exec, s[26:27]
	s_and_b64 s[34:35], s[4:5], s[18:19]
	s_and_saveexec_b64 s[26:27], s[34:35]
	s_cbranch_execz .LBB24_292
.LBB24_302:
	s_and_b64 vcc, exec, s[0:1]
	s_cbranch_vccnz .LBB24_304
; %bb.303:
	v_lshl_add_u64 v[44:45], v[66:67], 2, v[42:43]
	flat_load_dword v44, v[44:45]
	s_waitcnt vmcnt(0) lgkmcnt(0)
	v_mul_f32_e32 v44, s30, v44
	s_branch .LBB24_305
.LBB24_304:
	v_mov_b32_e32 v44, 0
.LBB24_305:
	v_pk_add_f32 v[46:47], v[28:29], v[36:37]
	s_nop 0
	v_min3_f32 v45, v46, v47, v98
	v_pk_add_f32 v[46:47], v[30:31], v[38:39]
	s_nop 0
	v_min_f32_e32 v46, v46, v47
	v_min3_f32 v46, v44, v46, v45
	v_lshl_add_u64 v[44:45], v[66:67], 2, v[40:41]
	global_store_dword v[44:45], v46, off
	s_or_b64 exec, exec, s[26:27]
	s_and_b64 s[34:35], s[6:7], s[18:19]
	s_and_saveexec_b64 s[26:27], s[34:35]
	s_cbranch_execz .LBB24_293
.LBB24_306:
	s_and_b64 vcc, exec, s[0:1]
	s_cbranch_vccnz .LBB24_308
; %bb.307:
	v_lshl_add_u64 v[44:45], v[68:69], 2, v[42:43]
	flat_load_dword v44, v[44:45]
	s_waitcnt vmcnt(0) lgkmcnt(0)
	v_mul_f32_e32 v44, s30, v44
	s_branch .LBB24_309
.LBB24_308:
	v_mov_b32_e32 v44, 0
.LBB24_309:
	v_pk_add_f32 v[46:47], v[24:25], v[36:37]
	s_nop 0
	v_min3_f32 v45, v46, v47, v97
	v_pk_add_f32 v[46:47], v[26:27], v[38:39]
	s_nop 0
	v_min_f32_e32 v46, v46, v47
	v_min3_f32 v46, v44, v46, v45
	v_lshl_add_u64 v[44:45], v[68:69], 2, v[40:41]
	global_store_dword v[44:45], v46, off
	s_or_b64 exec, exec, s[26:27]
	s_and_b64 s[34:35], s[8:9], s[18:19]
	s_and_saveexec_b64 s[26:27], s[34:35]
	s_cbranch_execz .LBB24_294
.LBB24_310:
	s_and_b64 vcc, exec, s[0:1]
	s_cbranch_vccnz .LBB24_312
; %bb.311:
	v_lshl_add_u64 v[44:45], v[70:71], 2, v[42:43]
	flat_load_dword v44, v[44:45]
	s_waitcnt vmcnt(0) lgkmcnt(0)
	v_mul_f32_e32 v44, s30, v44
	s_branch .LBB24_313
.LBB24_312:
	v_mov_b32_e32 v44, 0
.LBB24_313:
	v_pk_add_f32 v[46:47], v[20:21], v[36:37]
	s_nop 0
	v_min3_f32 v45, v46, v47, v96
	v_pk_add_f32 v[46:47], v[22:23], v[38:39]
	s_nop 0
	v_min_f32_e32 v46, v46, v47
	v_min3_f32 v46, v44, v46, v45
	v_lshl_add_u64 v[44:45], v[70:71], 2, v[40:41]
	global_store_dword v[44:45], v46, off
	s_or_b64 exec, exec, s[26:27]
	s_and_b64 s[34:35], s[10:11], s[18:19]
	s_and_saveexec_b64 s[26:27], s[34:35]
	s_cbranch_execz .LBB24_295
.LBB24_314:
	s_and_b64 vcc, exec, s[0:1]
	s_cbranch_vccnz .LBB24_316
; %bb.315:
	v_lshl_add_u64 v[44:45], v[72:73], 2, v[42:43]
	flat_load_dword v44, v[44:45]
	s_waitcnt vmcnt(0) lgkmcnt(0)
	v_mul_f32_e32 v44, s30, v44
	s_branch .LBB24_317
.LBB24_316:
	v_mov_b32_e32 v44, 0
.LBB24_317:
	v_pk_add_f32 v[46:47], v[16:17], v[36:37]
	s_nop 0
	v_min3_f32 v45, v46, v47, v95
	v_pk_add_f32 v[46:47], v[18:19], v[38:39]
	s_nop 0
	v_min_f32_e32 v46, v46, v47
	v_min3_f32 v46, v44, v46, v45
	v_lshl_add_u64 v[44:45], v[72:73], 2, v[40:41]
	global_store_dword v[44:45], v46, off
	s_or_b64 exec, exec, s[26:27]
	s_and_b64 s[34:35], s[12:13], s[18:19]
	s_and_saveexec_b64 s[26:27], s[34:35]
	s_cbranch_execz .LBB24_296
.LBB24_318:
	s_and_b64 vcc, exec, s[0:1]
	s_cbranch_vccnz .LBB24_320
; %bb.319:
	v_lshl_add_u64 v[44:45], v[74:75], 2, v[42:43]
	flat_load_dword v44, v[44:45]
	s_waitcnt vmcnt(0) lgkmcnt(0)
	v_mul_f32_e32 v44, s30, v44
	s_branch .LBB24_321
.LBB24_320:
	v_mov_b32_e32 v44, 0
.LBB24_321:
	v_pk_add_f32 v[46:47], v[12:13], v[36:37]
	s_nop 0
	v_min3_f32 v45, v46, v47, v94
	v_pk_add_f32 v[46:47], v[14:15], v[38:39]
	s_nop 0
	v_min_f32_e32 v46, v46, v47
	v_min3_f32 v46, v44, v46, v45
	v_lshl_add_u64 v[44:45], v[74:75], 2, v[40:41]
	global_store_dword v[44:45], v46, off
	s_or_b64 exec, exec, s[26:27]
	s_and_b64 s[34:35], s[14:15], s[18:19]
	s_and_saveexec_b64 s[26:27], s[34:35]
	s_cbranch_execz .LBB24_297
.LBB24_322:
	s_and_b64 vcc, exec, s[0:1]
	s_cbranch_vccnz .LBB24_324
; %bb.323:
	v_lshl_add_u64 v[44:45], v[76:77], 2, v[42:43]
	flat_load_dword v44, v[44:45]
	s_waitcnt vmcnt(0) lgkmcnt(0)
	v_mul_f32_e32 v44, s30, v44
	s_branch .LBB24_325
.LBB24_324:
	v_mov_b32_e32 v44, 0
.LBB24_325:
	v_pk_add_f32 v[46:47], v[8:9], v[36:37]
	s_nop 0
	v_min3_f32 v45, v46, v47, v93
	v_pk_add_f32 v[46:47], v[10:11], v[38:39]
	s_nop 0
	v_min_f32_e32 v46, v46, v47
	v_min3_f32 v46, v44, v46, v45
	v_lshl_add_u64 v[44:45], v[76:77], 2, v[40:41]
	global_store_dword v[44:45], v46, off
	s_or_b64 exec, exec, s[26:27]
	s_and_b64 s[26:27], s[16:17], s[18:19]
	s_and_saveexec_b64 s[18:19], s[26:27]
	s_cbranch_execz .LBB24_330
.LBB24_326:
	s_and_b64 vcc, exec, s[0:1]
	s_cbranch_vccnz .LBB24_328
; %bb.327:
	v_lshl_add_u64 v[42:43], v[78:79], 2, v[42:43]
	flat_load_dword v42, v[42:43]
	s_waitcnt vmcnt(0) lgkmcnt(0)
	v_mul_f32_e32 v42, s30, v42
	s_branch .LBB24_329
.LBB24_328:
	v_mov_b32_e32 v42, 0
.LBB24_329:
	v_pk_add_f32 v[36:37], v[0:1], v[36:37]
	s_nop 0
	v_min3_f32 v43, v36, v37, v92
	v_pk_add_f32 v[36:37], v[2:3], v[38:39]
	s_nop 0
	v_min_f32_e32 v36, v36, v37
	v_min3_f32 v38, v42, v36, v43
	v_lshl_add_u64 v[36:37], v[78:79], 2, v[40:41]
	global_store_dword v[36:37], v38, off
.LBB24_330:
	s_or_b64 exec, exec, s[18:19]
	v_add_u32_e32 v40, 0xe0, v124
	v_cmp_gt_i32_e64 s[18:19], s21, v40
	v_mad_i64_i32 v[36:37], s[20:21], v40, s29, 0
	v_lshl_add_u64 v[38:39], v[36:37], 2, s[24:25]
	v_mad_i64_i32 v[36:37], s[20:21], v40, s28, 0
	v_lshl_add_u64 v[36:37], v[36:37], 2, s[22:23]
	s_and_b64 s[20:21], s[2:3], s[18:19]
	s_and_saveexec_b64 s[2:3], s[20:21]
	s_cbranch_execnz .LBB24_339
; %bb.331:
	s_or_b64 exec, exec, s[2:3]
	s_and_b64 s[4:5], s[4:5], s[18:19]
	s_and_saveexec_b64 s[2:3], s[4:5]
	s_cbranch_execnz .LBB24_343
.LBB24_332:
	s_or_b64 exec, exec, s[2:3]
	s_and_b64 s[4:5], s[6:7], s[18:19]
	s_and_saveexec_b64 s[2:3], s[4:5]
	s_cbranch_execnz .LBB24_347
.LBB24_333:
	s_or_b64 exec, exec, s[2:3]
	s_and_b64 s[4:5], s[8:9], s[18:19]
	s_and_saveexec_b64 s[2:3], s[4:5]
	s_cbranch_execnz .LBB24_351
.LBB24_334:
	s_or_b64 exec, exec, s[2:3]
	s_and_b64 s[4:5], s[10:11], s[18:19]
	s_and_saveexec_b64 s[2:3], s[4:5]
	s_cbranch_execnz .LBB24_355
.LBB24_335:
	s_or_b64 exec, exec, s[2:3]
	s_and_b64 s[4:5], s[12:13], s[18:19]
	s_and_saveexec_b64 s[2:3], s[4:5]
	s_cbranch_execnz .LBB24_359
.LBB24_336:
	s_or_b64 exec, exec, s[2:3]
	s_and_b64 s[4:5], s[14:15], s[18:19]
	s_and_saveexec_b64 s[2:3], s[4:5]
	s_cbranch_execnz .LBB24_363
.LBB24_337:
	s_or_b64 exec, exec, s[2:3]
	s_and_b64 s[2:3], s[16:17], s[18:19]
	s_and_saveexec_b64 s[4:5], s[2:3]
	s_cbranch_execnz .LBB24_367
.LBB24_338:
	s_endpgm
.LBB24_339:
	s_and_b64 vcc, exec, s[0:1]
	s_cbranch_vccnz .LBB24_341
; %bb.340:
	v_lshl_add_u64 v[40:41], v[64:65], 2, v[38:39]
	flat_load_dword v40, v[40:41]
	s_waitcnt vmcnt(0) lgkmcnt(0)
	v_mul_f32_e32 v40, s30, v40
	s_branch .LBB24_342
.LBB24_341:
	v_mov_b32_e32 v40, 0
.LBB24_342:
	v_pk_add_f32 v[32:33], v[32:33], v[4:5]
	s_nop 0
	v_min3_f32 v41, v32, v33, v91
	v_pk_add_f32 v[32:33], v[34:35], v[6:7]
	s_nop 0
	v_min_f32_e32 v32, v32, v33
	v_min3_f32 v34, v40, v32, v41
	v_lshl_add_u64 v[32:33], v[64:65], 2, v[36:37]
	global_store_dword v[32:33], v34, off
	s_or_b64 exec, exec, s[2:3]
	s_and_b64 s[4:5], s[4:5], s[18:19]
	s_and_saveexec_b64 s[2:3], s[4:5]
	s_cbranch_execz .LBB24_332
.LBB24_343:
	s_and_b64 vcc, exec, s[0:1]
	s_cbranch_vccnz .LBB24_345
; %bb.344:
	v_lshl_add_u64 v[32:33], v[66:67], 2, v[38:39]
	flat_load_dword v32, v[32:33]
	s_waitcnt vmcnt(0) lgkmcnt(0)
	v_mul_f32_e32 v32, s30, v32
	s_branch .LBB24_346
.LBB24_345:
	v_mov_b32_e32 v32, 0
.LBB24_346:
	v_pk_add_f32 v[28:29], v[28:29], v[4:5]
	s_nop 0
	v_min3_f32 v33, v28, v29, v90
	v_pk_add_f32 v[28:29], v[30:31], v[6:7]
	s_nop 0
	v_min_f32_e32 v28, v28, v29
	v_min3_f32 v30, v32, v28, v33
	v_lshl_add_u64 v[28:29], v[66:67], 2, v[36:37]
	global_store_dword v[28:29], v30, off
	s_or_b64 exec, exec, s[2:3]
	s_and_b64 s[4:5], s[6:7], s[18:19]
	s_and_saveexec_b64 s[2:3], s[4:5]
	s_cbranch_execz .LBB24_333
.LBB24_347:
	s_and_b64 vcc, exec, s[0:1]
	s_cbranch_vccnz .LBB24_349
; %bb.348:
	v_lshl_add_u64 v[28:29], v[68:69], 2, v[38:39]
	flat_load_dword v28, v[28:29]
	s_waitcnt vmcnt(0) lgkmcnt(0)
	v_mul_f32_e32 v28, s30, v28
	s_branch .LBB24_350
.LBB24_349:
	v_mov_b32_e32 v28, 0
.LBB24_350:
	v_pk_add_f32 v[24:25], v[24:25], v[4:5]
	s_nop 0
	v_min3_f32 v29, v24, v25, v89
	v_pk_add_f32 v[24:25], v[26:27], v[6:7]
	s_nop 0
	v_min_f32_e32 v24, v24, v25
	v_min3_f32 v26, v28, v24, v29
	v_lshl_add_u64 v[24:25], v[68:69], 2, v[36:37]
	global_store_dword v[24:25], v26, off
	s_or_b64 exec, exec, s[2:3]
	s_and_b64 s[4:5], s[8:9], s[18:19]
	s_and_saveexec_b64 s[2:3], s[4:5]
	s_cbranch_execz .LBB24_334
.LBB24_351:
	s_and_b64 vcc, exec, s[0:1]
	s_cbranch_vccnz .LBB24_353
; %bb.352:
	v_lshl_add_u64 v[24:25], v[70:71], 2, v[38:39]
	flat_load_dword v24, v[24:25]
	s_waitcnt vmcnt(0) lgkmcnt(0)
	v_mul_f32_e32 v24, s30, v24
	s_branch .LBB24_354
.LBB24_353:
	v_mov_b32_e32 v24, 0
.LBB24_354:
	v_pk_add_f32 v[20:21], v[20:21], v[4:5]
	s_nop 0
	v_min3_f32 v25, v20, v21, v87
	v_pk_add_f32 v[20:21], v[22:23], v[6:7]
	s_nop 0
	v_min_f32_e32 v20, v20, v21
	v_min3_f32 v22, v24, v20, v25
	v_lshl_add_u64 v[20:21], v[70:71], 2, v[36:37]
	global_store_dword v[20:21], v22, off
	s_or_b64 exec, exec, s[2:3]
	s_and_b64 s[4:5], s[10:11], s[18:19]
	s_and_saveexec_b64 s[2:3], s[4:5]
	s_cbranch_execz .LBB24_335
.LBB24_355:
	s_and_b64 vcc, exec, s[0:1]
	s_cbranch_vccnz .LBB24_357
; %bb.356:
	v_lshl_add_u64 v[20:21], v[72:73], 2, v[38:39]
	flat_load_dword v20, v[20:21]
	s_waitcnt vmcnt(0) lgkmcnt(0)
	v_mul_f32_e32 v20, s30, v20
	s_branch .LBB24_358
.LBB24_357:
	v_mov_b32_e32 v20, 0
.LBB24_358:
	v_pk_add_f32 v[16:17], v[16:17], v[4:5]
	s_nop 0
	v_min3_f32 v21, v16, v17, v86
	v_pk_add_f32 v[16:17], v[18:19], v[6:7]
	s_nop 0
	v_min_f32_e32 v16, v16, v17
	v_min3_f32 v18, v20, v16, v21
	v_lshl_add_u64 v[16:17], v[72:73], 2, v[36:37]
	global_store_dword v[16:17], v18, off
	s_or_b64 exec, exec, s[2:3]
	s_and_b64 s[4:5], s[12:13], s[18:19]
	s_and_saveexec_b64 s[2:3], s[4:5]
	s_cbranch_execz .LBB24_336
.LBB24_359:
	s_and_b64 vcc, exec, s[0:1]
	s_cbranch_vccnz .LBB24_361
; %bb.360:
	v_lshl_add_u64 v[16:17], v[74:75], 2, v[38:39]
	flat_load_dword v16, v[16:17]
	s_waitcnt vmcnt(0) lgkmcnt(0)
	v_mul_f32_e32 v16, s30, v16
	s_branch .LBB24_362
.LBB24_361:
	v_mov_b32_e32 v16, 0
.LBB24_362:
	v_pk_add_f32 v[12:13], v[12:13], v[4:5]
	s_nop 0
	v_min3_f32 v17, v12, v13, v85
	v_pk_add_f32 v[12:13], v[14:15], v[6:7]
	s_nop 0
	v_min_f32_e32 v12, v12, v13
	v_min3_f32 v14, v16, v12, v17
	v_lshl_add_u64 v[12:13], v[74:75], 2, v[36:37]
	global_store_dword v[12:13], v14, off
	s_or_b64 exec, exec, s[2:3]
	s_and_b64 s[4:5], s[14:15], s[18:19]
	s_and_saveexec_b64 s[2:3], s[4:5]
	s_cbranch_execz .LBB24_337
.LBB24_363:
	s_and_b64 vcc, exec, s[0:1]
	s_cbranch_vccnz .LBB24_365
; %bb.364:
	v_lshl_add_u64 v[12:13], v[76:77], 2, v[38:39]
	flat_load_dword v12, v[12:13]
	s_waitcnt vmcnt(0) lgkmcnt(0)
	v_mul_f32_e32 v12, s30, v12
	s_branch .LBB24_366
.LBB24_365:
	v_mov_b32_e32 v12, 0
.LBB24_366:
	v_pk_add_f32 v[8:9], v[8:9], v[4:5]
	s_nop 0
	v_min3_f32 v13, v8, v9, v84
	v_pk_add_f32 v[8:9], v[10:11], v[6:7]
	s_nop 0
	v_min_f32_e32 v8, v8, v9
	v_min3_f32 v10, v12, v8, v13
	v_lshl_add_u64 v[8:9], v[76:77], 2, v[36:37]
	global_store_dword v[8:9], v10, off
	s_or_b64 exec, exec, s[2:3]
	s_and_b64 s[2:3], s[16:17], s[18:19]
	s_and_saveexec_b64 s[4:5], s[2:3]
	s_cbranch_execz .LBB24_338
.LBB24_367:
	s_and_b64 vcc, exec, s[0:1]
	s_cbranch_vccnz .LBB24_369
; %bb.368:
	v_lshl_add_u64 v[8:9], v[78:79], 2, v[38:39]
	flat_load_dword v8, v[8:9]
	s_waitcnt vmcnt(0) lgkmcnt(0)
	v_mul_f32_e32 v8, s30, v8
	s_branch .LBB24_370
.LBB24_369:
	v_mov_b32_e32 v8, 0
.LBB24_370:
	v_pk_add_f32 v[0:1], v[0:1], v[4:5]
	s_nop 0
	v_min3_f32 v4, v0, v1, v88
	v_pk_add_f32 v[0:1], v[2:3], v[6:7]
	s_nop 0
	v_min_f32_e32 v0, v0, v1
	v_min3_f32 v2, v8, v0, v4
	v_lshl_add_u64 v[0:1], v[78:79], 2, v[36:37]
	global_store_dword v[0:1], v2, off
	s_endpgm
	.section	.rodata,"a",@progbits
	.p2align	6, 0x0
	.amdhsa_kernel _ZN12_GLOBAL__N_120geam_min_plus_kernelIf15HIP_vector_typeIfLj2EEfLi8ELi32ELi64ELi256ELi4ELi4ELi64ELi64ELi4ELc84ELc84ELb0ELb1ELb1EPKfKS4_KPfEEviiiT16_PT17_ilSA_ilS8_SA_ilPT18_ili26rocblas_geam_ex_operation_
		.amdhsa_group_segment_fixed_size 10240
		.amdhsa_private_segment_fixed_size 0
		.amdhsa_kernarg_size 136
		.amdhsa_user_sgpr_count 2
		.amdhsa_user_sgpr_dispatch_ptr 0
		.amdhsa_user_sgpr_queue_ptr 0
		.amdhsa_user_sgpr_kernarg_segment_ptr 1
		.amdhsa_user_sgpr_dispatch_id 0
		.amdhsa_user_sgpr_kernarg_preload_length 0
		.amdhsa_user_sgpr_kernarg_preload_offset 0
		.amdhsa_user_sgpr_private_segment_size 0
		.amdhsa_uses_dynamic_stack 0
		.amdhsa_enable_private_segment 0
		.amdhsa_system_sgpr_workgroup_id_x 1
		.amdhsa_system_sgpr_workgroup_id_y 0
		.amdhsa_system_sgpr_workgroup_id_z 1
		.amdhsa_system_sgpr_workgroup_info 0
		.amdhsa_system_vgpr_workitem_id 1
		.amdhsa_next_free_vgpr 172
		.amdhsa_next_free_sgpr 40
		.amdhsa_accum_offset 172
		.amdhsa_reserve_vcc 1
		.amdhsa_float_round_mode_32 0
		.amdhsa_float_round_mode_16_64 0
		.amdhsa_float_denorm_mode_32 3
		.amdhsa_float_denorm_mode_16_64 3
		.amdhsa_dx10_clamp 1
		.amdhsa_ieee_mode 1
		.amdhsa_fp16_overflow 0
		.amdhsa_tg_split 0
		.amdhsa_exception_fp_ieee_invalid_op 0
		.amdhsa_exception_fp_denorm_src 0
		.amdhsa_exception_fp_ieee_div_zero 0
		.amdhsa_exception_fp_ieee_overflow 0
		.amdhsa_exception_fp_ieee_underflow 0
		.amdhsa_exception_fp_ieee_inexact 0
		.amdhsa_exception_int_div_zero 0
	.end_amdhsa_kernel
	.section	.text._ZN12_GLOBAL__N_120geam_min_plus_kernelIf15HIP_vector_typeIfLj2EEfLi8ELi32ELi64ELi256ELi4ELi4ELi64ELi64ELi4ELc84ELc84ELb0ELb1ELb1EPKfKS4_KPfEEviiiT16_PT17_ilSA_ilS8_SA_ilPT18_ili26rocblas_geam_ex_operation_,"axG",@progbits,_ZN12_GLOBAL__N_120geam_min_plus_kernelIf15HIP_vector_typeIfLj2EEfLi8ELi32ELi64ELi256ELi4ELi4ELi64ELi64ELi4ELc84ELc84ELb0ELb1ELb1EPKfKS4_KPfEEviiiT16_PT17_ilSA_ilS8_SA_ilPT18_ili26rocblas_geam_ex_operation_,comdat
.Lfunc_end24:
	.size	_ZN12_GLOBAL__N_120geam_min_plus_kernelIf15HIP_vector_typeIfLj2EEfLi8ELi32ELi64ELi256ELi4ELi4ELi64ELi64ELi4ELc84ELc84ELb0ELb1ELb1EPKfKS4_KPfEEviiiT16_PT17_ilSA_ilS8_SA_ilPT18_ili26rocblas_geam_ex_operation_, .Lfunc_end24-_ZN12_GLOBAL__N_120geam_min_plus_kernelIf15HIP_vector_typeIfLj2EEfLi8ELi32ELi64ELi256ELi4ELi4ELi64ELi64ELi4ELc84ELc84ELb0ELb1ELb1EPKfKS4_KPfEEviiiT16_PT17_ilSA_ilS8_SA_ilPT18_ili26rocblas_geam_ex_operation_
                                        ; -- End function
	.section	.AMDGPU.csdata,"",@progbits
; Kernel info:
; codeLenInByte = 18756
; NumSgprs: 46
; NumVgprs: 172
; NumAgprs: 0
; TotalNumVgprs: 172
; ScratchSize: 0
; MemoryBound: 0
; FloatMode: 240
; IeeeMode: 1
; LDSByteSize: 10240 bytes/workgroup (compile time only)
; SGPRBlocks: 5
; VGPRBlocks: 21
; NumSGPRsForWavesPerEU: 46
; NumVGPRsForWavesPerEU: 172
; AccumOffset: 172
; Occupancy: 2
; WaveLimiterHint : 1
; COMPUTE_PGM_RSRC2:SCRATCH_EN: 0
; COMPUTE_PGM_RSRC2:USER_SGPR: 2
; COMPUTE_PGM_RSRC2:TRAP_HANDLER: 0
; COMPUTE_PGM_RSRC2:TGID_X_EN: 1
; COMPUTE_PGM_RSRC2:TGID_Y_EN: 0
; COMPUTE_PGM_RSRC2:TGID_Z_EN: 1
; COMPUTE_PGM_RSRC2:TIDIG_COMP_CNT: 1
; COMPUTE_PGM_RSRC3_GFX90A:ACCUM_OFFSET: 42
; COMPUTE_PGM_RSRC3_GFX90A:TG_SPLIT: 0
	.section	.text._ZN12_GLOBAL__N_120geam_min_plus_kernelIf15HIP_vector_typeIfLj2EEfLi8ELi32ELi64ELi256ELi4ELi4ELi64ELi64ELi4ELc84ELc84ELb1ELb1ELb1EfKPKfKPfEEviiiT16_PT17_ilSA_ilS8_SA_ilPT18_ili26rocblas_geam_ex_operation_,"axG",@progbits,_ZN12_GLOBAL__N_120geam_min_plus_kernelIf15HIP_vector_typeIfLj2EEfLi8ELi32ELi64ELi256ELi4ELi4ELi64ELi64ELi4ELc84ELc84ELb1ELb1ELb1EfKPKfKPfEEviiiT16_PT17_ilSA_ilS8_SA_ilPT18_ili26rocblas_geam_ex_operation_,comdat
	.globl	_ZN12_GLOBAL__N_120geam_min_plus_kernelIf15HIP_vector_typeIfLj2EEfLi8ELi32ELi64ELi256ELi4ELi4ELi64ELi64ELi4ELc84ELc84ELb1ELb1ELb1EfKPKfKPfEEviiiT16_PT17_ilSA_ilS8_SA_ilPT18_ili26rocblas_geam_ex_operation_ ; -- Begin function _ZN12_GLOBAL__N_120geam_min_plus_kernelIf15HIP_vector_typeIfLj2EEfLi8ELi32ELi64ELi256ELi4ELi4ELi64ELi64ELi4ELc84ELc84ELb1ELb1ELb1EfKPKfKPfEEviiiT16_PT17_ilSA_ilS8_SA_ilPT18_ili26rocblas_geam_ex_operation_
	.p2align	8
	.type	_ZN12_GLOBAL__N_120geam_min_plus_kernelIf15HIP_vector_typeIfLj2EEfLi8ELi32ELi64ELi256ELi4ELi4ELi64ELi64ELi4ELc84ELc84ELb1ELb1ELb1EfKPKfKPfEEviiiT16_PT17_ilSA_ilS8_SA_ilPT18_ili26rocblas_geam_ex_operation_,@function
_ZN12_GLOBAL__N_120geam_min_plus_kernelIf15HIP_vector_typeIfLj2EEfLi8ELi32ELi64ELi256ELi4ELi4ELi64ELi64ELi4ELc84ELc84ELb1ELb1ELb1EfKPKfKPfEEviiiT16_PT17_ilSA_ilS8_SA_ilPT18_ili26rocblas_geam_ex_operation_: ; @_ZN12_GLOBAL__N_120geam_min_plus_kernelIf15HIP_vector_typeIfLj2EEfLi8ELi32ELi64ELi256ELi4ELi4ELi64ELi64ELi4ELc84ELc84ELb1ELb1ELb1EfKPKfKPfEEviiiT16_PT17_ilSA_ilS8_SA_ilPT18_ili26rocblas_geam_ex_operation_
; %bb.0:
	s_load_dwordx4 s[20:23], s[0:1], 0x0
	s_load_dwordx4 s[4:7], s[0:1], 0x20
	s_mov_b32 s8, s3
	s_mov_b32 s9, 0
	s_waitcnt lgkmcnt(0)
	v_cmp_eq_f32_e64 s[10:11], s23, 0
	s_and_b64 vcc, exec, s[10:11]
	s_cbranch_vccnz .LBB25_3
; %bb.1:
	s_load_dwordx2 s[12:13], s[0:1], 0x10
	s_lshl_b64 s[14:15], s[8:9], 3
	s_waitcnt lgkmcnt(0)
	s_add_u32 s12, s12, s14
	s_addc_u32 s13, s13, s15
	s_load_dwordx2 s[12:13], s[12:13], 0x0
	s_lshl_b64 s[4:5], s[4:5], 2
	s_waitcnt lgkmcnt(0)
	s_add_u32 s18, s12, s4
	s_addc_u32 s19, s13, s5
	s_andn2_b64 vcc, exec, s[10:11]
	s_cbranch_vccnz .LBB25_4
.LBB25_2:
	s_mov_b64 s[26:27], 0
	s_cbranch_execz .LBB25_5
	s_branch .LBB25_6
.LBB25_3:
	s_mov_b64 s[18:19], 0
	s_andn2_b64 vcc, exec, s[10:11]
	s_cbranch_vccz .LBB25_2
.LBB25_4:
                                        ; implicit-def: $sgpr26_sgpr27
.LBB25_5:
	s_lshl_b64 s[10:11], s[8:9], 3
	s_add_u32 s6, s6, s10
	s_load_dwordx2 s[4:5], s[0:1], 0x38
	s_addc_u32 s7, s7, s11
	s_load_dwordx2 s[6:7], s[6:7], 0x0
	s_waitcnt lgkmcnt(0)
	s_lshl_b64 s[4:5], s[4:5], 2
	s_add_u32 s26, s6, s4
	s_addc_u32 s27, s7, s5
.LBB25_6:
	s_load_dword s33, s[0:1], 0x40
	s_load_dwordx4 s[4:7], s[0:1], 0x58
	s_waitcnt lgkmcnt(0)
	v_cmp_eq_f32_e64 s[10:11], s33, 0
	v_cmp_neq_f32_e64 s[12:13], s33, 0
	s_and_b64 vcc, exec, s[10:11]
	s_cbranch_vccnz .LBB25_8
; %bb.7:
	s_load_dwordx2 s[10:11], s[0:1], 0x48
	s_lshl_b64 s[14:15], s[8:9], 3
	s_waitcnt lgkmcnt(0)
	s_add_u32 s10, s10, s14
	s_addc_u32 s11, s11, s15
	s_load_dwordx2 s[10:11], s[10:11], 0x0
	s_lshl_b64 s[4:5], s[4:5], 2
	s_waitcnt lgkmcnt(0)
	s_add_u32 s24, s10, s4
	s_addc_u32 s25, s11, s5
	s_branch .LBB25_9
.LBB25_8:
	s_mov_b64 s[24:25], 0
.LBB25_9:
	s_lshl_b64 s[4:5], s[8:9], 3
	s_add_u32 s4, s6, s4
	s_addc_u32 s5, s7, s5
	s_add_i32 s3, s20, -1
	s_ashr_i32 s6, s3, 31
	s_lshr_b32 s6, s6, 26
	s_add_i32 s3, s3, s6
	s_ashr_i32 s6, s3, 6
	s_add_i32 s7, s6, 1
	v_cvt_f32_u32_e32 v1, s7
	v_and_b32_e32 v74, 0x3ff, v0
	v_bfe_u32 v75, v0, 10, 10
	s_load_dwordx2 s[14:15], s[4:5], 0x0
	v_rcp_iflag_f32_e32 v1, v1
	s_not_b32 s4, s6
	s_load_dword s3, s[0:1], 0x18
	v_and_b32_e32 v77, 3, v74
	v_mul_f32_e32 v0, 0x4f7ffffe, v1
	v_cvt_u32_f32_e32 v1, v0
	v_lshl_add_u32 v0, v75, 3, v74
	v_lshrrev_b32_e32 v60, 2, v0
	v_cmp_gt_i32_e32 vcc, s22, v77
	v_readfirstlane_b32 s5, v1
	s_mul_i32 s4, s4, s5
	s_mul_hi_u32 s4, s5, s4
	s_add_i32 s5, s5, s4
	s_mul_hi_u32 s4, s2, s5
	s_mul_i32 s5, s4, s7
	s_sub_i32 s5, s2, s5
	s_add_i32 s6, s4, 1
	s_sub_i32 s8, s5, s7
	s_cmp_ge_u32 s5, s7
	s_cselect_b32 s4, s6, s4
	s_cselect_b32 s5, s8, s5
	s_add_i32 s6, s4, 1
	s_cmp_ge_u32 s5, s7
	s_cselect_b32 s6, s6, s4
	s_mul_i32 s36, s6, s7
	s_sub_i32 s4, s2, s36
	s_lshl_b32 s34, s4, 6
	v_add_u32_e32 v7, s34, v60
	v_cmp_le_i32_e64 s[4:5], s20, v7
	s_xor_b64 s[16:17], s[4:5], -1
	s_and_b64 s[8:9], vcc, s[16:17]
	v_mov_b32_e32 v2, 0x7f7fffff
	v_lshlrev_b32_e32 v56, 2, v77
	v_mov_b32_e32 v3, 0x7f7fffff
	s_and_saveexec_b64 s[4:5], s[8:9]
	s_cbranch_execz .LBB25_11
; %bb.10:
	s_waitcnt lgkmcnt(0)
	v_mad_i64_i32 v[4:5], s[8:9], v7, s3, 0
	v_lshl_add_u64 v[4:5], v[4:5], 2, s[18:19]
	v_mov_b32_e32 v57, 0
	v_lshl_add_u64 v[4:5], v[4:5], 0, v[56:57]
	flat_load_dword v3, v[4:5]
.LBB25_11:
	s_or_b64 exec, exec, s[4:5]
	s_load_dword s28, s[0:1], 0x30
	v_and_b32_e32 v4, 63, v0
	s_lshl_b32 s35, s6, 8
	v_lshrrev_b32_e32 v79, 6, v0
	v_or_b32_e32 v58, s35, v4
	v_cmp_le_i32_e64 s[8:9], s22, v79
	s_waitcnt lgkmcnt(0)
	v_mad_i64_i32 v[0:1], s[4:5], s28, v79, 0
	v_cmp_le_i32_e32 vcc, s21, v58
	s_or_b64 s[4:5], vcc, s[8:9]
	v_lshl_add_u64 v[0:1], v[0:1], 2, s[26:27]
	s_xor_b64 s[6:7], s[4:5], -1
	v_ashrrev_i32_e32 v59, 31, v58
	s_and_saveexec_b64 s[4:5], s[6:7]
	s_cbranch_execz .LBB25_13
; %bb.12:
	v_lshl_add_u64 v[8:9], v[58:59], 2, v[0:1]
	flat_load_dword v2, v[8:9]
.LBB25_13:
	s_or_b64 exec, exec, s[4:5]
	v_or_b32_e32 v5, 64, v58
	v_cmp_le_i32_e64 s[10:11], s21, v5
	s_or_b64 s[4:5], s[10:11], s[8:9]
	s_xor_b64 s[6:7], s[4:5], -1
	v_mov_b32_e32 v5, 0x7f7fffff
	v_mov_b32_e32 v6, 0x7f7fffff
	s_and_saveexec_b64 s[4:5], s[6:7]
	s_cbranch_execz .LBB25_15
; %bb.14:
	v_lshl_add_u64 v[8:9], v[58:59], 2, v[0:1]
	flat_load_dword v6, v[8:9] offset:256
.LBB25_15:
	s_or_b64 exec, exec, s[4:5]
	v_or_b32_e32 v8, 0x80, v58
	v_cmp_le_i32_e64 s[4:5], s21, v8
	s_or_b64 s[6:7], s[4:5], s[8:9]
	s_ashr_i32 s29, s28, 31
	s_xor_b64 s[30:31], s[6:7], -1
	s_and_saveexec_b64 s[6:7], s[30:31]
	s_cbranch_execz .LBB25_17
; %bb.16:
	v_lshl_add_u64 v[8:9], v[58:59], 2, v[0:1]
	flat_load_dword v5, v[8:9] offset:512
.LBB25_17:
	s_or_b64 exec, exec, s[6:7]
	v_or_b32_e32 v8, 0xc0, v58
	v_cmp_le_i32_e64 s[6:7], s21, v8
	s_or_b64 s[8:9], s[6:7], s[8:9]
	s_xor_b64 s[30:31], s[8:9], -1
	v_mov_b32_e32 v57, 0x7f7fffff
	v_mov_b32_e32 v8, 0x7f7fffff
	s_and_saveexec_b64 s[8:9], s[30:31]
	s_cbranch_execz .LBB25_19
; %bb.18:
	v_lshl_add_u64 v[0:1], v[58:59], 2, v[0:1]
	flat_load_dword v8, v[0:1] offset:768
.LBB25_19:
	s_or_b64 exec, exec, s[8:9]
	v_or_b32_e32 v0, 4, v77
	v_cmp_gt_i32_e64 s[8:9], s22, v0
	s_and_b64 s[30:31], s[8:9], s[16:17]
	s_and_saveexec_b64 s[8:9], s[30:31]
	s_cbranch_execz .LBB25_21
; %bb.20:
	v_mad_i64_i32 v[0:1], s[30:31], v7, s3, 0
	v_lshl_add_u64 v[0:1], v[0:1], 2, s[18:19]
	v_mov_b32_e32 v57, 0
	v_lshl_add_u64 v[0:1], v[0:1], 0, v[56:57]
	flat_load_dword v57, v[0:1] offset:16
.LBB25_21:
	s_or_b64 exec, exec, s[8:9]
	v_add_u32_e32 v0, 4, v79
	v_cmp_le_i32_e64 s[8:9], s22, v0
	v_mad_i64_i32 v[0:1], s[30:31], s28, v0, 0
	s_or_b64 s[30:31], vcc, s[8:9]
	v_lshl_add_u64 v[0:1], v[0:1], 2, s[26:27]
	s_xor_b64 s[38:39], s[30:31], -1
	v_mov_b32_e32 v61, 0x7f7fffff
	v_mov_b32_e32 v62, 0x7f7fffff
	s_and_saveexec_b64 s[30:31], s[38:39]
	s_cbranch_execz .LBB25_23
; %bb.22:
	v_lshl_add_u64 v[10:11], v[58:59], 2, v[0:1]
	flat_load_dword v62, v[10:11]
.LBB25_23:
	s_or_b64 exec, exec, s[30:31]
	s_or_b64 s[30:31], s[10:11], s[8:9]
	s_xor_b64 s[38:39], s[30:31], -1
	s_and_saveexec_b64 s[30:31], s[38:39]
	s_cbranch_execz .LBB25_25
; %bb.24:
	v_lshl_add_u64 v[10:11], v[58:59], 2, v[0:1]
	flat_load_dword v61, v[10:11] offset:256
.LBB25_25:
	s_or_b64 exec, exec, s[30:31]
	s_or_b64 s[30:31], s[4:5], s[8:9]
	s_xor_b64 s[38:39], s[30:31], -1
	v_mov_b32_e32 v63, 0x7f7fffff
	v_mov_b32_e32 v64, 0x7f7fffff
	s_and_saveexec_b64 s[30:31], s[38:39]
	s_cbranch_execz .LBB25_27
; %bb.26:
	v_lshl_add_u64 v[10:11], v[58:59], 2, v[0:1]
	flat_load_dword v64, v[10:11] offset:512
.LBB25_27:
	s_or_b64 exec, exec, s[30:31]
	s_or_b64 s[8:9], s[6:7], s[8:9]
	s_xor_b64 s[30:31], s[8:9], -1
	s_and_saveexec_b64 s[8:9], s[30:31]
	s_cbranch_execz .LBB25_29
; %bb.28:
	v_lshl_add_u64 v[0:1], v[58:59], 2, v[0:1]
	flat_load_dword v63, v[0:1] offset:768
.LBB25_29:
	s_or_b64 exec, exec, s[8:9]
	v_lshlrev_b32_e32 v0, 2, v79
	v_lshl_or_b32 v65, v60, 4, v56
	v_lshl_add_u32 v80, v4, 4, v0
	v_lshlrev_b32_e32 v76, 4, v74
	v_lshlrev_b32_e32 v78, 4, v75
	s_waitcnt vmcnt(0)
	ds_write_b32 v65, v3 offset:8192
	s_waitcnt lgkmcnt(0)
	ds_write2st64_b32 v80, v2, v6 offset1:4
	ds_write2st64_b32 v80, v5, v8 offset0:8 offset1:12
	s_waitcnt lgkmcnt(0)
	s_barrier
	ds_read_b128 v[12:15], v76 offset:8192
	ds_read_b128 v[20:23], v76 offset:8320
	;; [unrolled: 1-line block ×8, first 2 shown]
	ds_read_b128 v[52:55], v78
	ds_read_b128 v[48:51], v78 offset:512
	ds_read_b128 v[44:47], v78 offset:1024
	;; [unrolled: 1-line block ×5, first 2 shown]
	s_waitcnt lgkmcnt(5)
	v_pk_add_f32 v[66:67], v[12:13], v[52:53]
	s_mov_b32 s8, 0x7f7fffff
	v_min3_f32 v68, v66, v67, s8
	v_pk_add_f32 v[66:67], v[20:21], v[52:53]
	s_cmp_lt_i32 s22, 9
	v_min3_f32 v69, v66, v67, s8
	v_pk_add_f32 v[66:67], v[24:25], v[52:53]
	s_nop 0
	v_min3_f32 v70, v66, v67, s8
	v_pk_add_f32 v[66:67], v[28:29], v[52:53]
	s_nop 0
	v_min3_f32 v71, v66, v67, s8
	v_pk_add_f32 v[66:67], v[16:17], v[52:53]
	s_nop 0
	v_min3_f32 v72, v66, v67, s8
	v_pk_add_f32 v[66:67], v[8:9], v[52:53]
	s_nop 0
	v_min3_f32 v73, v66, v67, s8
	v_pk_add_f32 v[66:67], v[4:5], v[52:53]
	v_pk_add_f32 v[52:53], v[0:1], v[52:53]
	v_min3_f32 v66, v66, v67, s8
	v_min3_f32 v67, v52, v53, s8
	s_waitcnt lgkmcnt(4)
	v_pk_add_f32 v[52:53], v[12:13], v[48:49]
	s_nop 0
	v_min3_f32 v81, v52, v53, s8
	v_pk_add_f32 v[52:53], v[20:21], v[48:49]
	s_nop 0
	v_min3_f32 v82, v52, v53, s8
	v_pk_add_f32 v[52:53], v[24:25], v[48:49]
	s_nop 0
	v_min3_f32 v83, v52, v53, s8
	v_pk_add_f32 v[52:53], v[28:29], v[48:49]
	s_nop 0
	v_min3_f32 v84, v52, v53, s8
	v_pk_add_f32 v[52:53], v[16:17], v[48:49]
	s_nop 0
	v_min3_f32 v85, v52, v53, s8
	v_pk_add_f32 v[52:53], v[8:9], v[48:49]
	s_nop 0
	v_min3_f32 v86, v52, v53, s8
	v_pk_add_f32 v[52:53], v[4:5], v[48:49]
	v_pk_add_f32 v[48:49], v[0:1], v[48:49]
	v_min3_f32 v52, v52, v53, s8
	v_min3_f32 v53, v48, v49, s8
	s_waitcnt lgkmcnt(3)
	v_pk_add_f32 v[48:49], v[12:13], v[44:45]
	s_nop 0
	v_min3_f32 v87, v48, v49, s8
	v_pk_add_f32 v[48:49], v[20:21], v[44:45]
	s_nop 0
	;; [unrolled: 23-line block ×4, first 2 shown]
	v_min3_f32 v102, v40, v41, s8
	v_pk_add_f32 v[40:41], v[24:25], v[36:37]
	s_nop 0
	v_min3_f32 v103, v40, v41, s8
	v_pk_add_f32 v[40:41], v[28:29], v[36:37]
	s_nop 0
	;; [unrolled: 3-line block ×4, first 2 shown]
	v_min3_f32 v106, v40, v41, s8
	v_pk_add_f32 v[40:41], v[4:5], v[36:37]
	v_pk_add_f32 v[36:37], v[0:1], v[36:37]
	v_min3_f32 v107, v40, v41, s8
	v_min3_f32 v108, v36, v37, s8
	s_waitcnt lgkmcnt(0)
	v_pk_add_f32 v[36:37], v[12:13], v[32:33]
	v_pk_add_f32 v[40:41], v[4:5], v[32:33]
	v_min3_f32 v124, v36, v37, s8
	v_pk_add_f32 v[36:37], v[20:21], v[32:33]
	v_min3_f32 v40, v40, v41, s8
	v_min3_f32 v149, v36, v37, s8
	v_pk_add_f32 v[36:37], v[24:25], v[32:33]
	s_nop 0
	v_min3_f32 v150, v36, v37, s8
	v_pk_add_f32 v[36:37], v[28:29], v[32:33]
	s_nop 0
	;; [unrolled: 3-line block ×10, first 2 shown]
	v_min3_f32 v66, v36, v37, s8
	v_pk_add_f32 v[36:37], v[8:9], v[32:33]
	v_pk_add_f32 v[32:33], v[0:1], v[32:33]
	v_min3_f32 v68, v36, v37, s8
	v_min3_f32 v41, v32, v33, s8
	v_pk_add_f32 v[32:33], v[14:15], v[50:51]
	v_pk_add_f32 v[36:37], v[2:3], v[54:55]
	v_min3_f32 v140, v32, v33, v81
	v_pk_add_f32 v[32:33], v[22:23], v[50:51]
	v_min3_f32 v141, v36, v37, v67
	v_min3_f32 v139, v32, v33, v82
	v_pk_add_f32 v[32:33], v[26:27], v[50:51]
	s_nop 0
	v_min3_f32 v138, v32, v33, v83
	v_pk_add_f32 v[32:33], v[30:31], v[50:51]
	s_nop 0
	;; [unrolled: 3-line block ×5, first 2 shown]
	v_min3_f32 v134, v32, v33, v52
	v_pk_add_f32 v[32:33], v[2:3], v[50:51]
	ds_read_b128 v[48:51], v78 offset:3072
	v_min3_f32 v133, v32, v33, v53
	ds_read_b128 v[52:55], v78 offset:3584
	v_pk_add_f32 v[32:33], v[14:15], v[46:47]
	ds_write_b32 v65, v57 offset:9216
	ds_write2st64_b32 v80, v62, v61 offset0:16 offset1:20
	ds_write2st64_b32 v80, v64, v63 offset0:24 offset1:28
	v_min3_f32 v132, v32, v33, v87
	v_pk_add_f32 v[32:33], v[22:23], v[46:47]
	s_waitcnt lgkmcnt(4)
	v_pk_add_f32 v[36:37], v[24:25], v[48:49]
	v_min3_f32 v131, v32, v33, v88
	v_pk_add_f32 v[32:33], v[26:27], v[46:47]
	s_waitcnt lgkmcnt(0)
	v_min3_f32 v130, v32, v33, v89
	v_pk_add_f32 v[32:33], v[30:31], v[46:47]
	s_barrier
	v_min3_f32 v129, v32, v33, v90
	v_pk_add_f32 v[32:33], v[18:19], v[46:47]
	s_nop 0
	v_min3_f32 v128, v32, v33, v91
	v_pk_add_f32 v[32:33], v[10:11], v[46:47]
	s_nop 0
	;; [unrolled: 3-line block ×3, first 2 shown]
	v_min3_f32 v123, v32, v33, v93
	v_pk_add_f32 v[32:33], v[12:13], v[48:49]
	v_pk_add_f32 v[12:13], v[12:13], v[52:53]
	v_min3_f32 v67, v32, v33, s8
	v_pk_add_f32 v[32:33], v[20:21], v[48:49]
	s_nop 0
	v_min3_f32 v69, v32, v33, s8
	v_pk_add_f32 v[32:33], v[2:3], v[46:47]
	v_min3_f32 v46, v36, v37, s8
	v_min3_f32 v127, v32, v33, v94
	v_pk_add_f32 v[32:33], v[14:15], v[42:43]
	v_pk_add_f32 v[36:37], v[28:29], v[48:49]
	v_min3_f32 v125, v32, v33, v95
	v_pk_add_f32 v[32:33], v[22:23], v[42:43]
	v_min3_f32 v47, v36, v37, s8
	v_min3_f32 v122, v32, v33, v96
	v_pk_add_f32 v[32:33], v[26:27], v[42:43]
	v_pk_add_f32 v[36:37], v[4:5], v[48:49]
	v_min3_f32 v121, v32, v33, v97
	v_pk_add_f32 v[32:33], v[30:31], v[42:43]
	v_pk_add_f32 v[4:5], v[4:5], v[52:53]
	v_min3_f32 v120, v32, v33, v98
	v_pk_add_f32 v[32:33], v[18:19], v[42:43]
	v_min3_f32 v4, v4, v5, s8
	v_min3_f32 v119, v32, v33, v99
	v_pk_add_f32 v[32:33], v[10:11], v[42:43]
	s_nop 0
	v_min3_f32 v118, v32, v33, v100
	v_pk_add_f32 v[32:33], v[6:7], v[42:43]
	s_nop 0
	;; [unrolled: 3-line block ×3, first 2 shown]
	v_min3_f32 v44, v32, v33, s8
	v_pk_add_f32 v[32:33], v[8:9], v[48:49]
	v_pk_add_f32 v[8:9], v[8:9], v[52:53]
	v_min3_f32 v70, v32, v33, s8
	v_pk_add_f32 v[32:33], v[2:3], v[42:43]
	v_min3_f32 v42, v36, v37, s8
	v_min3_f32 v116, v32, v33, v45
	v_pk_add_f32 v[32:33], v[14:15], v[38:39]
	v_pk_add_f32 v[36:37], v[0:1], v[48:49]
	v_min3_f32 v115, v32, v33, v101
	v_pk_add_f32 v[32:33], v[22:23], v[38:39]
	v_pk_add_f32 v[0:1], v[0:1], v[52:53]
	v_min3_f32 v114, v32, v33, v102
	v_pk_add_f32 v[32:33], v[26:27], v[38:39]
	v_min3_f32 v5, v0, v1, s8
	v_min3_f32 v113, v32, v33, v103
	v_pk_add_f32 v[32:33], v[30:31], v[38:39]
	v_pk_add_f32 v[0:1], v[14:15], v[54:55]
	v_min3_f32 v112, v32, v33, v104
	v_pk_add_f32 v[32:33], v[18:19], v[38:39]
	v_min3_f32 v36, v36, v37, s8
	v_min3_f32 v111, v32, v33, v105
	v_pk_add_f32 v[32:33], v[10:11], v[38:39]
	s_nop 0
	v_min3_f32 v110, v32, v33, v106
	v_pk_add_f32 v[32:33], v[6:7], v[38:39]
	s_nop 0
	;; [unrolled: 3-line block ×10, first 2 shown]
	v_min3_f32 v101, v32, v33, v40
	v_min3_f32 v32, v12, v13, s8
	v_pk_add_f32 v[12:13], v[20:21], v[52:53]
	v_pk_add_f32 v[20:21], v[24:25], v[52:53]
	v_min3_f32 v33, v12, v13, s8
	v_pk_add_f32 v[12:13], v[2:3], v[34:35]
	v_min3_f32 v91, v0, v1, v32
	v_min3_f32 v100, v12, v13, v41
	v_pk_add_f32 v[12:13], v[14:15], v[50:51]
	v_pk_add_f32 v[0:1], v[22:23], v[54:55]
	v_min3_f32 v99, v12, v13, v67
	v_pk_add_f32 v[12:13], v[22:23], v[50:51]
	;; [unrolled: 6-line block ×4, first 2 shown]
	v_min3_f32 v20, v20, v21, s8
	v_min3_f32 v94, v12, v13, v70
	v_pk_add_f32 v[12:13], v[6:7], v[50:51]
	v_min3_f32 v89, v0, v1, v24
	v_min3_f32 v93, v12, v13, v42
	v_pk_add_f32 v[12:13], v[16:17], v[52:53]
	v_pk_add_f32 v[0:1], v[30:31], v[54:55]
	v_min3_f32 v12, v12, v13, s8
	v_min3_f32 v87, v0, v1, v20
	v_pk_add_f32 v[0:1], v[18:19], v[54:55]
	v_min3_f32 v13, v8, v9, s8
	v_min3_f32 v86, v0, v1, v12
	v_pk_add_f32 v[0:1], v[10:11], v[54:55]
	v_pk_add_f32 v[8:9], v[2:3], v[50:51]
	v_min3_f32 v85, v0, v1, v13
	v_pk_add_f32 v[0:1], v[6:7], v[54:55]
	v_min3_f32 v92, v8, v9, v36
	v_min3_f32 v84, v0, v1, v4
	v_pk_add_f32 v[0:1], v[2:3], v[54:55]
	s_nop 0
	v_min3_f32 v88, v0, v1, v5
	s_cbranch_scc1 .LBB25_52
; %bb.30:
	v_mov_b32_e32 v0, 0x2400
	v_lshl_add_u32 v149, v74, 4, v0
	v_mov_b32_e32 v0, 0x1000
	v_lshl_add_u32 v150, v75, 4, v0
	v_lshl_add_u32 v0, s2, 6, v60
	s_lshl_b32 s2, s36, 6
	v_subrev_u32_e32 v0, s2, v0
	v_mad_i64_i32 v[0:1], s[2:3], s3, v0, 0
	v_mov_b32_e32 v57, 0
	v_lshl_add_u64 v[0:1], v[0:1], 2, v[56:57]
	v_lshl_add_u64 v[0:1], v[0:1], 0, s[18:19]
	v_add_u32_e32 v81, 0x2000, v65
	v_add_u32_e32 v83, 0x2400, v65
	v_lshl_add_u64 v[64:65], v[0:1], 0, 32
	v_add_u32_e32 v0, 8, v79
	v_mad_i64_i32 v[0:1], s[2:3], v0, s28, 0
	v_lshlrev_b64 v[66:67], 2, v[0:1]
	v_add_u32_e32 v0, 12, v79
	v_mad_i64_i32 v[0:1], s[2:3], v0, s28, 0
	v_add_u32_e32 v82, 0x2000, v76
	v_or_b32_e32 v124, 0x1000, v80
	s_add_i32 s23, s22, -8
	v_lshl_add_u64 v[68:69], v[58:59], 2, s[26:27]
	s_lshl_b64 s[18:19], s[28:29], 5
	v_lshlrev_b64 v[70:71], 2, v[0:1]
	s_mov_b32 s26, 0
	s_branch .LBB25_32
.LBB25_31:                              ;   in Loop: Header=BB25_32 Depth=1
	s_or_b64 exec, exec, s[2:3]
	ds_read_b128 v[0:3], v82
	ds_read_b128 v[4:7], v82 offset:128
	ds_read_b128 v[8:11], v82 offset:256
	;; [unrolled: 1-line block ×7, first 2 shown]
	ds_read_b128 v[120:123], v78
	ds_read_b128 v[126:129], v78 offset:512
	ds_read_b128 v[156:159], v78 offset:1024
	;; [unrolled: 1-line block ×7, first 2 shown]
	s_waitcnt lgkmcnt(0)
	v_pk_add_f32 v[72:73], v[0:1], v[120:121]
	s_add_i32 s26, s26, 8
	v_min3_f32 v125, v72, v73, v36
	v_pk_add_f32 v[72:73], v[4:5], v[120:121]
	v_lshl_add_u64 v[64:65], v[64:65], 0, 32
	v_min3_f32 v72, v72, v73, v37
	v_pk_add_f32 v[36:37], v[8:9], v[120:121]
	s_cmp_ge_i32 s26, s23
	v_min3_f32 v40, v36, v37, v40
	v_pk_add_f32 v[36:37], v[12:13], v[120:121]
	v_lshl_add_u64 v[68:69], v[68:69], 0, s[18:19]
	v_min3_f32 v41, v36, v37, v41
	v_pk_add_f32 v[36:37], v[16:17], v[120:121]
	s_waitcnt vmcnt(0)
	ds_write_b32 v83, v151
	ds_write2st64_b32 v124, v153, v152 offset1:4
	ds_write2st64_b32 v124, v155, v154 offset0:8 offset1:12
	v_min3_f32 v44, v36, v37, v44
	v_pk_add_f32 v[36:37], v[20:21], v[120:121]
	s_waitcnt lgkmcnt(0)
	v_min3_f32 v45, v36, v37, v45
	v_pk_add_f32 v[36:37], v[24:25], v[120:121]
	s_barrier
	v_min3_f32 v48, v36, v37, v48
	v_pk_add_f32 v[36:37], v[28:29], v[120:121]
	s_nop 0
	v_min3_f32 v49, v36, v37, v49
	v_pk_add_f32 v[36:37], v[0:1], v[126:127]
	s_nop 0
	;; [unrolled: 3-line block ×41, first 2 shown]
	v_min3_f32 v42, v36, v37, v42
	v_pk_add_f32 v[36:37], v[0:1], v[172:173]
	v_pk_add_f32 v[0:1], v[0:1], v[32:33]
	v_min3_f32 v43, v36, v37, v43
	v_pk_add_f32 v[36:37], v[4:5], v[172:173]
	s_nop 0
	v_min3_f32 v160, v36, v37, v107
	v_pk_add_f32 v[36:37], v[8:9], v[172:173]
	s_nop 0
	;; [unrolled: 3-line block ×7, first 2 shown]
	v_min3_f32 v36, v36, v37, v38
	v_min3_f32 v37, v0, v1, v39
	v_pk_add_f32 v[0:1], v[4:5], v[32:33]
	s_nop 0
	v_min3_f32 v4, v0, v1, v113
	v_pk_add_f32 v[0:1], v[8:9], v[32:33]
	s_nop 0
	;; [unrolled: 3-line block ×71, first 2 shown]
	v_min3_f32 v88, v0, v1, v16
	s_cbranch_scc1 .LBB25_52
.LBB25_32:                              ; =>This Inner Loop Header: Depth=1
	v_add_u32_e32 v72, s26, v77
	v_add_u32_e32 v0, 8, v72
	v_cmp_gt_i32_e64 s[2:3], s22, v0
	s_and_b64 s[8:9], s[2:3], s[16:17]
	v_mov_b32_e32 v152, 0x7f7fffff
	v_mov_b32_e32 v153, 0x7f7fffff
	s_and_saveexec_b64 s[2:3], s[8:9]
	s_cbranch_execz .LBB25_34
; %bb.33:                               ;   in Loop: Header=BB25_32 Depth=1
	flat_load_dword v153, v[64:65]
.LBB25_34:                              ;   in Loop: Header=BB25_32 Depth=1
	s_or_b64 exec, exec, s[2:3]
	v_add_u32_e32 v73, s26, v79
	v_add_u32_e32 v0, 8, v73
	v_cmp_le_i32_e64 s[8:9], s22, v0
	s_or_b64 s[2:3], vcc, s[8:9]
	s_xor_b64 s[28:29], s[2:3], -1
	v_lshl_add_u64 v[0:1], v[68:69], 0, v[66:67]
	s_and_saveexec_b64 s[2:3], s[28:29]
	s_cbranch_execz .LBB25_36
; %bb.35:                               ;   in Loop: Header=BB25_32 Depth=1
	flat_load_dword v152, v[0:1]
.LBB25_36:                              ;   in Loop: Header=BB25_32 Depth=1
	s_or_b64 exec, exec, s[2:3]
	s_or_b64 s[2:3], s[10:11], s[8:9]
	s_xor_b64 s[28:29], s[2:3], -1
	v_mov_b32_e32 v154, 0x7f7fffff
	v_mov_b32_e32 v155, 0x7f7fffff
	s_and_saveexec_b64 s[2:3], s[28:29]
	s_cbranch_execz .LBB25_38
; %bb.37:                               ;   in Loop: Header=BB25_32 Depth=1
	flat_load_dword v155, v[0:1] offset:256
.LBB25_38:                              ;   in Loop: Header=BB25_32 Depth=1
	s_or_b64 exec, exec, s[2:3]
	s_or_b64 s[2:3], s[4:5], s[8:9]
	s_xor_b64 s[28:29], s[2:3], -1
	s_and_saveexec_b64 s[2:3], s[28:29]
	s_cbranch_execz .LBB25_40
; %bb.39:                               ;   in Loop: Header=BB25_32 Depth=1
	flat_load_dword v154, v[0:1] offset:512
.LBB25_40:                              ;   in Loop: Header=BB25_32 Depth=1
	s_or_b64 exec, exec, s[2:3]
	s_or_b64 s[2:3], s[6:7], s[8:9]
	s_xor_b64 s[8:9], s[2:3], -1
	v_mov_b32_e32 v151, 0x7f7fffff
	v_mov_b32_e32 v156, 0x7f7fffff
	s_and_saveexec_b64 s[2:3], s[8:9]
	s_cbranch_execz .LBB25_42
; %bb.41:                               ;   in Loop: Header=BB25_32 Depth=1
	flat_load_dword v156, v[0:1] offset:768
.LBB25_42:                              ;   in Loop: Header=BB25_32 Depth=1
	s_or_b64 exec, exec, s[2:3]
	ds_read_b128 v[28:31], v149
	ds_read_b128 v[24:27], v149 offset:128
	ds_read_b128 v[20:23], v149 offset:256
	;; [unrolled: 1-line block ×7, first 2 shown]
	ds_read_b128 v[60:63], v150
	ds_read_b128 v[56:59], v150 offset:512
	ds_read_b128 v[52:55], v150 offset:1024
	;; [unrolled: 1-line block ×7, first 2 shown]
	v_add_u32_e32 v72, 12, v72
	v_cmp_gt_i32_e64 s[2:3], s22, v72
	s_and_b64 s[8:9], s[2:3], s[16:17]
	s_waitcnt vmcnt(0) lgkmcnt(0)
	ds_write_b32 v81, v153
	ds_write2st64_b32 v80, v152, v155 offset1:4
	ds_write2st64_b32 v80, v154, v156 offset0:8 offset1:12
	s_waitcnt lgkmcnt(0)
	s_barrier
	s_and_saveexec_b64 s[2:3], s[8:9]
	s_cbranch_execz .LBB25_44
; %bb.43:                               ;   in Loop: Header=BB25_32 Depth=1
	flat_load_dword v151, v[64:65] offset:16
.LBB25_44:                              ;   in Loop: Header=BB25_32 Depth=1
	s_or_b64 exec, exec, s[2:3]
	v_add_u32_e32 v72, 12, v73
	v_cmp_le_i32_e64 s[8:9], s22, v72
	s_or_b64 s[2:3], vcc, s[8:9]
	s_xor_b64 s[28:29], s[2:3], -1
	v_mov_b32_e32 v152, 0x7f7fffff
	v_lshl_add_u64 v[72:73], v[68:69], 0, v[70:71]
	v_mov_b32_e32 v153, 0x7f7fffff
	s_and_saveexec_b64 s[2:3], s[28:29]
	s_cbranch_execz .LBB25_46
; %bb.45:                               ;   in Loop: Header=BB25_32 Depth=1
	flat_load_dword v153, v[72:73]
.LBB25_46:                              ;   in Loop: Header=BB25_32 Depth=1
	s_or_b64 exec, exec, s[2:3]
	s_or_b64 s[2:3], s[10:11], s[8:9]
	s_xor_b64 s[28:29], s[2:3], -1
	s_and_saveexec_b64 s[2:3], s[28:29]
	s_cbranch_execz .LBB25_48
; %bb.47:                               ;   in Loop: Header=BB25_32 Depth=1
	flat_load_dword v152, v[72:73] offset:256
.LBB25_48:                              ;   in Loop: Header=BB25_32 Depth=1
	s_or_b64 exec, exec, s[2:3]
	s_or_b64 s[2:3], s[4:5], s[8:9]
	s_xor_b64 s[28:29], s[2:3], -1
	v_mov_b32_e32 v154, 0x7f7fffff
	v_mov_b32_e32 v155, 0x7f7fffff
	s_and_saveexec_b64 s[2:3], s[28:29]
	s_cbranch_execz .LBB25_50
; %bb.49:                               ;   in Loop: Header=BB25_32 Depth=1
	flat_load_dword v155, v[72:73] offset:512
.LBB25_50:                              ;   in Loop: Header=BB25_32 Depth=1
	s_or_b64 exec, exec, s[2:3]
	v_pk_add_f32 v[156:157], v[28:29], v[60:61]
	s_or_b64 s[2:3], s[6:7], s[8:9]
	v_min3_f32 v148, v156, v157, v148
	v_pk_add_f32 v[156:157], v[24:25], v[60:61]
	s_xor_b64 s[8:9], s[2:3], -1
	v_min3_f32 v158, v156, v157, v147
	v_pk_add_f32 v[156:157], v[20:21], v[60:61]
	s_nop 0
	v_min3_f32 v156, v156, v157, v146
	v_pk_add_f32 v[146:147], v[16:17], v[60:61]
	s_nop 0
	v_min3_f32 v157, v146, v147, v145
	v_pk_add_f32 v[146:147], v[12:13], v[60:61]
	s_nop 0
	v_min3_f32 v146, v146, v147, v144
	v_pk_add_f32 v[144:145], v[8:9], v[60:61]
	s_nop 0
	v_min3_f32 v143, v144, v145, v143
	v_pk_add_f32 v[144:145], v[4:5], v[60:61]
	v_pk_add_f32 v[60:61], v[0:1], v[60:61]
	v_min3_f32 v142, v144, v145, v142
	v_min3_f32 v141, v60, v61, v141
	v_pk_add_f32 v[60:61], v[28:29], v[56:57]
	s_nop 0
	v_min3_f32 v140, v60, v61, v140
	v_pk_add_f32 v[60:61], v[24:25], v[56:57]
	s_nop 0
	v_min3_f32 v139, v60, v61, v139
	v_pk_add_f32 v[60:61], v[20:21], v[56:57]
	s_nop 0
	v_min3_f32 v138, v60, v61, v138
	v_pk_add_f32 v[60:61], v[16:17], v[56:57]
	s_nop 0
	v_min3_f32 v137, v60, v61, v137
	v_pk_add_f32 v[60:61], v[12:13], v[56:57]
	s_nop 0
	v_min3_f32 v136, v60, v61, v136
	v_pk_add_f32 v[60:61], v[8:9], v[56:57]
	s_nop 0
	v_min3_f32 v135, v60, v61, v135
	v_pk_add_f32 v[60:61], v[4:5], v[56:57]
	v_pk_add_f32 v[56:57], v[0:1], v[56:57]
	v_min3_f32 v134, v60, v61, v134
	v_min3_f32 v133, v56, v57, v133
	v_pk_add_f32 v[56:57], v[28:29], v[52:53]
	s_nop 0
	v_min3_f32 v132, v56, v57, v132
	v_pk_add_f32 v[56:57], v[24:25], v[52:53]
	s_nop 0
	v_min3_f32 v131, v56, v57, v131
	v_pk_add_f32 v[56:57], v[20:21], v[52:53]
	s_nop 0
	v_min3_f32 v130, v56, v57, v130
	v_pk_add_f32 v[56:57], v[16:17], v[52:53]
	s_nop 0
	v_min3_f32 v129, v56, v57, v129
	v_pk_add_f32 v[56:57], v[12:13], v[52:53]
	s_nop 0
	v_min3_f32 v128, v56, v57, v128
	v_pk_add_f32 v[56:57], v[8:9], v[52:53]
	s_nop 0
	v_min3_f32 v126, v56, v57, v126
	v_pk_add_f32 v[56:57], v[4:5], v[52:53]
	v_pk_add_f32 v[52:53], v[0:1], v[52:53]
	v_min3_f32 v123, v56, v57, v123
	v_min3_f32 v127, v52, v53, v127
	v_pk_add_f32 v[52:53], v[28:29], v[48:49]
	s_nop 0
	v_min3_f32 v125, v52, v53, v125
	v_pk_add_f32 v[52:53], v[24:25], v[48:49]
	s_nop 0
	v_min3_f32 v122, v52, v53, v122
	v_pk_add_f32 v[52:53], v[20:21], v[48:49]
	s_nop 0
	v_min3_f32 v121, v52, v53, v121
	v_pk_add_f32 v[52:53], v[16:17], v[48:49]
	s_nop 0
	v_min3_f32 v120, v52, v53, v120
	v_pk_add_f32 v[52:53], v[12:13], v[48:49]
	s_nop 0
	v_min3_f32 v119, v52, v53, v119
	v_pk_add_f32 v[52:53], v[8:9], v[48:49]
	s_nop 0
	v_min3_f32 v118, v52, v53, v118
	v_pk_add_f32 v[52:53], v[4:5], v[48:49]
	v_pk_add_f32 v[48:49], v[0:1], v[48:49]
	v_min3_f32 v117, v52, v53, v117
	v_min3_f32 v116, v48, v49, v116
	v_pk_add_f32 v[48:49], v[28:29], v[44:45]
	s_nop 0
	v_min3_f32 v115, v48, v49, v115
	v_pk_add_f32 v[48:49], v[24:25], v[44:45]
	s_nop 0
	v_min3_f32 v114, v48, v49, v114
	v_pk_add_f32 v[48:49], v[20:21], v[44:45]
	s_nop 0
	v_min3_f32 v113, v48, v49, v113
	v_pk_add_f32 v[48:49], v[16:17], v[44:45]
	s_nop 0
	v_min3_f32 v112, v48, v49, v112
	v_pk_add_f32 v[48:49], v[12:13], v[44:45]
	s_nop 0
	v_min3_f32 v111, v48, v49, v111
	v_pk_add_f32 v[48:49], v[8:9], v[44:45]
	s_nop 0
	v_min3_f32 v110, v48, v49, v110
	v_pk_add_f32 v[48:49], v[4:5], v[44:45]
	v_pk_add_f32 v[44:45], v[0:1], v[44:45]
	v_min3_f32 v109, v48, v49, v109
	v_min3_f32 v108, v44, v45, v108
	v_pk_add_f32 v[44:45], v[28:29], v[40:41]
	s_nop 0
	v_min3_f32 v107, v44, v45, v107
	v_pk_add_f32 v[44:45], v[24:25], v[40:41]
	s_nop 0
	v_min3_f32 v106, v44, v45, v106
	v_pk_add_f32 v[44:45], v[20:21], v[40:41]
	s_nop 0
	v_min3_f32 v105, v44, v45, v105
	v_pk_add_f32 v[44:45], v[16:17], v[40:41]
	s_nop 0
	;; [unrolled: 3-line block ×4, first 2 shown]
	v_min3_f32 v145, v44, v45, v102
	v_pk_add_f32 v[44:45], v[4:5], v[40:41]
	v_pk_add_f32 v[40:41], v[0:1], v[40:41]
	v_min3_f32 v147, v44, v45, v101
	v_min3_f32 v159, v40, v41, v100
	v_pk_add_f32 v[40:41], v[28:29], v[36:37]
	v_pk_add_f32 v[28:29], v[28:29], v[32:33]
	v_min3_f32 v160, v40, v41, v99
	v_pk_add_f32 v[40:41], v[24:25], v[36:37]
	v_pk_add_f32 v[24:25], v[24:25], v[32:33]
	;; [unrolled: 3-line block ×7, first 2 shown]
	v_pk_add_f32 v[4:5], v[4:5], v[32:33]
	v_pk_add_f32 v[0:1], v[0:1], v[32:33]
	v_min3_f32 v4, v4, v5, v84
	v_min3_f32 v5, v0, v1, v88
	v_pk_add_f32 v[0:1], v[30:31], v[62:63]
	v_min3_f32 v167, v36, v37, v92
	v_min3_f32 v36, v0, v1, v148
	;; [unrolled: 3-line block ×9, first 2 shown]
	v_pk_add_f32 v[0:1], v[30:31], v[58:59]
	s_nop 0
	v_min3_f32 v52, v0, v1, v140
	v_pk_add_f32 v[0:1], v[26:27], v[58:59]
	s_nop 0
	v_min3_f32 v53, v0, v1, v139
	;; [unrolled: 3-line block ×56, first 2 shown]
	s_and_saveexec_b64 s[2:3], s[8:9]
	s_cbranch_execz .LBB25_31
; %bb.51:                               ;   in Loop: Header=BB25_32 Depth=1
	flat_load_dword v154, v[72:73] offset:768
	s_branch .LBB25_31
.LBB25_52:
	s_load_dwordx2 s[2:3], s[0:1], 0x70
	s_load_dword s29, s[0:1], 0x50
	s_load_dword s28, s[0:1], 0x68
	ds_read_b128 v[32:35], v76 offset:9216
	ds_read_b128 v[28:31], v76 offset:9344
	;; [unrolled: 1-line block ×16, first 2 shown]
	s_waitcnt lgkmcnt(0)
	s_lshl_b64 s[0:1], s[2:3], 2
	s_add_u32 s22, s14, s0
	v_add_u32_e32 v124, s35, v75
	s_addc_u32 s23, s15, s1
	v_mad_i64_i32 v[66:67], s[0:1], v124, s29, 0
	v_add_u32_e32 v64, s34, v74
	v_lshl_add_u64 v[82:83], v[66:67], 2, s[24:25]
	v_mad_i64_i32 v[66:67], s[0:1], v124, s28, 0
	v_cmp_gt_i32_e64 s[18:19], s21, v124
	v_lshl_add_u64 v[80:81], v[66:67], 2, s[22:23]
	v_cmp_gt_i32_e64 s[2:3], s20, v64
	v_cndmask_b32_e64 v66, 0, 1, s[12:13]
	s_and_b64 s[6:7], s[2:3], s[18:19]
	v_ashrrev_i32_e32 v65, 31, v64
	v_cmp_ne_u32_e64 s[0:1], 1, v66
	s_and_saveexec_b64 s[4:5], s[6:7]
	s_cbranch_execz .LBB25_57
; %bb.53:
	s_and_b64 vcc, exec, s[0:1]
	s_cbranch_vccnz .LBB25_55
; %bb.54:
	v_lshl_add_u64 v[66:67], v[64:65], 2, v[82:83]
	flat_load_dword v66, v[66:67]
	s_waitcnt vmcnt(0) lgkmcnt(0)
	v_mul_f32_e32 v66, s33, v66
	s_branch .LBB25_56
.LBB25_55:
	v_mov_b32_e32 v66, 0
.LBB25_56:
	v_pk_add_f32 v[68:69], v[32:33], v[60:61]
	s_nop 0
	v_min3_f32 v67, v68, v69, v148
	v_pk_add_f32 v[68:69], v[34:35], v[62:63]
	s_nop 0
	v_min_f32_e32 v68, v68, v69
	v_min3_f32 v68, v66, v68, v67
	v_lshl_add_u64 v[66:67], v[64:65], 2, v[80:81]
	global_store_dword v[66:67], v68, off
.LBB25_57:
	s_or_b64 exec, exec, s[4:5]
	v_add_u32_e32 v66, 8, v64
	v_cmp_gt_i32_e64 s[4:5], s20, v66
	s_and_b64 s[8:9], s[4:5], s[18:19]
	v_ashrrev_i32_e32 v67, 31, v66
	s_and_saveexec_b64 s[6:7], s[8:9]
	s_cbranch_execz .LBB25_62
; %bb.58:
	s_and_b64 vcc, exec, s[0:1]
	s_cbranch_vccnz .LBB25_60
; %bb.59:
	v_lshl_add_u64 v[68:69], v[66:67], 2, v[82:83]
	flat_load_dword v68, v[68:69]
	s_waitcnt vmcnt(0) lgkmcnt(0)
	v_mul_f32_e32 v68, s33, v68
	s_branch .LBB25_61
.LBB25_60:
	v_mov_b32_e32 v68, 0
.LBB25_61:
	v_pk_add_f32 v[70:71], v[28:29], v[60:61]
	s_nop 0
	v_min3_f32 v69, v70, v71, v147
	v_pk_add_f32 v[70:71], v[30:31], v[62:63]
	s_nop 0
	v_min_f32_e32 v70, v70, v71
	v_min3_f32 v70, v68, v70, v69
	v_lshl_add_u64 v[68:69], v[66:67], 2, v[80:81]
	global_store_dword v[68:69], v70, off
.LBB25_62:
	s_or_b64 exec, exec, s[6:7]
	v_add_u32_e32 v68, 16, v64
	v_cmp_gt_i32_e64 s[6:7], s20, v68
	s_and_b64 s[10:11], s[6:7], s[18:19]
	v_ashrrev_i32_e32 v69, 31, v68
	;; [unrolled: 29-line block ×7, first 2 shown]
	s_and_saveexec_b64 s[18:19], s[26:27]
	s_cbranch_execz .LBB25_92
; %bb.88:
	s_and_b64 vcc, exec, s[0:1]
	s_cbranch_vccnz .LBB25_90
; %bb.89:
	v_lshl_add_u64 v[82:83], v[78:79], 2, v[82:83]
	flat_load_dword v82, v[82:83]
	s_waitcnt vmcnt(0) lgkmcnt(0)
	v_mul_f32_e32 v82, s33, v82
	s_branch .LBB25_91
.LBB25_90:
	v_mov_b32_e32 v82, 0
.LBB25_91:
	v_pk_add_f32 v[60:61], v[0:1], v[60:61]
	s_nop 0
	v_min3_f32 v83, v60, v61, v141
	v_pk_add_f32 v[60:61], v[2:3], v[62:63]
	s_nop 0
	v_min_f32_e32 v60, v60, v61
	v_min3_f32 v62, v82, v60, v83
	v_lshl_add_u64 v[60:61], v[78:79], 2, v[80:81]
	global_store_dword v[60:61], v62, off
.LBB25_92:
	s_or_b64 exec, exec, s[18:19]
	v_add_u32_e32 v80, 32, v124
	v_mad_i64_i32 v[60:61], s[26:27], v80, s29, 0
	v_cmp_gt_i32_e64 s[18:19], s21, v80
	v_lshl_add_u64 v[62:63], v[60:61], 2, s[24:25]
	v_mad_i64_i32 v[60:61], s[26:27], v80, s28, 0
	v_lshl_add_u64 v[60:61], v[60:61], 2, s[22:23]
	s_and_b64 s[30:31], s[2:3], s[18:19]
	s_and_saveexec_b64 s[26:27], s[30:31]
	s_cbranch_execnz .LBB25_100
; %bb.93:
	s_or_b64 exec, exec, s[26:27]
	s_and_b64 s[30:31], s[4:5], s[18:19]
	s_and_saveexec_b64 s[26:27], s[30:31]
	s_cbranch_execnz .LBB25_104
.LBB25_94:
	s_or_b64 exec, exec, s[26:27]
	s_and_b64 s[30:31], s[6:7], s[18:19]
	s_and_saveexec_b64 s[26:27], s[30:31]
	s_cbranch_execnz .LBB25_108
.LBB25_95:
	s_or_b64 exec, exec, s[26:27]
	s_and_b64 s[30:31], s[8:9], s[18:19]
	s_and_saveexec_b64 s[26:27], s[30:31]
	s_cbranch_execnz .LBB25_112
.LBB25_96:
	s_or_b64 exec, exec, s[26:27]
	s_and_b64 s[30:31], s[10:11], s[18:19]
	s_and_saveexec_b64 s[26:27], s[30:31]
	s_cbranch_execnz .LBB25_116
.LBB25_97:
	s_or_b64 exec, exec, s[26:27]
	s_and_b64 s[30:31], s[12:13], s[18:19]
	s_and_saveexec_b64 s[26:27], s[30:31]
	s_cbranch_execnz .LBB25_120
.LBB25_98:
	s_or_b64 exec, exec, s[26:27]
	s_and_b64 s[30:31], s[14:15], s[18:19]
	s_and_saveexec_b64 s[26:27], s[30:31]
	s_cbranch_execnz .LBB25_124
.LBB25_99:
	s_or_b64 exec, exec, s[26:27]
	s_and_b64 s[26:27], s[16:17], s[18:19]
	s_and_saveexec_b64 s[18:19], s[26:27]
	s_cbranch_execnz .LBB25_128
	s_branch .LBB25_132
.LBB25_100:
	s_and_b64 vcc, exec, s[0:1]
	s_cbranch_vccnz .LBB25_102
; %bb.101:
	v_lshl_add_u64 v[80:81], v[64:65], 2, v[62:63]
	flat_load_dword v80, v[80:81]
	s_waitcnt vmcnt(0) lgkmcnt(0)
	v_mul_f32_e32 v80, s33, v80
	s_branch .LBB25_103
.LBB25_102:
	v_mov_b32_e32 v80, 0
.LBB25_103:
	v_pk_add_f32 v[82:83], v[32:33], v[56:57]
	s_nop 0
	v_min3_f32 v81, v82, v83, v140
	v_pk_add_f32 v[82:83], v[34:35], v[58:59]
	s_nop 0
	v_min_f32_e32 v82, v82, v83
	v_min3_f32 v82, v80, v82, v81
	v_lshl_add_u64 v[80:81], v[64:65], 2, v[60:61]
	global_store_dword v[80:81], v82, off
	s_or_b64 exec, exec, s[26:27]
	s_and_b64 s[30:31], s[4:5], s[18:19]
	s_and_saveexec_b64 s[26:27], s[30:31]
	s_cbranch_execz .LBB25_94
.LBB25_104:
	s_and_b64 vcc, exec, s[0:1]
	s_cbranch_vccnz .LBB25_106
; %bb.105:
	v_lshl_add_u64 v[80:81], v[66:67], 2, v[62:63]
	flat_load_dword v80, v[80:81]
	s_waitcnt vmcnt(0) lgkmcnt(0)
	v_mul_f32_e32 v80, s33, v80
	s_branch .LBB25_107
.LBB25_106:
	v_mov_b32_e32 v80, 0
.LBB25_107:
	v_pk_add_f32 v[82:83], v[28:29], v[56:57]
	s_nop 0
	v_min3_f32 v81, v82, v83, v139
	v_pk_add_f32 v[82:83], v[30:31], v[58:59]
	s_nop 0
	v_min_f32_e32 v82, v82, v83
	v_min3_f32 v82, v80, v82, v81
	v_lshl_add_u64 v[80:81], v[66:67], 2, v[60:61]
	global_store_dword v[80:81], v82, off
	s_or_b64 exec, exec, s[26:27]
	s_and_b64 s[30:31], s[6:7], s[18:19]
	s_and_saveexec_b64 s[26:27], s[30:31]
	s_cbranch_execz .LBB25_95
.LBB25_108:
	s_and_b64 vcc, exec, s[0:1]
	s_cbranch_vccnz .LBB25_110
; %bb.109:
	v_lshl_add_u64 v[80:81], v[68:69], 2, v[62:63]
	flat_load_dword v80, v[80:81]
	s_waitcnt vmcnt(0) lgkmcnt(0)
	v_mul_f32_e32 v80, s33, v80
	s_branch .LBB25_111
.LBB25_110:
	v_mov_b32_e32 v80, 0
.LBB25_111:
	v_pk_add_f32 v[82:83], v[24:25], v[56:57]
	s_nop 0
	v_min3_f32 v81, v82, v83, v138
	v_pk_add_f32 v[82:83], v[26:27], v[58:59]
	s_nop 0
	v_min_f32_e32 v82, v82, v83
	v_min3_f32 v82, v80, v82, v81
	v_lshl_add_u64 v[80:81], v[68:69], 2, v[60:61]
	global_store_dword v[80:81], v82, off
	s_or_b64 exec, exec, s[26:27]
	s_and_b64 s[30:31], s[8:9], s[18:19]
	s_and_saveexec_b64 s[26:27], s[30:31]
	s_cbranch_execz .LBB25_96
.LBB25_112:
	s_and_b64 vcc, exec, s[0:1]
	s_cbranch_vccnz .LBB25_114
; %bb.113:
	v_lshl_add_u64 v[80:81], v[70:71], 2, v[62:63]
	flat_load_dword v80, v[80:81]
	s_waitcnt vmcnt(0) lgkmcnt(0)
	v_mul_f32_e32 v80, s33, v80
	s_branch .LBB25_115
.LBB25_114:
	v_mov_b32_e32 v80, 0
.LBB25_115:
	v_pk_add_f32 v[82:83], v[20:21], v[56:57]
	s_nop 0
	v_min3_f32 v81, v82, v83, v137
	v_pk_add_f32 v[82:83], v[22:23], v[58:59]
	s_nop 0
	v_min_f32_e32 v82, v82, v83
	v_min3_f32 v82, v80, v82, v81
	v_lshl_add_u64 v[80:81], v[70:71], 2, v[60:61]
	global_store_dword v[80:81], v82, off
	s_or_b64 exec, exec, s[26:27]
	s_and_b64 s[30:31], s[10:11], s[18:19]
	s_and_saveexec_b64 s[26:27], s[30:31]
	s_cbranch_execz .LBB25_97
.LBB25_116:
	s_and_b64 vcc, exec, s[0:1]
	s_cbranch_vccnz .LBB25_118
; %bb.117:
	v_lshl_add_u64 v[80:81], v[72:73], 2, v[62:63]
	flat_load_dword v80, v[80:81]
	s_waitcnt vmcnt(0) lgkmcnt(0)
	v_mul_f32_e32 v80, s33, v80
	s_branch .LBB25_119
.LBB25_118:
	v_mov_b32_e32 v80, 0
.LBB25_119:
	v_pk_add_f32 v[82:83], v[16:17], v[56:57]
	s_nop 0
	v_min3_f32 v81, v82, v83, v136
	v_pk_add_f32 v[82:83], v[18:19], v[58:59]
	s_nop 0
	v_min_f32_e32 v82, v82, v83
	v_min3_f32 v82, v80, v82, v81
	v_lshl_add_u64 v[80:81], v[72:73], 2, v[60:61]
	global_store_dword v[80:81], v82, off
	s_or_b64 exec, exec, s[26:27]
	s_and_b64 s[30:31], s[12:13], s[18:19]
	s_and_saveexec_b64 s[26:27], s[30:31]
	s_cbranch_execz .LBB25_98
.LBB25_120:
	s_and_b64 vcc, exec, s[0:1]
	s_cbranch_vccnz .LBB25_122
; %bb.121:
	v_lshl_add_u64 v[80:81], v[74:75], 2, v[62:63]
	flat_load_dword v80, v[80:81]
	s_waitcnt vmcnt(0) lgkmcnt(0)
	v_mul_f32_e32 v80, s33, v80
	s_branch .LBB25_123
.LBB25_122:
	v_mov_b32_e32 v80, 0
.LBB25_123:
	v_pk_add_f32 v[82:83], v[12:13], v[56:57]
	s_nop 0
	v_min3_f32 v81, v82, v83, v135
	v_pk_add_f32 v[82:83], v[14:15], v[58:59]
	s_nop 0
	v_min_f32_e32 v82, v82, v83
	v_min3_f32 v82, v80, v82, v81
	v_lshl_add_u64 v[80:81], v[74:75], 2, v[60:61]
	global_store_dword v[80:81], v82, off
	s_or_b64 exec, exec, s[26:27]
	s_and_b64 s[30:31], s[14:15], s[18:19]
	s_and_saveexec_b64 s[26:27], s[30:31]
	s_cbranch_execz .LBB25_99
.LBB25_124:
	s_and_b64 vcc, exec, s[0:1]
	s_cbranch_vccnz .LBB25_126
; %bb.125:
	v_lshl_add_u64 v[80:81], v[76:77], 2, v[62:63]
	flat_load_dword v80, v[80:81]
	s_waitcnt vmcnt(0) lgkmcnt(0)
	v_mul_f32_e32 v80, s33, v80
	s_branch .LBB25_127
.LBB25_126:
	v_mov_b32_e32 v80, 0
.LBB25_127:
	v_pk_add_f32 v[82:83], v[8:9], v[56:57]
	s_nop 0
	v_min3_f32 v81, v82, v83, v134
	v_pk_add_f32 v[82:83], v[10:11], v[58:59]
	s_nop 0
	v_min_f32_e32 v82, v82, v83
	v_min3_f32 v82, v80, v82, v81
	v_lshl_add_u64 v[80:81], v[76:77], 2, v[60:61]
	global_store_dword v[80:81], v82, off
	s_or_b64 exec, exec, s[26:27]
	s_and_b64 s[26:27], s[16:17], s[18:19]
	s_and_saveexec_b64 s[18:19], s[26:27]
	s_cbranch_execz .LBB25_132
.LBB25_128:
	s_and_b64 vcc, exec, s[0:1]
	s_cbranch_vccnz .LBB25_130
; %bb.129:
	v_lshl_add_u64 v[62:63], v[78:79], 2, v[62:63]
	flat_load_dword v62, v[62:63]
	s_waitcnt vmcnt(0) lgkmcnt(0)
	v_mul_f32_e32 v62, s33, v62
	s_branch .LBB25_131
.LBB25_130:
	v_mov_b32_e32 v62, 0
.LBB25_131:
	v_pk_add_f32 v[56:57], v[0:1], v[56:57]
	s_nop 0
	v_min3_f32 v63, v56, v57, v133
	v_pk_add_f32 v[56:57], v[2:3], v[58:59]
	s_nop 0
	v_min_f32_e32 v56, v56, v57
	v_min3_f32 v58, v62, v56, v63
	v_lshl_add_u64 v[56:57], v[78:79], 2, v[60:61]
	global_store_dword v[56:57], v58, off
.LBB25_132:
	s_or_b64 exec, exec, s[18:19]
	v_add_u32_e32 v60, 64, v124
	v_mad_i64_i32 v[56:57], s[26:27], v60, s29, 0
	v_cmp_gt_i32_e64 s[18:19], s21, v60
	v_lshl_add_u64 v[58:59], v[56:57], 2, s[24:25]
	v_mad_i64_i32 v[56:57], s[26:27], v60, s28, 0
	v_lshl_add_u64 v[56:57], v[56:57], 2, s[22:23]
	s_and_b64 s[30:31], s[2:3], s[18:19]
	s_and_saveexec_b64 s[26:27], s[30:31]
	s_cbranch_execnz .LBB25_140
; %bb.133:
	s_or_b64 exec, exec, s[26:27]
	s_and_b64 s[30:31], s[4:5], s[18:19]
	s_and_saveexec_b64 s[26:27], s[30:31]
	s_cbranch_execnz .LBB25_144
.LBB25_134:
	s_or_b64 exec, exec, s[26:27]
	s_and_b64 s[30:31], s[6:7], s[18:19]
	s_and_saveexec_b64 s[26:27], s[30:31]
	s_cbranch_execnz .LBB25_148
.LBB25_135:
	s_or_b64 exec, exec, s[26:27]
	s_and_b64 s[30:31], s[8:9], s[18:19]
	s_and_saveexec_b64 s[26:27], s[30:31]
	s_cbranch_execnz .LBB25_152
.LBB25_136:
	s_or_b64 exec, exec, s[26:27]
	s_and_b64 s[30:31], s[10:11], s[18:19]
	s_and_saveexec_b64 s[26:27], s[30:31]
	s_cbranch_execnz .LBB25_156
.LBB25_137:
	s_or_b64 exec, exec, s[26:27]
	s_and_b64 s[30:31], s[12:13], s[18:19]
	s_and_saveexec_b64 s[26:27], s[30:31]
	s_cbranch_execnz .LBB25_160
.LBB25_138:
	s_or_b64 exec, exec, s[26:27]
	s_and_b64 s[30:31], s[14:15], s[18:19]
	s_and_saveexec_b64 s[26:27], s[30:31]
	s_cbranch_execnz .LBB25_164
.LBB25_139:
	s_or_b64 exec, exec, s[26:27]
	s_and_b64 s[26:27], s[16:17], s[18:19]
	s_and_saveexec_b64 s[18:19], s[26:27]
	s_cbranch_execnz .LBB25_168
	s_branch .LBB25_172
.LBB25_140:
	s_and_b64 vcc, exec, s[0:1]
	s_cbranch_vccnz .LBB25_142
; %bb.141:
	v_lshl_add_u64 v[60:61], v[64:65], 2, v[58:59]
	flat_load_dword v60, v[60:61]
	s_waitcnt vmcnt(0) lgkmcnt(0)
	v_mul_f32_e32 v60, s33, v60
	s_branch .LBB25_143
.LBB25_142:
	v_mov_b32_e32 v60, 0
.LBB25_143:
	v_pk_add_f32 v[62:63], v[32:33], v[52:53]
	s_nop 0
	v_min3_f32 v61, v62, v63, v132
	v_pk_add_f32 v[62:63], v[34:35], v[54:55]
	s_nop 0
	v_min_f32_e32 v62, v62, v63
	v_min3_f32 v62, v60, v62, v61
	v_lshl_add_u64 v[60:61], v[64:65], 2, v[56:57]
	global_store_dword v[60:61], v62, off
	s_or_b64 exec, exec, s[26:27]
	s_and_b64 s[30:31], s[4:5], s[18:19]
	s_and_saveexec_b64 s[26:27], s[30:31]
	s_cbranch_execz .LBB25_134
.LBB25_144:
	s_and_b64 vcc, exec, s[0:1]
	s_cbranch_vccnz .LBB25_146
; %bb.145:
	v_lshl_add_u64 v[60:61], v[66:67], 2, v[58:59]
	flat_load_dword v60, v[60:61]
	s_waitcnt vmcnt(0) lgkmcnt(0)
	v_mul_f32_e32 v60, s33, v60
	s_branch .LBB25_147
.LBB25_146:
	v_mov_b32_e32 v60, 0
.LBB25_147:
	v_pk_add_f32 v[62:63], v[28:29], v[52:53]
	s_nop 0
	v_min3_f32 v61, v62, v63, v131
	v_pk_add_f32 v[62:63], v[30:31], v[54:55]
	s_nop 0
	v_min_f32_e32 v62, v62, v63
	v_min3_f32 v62, v60, v62, v61
	v_lshl_add_u64 v[60:61], v[66:67], 2, v[56:57]
	global_store_dword v[60:61], v62, off
	s_or_b64 exec, exec, s[26:27]
	s_and_b64 s[30:31], s[6:7], s[18:19]
	s_and_saveexec_b64 s[26:27], s[30:31]
	s_cbranch_execz .LBB25_135
.LBB25_148:
	s_and_b64 vcc, exec, s[0:1]
	s_cbranch_vccnz .LBB25_150
; %bb.149:
	v_lshl_add_u64 v[60:61], v[68:69], 2, v[58:59]
	flat_load_dword v60, v[60:61]
	s_waitcnt vmcnt(0) lgkmcnt(0)
	v_mul_f32_e32 v60, s33, v60
	s_branch .LBB25_151
.LBB25_150:
	v_mov_b32_e32 v60, 0
.LBB25_151:
	v_pk_add_f32 v[62:63], v[24:25], v[52:53]
	s_nop 0
	v_min3_f32 v61, v62, v63, v130
	v_pk_add_f32 v[62:63], v[26:27], v[54:55]
	s_nop 0
	v_min_f32_e32 v62, v62, v63
	v_min3_f32 v62, v60, v62, v61
	v_lshl_add_u64 v[60:61], v[68:69], 2, v[56:57]
	global_store_dword v[60:61], v62, off
	s_or_b64 exec, exec, s[26:27]
	s_and_b64 s[30:31], s[8:9], s[18:19]
	s_and_saveexec_b64 s[26:27], s[30:31]
	s_cbranch_execz .LBB25_136
.LBB25_152:
	s_and_b64 vcc, exec, s[0:1]
	s_cbranch_vccnz .LBB25_154
; %bb.153:
	v_lshl_add_u64 v[60:61], v[70:71], 2, v[58:59]
	flat_load_dword v60, v[60:61]
	s_waitcnt vmcnt(0) lgkmcnt(0)
	v_mul_f32_e32 v60, s33, v60
	s_branch .LBB25_155
.LBB25_154:
	v_mov_b32_e32 v60, 0
.LBB25_155:
	v_pk_add_f32 v[62:63], v[20:21], v[52:53]
	s_nop 0
	v_min3_f32 v61, v62, v63, v129
	v_pk_add_f32 v[62:63], v[22:23], v[54:55]
	s_nop 0
	v_min_f32_e32 v62, v62, v63
	v_min3_f32 v62, v60, v62, v61
	v_lshl_add_u64 v[60:61], v[70:71], 2, v[56:57]
	global_store_dword v[60:61], v62, off
	s_or_b64 exec, exec, s[26:27]
	s_and_b64 s[30:31], s[10:11], s[18:19]
	s_and_saveexec_b64 s[26:27], s[30:31]
	s_cbranch_execz .LBB25_137
.LBB25_156:
	s_and_b64 vcc, exec, s[0:1]
	s_cbranch_vccnz .LBB25_158
; %bb.157:
	v_lshl_add_u64 v[60:61], v[72:73], 2, v[58:59]
	flat_load_dword v60, v[60:61]
	s_waitcnt vmcnt(0) lgkmcnt(0)
	v_mul_f32_e32 v60, s33, v60
	s_branch .LBB25_159
.LBB25_158:
	v_mov_b32_e32 v60, 0
.LBB25_159:
	v_pk_add_f32 v[62:63], v[16:17], v[52:53]
	s_nop 0
	v_min3_f32 v61, v62, v63, v128
	v_pk_add_f32 v[62:63], v[18:19], v[54:55]
	s_nop 0
	v_min_f32_e32 v62, v62, v63
	v_min3_f32 v62, v60, v62, v61
	v_lshl_add_u64 v[60:61], v[72:73], 2, v[56:57]
	global_store_dword v[60:61], v62, off
	s_or_b64 exec, exec, s[26:27]
	s_and_b64 s[30:31], s[12:13], s[18:19]
	s_and_saveexec_b64 s[26:27], s[30:31]
	s_cbranch_execz .LBB25_138
.LBB25_160:
	s_and_b64 vcc, exec, s[0:1]
	s_cbranch_vccnz .LBB25_162
; %bb.161:
	v_lshl_add_u64 v[60:61], v[74:75], 2, v[58:59]
	flat_load_dword v60, v[60:61]
	s_waitcnt vmcnt(0) lgkmcnt(0)
	v_mul_f32_e32 v60, s33, v60
	s_branch .LBB25_163
.LBB25_162:
	v_mov_b32_e32 v60, 0
.LBB25_163:
	v_pk_add_f32 v[62:63], v[12:13], v[52:53]
	s_nop 0
	v_min3_f32 v61, v62, v63, v126
	v_pk_add_f32 v[62:63], v[14:15], v[54:55]
	s_nop 0
	v_min_f32_e32 v62, v62, v63
	v_min3_f32 v62, v60, v62, v61
	v_lshl_add_u64 v[60:61], v[74:75], 2, v[56:57]
	global_store_dword v[60:61], v62, off
	s_or_b64 exec, exec, s[26:27]
	s_and_b64 s[30:31], s[14:15], s[18:19]
	s_and_saveexec_b64 s[26:27], s[30:31]
	s_cbranch_execz .LBB25_139
.LBB25_164:
	s_and_b64 vcc, exec, s[0:1]
	s_cbranch_vccnz .LBB25_166
; %bb.165:
	v_lshl_add_u64 v[60:61], v[76:77], 2, v[58:59]
	flat_load_dword v60, v[60:61]
	s_waitcnt vmcnt(0) lgkmcnt(0)
	v_mul_f32_e32 v60, s33, v60
	s_branch .LBB25_167
.LBB25_166:
	v_mov_b32_e32 v60, 0
.LBB25_167:
	v_pk_add_f32 v[62:63], v[8:9], v[52:53]
	s_nop 0
	v_min3_f32 v61, v62, v63, v123
	v_pk_add_f32 v[62:63], v[10:11], v[54:55]
	s_nop 0
	v_min_f32_e32 v62, v62, v63
	v_min3_f32 v62, v60, v62, v61
	v_lshl_add_u64 v[60:61], v[76:77], 2, v[56:57]
	global_store_dword v[60:61], v62, off
	s_or_b64 exec, exec, s[26:27]
	s_and_b64 s[26:27], s[16:17], s[18:19]
	s_and_saveexec_b64 s[18:19], s[26:27]
	s_cbranch_execz .LBB25_172
.LBB25_168:
	s_and_b64 vcc, exec, s[0:1]
	s_cbranch_vccnz .LBB25_170
; %bb.169:
	v_lshl_add_u64 v[58:59], v[78:79], 2, v[58:59]
	flat_load_dword v58, v[58:59]
	s_waitcnt vmcnt(0) lgkmcnt(0)
	v_mul_f32_e32 v58, s33, v58
	s_branch .LBB25_171
.LBB25_170:
	v_mov_b32_e32 v58, 0
.LBB25_171:
	v_pk_add_f32 v[52:53], v[0:1], v[52:53]
	s_nop 0
	v_min3_f32 v59, v52, v53, v127
	v_pk_add_f32 v[52:53], v[2:3], v[54:55]
	s_nop 0
	v_min_f32_e32 v52, v52, v53
	v_min3_f32 v54, v58, v52, v59
	v_lshl_add_u64 v[52:53], v[78:79], 2, v[56:57]
	global_store_dword v[52:53], v54, off
.LBB25_172:
	s_or_b64 exec, exec, s[18:19]
	v_add_u32_e32 v56, 0x60, v124
	v_mad_i64_i32 v[52:53], s[26:27], v56, s29, 0
	v_cmp_gt_i32_e64 s[18:19], s21, v56
	v_lshl_add_u64 v[54:55], v[52:53], 2, s[24:25]
	v_mad_i64_i32 v[52:53], s[26:27], v56, s28, 0
	v_lshl_add_u64 v[52:53], v[52:53], 2, s[22:23]
	s_and_b64 s[30:31], s[2:3], s[18:19]
	s_and_saveexec_b64 s[26:27], s[30:31]
	s_cbranch_execnz .LBB25_180
; %bb.173:
	s_or_b64 exec, exec, s[26:27]
	s_and_b64 s[30:31], s[4:5], s[18:19]
	s_and_saveexec_b64 s[26:27], s[30:31]
	s_cbranch_execnz .LBB25_184
.LBB25_174:
	s_or_b64 exec, exec, s[26:27]
	s_and_b64 s[30:31], s[6:7], s[18:19]
	s_and_saveexec_b64 s[26:27], s[30:31]
	s_cbranch_execnz .LBB25_188
.LBB25_175:
	s_or_b64 exec, exec, s[26:27]
	s_and_b64 s[30:31], s[8:9], s[18:19]
	s_and_saveexec_b64 s[26:27], s[30:31]
	s_cbranch_execnz .LBB25_192
.LBB25_176:
	s_or_b64 exec, exec, s[26:27]
	s_and_b64 s[30:31], s[10:11], s[18:19]
	s_and_saveexec_b64 s[26:27], s[30:31]
	s_cbranch_execnz .LBB25_196
.LBB25_177:
	s_or_b64 exec, exec, s[26:27]
	s_and_b64 s[30:31], s[12:13], s[18:19]
	s_and_saveexec_b64 s[26:27], s[30:31]
	s_cbranch_execnz .LBB25_200
.LBB25_178:
	s_or_b64 exec, exec, s[26:27]
	s_and_b64 s[30:31], s[14:15], s[18:19]
	s_and_saveexec_b64 s[26:27], s[30:31]
	s_cbranch_execnz .LBB25_204
.LBB25_179:
	s_or_b64 exec, exec, s[26:27]
	s_and_b64 s[26:27], s[16:17], s[18:19]
	s_and_saveexec_b64 s[18:19], s[26:27]
	s_cbranch_execnz .LBB25_208
	s_branch .LBB25_212
.LBB25_180:
	s_and_b64 vcc, exec, s[0:1]
	s_cbranch_vccnz .LBB25_182
; %bb.181:
	v_lshl_add_u64 v[56:57], v[64:65], 2, v[54:55]
	flat_load_dword v56, v[56:57]
	s_waitcnt vmcnt(0) lgkmcnt(0)
	v_mul_f32_e32 v56, s33, v56
	s_branch .LBB25_183
.LBB25_182:
	v_mov_b32_e32 v56, 0
.LBB25_183:
	v_pk_add_f32 v[58:59], v[32:33], v[48:49]
	s_nop 0
	v_min3_f32 v57, v58, v59, v125
	v_pk_add_f32 v[58:59], v[34:35], v[50:51]
	s_nop 0
	v_min_f32_e32 v58, v58, v59
	v_min3_f32 v58, v56, v58, v57
	v_lshl_add_u64 v[56:57], v[64:65], 2, v[52:53]
	global_store_dword v[56:57], v58, off
	s_or_b64 exec, exec, s[26:27]
	s_and_b64 s[30:31], s[4:5], s[18:19]
	s_and_saveexec_b64 s[26:27], s[30:31]
	s_cbranch_execz .LBB25_174
.LBB25_184:
	s_and_b64 vcc, exec, s[0:1]
	s_cbranch_vccnz .LBB25_186
; %bb.185:
	v_lshl_add_u64 v[56:57], v[66:67], 2, v[54:55]
	flat_load_dword v56, v[56:57]
	s_waitcnt vmcnt(0) lgkmcnt(0)
	v_mul_f32_e32 v56, s33, v56
	s_branch .LBB25_187
.LBB25_186:
	v_mov_b32_e32 v56, 0
.LBB25_187:
	v_pk_add_f32 v[58:59], v[28:29], v[48:49]
	s_nop 0
	v_min3_f32 v57, v58, v59, v122
	v_pk_add_f32 v[58:59], v[30:31], v[50:51]
	s_nop 0
	v_min_f32_e32 v58, v58, v59
	v_min3_f32 v58, v56, v58, v57
	v_lshl_add_u64 v[56:57], v[66:67], 2, v[52:53]
	global_store_dword v[56:57], v58, off
	s_or_b64 exec, exec, s[26:27]
	s_and_b64 s[30:31], s[6:7], s[18:19]
	s_and_saveexec_b64 s[26:27], s[30:31]
	s_cbranch_execz .LBB25_175
.LBB25_188:
	s_and_b64 vcc, exec, s[0:1]
	s_cbranch_vccnz .LBB25_190
; %bb.189:
	v_lshl_add_u64 v[56:57], v[68:69], 2, v[54:55]
	flat_load_dword v56, v[56:57]
	s_waitcnt vmcnt(0) lgkmcnt(0)
	v_mul_f32_e32 v56, s33, v56
	s_branch .LBB25_191
.LBB25_190:
	v_mov_b32_e32 v56, 0
.LBB25_191:
	v_pk_add_f32 v[58:59], v[24:25], v[48:49]
	s_nop 0
	v_min3_f32 v57, v58, v59, v121
	v_pk_add_f32 v[58:59], v[26:27], v[50:51]
	s_nop 0
	v_min_f32_e32 v58, v58, v59
	v_min3_f32 v58, v56, v58, v57
	v_lshl_add_u64 v[56:57], v[68:69], 2, v[52:53]
	global_store_dword v[56:57], v58, off
	s_or_b64 exec, exec, s[26:27]
	s_and_b64 s[30:31], s[8:9], s[18:19]
	s_and_saveexec_b64 s[26:27], s[30:31]
	s_cbranch_execz .LBB25_176
.LBB25_192:
	s_and_b64 vcc, exec, s[0:1]
	s_cbranch_vccnz .LBB25_194
; %bb.193:
	v_lshl_add_u64 v[56:57], v[70:71], 2, v[54:55]
	flat_load_dword v56, v[56:57]
	s_waitcnt vmcnt(0) lgkmcnt(0)
	v_mul_f32_e32 v56, s33, v56
	s_branch .LBB25_195
.LBB25_194:
	v_mov_b32_e32 v56, 0
.LBB25_195:
	v_pk_add_f32 v[58:59], v[20:21], v[48:49]
	s_nop 0
	v_min3_f32 v57, v58, v59, v120
	v_pk_add_f32 v[58:59], v[22:23], v[50:51]
	s_nop 0
	v_min_f32_e32 v58, v58, v59
	v_min3_f32 v58, v56, v58, v57
	v_lshl_add_u64 v[56:57], v[70:71], 2, v[52:53]
	global_store_dword v[56:57], v58, off
	s_or_b64 exec, exec, s[26:27]
	s_and_b64 s[30:31], s[10:11], s[18:19]
	s_and_saveexec_b64 s[26:27], s[30:31]
	s_cbranch_execz .LBB25_177
.LBB25_196:
	s_and_b64 vcc, exec, s[0:1]
	s_cbranch_vccnz .LBB25_198
; %bb.197:
	v_lshl_add_u64 v[56:57], v[72:73], 2, v[54:55]
	flat_load_dword v56, v[56:57]
	s_waitcnt vmcnt(0) lgkmcnt(0)
	v_mul_f32_e32 v56, s33, v56
	s_branch .LBB25_199
.LBB25_198:
	v_mov_b32_e32 v56, 0
.LBB25_199:
	v_pk_add_f32 v[58:59], v[16:17], v[48:49]
	s_nop 0
	v_min3_f32 v57, v58, v59, v119
	v_pk_add_f32 v[58:59], v[18:19], v[50:51]
	s_nop 0
	v_min_f32_e32 v58, v58, v59
	v_min3_f32 v58, v56, v58, v57
	v_lshl_add_u64 v[56:57], v[72:73], 2, v[52:53]
	global_store_dword v[56:57], v58, off
	s_or_b64 exec, exec, s[26:27]
	s_and_b64 s[30:31], s[12:13], s[18:19]
	s_and_saveexec_b64 s[26:27], s[30:31]
	s_cbranch_execz .LBB25_178
.LBB25_200:
	s_and_b64 vcc, exec, s[0:1]
	s_cbranch_vccnz .LBB25_202
; %bb.201:
	v_lshl_add_u64 v[56:57], v[74:75], 2, v[54:55]
	flat_load_dword v56, v[56:57]
	s_waitcnt vmcnt(0) lgkmcnt(0)
	v_mul_f32_e32 v56, s33, v56
	s_branch .LBB25_203
.LBB25_202:
	v_mov_b32_e32 v56, 0
.LBB25_203:
	v_pk_add_f32 v[58:59], v[12:13], v[48:49]
	s_nop 0
	v_min3_f32 v57, v58, v59, v118
	v_pk_add_f32 v[58:59], v[14:15], v[50:51]
	s_nop 0
	v_min_f32_e32 v58, v58, v59
	v_min3_f32 v58, v56, v58, v57
	v_lshl_add_u64 v[56:57], v[74:75], 2, v[52:53]
	global_store_dword v[56:57], v58, off
	s_or_b64 exec, exec, s[26:27]
	s_and_b64 s[30:31], s[14:15], s[18:19]
	s_and_saveexec_b64 s[26:27], s[30:31]
	s_cbranch_execz .LBB25_179
.LBB25_204:
	s_and_b64 vcc, exec, s[0:1]
	s_cbranch_vccnz .LBB25_206
; %bb.205:
	v_lshl_add_u64 v[56:57], v[76:77], 2, v[54:55]
	flat_load_dword v56, v[56:57]
	s_waitcnt vmcnt(0) lgkmcnt(0)
	v_mul_f32_e32 v56, s33, v56
	s_branch .LBB25_207
.LBB25_206:
	v_mov_b32_e32 v56, 0
.LBB25_207:
	v_pk_add_f32 v[58:59], v[8:9], v[48:49]
	s_nop 0
	v_min3_f32 v57, v58, v59, v117
	v_pk_add_f32 v[58:59], v[10:11], v[50:51]
	s_nop 0
	v_min_f32_e32 v58, v58, v59
	v_min3_f32 v58, v56, v58, v57
	v_lshl_add_u64 v[56:57], v[76:77], 2, v[52:53]
	global_store_dword v[56:57], v58, off
	s_or_b64 exec, exec, s[26:27]
	s_and_b64 s[26:27], s[16:17], s[18:19]
	s_and_saveexec_b64 s[18:19], s[26:27]
	s_cbranch_execz .LBB25_212
.LBB25_208:
	s_and_b64 vcc, exec, s[0:1]
	s_cbranch_vccnz .LBB25_210
; %bb.209:
	v_lshl_add_u64 v[54:55], v[78:79], 2, v[54:55]
	flat_load_dword v54, v[54:55]
	s_waitcnt vmcnt(0) lgkmcnt(0)
	v_mul_f32_e32 v54, s33, v54
	s_branch .LBB25_211
.LBB25_210:
	v_mov_b32_e32 v54, 0
.LBB25_211:
	v_pk_add_f32 v[48:49], v[0:1], v[48:49]
	s_nop 0
	v_min3_f32 v55, v48, v49, v116
	v_pk_add_f32 v[48:49], v[2:3], v[50:51]
	s_nop 0
	v_min_f32_e32 v48, v48, v49
	v_min3_f32 v50, v54, v48, v55
	v_lshl_add_u64 v[48:49], v[78:79], 2, v[52:53]
	global_store_dword v[48:49], v50, off
.LBB25_212:
	s_or_b64 exec, exec, s[18:19]
	v_add_u32_e32 v52, 0x80, v124
	v_mad_i64_i32 v[48:49], s[26:27], v52, s29, 0
	v_cmp_gt_i32_e64 s[18:19], s21, v52
	v_lshl_add_u64 v[50:51], v[48:49], 2, s[24:25]
	v_mad_i64_i32 v[48:49], s[26:27], v52, s28, 0
	v_lshl_add_u64 v[48:49], v[48:49], 2, s[22:23]
	s_and_b64 s[30:31], s[2:3], s[18:19]
	s_and_saveexec_b64 s[26:27], s[30:31]
	s_cbranch_execnz .LBB25_220
; %bb.213:
	s_or_b64 exec, exec, s[26:27]
	s_and_b64 s[30:31], s[4:5], s[18:19]
	s_and_saveexec_b64 s[26:27], s[30:31]
	s_cbranch_execnz .LBB25_224
.LBB25_214:
	s_or_b64 exec, exec, s[26:27]
	s_and_b64 s[30:31], s[6:7], s[18:19]
	s_and_saveexec_b64 s[26:27], s[30:31]
	s_cbranch_execnz .LBB25_228
.LBB25_215:
	s_or_b64 exec, exec, s[26:27]
	s_and_b64 s[30:31], s[8:9], s[18:19]
	s_and_saveexec_b64 s[26:27], s[30:31]
	s_cbranch_execnz .LBB25_232
.LBB25_216:
	s_or_b64 exec, exec, s[26:27]
	s_and_b64 s[30:31], s[10:11], s[18:19]
	s_and_saveexec_b64 s[26:27], s[30:31]
	s_cbranch_execnz .LBB25_236
.LBB25_217:
	s_or_b64 exec, exec, s[26:27]
	s_and_b64 s[30:31], s[12:13], s[18:19]
	s_and_saveexec_b64 s[26:27], s[30:31]
	s_cbranch_execnz .LBB25_240
.LBB25_218:
	s_or_b64 exec, exec, s[26:27]
	s_and_b64 s[30:31], s[14:15], s[18:19]
	s_and_saveexec_b64 s[26:27], s[30:31]
	s_cbranch_execnz .LBB25_244
.LBB25_219:
	s_or_b64 exec, exec, s[26:27]
	s_and_b64 s[26:27], s[16:17], s[18:19]
	s_and_saveexec_b64 s[18:19], s[26:27]
	s_cbranch_execnz .LBB25_248
	s_branch .LBB25_252
.LBB25_220:
	s_and_b64 vcc, exec, s[0:1]
	s_cbranch_vccnz .LBB25_222
; %bb.221:
	v_lshl_add_u64 v[52:53], v[64:65], 2, v[50:51]
	flat_load_dword v52, v[52:53]
	s_waitcnt vmcnt(0) lgkmcnt(0)
	v_mul_f32_e32 v52, s33, v52
	s_branch .LBB25_223
.LBB25_222:
	v_mov_b32_e32 v52, 0
.LBB25_223:
	v_pk_add_f32 v[54:55], v[32:33], v[44:45]
	s_nop 0
	v_min3_f32 v53, v54, v55, v115
	v_pk_add_f32 v[54:55], v[34:35], v[46:47]
	s_nop 0
	v_min_f32_e32 v54, v54, v55
	v_min3_f32 v54, v52, v54, v53
	v_lshl_add_u64 v[52:53], v[64:65], 2, v[48:49]
	global_store_dword v[52:53], v54, off
	s_or_b64 exec, exec, s[26:27]
	s_and_b64 s[30:31], s[4:5], s[18:19]
	s_and_saveexec_b64 s[26:27], s[30:31]
	s_cbranch_execz .LBB25_214
.LBB25_224:
	s_and_b64 vcc, exec, s[0:1]
	s_cbranch_vccnz .LBB25_226
; %bb.225:
	v_lshl_add_u64 v[52:53], v[66:67], 2, v[50:51]
	flat_load_dword v52, v[52:53]
	s_waitcnt vmcnt(0) lgkmcnt(0)
	v_mul_f32_e32 v52, s33, v52
	s_branch .LBB25_227
.LBB25_226:
	v_mov_b32_e32 v52, 0
.LBB25_227:
	v_pk_add_f32 v[54:55], v[28:29], v[44:45]
	s_nop 0
	v_min3_f32 v53, v54, v55, v114
	v_pk_add_f32 v[54:55], v[30:31], v[46:47]
	s_nop 0
	v_min_f32_e32 v54, v54, v55
	v_min3_f32 v54, v52, v54, v53
	v_lshl_add_u64 v[52:53], v[66:67], 2, v[48:49]
	global_store_dword v[52:53], v54, off
	s_or_b64 exec, exec, s[26:27]
	s_and_b64 s[30:31], s[6:7], s[18:19]
	s_and_saveexec_b64 s[26:27], s[30:31]
	s_cbranch_execz .LBB25_215
.LBB25_228:
	s_and_b64 vcc, exec, s[0:1]
	s_cbranch_vccnz .LBB25_230
; %bb.229:
	v_lshl_add_u64 v[52:53], v[68:69], 2, v[50:51]
	flat_load_dword v52, v[52:53]
	s_waitcnt vmcnt(0) lgkmcnt(0)
	v_mul_f32_e32 v52, s33, v52
	s_branch .LBB25_231
.LBB25_230:
	v_mov_b32_e32 v52, 0
.LBB25_231:
	v_pk_add_f32 v[54:55], v[24:25], v[44:45]
	s_nop 0
	v_min3_f32 v53, v54, v55, v113
	v_pk_add_f32 v[54:55], v[26:27], v[46:47]
	s_nop 0
	v_min_f32_e32 v54, v54, v55
	v_min3_f32 v54, v52, v54, v53
	v_lshl_add_u64 v[52:53], v[68:69], 2, v[48:49]
	global_store_dword v[52:53], v54, off
	s_or_b64 exec, exec, s[26:27]
	s_and_b64 s[30:31], s[8:9], s[18:19]
	s_and_saveexec_b64 s[26:27], s[30:31]
	s_cbranch_execz .LBB25_216
.LBB25_232:
	s_and_b64 vcc, exec, s[0:1]
	s_cbranch_vccnz .LBB25_234
; %bb.233:
	v_lshl_add_u64 v[52:53], v[70:71], 2, v[50:51]
	flat_load_dword v52, v[52:53]
	s_waitcnt vmcnt(0) lgkmcnt(0)
	v_mul_f32_e32 v52, s33, v52
	s_branch .LBB25_235
.LBB25_234:
	v_mov_b32_e32 v52, 0
.LBB25_235:
	v_pk_add_f32 v[54:55], v[20:21], v[44:45]
	s_nop 0
	v_min3_f32 v53, v54, v55, v112
	v_pk_add_f32 v[54:55], v[22:23], v[46:47]
	s_nop 0
	v_min_f32_e32 v54, v54, v55
	v_min3_f32 v54, v52, v54, v53
	v_lshl_add_u64 v[52:53], v[70:71], 2, v[48:49]
	global_store_dword v[52:53], v54, off
	s_or_b64 exec, exec, s[26:27]
	s_and_b64 s[30:31], s[10:11], s[18:19]
	s_and_saveexec_b64 s[26:27], s[30:31]
	s_cbranch_execz .LBB25_217
.LBB25_236:
	s_and_b64 vcc, exec, s[0:1]
	s_cbranch_vccnz .LBB25_238
; %bb.237:
	v_lshl_add_u64 v[52:53], v[72:73], 2, v[50:51]
	flat_load_dword v52, v[52:53]
	s_waitcnt vmcnt(0) lgkmcnt(0)
	v_mul_f32_e32 v52, s33, v52
	s_branch .LBB25_239
.LBB25_238:
	v_mov_b32_e32 v52, 0
.LBB25_239:
	v_pk_add_f32 v[54:55], v[16:17], v[44:45]
	s_nop 0
	v_min3_f32 v53, v54, v55, v111
	v_pk_add_f32 v[54:55], v[18:19], v[46:47]
	s_nop 0
	v_min_f32_e32 v54, v54, v55
	v_min3_f32 v54, v52, v54, v53
	v_lshl_add_u64 v[52:53], v[72:73], 2, v[48:49]
	global_store_dword v[52:53], v54, off
	s_or_b64 exec, exec, s[26:27]
	s_and_b64 s[30:31], s[12:13], s[18:19]
	s_and_saveexec_b64 s[26:27], s[30:31]
	s_cbranch_execz .LBB25_218
.LBB25_240:
	s_and_b64 vcc, exec, s[0:1]
	s_cbranch_vccnz .LBB25_242
; %bb.241:
	v_lshl_add_u64 v[52:53], v[74:75], 2, v[50:51]
	flat_load_dword v52, v[52:53]
	s_waitcnt vmcnt(0) lgkmcnt(0)
	v_mul_f32_e32 v52, s33, v52
	s_branch .LBB25_243
.LBB25_242:
	v_mov_b32_e32 v52, 0
.LBB25_243:
	v_pk_add_f32 v[54:55], v[12:13], v[44:45]
	s_nop 0
	v_min3_f32 v53, v54, v55, v110
	v_pk_add_f32 v[54:55], v[14:15], v[46:47]
	s_nop 0
	v_min_f32_e32 v54, v54, v55
	v_min3_f32 v54, v52, v54, v53
	v_lshl_add_u64 v[52:53], v[74:75], 2, v[48:49]
	global_store_dword v[52:53], v54, off
	s_or_b64 exec, exec, s[26:27]
	s_and_b64 s[30:31], s[14:15], s[18:19]
	s_and_saveexec_b64 s[26:27], s[30:31]
	s_cbranch_execz .LBB25_219
.LBB25_244:
	s_and_b64 vcc, exec, s[0:1]
	s_cbranch_vccnz .LBB25_246
; %bb.245:
	v_lshl_add_u64 v[52:53], v[76:77], 2, v[50:51]
	flat_load_dword v52, v[52:53]
	s_waitcnt vmcnt(0) lgkmcnt(0)
	v_mul_f32_e32 v52, s33, v52
	s_branch .LBB25_247
.LBB25_246:
	v_mov_b32_e32 v52, 0
.LBB25_247:
	v_pk_add_f32 v[54:55], v[8:9], v[44:45]
	s_nop 0
	v_min3_f32 v53, v54, v55, v109
	v_pk_add_f32 v[54:55], v[10:11], v[46:47]
	s_nop 0
	v_min_f32_e32 v54, v54, v55
	v_min3_f32 v54, v52, v54, v53
	v_lshl_add_u64 v[52:53], v[76:77], 2, v[48:49]
	global_store_dword v[52:53], v54, off
	s_or_b64 exec, exec, s[26:27]
	s_and_b64 s[26:27], s[16:17], s[18:19]
	s_and_saveexec_b64 s[18:19], s[26:27]
	s_cbranch_execz .LBB25_252
.LBB25_248:
	s_and_b64 vcc, exec, s[0:1]
	s_cbranch_vccnz .LBB25_250
; %bb.249:
	v_lshl_add_u64 v[50:51], v[78:79], 2, v[50:51]
	flat_load_dword v50, v[50:51]
	s_waitcnt vmcnt(0) lgkmcnt(0)
	v_mul_f32_e32 v50, s33, v50
	s_branch .LBB25_251
.LBB25_250:
	v_mov_b32_e32 v50, 0
.LBB25_251:
	v_pk_add_f32 v[44:45], v[0:1], v[44:45]
	s_nop 0
	v_min3_f32 v51, v44, v45, v108
	v_pk_add_f32 v[44:45], v[2:3], v[46:47]
	s_nop 0
	v_min_f32_e32 v44, v44, v45
	v_min3_f32 v46, v50, v44, v51
	v_lshl_add_u64 v[44:45], v[78:79], 2, v[48:49]
	global_store_dword v[44:45], v46, off
.LBB25_252:
	s_or_b64 exec, exec, s[18:19]
	v_add_u32_e32 v48, 0xa0, v124
	v_mad_i64_i32 v[44:45], s[26:27], v48, s29, 0
	v_cmp_gt_i32_e64 s[18:19], s21, v48
	v_lshl_add_u64 v[46:47], v[44:45], 2, s[24:25]
	v_mad_i64_i32 v[44:45], s[26:27], v48, s28, 0
	v_lshl_add_u64 v[44:45], v[44:45], 2, s[22:23]
	s_and_b64 s[30:31], s[2:3], s[18:19]
	s_and_saveexec_b64 s[26:27], s[30:31]
	s_cbranch_execnz .LBB25_260
; %bb.253:
	s_or_b64 exec, exec, s[26:27]
	s_and_b64 s[30:31], s[4:5], s[18:19]
	s_and_saveexec_b64 s[26:27], s[30:31]
	s_cbranch_execnz .LBB25_264
.LBB25_254:
	s_or_b64 exec, exec, s[26:27]
	s_and_b64 s[30:31], s[6:7], s[18:19]
	s_and_saveexec_b64 s[26:27], s[30:31]
	s_cbranch_execnz .LBB25_268
.LBB25_255:
	s_or_b64 exec, exec, s[26:27]
	s_and_b64 s[30:31], s[8:9], s[18:19]
	s_and_saveexec_b64 s[26:27], s[30:31]
	s_cbranch_execnz .LBB25_272
.LBB25_256:
	s_or_b64 exec, exec, s[26:27]
	s_and_b64 s[30:31], s[10:11], s[18:19]
	s_and_saveexec_b64 s[26:27], s[30:31]
	s_cbranch_execnz .LBB25_276
.LBB25_257:
	s_or_b64 exec, exec, s[26:27]
	s_and_b64 s[30:31], s[12:13], s[18:19]
	s_and_saveexec_b64 s[26:27], s[30:31]
	s_cbranch_execnz .LBB25_280
.LBB25_258:
	s_or_b64 exec, exec, s[26:27]
	s_and_b64 s[30:31], s[14:15], s[18:19]
	s_and_saveexec_b64 s[26:27], s[30:31]
	s_cbranch_execnz .LBB25_284
.LBB25_259:
	s_or_b64 exec, exec, s[26:27]
	s_and_b64 s[26:27], s[16:17], s[18:19]
	s_and_saveexec_b64 s[18:19], s[26:27]
	s_cbranch_execnz .LBB25_288
	s_branch .LBB25_292
.LBB25_260:
	s_and_b64 vcc, exec, s[0:1]
	s_cbranch_vccnz .LBB25_262
; %bb.261:
	v_lshl_add_u64 v[48:49], v[64:65], 2, v[46:47]
	flat_load_dword v48, v[48:49]
	s_waitcnt vmcnt(0) lgkmcnt(0)
	v_mul_f32_e32 v48, s33, v48
	s_branch .LBB25_263
.LBB25_262:
	v_mov_b32_e32 v48, 0
.LBB25_263:
	v_pk_add_f32 v[50:51], v[32:33], v[40:41]
	s_nop 0
	v_min3_f32 v49, v50, v51, v107
	v_pk_add_f32 v[50:51], v[34:35], v[42:43]
	s_nop 0
	v_min_f32_e32 v50, v50, v51
	v_min3_f32 v50, v48, v50, v49
	v_lshl_add_u64 v[48:49], v[64:65], 2, v[44:45]
	global_store_dword v[48:49], v50, off
	s_or_b64 exec, exec, s[26:27]
	s_and_b64 s[30:31], s[4:5], s[18:19]
	s_and_saveexec_b64 s[26:27], s[30:31]
	s_cbranch_execz .LBB25_254
.LBB25_264:
	s_and_b64 vcc, exec, s[0:1]
	s_cbranch_vccnz .LBB25_266
; %bb.265:
	v_lshl_add_u64 v[48:49], v[66:67], 2, v[46:47]
	flat_load_dword v48, v[48:49]
	s_waitcnt vmcnt(0) lgkmcnt(0)
	v_mul_f32_e32 v48, s33, v48
	s_branch .LBB25_267
.LBB25_266:
	v_mov_b32_e32 v48, 0
.LBB25_267:
	v_pk_add_f32 v[50:51], v[28:29], v[40:41]
	s_nop 0
	v_min3_f32 v49, v50, v51, v106
	v_pk_add_f32 v[50:51], v[30:31], v[42:43]
	s_nop 0
	v_min_f32_e32 v50, v50, v51
	v_min3_f32 v50, v48, v50, v49
	v_lshl_add_u64 v[48:49], v[66:67], 2, v[44:45]
	global_store_dword v[48:49], v50, off
	s_or_b64 exec, exec, s[26:27]
	s_and_b64 s[30:31], s[6:7], s[18:19]
	s_and_saveexec_b64 s[26:27], s[30:31]
	s_cbranch_execz .LBB25_255
.LBB25_268:
	s_and_b64 vcc, exec, s[0:1]
	s_cbranch_vccnz .LBB25_270
; %bb.269:
	v_lshl_add_u64 v[48:49], v[68:69], 2, v[46:47]
	flat_load_dword v48, v[48:49]
	s_waitcnt vmcnt(0) lgkmcnt(0)
	v_mul_f32_e32 v48, s33, v48
	s_branch .LBB25_271
.LBB25_270:
	v_mov_b32_e32 v48, 0
.LBB25_271:
	v_pk_add_f32 v[50:51], v[24:25], v[40:41]
	s_nop 0
	v_min3_f32 v49, v50, v51, v105
	v_pk_add_f32 v[50:51], v[26:27], v[42:43]
	s_nop 0
	v_min_f32_e32 v50, v50, v51
	v_min3_f32 v50, v48, v50, v49
	v_lshl_add_u64 v[48:49], v[68:69], 2, v[44:45]
	global_store_dword v[48:49], v50, off
	s_or_b64 exec, exec, s[26:27]
	s_and_b64 s[30:31], s[8:9], s[18:19]
	s_and_saveexec_b64 s[26:27], s[30:31]
	s_cbranch_execz .LBB25_256
.LBB25_272:
	s_and_b64 vcc, exec, s[0:1]
	s_cbranch_vccnz .LBB25_274
; %bb.273:
	v_lshl_add_u64 v[48:49], v[70:71], 2, v[46:47]
	flat_load_dword v48, v[48:49]
	s_waitcnt vmcnt(0) lgkmcnt(0)
	v_mul_f32_e32 v48, s33, v48
	s_branch .LBB25_275
.LBB25_274:
	v_mov_b32_e32 v48, 0
.LBB25_275:
	v_pk_add_f32 v[50:51], v[20:21], v[40:41]
	s_nop 0
	v_min3_f32 v49, v50, v51, v104
	v_pk_add_f32 v[50:51], v[22:23], v[42:43]
	s_nop 0
	v_min_f32_e32 v50, v50, v51
	v_min3_f32 v50, v48, v50, v49
	v_lshl_add_u64 v[48:49], v[70:71], 2, v[44:45]
	global_store_dword v[48:49], v50, off
	s_or_b64 exec, exec, s[26:27]
	s_and_b64 s[30:31], s[10:11], s[18:19]
	s_and_saveexec_b64 s[26:27], s[30:31]
	s_cbranch_execz .LBB25_257
.LBB25_276:
	s_and_b64 vcc, exec, s[0:1]
	s_cbranch_vccnz .LBB25_278
; %bb.277:
	v_lshl_add_u64 v[48:49], v[72:73], 2, v[46:47]
	flat_load_dword v48, v[48:49]
	s_waitcnt vmcnt(0) lgkmcnt(0)
	v_mul_f32_e32 v48, s33, v48
	s_branch .LBB25_279
.LBB25_278:
	v_mov_b32_e32 v48, 0
.LBB25_279:
	v_pk_add_f32 v[50:51], v[16:17], v[40:41]
	s_nop 0
	v_min3_f32 v49, v50, v51, v103
	v_pk_add_f32 v[50:51], v[18:19], v[42:43]
	s_nop 0
	v_min_f32_e32 v50, v50, v51
	v_min3_f32 v50, v48, v50, v49
	v_lshl_add_u64 v[48:49], v[72:73], 2, v[44:45]
	global_store_dword v[48:49], v50, off
	s_or_b64 exec, exec, s[26:27]
	s_and_b64 s[30:31], s[12:13], s[18:19]
	s_and_saveexec_b64 s[26:27], s[30:31]
	s_cbranch_execz .LBB25_258
.LBB25_280:
	s_and_b64 vcc, exec, s[0:1]
	s_cbranch_vccnz .LBB25_282
; %bb.281:
	v_lshl_add_u64 v[48:49], v[74:75], 2, v[46:47]
	flat_load_dword v48, v[48:49]
	s_waitcnt vmcnt(0) lgkmcnt(0)
	v_mul_f32_e32 v48, s33, v48
	s_branch .LBB25_283
.LBB25_282:
	v_mov_b32_e32 v48, 0
.LBB25_283:
	v_pk_add_f32 v[50:51], v[12:13], v[40:41]
	s_nop 0
	v_min3_f32 v49, v50, v51, v102
	v_pk_add_f32 v[50:51], v[14:15], v[42:43]
	s_nop 0
	v_min_f32_e32 v50, v50, v51
	v_min3_f32 v50, v48, v50, v49
	v_lshl_add_u64 v[48:49], v[74:75], 2, v[44:45]
	global_store_dword v[48:49], v50, off
	s_or_b64 exec, exec, s[26:27]
	s_and_b64 s[30:31], s[14:15], s[18:19]
	s_and_saveexec_b64 s[26:27], s[30:31]
	s_cbranch_execz .LBB25_259
.LBB25_284:
	s_and_b64 vcc, exec, s[0:1]
	s_cbranch_vccnz .LBB25_286
; %bb.285:
	v_lshl_add_u64 v[48:49], v[76:77], 2, v[46:47]
	flat_load_dword v48, v[48:49]
	s_waitcnt vmcnt(0) lgkmcnt(0)
	v_mul_f32_e32 v48, s33, v48
	s_branch .LBB25_287
.LBB25_286:
	v_mov_b32_e32 v48, 0
.LBB25_287:
	v_pk_add_f32 v[50:51], v[8:9], v[40:41]
	s_nop 0
	v_min3_f32 v49, v50, v51, v101
	v_pk_add_f32 v[50:51], v[10:11], v[42:43]
	s_nop 0
	v_min_f32_e32 v50, v50, v51
	v_min3_f32 v50, v48, v50, v49
	v_lshl_add_u64 v[48:49], v[76:77], 2, v[44:45]
	global_store_dword v[48:49], v50, off
	s_or_b64 exec, exec, s[26:27]
	s_and_b64 s[26:27], s[16:17], s[18:19]
	s_and_saveexec_b64 s[18:19], s[26:27]
	s_cbranch_execz .LBB25_292
.LBB25_288:
	s_and_b64 vcc, exec, s[0:1]
	s_cbranch_vccnz .LBB25_290
; %bb.289:
	v_lshl_add_u64 v[46:47], v[78:79], 2, v[46:47]
	flat_load_dword v46, v[46:47]
	s_waitcnt vmcnt(0) lgkmcnt(0)
	v_mul_f32_e32 v46, s33, v46
	s_branch .LBB25_291
.LBB25_290:
	v_mov_b32_e32 v46, 0
.LBB25_291:
	v_pk_add_f32 v[40:41], v[0:1], v[40:41]
	s_nop 0
	v_min3_f32 v47, v40, v41, v100
	v_pk_add_f32 v[40:41], v[2:3], v[42:43]
	s_nop 0
	v_min_f32_e32 v40, v40, v41
	v_min3_f32 v42, v46, v40, v47
	v_lshl_add_u64 v[40:41], v[78:79], 2, v[44:45]
	global_store_dword v[40:41], v42, off
.LBB25_292:
	s_or_b64 exec, exec, s[18:19]
	v_add_u32_e32 v44, 0xc0, v124
	v_mad_i64_i32 v[40:41], s[26:27], v44, s29, 0
	v_cmp_gt_i32_e64 s[18:19], s21, v44
	v_lshl_add_u64 v[42:43], v[40:41], 2, s[24:25]
	v_mad_i64_i32 v[40:41], s[26:27], v44, s28, 0
	v_lshl_add_u64 v[40:41], v[40:41], 2, s[22:23]
	s_and_b64 s[30:31], s[2:3], s[18:19]
	s_and_saveexec_b64 s[26:27], s[30:31]
	s_cbranch_execnz .LBB25_300
; %bb.293:
	s_or_b64 exec, exec, s[26:27]
	s_and_b64 s[30:31], s[4:5], s[18:19]
	s_and_saveexec_b64 s[26:27], s[30:31]
	s_cbranch_execnz .LBB25_304
.LBB25_294:
	s_or_b64 exec, exec, s[26:27]
	s_and_b64 s[30:31], s[6:7], s[18:19]
	s_and_saveexec_b64 s[26:27], s[30:31]
	s_cbranch_execnz .LBB25_308
.LBB25_295:
	s_or_b64 exec, exec, s[26:27]
	s_and_b64 s[30:31], s[8:9], s[18:19]
	s_and_saveexec_b64 s[26:27], s[30:31]
	s_cbranch_execnz .LBB25_312
.LBB25_296:
	s_or_b64 exec, exec, s[26:27]
	s_and_b64 s[30:31], s[10:11], s[18:19]
	s_and_saveexec_b64 s[26:27], s[30:31]
	s_cbranch_execnz .LBB25_316
.LBB25_297:
	s_or_b64 exec, exec, s[26:27]
	s_and_b64 s[30:31], s[12:13], s[18:19]
	s_and_saveexec_b64 s[26:27], s[30:31]
	s_cbranch_execnz .LBB25_320
.LBB25_298:
	s_or_b64 exec, exec, s[26:27]
	s_and_b64 s[30:31], s[14:15], s[18:19]
	s_and_saveexec_b64 s[26:27], s[30:31]
	s_cbranch_execnz .LBB25_324
.LBB25_299:
	s_or_b64 exec, exec, s[26:27]
	s_and_b64 s[26:27], s[16:17], s[18:19]
	s_and_saveexec_b64 s[18:19], s[26:27]
	s_cbranch_execnz .LBB25_328
	s_branch .LBB25_332
.LBB25_300:
	s_and_b64 vcc, exec, s[0:1]
	s_cbranch_vccnz .LBB25_302
; %bb.301:
	v_lshl_add_u64 v[44:45], v[64:65], 2, v[42:43]
	flat_load_dword v44, v[44:45]
	s_waitcnt vmcnt(0) lgkmcnt(0)
	v_mul_f32_e32 v44, s33, v44
	s_branch .LBB25_303
.LBB25_302:
	v_mov_b32_e32 v44, 0
.LBB25_303:
	v_pk_add_f32 v[46:47], v[32:33], v[36:37]
	s_nop 0
	v_min3_f32 v45, v46, v47, v99
	v_pk_add_f32 v[46:47], v[34:35], v[38:39]
	s_nop 0
	v_min_f32_e32 v46, v46, v47
	v_min3_f32 v46, v44, v46, v45
	v_lshl_add_u64 v[44:45], v[64:65], 2, v[40:41]
	global_store_dword v[44:45], v46, off
	s_or_b64 exec, exec, s[26:27]
	s_and_b64 s[30:31], s[4:5], s[18:19]
	s_and_saveexec_b64 s[26:27], s[30:31]
	s_cbranch_execz .LBB25_294
.LBB25_304:
	s_and_b64 vcc, exec, s[0:1]
	s_cbranch_vccnz .LBB25_306
; %bb.305:
	v_lshl_add_u64 v[44:45], v[66:67], 2, v[42:43]
	flat_load_dword v44, v[44:45]
	s_waitcnt vmcnt(0) lgkmcnt(0)
	v_mul_f32_e32 v44, s33, v44
	s_branch .LBB25_307
.LBB25_306:
	v_mov_b32_e32 v44, 0
.LBB25_307:
	v_pk_add_f32 v[46:47], v[28:29], v[36:37]
	s_nop 0
	v_min3_f32 v45, v46, v47, v98
	v_pk_add_f32 v[46:47], v[30:31], v[38:39]
	s_nop 0
	v_min_f32_e32 v46, v46, v47
	v_min3_f32 v46, v44, v46, v45
	v_lshl_add_u64 v[44:45], v[66:67], 2, v[40:41]
	global_store_dword v[44:45], v46, off
	s_or_b64 exec, exec, s[26:27]
	s_and_b64 s[30:31], s[6:7], s[18:19]
	s_and_saveexec_b64 s[26:27], s[30:31]
	s_cbranch_execz .LBB25_295
.LBB25_308:
	s_and_b64 vcc, exec, s[0:1]
	s_cbranch_vccnz .LBB25_310
; %bb.309:
	v_lshl_add_u64 v[44:45], v[68:69], 2, v[42:43]
	flat_load_dword v44, v[44:45]
	s_waitcnt vmcnt(0) lgkmcnt(0)
	v_mul_f32_e32 v44, s33, v44
	s_branch .LBB25_311
.LBB25_310:
	v_mov_b32_e32 v44, 0
.LBB25_311:
	v_pk_add_f32 v[46:47], v[24:25], v[36:37]
	s_nop 0
	v_min3_f32 v45, v46, v47, v97
	v_pk_add_f32 v[46:47], v[26:27], v[38:39]
	s_nop 0
	v_min_f32_e32 v46, v46, v47
	v_min3_f32 v46, v44, v46, v45
	v_lshl_add_u64 v[44:45], v[68:69], 2, v[40:41]
	global_store_dword v[44:45], v46, off
	s_or_b64 exec, exec, s[26:27]
	s_and_b64 s[30:31], s[8:9], s[18:19]
	s_and_saveexec_b64 s[26:27], s[30:31]
	s_cbranch_execz .LBB25_296
.LBB25_312:
	s_and_b64 vcc, exec, s[0:1]
	s_cbranch_vccnz .LBB25_314
; %bb.313:
	v_lshl_add_u64 v[44:45], v[70:71], 2, v[42:43]
	flat_load_dword v44, v[44:45]
	s_waitcnt vmcnt(0) lgkmcnt(0)
	v_mul_f32_e32 v44, s33, v44
	s_branch .LBB25_315
.LBB25_314:
	v_mov_b32_e32 v44, 0
.LBB25_315:
	v_pk_add_f32 v[46:47], v[20:21], v[36:37]
	s_nop 0
	v_min3_f32 v45, v46, v47, v96
	v_pk_add_f32 v[46:47], v[22:23], v[38:39]
	s_nop 0
	v_min_f32_e32 v46, v46, v47
	v_min3_f32 v46, v44, v46, v45
	v_lshl_add_u64 v[44:45], v[70:71], 2, v[40:41]
	global_store_dword v[44:45], v46, off
	s_or_b64 exec, exec, s[26:27]
	s_and_b64 s[30:31], s[10:11], s[18:19]
	s_and_saveexec_b64 s[26:27], s[30:31]
	s_cbranch_execz .LBB25_297
.LBB25_316:
	s_and_b64 vcc, exec, s[0:1]
	s_cbranch_vccnz .LBB25_318
; %bb.317:
	v_lshl_add_u64 v[44:45], v[72:73], 2, v[42:43]
	flat_load_dword v44, v[44:45]
	s_waitcnt vmcnt(0) lgkmcnt(0)
	v_mul_f32_e32 v44, s33, v44
	s_branch .LBB25_319
.LBB25_318:
	v_mov_b32_e32 v44, 0
.LBB25_319:
	v_pk_add_f32 v[46:47], v[16:17], v[36:37]
	s_nop 0
	v_min3_f32 v45, v46, v47, v95
	v_pk_add_f32 v[46:47], v[18:19], v[38:39]
	s_nop 0
	v_min_f32_e32 v46, v46, v47
	v_min3_f32 v46, v44, v46, v45
	v_lshl_add_u64 v[44:45], v[72:73], 2, v[40:41]
	global_store_dword v[44:45], v46, off
	s_or_b64 exec, exec, s[26:27]
	s_and_b64 s[30:31], s[12:13], s[18:19]
	s_and_saveexec_b64 s[26:27], s[30:31]
	s_cbranch_execz .LBB25_298
.LBB25_320:
	s_and_b64 vcc, exec, s[0:1]
	s_cbranch_vccnz .LBB25_322
; %bb.321:
	v_lshl_add_u64 v[44:45], v[74:75], 2, v[42:43]
	flat_load_dword v44, v[44:45]
	s_waitcnt vmcnt(0) lgkmcnt(0)
	v_mul_f32_e32 v44, s33, v44
	s_branch .LBB25_323
.LBB25_322:
	v_mov_b32_e32 v44, 0
.LBB25_323:
	v_pk_add_f32 v[46:47], v[12:13], v[36:37]
	s_nop 0
	v_min3_f32 v45, v46, v47, v94
	v_pk_add_f32 v[46:47], v[14:15], v[38:39]
	s_nop 0
	v_min_f32_e32 v46, v46, v47
	v_min3_f32 v46, v44, v46, v45
	v_lshl_add_u64 v[44:45], v[74:75], 2, v[40:41]
	global_store_dword v[44:45], v46, off
	s_or_b64 exec, exec, s[26:27]
	s_and_b64 s[30:31], s[14:15], s[18:19]
	s_and_saveexec_b64 s[26:27], s[30:31]
	s_cbranch_execz .LBB25_299
.LBB25_324:
	s_and_b64 vcc, exec, s[0:1]
	s_cbranch_vccnz .LBB25_326
; %bb.325:
	v_lshl_add_u64 v[44:45], v[76:77], 2, v[42:43]
	flat_load_dword v44, v[44:45]
	s_waitcnt vmcnt(0) lgkmcnt(0)
	v_mul_f32_e32 v44, s33, v44
	s_branch .LBB25_327
.LBB25_326:
	v_mov_b32_e32 v44, 0
.LBB25_327:
	v_pk_add_f32 v[46:47], v[8:9], v[36:37]
	s_nop 0
	v_min3_f32 v45, v46, v47, v93
	v_pk_add_f32 v[46:47], v[10:11], v[38:39]
	s_nop 0
	v_min_f32_e32 v46, v46, v47
	v_min3_f32 v46, v44, v46, v45
	v_lshl_add_u64 v[44:45], v[76:77], 2, v[40:41]
	global_store_dword v[44:45], v46, off
	s_or_b64 exec, exec, s[26:27]
	s_and_b64 s[26:27], s[16:17], s[18:19]
	s_and_saveexec_b64 s[18:19], s[26:27]
	s_cbranch_execz .LBB25_332
.LBB25_328:
	s_and_b64 vcc, exec, s[0:1]
	s_cbranch_vccnz .LBB25_330
; %bb.329:
	v_lshl_add_u64 v[42:43], v[78:79], 2, v[42:43]
	flat_load_dword v42, v[42:43]
	s_waitcnt vmcnt(0) lgkmcnt(0)
	v_mul_f32_e32 v42, s33, v42
	s_branch .LBB25_331
.LBB25_330:
	v_mov_b32_e32 v42, 0
.LBB25_331:
	v_pk_add_f32 v[36:37], v[0:1], v[36:37]
	s_nop 0
	v_min3_f32 v43, v36, v37, v92
	v_pk_add_f32 v[36:37], v[2:3], v[38:39]
	s_nop 0
	v_min_f32_e32 v36, v36, v37
	v_min3_f32 v38, v42, v36, v43
	v_lshl_add_u64 v[36:37], v[78:79], 2, v[40:41]
	global_store_dword v[36:37], v38, off
.LBB25_332:
	s_or_b64 exec, exec, s[18:19]
	v_add_u32_e32 v40, 0xe0, v124
	v_cmp_gt_i32_e64 s[18:19], s21, v40
	v_mad_i64_i32 v[36:37], s[20:21], v40, s29, 0
	v_lshl_add_u64 v[38:39], v[36:37], 2, s[24:25]
	v_mad_i64_i32 v[36:37], s[20:21], v40, s28, 0
	v_lshl_add_u64 v[36:37], v[36:37], 2, s[22:23]
	s_and_b64 s[20:21], s[2:3], s[18:19]
	s_and_saveexec_b64 s[2:3], s[20:21]
	s_cbranch_execnz .LBB25_341
; %bb.333:
	s_or_b64 exec, exec, s[2:3]
	s_and_b64 s[4:5], s[4:5], s[18:19]
	s_and_saveexec_b64 s[2:3], s[4:5]
	s_cbranch_execnz .LBB25_345
.LBB25_334:
	s_or_b64 exec, exec, s[2:3]
	s_and_b64 s[4:5], s[6:7], s[18:19]
	s_and_saveexec_b64 s[2:3], s[4:5]
	s_cbranch_execnz .LBB25_349
.LBB25_335:
	s_or_b64 exec, exec, s[2:3]
	s_and_b64 s[4:5], s[8:9], s[18:19]
	s_and_saveexec_b64 s[2:3], s[4:5]
	s_cbranch_execnz .LBB25_353
.LBB25_336:
	s_or_b64 exec, exec, s[2:3]
	s_and_b64 s[4:5], s[10:11], s[18:19]
	s_and_saveexec_b64 s[2:3], s[4:5]
	s_cbranch_execnz .LBB25_357
.LBB25_337:
	s_or_b64 exec, exec, s[2:3]
	s_and_b64 s[4:5], s[12:13], s[18:19]
	s_and_saveexec_b64 s[2:3], s[4:5]
	s_cbranch_execnz .LBB25_361
.LBB25_338:
	s_or_b64 exec, exec, s[2:3]
	s_and_b64 s[4:5], s[14:15], s[18:19]
	s_and_saveexec_b64 s[2:3], s[4:5]
	s_cbranch_execnz .LBB25_365
.LBB25_339:
	s_or_b64 exec, exec, s[2:3]
	s_and_b64 s[2:3], s[16:17], s[18:19]
	s_and_saveexec_b64 s[4:5], s[2:3]
	s_cbranch_execnz .LBB25_369
.LBB25_340:
	s_endpgm
.LBB25_341:
	s_and_b64 vcc, exec, s[0:1]
	s_cbranch_vccnz .LBB25_343
; %bb.342:
	v_lshl_add_u64 v[40:41], v[64:65], 2, v[38:39]
	flat_load_dword v40, v[40:41]
	s_waitcnt vmcnt(0) lgkmcnt(0)
	v_mul_f32_e32 v40, s33, v40
	s_branch .LBB25_344
.LBB25_343:
	v_mov_b32_e32 v40, 0
.LBB25_344:
	v_pk_add_f32 v[32:33], v[32:33], v[4:5]
	s_nop 0
	v_min3_f32 v41, v32, v33, v91
	v_pk_add_f32 v[32:33], v[34:35], v[6:7]
	s_nop 0
	v_min_f32_e32 v32, v32, v33
	v_min3_f32 v34, v40, v32, v41
	v_lshl_add_u64 v[32:33], v[64:65], 2, v[36:37]
	global_store_dword v[32:33], v34, off
	s_or_b64 exec, exec, s[2:3]
	s_and_b64 s[4:5], s[4:5], s[18:19]
	s_and_saveexec_b64 s[2:3], s[4:5]
	s_cbranch_execz .LBB25_334
.LBB25_345:
	s_and_b64 vcc, exec, s[0:1]
	s_cbranch_vccnz .LBB25_347
; %bb.346:
	v_lshl_add_u64 v[32:33], v[66:67], 2, v[38:39]
	flat_load_dword v32, v[32:33]
	s_waitcnt vmcnt(0) lgkmcnt(0)
	v_mul_f32_e32 v32, s33, v32
	s_branch .LBB25_348
.LBB25_347:
	v_mov_b32_e32 v32, 0
.LBB25_348:
	v_pk_add_f32 v[28:29], v[28:29], v[4:5]
	s_nop 0
	v_min3_f32 v33, v28, v29, v90
	v_pk_add_f32 v[28:29], v[30:31], v[6:7]
	s_nop 0
	v_min_f32_e32 v28, v28, v29
	v_min3_f32 v30, v32, v28, v33
	v_lshl_add_u64 v[28:29], v[66:67], 2, v[36:37]
	global_store_dword v[28:29], v30, off
	s_or_b64 exec, exec, s[2:3]
	s_and_b64 s[4:5], s[6:7], s[18:19]
	s_and_saveexec_b64 s[2:3], s[4:5]
	s_cbranch_execz .LBB25_335
.LBB25_349:
	s_and_b64 vcc, exec, s[0:1]
	s_cbranch_vccnz .LBB25_351
; %bb.350:
	v_lshl_add_u64 v[28:29], v[68:69], 2, v[38:39]
	flat_load_dword v28, v[28:29]
	s_waitcnt vmcnt(0) lgkmcnt(0)
	v_mul_f32_e32 v28, s33, v28
	s_branch .LBB25_352
.LBB25_351:
	v_mov_b32_e32 v28, 0
.LBB25_352:
	v_pk_add_f32 v[24:25], v[24:25], v[4:5]
	s_nop 0
	v_min3_f32 v29, v24, v25, v89
	v_pk_add_f32 v[24:25], v[26:27], v[6:7]
	s_nop 0
	v_min_f32_e32 v24, v24, v25
	v_min3_f32 v26, v28, v24, v29
	v_lshl_add_u64 v[24:25], v[68:69], 2, v[36:37]
	global_store_dword v[24:25], v26, off
	s_or_b64 exec, exec, s[2:3]
	s_and_b64 s[4:5], s[8:9], s[18:19]
	s_and_saveexec_b64 s[2:3], s[4:5]
	s_cbranch_execz .LBB25_336
.LBB25_353:
	s_and_b64 vcc, exec, s[0:1]
	s_cbranch_vccnz .LBB25_355
; %bb.354:
	v_lshl_add_u64 v[24:25], v[70:71], 2, v[38:39]
	flat_load_dword v24, v[24:25]
	s_waitcnt vmcnt(0) lgkmcnt(0)
	v_mul_f32_e32 v24, s33, v24
	s_branch .LBB25_356
.LBB25_355:
	v_mov_b32_e32 v24, 0
.LBB25_356:
	v_pk_add_f32 v[20:21], v[20:21], v[4:5]
	s_nop 0
	v_min3_f32 v25, v20, v21, v87
	v_pk_add_f32 v[20:21], v[22:23], v[6:7]
	s_nop 0
	v_min_f32_e32 v20, v20, v21
	v_min3_f32 v22, v24, v20, v25
	v_lshl_add_u64 v[20:21], v[70:71], 2, v[36:37]
	global_store_dword v[20:21], v22, off
	s_or_b64 exec, exec, s[2:3]
	s_and_b64 s[4:5], s[10:11], s[18:19]
	s_and_saveexec_b64 s[2:3], s[4:5]
	s_cbranch_execz .LBB25_337
.LBB25_357:
	s_and_b64 vcc, exec, s[0:1]
	s_cbranch_vccnz .LBB25_359
; %bb.358:
	v_lshl_add_u64 v[20:21], v[72:73], 2, v[38:39]
	flat_load_dword v20, v[20:21]
	s_waitcnt vmcnt(0) lgkmcnt(0)
	v_mul_f32_e32 v20, s33, v20
	s_branch .LBB25_360
.LBB25_359:
	v_mov_b32_e32 v20, 0
.LBB25_360:
	v_pk_add_f32 v[16:17], v[16:17], v[4:5]
	s_nop 0
	v_min3_f32 v21, v16, v17, v86
	v_pk_add_f32 v[16:17], v[18:19], v[6:7]
	s_nop 0
	v_min_f32_e32 v16, v16, v17
	v_min3_f32 v18, v20, v16, v21
	v_lshl_add_u64 v[16:17], v[72:73], 2, v[36:37]
	global_store_dword v[16:17], v18, off
	s_or_b64 exec, exec, s[2:3]
	s_and_b64 s[4:5], s[12:13], s[18:19]
	s_and_saveexec_b64 s[2:3], s[4:5]
	s_cbranch_execz .LBB25_338
.LBB25_361:
	s_and_b64 vcc, exec, s[0:1]
	s_cbranch_vccnz .LBB25_363
; %bb.362:
	v_lshl_add_u64 v[16:17], v[74:75], 2, v[38:39]
	flat_load_dword v16, v[16:17]
	s_waitcnt vmcnt(0) lgkmcnt(0)
	v_mul_f32_e32 v16, s33, v16
	s_branch .LBB25_364
.LBB25_363:
	v_mov_b32_e32 v16, 0
.LBB25_364:
	v_pk_add_f32 v[12:13], v[12:13], v[4:5]
	s_nop 0
	v_min3_f32 v17, v12, v13, v85
	v_pk_add_f32 v[12:13], v[14:15], v[6:7]
	s_nop 0
	v_min_f32_e32 v12, v12, v13
	v_min3_f32 v14, v16, v12, v17
	v_lshl_add_u64 v[12:13], v[74:75], 2, v[36:37]
	global_store_dword v[12:13], v14, off
	s_or_b64 exec, exec, s[2:3]
	s_and_b64 s[4:5], s[14:15], s[18:19]
	s_and_saveexec_b64 s[2:3], s[4:5]
	s_cbranch_execz .LBB25_339
.LBB25_365:
	s_and_b64 vcc, exec, s[0:1]
	s_cbranch_vccnz .LBB25_367
; %bb.366:
	v_lshl_add_u64 v[12:13], v[76:77], 2, v[38:39]
	flat_load_dword v12, v[12:13]
	s_waitcnt vmcnt(0) lgkmcnt(0)
	v_mul_f32_e32 v12, s33, v12
	s_branch .LBB25_368
.LBB25_367:
	v_mov_b32_e32 v12, 0
.LBB25_368:
	v_pk_add_f32 v[8:9], v[8:9], v[4:5]
	s_nop 0
	v_min3_f32 v13, v8, v9, v84
	v_pk_add_f32 v[8:9], v[10:11], v[6:7]
	s_nop 0
	v_min_f32_e32 v8, v8, v9
	v_min3_f32 v10, v12, v8, v13
	v_lshl_add_u64 v[8:9], v[76:77], 2, v[36:37]
	global_store_dword v[8:9], v10, off
	s_or_b64 exec, exec, s[2:3]
	s_and_b64 s[2:3], s[16:17], s[18:19]
	s_and_saveexec_b64 s[4:5], s[2:3]
	s_cbranch_execz .LBB25_340
.LBB25_369:
	s_and_b64 vcc, exec, s[0:1]
	s_cbranch_vccnz .LBB25_371
; %bb.370:
	v_lshl_add_u64 v[8:9], v[78:79], 2, v[38:39]
	flat_load_dword v8, v[8:9]
	s_waitcnt vmcnt(0) lgkmcnt(0)
	v_mul_f32_e32 v8, s33, v8
	s_branch .LBB25_372
.LBB25_371:
	v_mov_b32_e32 v8, 0
.LBB25_372:
	v_pk_add_f32 v[0:1], v[0:1], v[4:5]
	s_nop 0
	v_min3_f32 v4, v0, v1, v88
	v_pk_add_f32 v[0:1], v[2:3], v[6:7]
	s_nop 0
	v_min_f32_e32 v0, v0, v1
	v_min3_f32 v2, v8, v0, v4
	v_lshl_add_u64 v[0:1], v[78:79], 2, v[36:37]
	global_store_dword v[0:1], v2, off
	s_endpgm
	.section	.rodata,"a",@progbits
	.p2align	6, 0x0
	.amdhsa_kernel _ZN12_GLOBAL__N_120geam_min_plus_kernelIf15HIP_vector_typeIfLj2EEfLi8ELi32ELi64ELi256ELi4ELi4ELi64ELi64ELi4ELc84ELc84ELb1ELb1ELb1EfKPKfKPfEEviiiT16_PT17_ilSA_ilS8_SA_ilPT18_ili26rocblas_geam_ex_operation_
		.amdhsa_group_segment_fixed_size 10240
		.amdhsa_private_segment_fixed_size 0
		.amdhsa_kernarg_size 128
		.amdhsa_user_sgpr_count 2
		.amdhsa_user_sgpr_dispatch_ptr 0
		.amdhsa_user_sgpr_queue_ptr 0
		.amdhsa_user_sgpr_kernarg_segment_ptr 1
		.amdhsa_user_sgpr_dispatch_id 0
		.amdhsa_user_sgpr_kernarg_preload_length 0
		.amdhsa_user_sgpr_kernarg_preload_offset 0
		.amdhsa_user_sgpr_private_segment_size 0
		.amdhsa_uses_dynamic_stack 0
		.amdhsa_enable_private_segment 0
		.amdhsa_system_sgpr_workgroup_id_x 1
		.amdhsa_system_sgpr_workgroup_id_y 0
		.amdhsa_system_sgpr_workgroup_id_z 1
		.amdhsa_system_sgpr_workgroup_info 0
		.amdhsa_system_vgpr_workitem_id 1
		.amdhsa_next_free_vgpr 176
		.amdhsa_next_free_sgpr 40
		.amdhsa_accum_offset 176
		.amdhsa_reserve_vcc 1
		.amdhsa_float_round_mode_32 0
		.amdhsa_float_round_mode_16_64 0
		.amdhsa_float_denorm_mode_32 3
		.amdhsa_float_denorm_mode_16_64 3
		.amdhsa_dx10_clamp 1
		.amdhsa_ieee_mode 1
		.amdhsa_fp16_overflow 0
		.amdhsa_tg_split 0
		.amdhsa_exception_fp_ieee_invalid_op 0
		.amdhsa_exception_fp_denorm_src 0
		.amdhsa_exception_fp_ieee_div_zero 0
		.amdhsa_exception_fp_ieee_overflow 0
		.amdhsa_exception_fp_ieee_underflow 0
		.amdhsa_exception_fp_ieee_inexact 0
		.amdhsa_exception_int_div_zero 0
	.end_amdhsa_kernel
	.section	.text._ZN12_GLOBAL__N_120geam_min_plus_kernelIf15HIP_vector_typeIfLj2EEfLi8ELi32ELi64ELi256ELi4ELi4ELi64ELi64ELi4ELc84ELc84ELb1ELb1ELb1EfKPKfKPfEEviiiT16_PT17_ilSA_ilS8_SA_ilPT18_ili26rocblas_geam_ex_operation_,"axG",@progbits,_ZN12_GLOBAL__N_120geam_min_plus_kernelIf15HIP_vector_typeIfLj2EEfLi8ELi32ELi64ELi256ELi4ELi4ELi64ELi64ELi4ELc84ELc84ELb1ELb1ELb1EfKPKfKPfEEviiiT16_PT17_ilSA_ilS8_SA_ilPT18_ili26rocblas_geam_ex_operation_,comdat
.Lfunc_end25:
	.size	_ZN12_GLOBAL__N_120geam_min_plus_kernelIf15HIP_vector_typeIfLj2EEfLi8ELi32ELi64ELi256ELi4ELi4ELi64ELi64ELi4ELc84ELc84ELb1ELb1ELb1EfKPKfKPfEEviiiT16_PT17_ilSA_ilS8_SA_ilPT18_ili26rocblas_geam_ex_operation_, .Lfunc_end25-_ZN12_GLOBAL__N_120geam_min_plus_kernelIf15HIP_vector_typeIfLj2EEfLi8ELi32ELi64ELi256ELi4ELi4ELi64ELi64ELi4ELc84ELc84ELb1ELb1ELb1EfKPKfKPfEEviiiT16_PT17_ilSA_ilS8_SA_ilPT18_ili26rocblas_geam_ex_operation_
                                        ; -- End function
	.section	.AMDGPU.csdata,"",@progbits
; Kernel info:
; codeLenInByte = 18480
; NumSgprs: 46
; NumVgprs: 176
; NumAgprs: 0
; TotalNumVgprs: 176
; ScratchSize: 0
; MemoryBound: 0
; FloatMode: 240
; IeeeMode: 1
; LDSByteSize: 10240 bytes/workgroup (compile time only)
; SGPRBlocks: 5
; VGPRBlocks: 21
; NumSGPRsForWavesPerEU: 46
; NumVGPRsForWavesPerEU: 176
; AccumOffset: 176
; Occupancy: 2
; WaveLimiterHint : 1
; COMPUTE_PGM_RSRC2:SCRATCH_EN: 0
; COMPUTE_PGM_RSRC2:USER_SGPR: 2
; COMPUTE_PGM_RSRC2:TRAP_HANDLER: 0
; COMPUTE_PGM_RSRC2:TGID_X_EN: 1
; COMPUTE_PGM_RSRC2:TGID_Y_EN: 0
; COMPUTE_PGM_RSRC2:TGID_Z_EN: 1
; COMPUTE_PGM_RSRC2:TIDIG_COMP_CNT: 1
; COMPUTE_PGM_RSRC3_GFX90A:ACCUM_OFFSET: 43
; COMPUTE_PGM_RSRC3_GFX90A:TG_SPLIT: 0
	.section	.text._ZN12_GLOBAL__N_120geam_min_plus_kernelIf15HIP_vector_typeIfLj2EEfLi8ELi32ELi64ELi256ELi4ELi4ELi64ELi64ELi4ELc84ELc84ELb0ELb1ELb1EfKPKfKPfEEviiiT16_PT17_ilSA_ilS8_SA_ilPT18_ili26rocblas_geam_ex_operation_,"axG",@progbits,_ZN12_GLOBAL__N_120geam_min_plus_kernelIf15HIP_vector_typeIfLj2EEfLi8ELi32ELi64ELi256ELi4ELi4ELi64ELi64ELi4ELc84ELc84ELb0ELb1ELb1EfKPKfKPfEEviiiT16_PT17_ilSA_ilS8_SA_ilPT18_ili26rocblas_geam_ex_operation_,comdat
	.globl	_ZN12_GLOBAL__N_120geam_min_plus_kernelIf15HIP_vector_typeIfLj2EEfLi8ELi32ELi64ELi256ELi4ELi4ELi64ELi64ELi4ELc84ELc84ELb0ELb1ELb1EfKPKfKPfEEviiiT16_PT17_ilSA_ilS8_SA_ilPT18_ili26rocblas_geam_ex_operation_ ; -- Begin function _ZN12_GLOBAL__N_120geam_min_plus_kernelIf15HIP_vector_typeIfLj2EEfLi8ELi32ELi64ELi256ELi4ELi4ELi64ELi64ELi4ELc84ELc84ELb0ELb1ELb1EfKPKfKPfEEviiiT16_PT17_ilSA_ilS8_SA_ilPT18_ili26rocblas_geam_ex_operation_
	.p2align	8
	.type	_ZN12_GLOBAL__N_120geam_min_plus_kernelIf15HIP_vector_typeIfLj2EEfLi8ELi32ELi64ELi256ELi4ELi4ELi64ELi64ELi4ELc84ELc84ELb0ELb1ELb1EfKPKfKPfEEviiiT16_PT17_ilSA_ilS8_SA_ilPT18_ili26rocblas_geam_ex_operation_,@function
_ZN12_GLOBAL__N_120geam_min_plus_kernelIf15HIP_vector_typeIfLj2EEfLi8ELi32ELi64ELi256ELi4ELi4ELi64ELi64ELi4ELc84ELc84ELb0ELb1ELb1EfKPKfKPfEEviiiT16_PT17_ilSA_ilS8_SA_ilPT18_ili26rocblas_geam_ex_operation_: ; @_ZN12_GLOBAL__N_120geam_min_plus_kernelIf15HIP_vector_typeIfLj2EEfLi8ELi32ELi64ELi256ELi4ELi4ELi64ELi64ELi4ELc84ELc84ELb0ELb1ELb1EfKPKfKPfEEviiiT16_PT17_ilSA_ilS8_SA_ilPT18_ili26rocblas_geam_ex_operation_
; %bb.0:
	s_load_dwordx4 s[20:23], s[0:1], 0x0
	s_load_dwordx4 s[4:7], s[0:1], 0x20
	s_mov_b32 s8, s3
	s_mov_b32 s9, 0
	s_mov_b64 s[28:29], 0
	s_waitcnt lgkmcnt(0)
	v_cmp_eq_f32_e64 s[18:19], s23, 0
	v_cmp_neq_f32_e64 s[10:11], s23, 0
	s_and_b64 vcc, exec, s[18:19]
	s_cbranch_vccnz .LBB26_2
; %bb.1:
	s_load_dwordx2 s[12:13], s[0:1], 0x10
	s_lshl_b64 s[14:15], s[8:9], 3
	s_waitcnt lgkmcnt(0)
	s_add_u32 s12, s12, s14
	s_addc_u32 s13, s13, s15
	s_load_dwordx2 s[12:13], s[12:13], 0x0
	s_lshl_b64 s[4:5], s[4:5], 2
	s_waitcnt lgkmcnt(0)
	s_add_u32 s28, s12, s4
	s_addc_u32 s29, s13, s5
.LBB26_2:
	s_and_b64 vcc, exec, s[10:11]
	s_cbranch_vccz .LBB26_4
; %bb.3:
	s_lshl_b64 s[10:11], s[8:9], 3
	s_add_u32 s6, s6, s10
	s_load_dwordx2 s[4:5], s[0:1], 0x38
	s_addc_u32 s7, s7, s11
	s_load_dwordx2 s[6:7], s[6:7], 0x0
	s_waitcnt lgkmcnt(0)
	s_lshl_b64 s[4:5], s[4:5], 2
	s_add_u32 s26, s6, s4
	s_addc_u32 s27, s7, s5
	s_cbranch_execz .LBB26_5
	s_branch .LBB26_6
.LBB26_4:
                                        ; implicit-def: $sgpr26_sgpr27
.LBB26_5:
	s_mov_b64 s[26:27], 0
.LBB26_6:
	s_load_dword s30, s[0:1], 0x40
	s_load_dwordx4 s[4:7], s[0:1], 0x58
	s_waitcnt lgkmcnt(0)
	v_cmp_eq_f32_e64 s[10:11], s30, 0
	v_cmp_neq_f32_e64 s[14:15], s30, 0
	s_and_b64 vcc, exec, s[10:11]
	s_cbranch_vccnz .LBB26_8
; %bb.7:
	s_load_dwordx2 s[10:11], s[0:1], 0x48
	s_lshl_b64 s[12:13], s[8:9], 3
	s_waitcnt lgkmcnt(0)
	s_add_u32 s10, s10, s12
	s_addc_u32 s11, s11, s13
	s_load_dwordx2 s[10:11], s[10:11], 0x0
	s_lshl_b64 s[4:5], s[4:5], 2
	s_waitcnt lgkmcnt(0)
	s_add_u32 s24, s10, s4
	s_addc_u32 s25, s11, s5
	s_branch .LBB26_9
.LBB26_8:
	s_mov_b64 s[24:25], 0
.LBB26_9:
	s_lshl_b64 s[4:5], s[8:9], 3
	s_add_u32 s4, s6, s4
	s_addc_u32 s5, s7, s5
	s_add_i32 s6, s20, -1
	s_ashr_i32 s3, s6, 31
	s_lshr_b32 s3, s3, 26
	s_add_i32 s3, s6, s3
	s_ashr_i32 s3, s3, 6
	s_add_i32 s7, s3, 1
	v_cvt_f32_u32_e32 v1, s7
	v_and_b32_e32 v70, 0x3ff, v0
	v_bfe_u32 v71, v0, 10, 10
	s_load_dwordx2 s[16:17], s[4:5], 0x0
	v_rcp_iflag_f32_e32 v1, v1
	s_not_b32 s3, s3
	s_load_dword s36, s[0:1], 0x18
	v_and_b32_e32 v72, 3, v70
	v_mul_f32_e32 v0, 0x4f7ffffe, v1
	v_cvt_u32_f32_e32 v1, v0
	v_lshl_add_u32 v0, v71, 3, v70
	v_lshrrev_b32_e32 v2, 2, v0
	v_mov_b32_e32 v5, 0x7f7fffff
	v_readfirstlane_b32 s4, v1
	s_mul_i32 s3, s3, s4
	s_mul_hi_u32 s3, s4, s3
	s_add_i32 s4, s4, s3
	s_mul_hi_u32 s3, s2, s4
	s_mul_i32 s4, s3, s7
	s_sub_i32 s4, s2, s4
	s_add_i32 s5, s3, 1
	s_sub_i32 s8, s4, s7
	s_cmp_ge_u32 s4, s7
	s_cselect_b32 s3, s5, s3
	s_cselect_b32 s4, s8, s4
	s_add_i32 s5, s3, 1
	s_cmp_ge_u32 s4, s7
	s_cselect_b32 s4, s5, s3
	s_mul_i32 s3, s4, s7
	s_sub_i32 s2, s2, s3
	s_lshl_b32 s31, s2, 6
	v_add_u32_e32 v1, s31, v2
	v_cmp_le_i32_e64 s[2:3], s22, v72
	v_cmp_le_i32_e32 vcc, s20, v1
	s_or_b64 s[2:3], s[2:3], vcc
	v_cndmask_b32_e64 v3, 0, v5, s[2:3]
	s_or_b64 s[2:3], s[18:19], s[2:3]
	v_min_i32_e32 v58, s6, v1
	s_xor_b64 s[6:7], s[2:3], -1
	v_lshlrev_b32_e32 v56, 2, v72
	s_and_saveexec_b64 s[2:3], s[6:7]
	s_cbranch_execz .LBB26_11
; %bb.10:
	s_waitcnt lgkmcnt(0)
	v_mad_i64_i32 v[6:7], s[6:7], v58, s36, 0
	v_lshl_add_u64 v[6:7], v[6:7], 2, s[28:29]
	v_mov_b32_e32 v57, 0
	v_lshl_add_u64 v[6:7], v[6:7], 0, v[56:57]
	flat_load_dword v1, v[6:7]
	s_waitcnt vmcnt(0) lgkmcnt(0)
	v_mul_f32_e32 v3, s23, v1
.LBB26_11:
	s_or_b64 exec, exec, s[2:3]
	s_load_dword s34, s[0:1], 0x30
	v_lshrrev_b32_e32 v73, 6, v0
	s_add_i32 s35, s22, -1
	v_and_b32_e32 v4, 63, v0
	s_lshl_b32 s33, s4, 8
	v_min_i32_e32 v0, s35, v73
	v_or_b32_e32 v64, s33, v4
	s_waitcnt lgkmcnt(0)
	v_mad_i64_i32 v[0:1], s[2:3], s34, v0, 0
	v_cmp_le_i32_e64 s[10:11], s22, v73
	v_cmp_le_i32_e64 s[2:3], s21, v64
	s_or_b64 s[4:5], s[2:3], s[10:11]
	v_cndmask_b32_e64 v5, 0, v5, s[4:5]
	s_or_b64 s[4:5], s[18:19], s[4:5]
	v_lshl_add_u64 v[0:1], v[0:1], 2, s[26:27]
	s_xor_b64 s[6:7], s[4:5], -1
	v_ashrrev_i32_e32 v65, 31, v64
	s_and_saveexec_b64 s[4:5], s[6:7]
	s_cbranch_execz .LBB26_13
; %bb.12:
	v_lshl_add_u64 v[6:7], v[64:65], 2, v[0:1]
	flat_load_dword v5, v[6:7]
	s_waitcnt vmcnt(0) lgkmcnt(0)
	v_mul_f32_e32 v5, s23, v5
.LBB26_13:
	s_or_b64 exec, exec, s[4:5]
	v_or_b32_e32 v6, 64, v64
	v_cmp_le_i32_e64 s[4:5], s21, v6
	v_mov_b32_e32 v7, 0x7f7fffff
	s_or_b64 s[6:7], s[4:5], s[10:11]
	v_cndmask_b32_e64 v6, 0, v7, s[6:7]
	s_or_b64 s[6:7], s[18:19], s[6:7]
	s_xor_b64 s[8:9], s[6:7], -1
	s_and_saveexec_b64 s[6:7], s[8:9]
	s_cbranch_execz .LBB26_15
; %bb.14:
	v_lshl_add_u64 v[8:9], v[64:65], 2, v[0:1]
	flat_load_dword v6, v[8:9] offset:256
	s_waitcnt vmcnt(0) lgkmcnt(0)
	v_mul_f32_e32 v6, s23, v6
.LBB26_15:
	s_or_b64 exec, exec, s[6:7]
	v_or_b32_e32 v8, 0x80, v64
	v_cmp_le_i32_e64 s[6:7], s21, v8
	s_or_b64 s[8:9], s[6:7], s[10:11]
	v_cndmask_b32_e64 v7, 0, v7, s[8:9]
	s_or_b64 s[8:9], s[18:19], s[8:9]
	s_xor_b64 s[12:13], s[8:9], -1
	s_and_saveexec_b64 s[8:9], s[12:13]
	s_cbranch_execz .LBB26_17
; %bb.16:
	v_lshl_add_u64 v[8:9], v[64:65], 2, v[0:1]
	flat_load_dword v7, v[8:9] offset:512
	s_waitcnt vmcnt(0) lgkmcnt(0)
	v_mul_f32_e32 v7, s23, v7
.LBB26_17:
	s_or_b64 exec, exec, s[8:9]
	v_or_b32_e32 v8, 0xc0, v64
	v_cmp_le_i32_e64 s[8:9], s21, v8
	v_mov_b32_e32 v9, 0x7f7fffff
	s_or_b64 s[10:11], s[8:9], s[10:11]
	v_cndmask_b32_e64 v8, 0, v9, s[10:11]
	s_or_b64 s[10:11], s[18:19], s[10:11]
	s_xor_b64 s[12:13], s[10:11], -1
	s_and_saveexec_b64 s[10:11], s[12:13]
	s_cbranch_execz .LBB26_19
; %bb.18:
	v_lshl_add_u64 v[0:1], v[64:65], 2, v[0:1]
	flat_load_dword v0, v[0:1] offset:768
	s_waitcnt vmcnt(0) lgkmcnt(0)
	v_mul_f32_e32 v8, s23, v0
.LBB26_19:
	s_or_b64 exec, exec, s[10:11]
	v_or_b32_e32 v0, 4, v72
	v_cmp_le_i32_e64 s[10:11], s22, v0
	s_or_b64 s[10:11], s[10:11], vcc
	s_nop 0
	v_cndmask_b32_e64 v57, 0, v9, s[10:11]
	s_or_b64 s[10:11], s[18:19], s[10:11]
	s_xor_b64 s[12:13], s[10:11], -1
	s_and_saveexec_b64 s[10:11], s[12:13]
	s_cbranch_execz .LBB26_21
; %bb.20:
	v_mad_i64_i32 v[0:1], s[12:13], v58, s36, 0
	v_lshl_add_u64 v[0:1], v[0:1], 2, s[28:29]
	v_mov_b32_e32 v57, 0
	v_lshl_add_u64 v[0:1], v[0:1], 0, v[56:57]
	flat_load_dword v0, v[0:1] offset:16
	s_waitcnt vmcnt(0) lgkmcnt(0)
	v_mul_f32_e32 v57, s23, v0
.LBB26_21:
	s_or_b64 exec, exec, s[10:11]
	v_add_u32_e32 v0, 4, v73
	v_cmp_le_i32_e64 s[10:11], s22, v0
	v_min_i32_e32 v0, s35, v0
	v_mad_i64_i32 v[0:1], s[12:13], s34, v0, 0
	v_mov_b32_e32 v9, 0x7f7fffff
	s_or_b64 s[12:13], s[2:3], s[10:11]
	v_cndmask_b32_e64 v59, 0, v9, s[12:13]
	s_or_b64 s[12:13], s[18:19], s[12:13]
	v_lshl_add_u64 v[0:1], v[0:1], 2, s[26:27]
	s_xor_b64 s[38:39], s[12:13], -1
	s_and_saveexec_b64 s[12:13], s[38:39]
	s_cbranch_execz .LBB26_23
; %bb.22:
	v_lshl_add_u64 v[10:11], v[64:65], 2, v[0:1]
	flat_load_dword v10, v[10:11]
	s_waitcnt vmcnt(0) lgkmcnt(0)
	v_mul_f32_e32 v59, s23, v10
.LBB26_23:
	s_or_b64 exec, exec, s[12:13]
	s_or_b64 s[12:13], s[4:5], s[10:11]
	v_cndmask_b32_e64 v60, 0, v9, s[12:13]
	s_or_b64 s[12:13], s[18:19], s[12:13]
	s_xor_b64 s[38:39], s[12:13], -1
	s_and_saveexec_b64 s[12:13], s[38:39]
	s_cbranch_execz .LBB26_25
; %bb.24:
	v_lshl_add_u64 v[10:11], v[64:65], 2, v[0:1]
	flat_load_dword v9, v[10:11] offset:256
	s_waitcnt vmcnt(0) lgkmcnt(0)
	v_mul_f32_e32 v60, s23, v9
.LBB26_25:
	s_or_b64 exec, exec, s[12:13]
	v_mov_b32_e32 v9, 0x7f7fffff
	s_or_b64 s[12:13], s[6:7], s[10:11]
	v_cndmask_b32_e64 v61, 0, v9, s[12:13]
	s_or_b64 s[12:13], s[18:19], s[12:13]
	s_xor_b64 s[38:39], s[12:13], -1
	s_and_saveexec_b64 s[12:13], s[38:39]
	s_cbranch_execz .LBB26_27
; %bb.26:
	v_lshl_add_u64 v[10:11], v[64:65], 2, v[0:1]
	flat_load_dword v10, v[10:11] offset:512
	s_waitcnt vmcnt(0) lgkmcnt(0)
	v_mul_f32_e32 v61, s23, v10
.LBB26_27:
	s_or_b64 exec, exec, s[12:13]
	s_or_b64 s[10:11], s[8:9], s[10:11]
	v_cndmask_b32_e64 v62, 0, v9, s[10:11]
	s_or_b64 s[10:11], s[18:19], s[10:11]
	s_xor_b64 s[38:39], s[10:11], -1
	s_mov_b32 s12, 0x7f7fffff
	s_and_saveexec_b64 s[10:11], s[38:39]
	s_cbranch_execz .LBB26_29
; %bb.28:
	v_lshl_add_u64 v[0:1], v[64:65], 2, v[0:1]
	flat_load_dword v0, v[0:1] offset:768
	s_waitcnt vmcnt(0) lgkmcnt(0)
	v_mul_f32_e32 v62, s23, v0
.LBB26_29:
	s_or_b64 exec, exec, s[10:11]
	v_lshlrev_b32_e32 v0, 2, v73
	v_lshl_or_b32 v63, v2, 4, v56
	v_lshl_add_u32 v76, v4, 4, v0
	v_lshlrev_b32_e32 v74, 4, v70
	v_lshlrev_b32_e32 v75, 4, v71
	ds_write_b32 v63, v3 offset:8192
	ds_write2st64_b32 v76, v5, v6 offset1:4
	ds_write2st64_b32 v76, v7, v8 offset0:8 offset1:12
	s_waitcnt lgkmcnt(0)
	s_barrier
	ds_read_b128 v[12:15], v74 offset:8192
	ds_read_b128 v[20:23], v74 offset:8320
	;; [unrolled: 1-line block ×8, first 2 shown]
	ds_read_b128 v[52:55], v75
	ds_read_b128 v[48:51], v75 offset:512
	ds_read_b128 v[44:47], v75 offset:1024
	;; [unrolled: 1-line block ×5, first 2 shown]
	s_waitcnt lgkmcnt(5)
	v_pk_add_f32 v[66:67], v[12:13], v[52:53]
	s_cmp_lt_i32 s22, 9
	v_min3_f32 v68, v66, v67, s12
	v_pk_add_f32 v[66:67], v[20:21], v[52:53]
	s_nop 0
	v_min3_f32 v69, v66, v67, s12
	v_pk_add_f32 v[66:67], v[24:25], v[52:53]
	s_nop 0
	v_min3_f32 v77, v66, v67, s12
	v_pk_add_f32 v[66:67], v[28:29], v[52:53]
	s_nop 0
	v_min3_f32 v78, v66, v67, s12
	v_pk_add_f32 v[66:67], v[16:17], v[52:53]
	s_nop 0
	v_min3_f32 v79, v66, v67, s12
	v_pk_add_f32 v[66:67], v[8:9], v[52:53]
	s_nop 0
	v_min3_f32 v80, v66, v67, s12
	v_pk_add_f32 v[66:67], v[4:5], v[52:53]
	v_pk_add_f32 v[52:53], v[0:1], v[52:53]
	v_min3_f32 v66, v66, v67, s12
	v_min3_f32 v67, v52, v53, s12
	s_waitcnt lgkmcnt(4)
	v_pk_add_f32 v[52:53], v[12:13], v[48:49]
	s_nop 0
	v_min3_f32 v81, v52, v53, s12
	v_pk_add_f32 v[52:53], v[20:21], v[48:49]
	s_nop 0
	v_min3_f32 v82, v52, v53, s12
	v_pk_add_f32 v[52:53], v[24:25], v[48:49]
	s_nop 0
	v_min3_f32 v83, v52, v53, s12
	v_pk_add_f32 v[52:53], v[28:29], v[48:49]
	s_nop 0
	v_min3_f32 v84, v52, v53, s12
	v_pk_add_f32 v[52:53], v[16:17], v[48:49]
	s_nop 0
	v_min3_f32 v85, v52, v53, s12
	v_pk_add_f32 v[52:53], v[8:9], v[48:49]
	s_nop 0
	v_min3_f32 v86, v52, v53, s12
	v_pk_add_f32 v[52:53], v[4:5], v[48:49]
	v_pk_add_f32 v[48:49], v[0:1], v[48:49]
	v_min3_f32 v52, v52, v53, s12
	v_min3_f32 v87, v48, v49, s12
	s_waitcnt lgkmcnt(3)
	v_pk_add_f32 v[48:49], v[12:13], v[44:45]
	s_nop 0
	v_min3_f32 v88, v48, v49, s12
	v_pk_add_f32 v[48:49], v[20:21], v[44:45]
	s_nop 0
	v_min3_f32 v89, v48, v49, s12
	v_pk_add_f32 v[48:49], v[24:25], v[44:45]
	s_nop 0
	v_min3_f32 v90, v48, v49, s12
	v_pk_add_f32 v[48:49], v[28:29], v[44:45]
	s_nop 0
	v_min3_f32 v91, v48, v49, s12
	v_pk_add_f32 v[48:49], v[16:17], v[44:45]
	s_nop 0
	v_min3_f32 v92, v48, v49, s12
	v_pk_add_f32 v[48:49], v[8:9], v[44:45]
	s_nop 0
	v_min3_f32 v93, v48, v49, s12
	v_pk_add_f32 v[48:49], v[4:5], v[44:45]
	v_pk_add_f32 v[44:45], v[0:1], v[44:45]
	v_min3_f32 v94, v48, v49, s12
	v_min3_f32 v95, v44, v45, s12
	s_waitcnt lgkmcnt(2)
	v_pk_add_f32 v[44:45], v[12:13], v[40:41]
	s_nop 0
	v_min3_f32 v96, v44, v45, s12
	v_pk_add_f32 v[44:45], v[20:21], v[40:41]
	s_nop 0
	v_min3_f32 v97, v44, v45, s12
	v_pk_add_f32 v[44:45], v[24:25], v[40:41]
	s_nop 0
	v_min3_f32 v98, v44, v45, s12
	v_pk_add_f32 v[44:45], v[28:29], v[40:41]
	s_nop 0
	v_min3_f32 v99, v44, v45, s12
	v_pk_add_f32 v[44:45], v[16:17], v[40:41]
	s_nop 0
	v_min3_f32 v100, v44, v45, s12
	v_pk_add_f32 v[44:45], v[8:9], v[40:41]
	s_nop 0
	v_min3_f32 v101, v44, v45, s12
	v_pk_add_f32 v[44:45], v[4:5], v[40:41]
	v_pk_add_f32 v[40:41], v[0:1], v[40:41]
	v_min3_f32 v44, v44, v45, s12
	v_min3_f32 v45, v40, v41, s12
	s_waitcnt lgkmcnt(1)
	v_pk_add_f32 v[40:41], v[12:13], v[36:37]
	s_nop 0
	v_min3_f32 v102, v40, v41, s12
	v_pk_add_f32 v[40:41], v[20:21], v[36:37]
	s_nop 0
	v_min3_f32 v103, v40, v41, s12
	v_pk_add_f32 v[40:41], v[24:25], v[36:37]
	s_nop 0
	v_min3_f32 v104, v40, v41, s12
	v_pk_add_f32 v[40:41], v[28:29], v[36:37]
	s_nop 0
	v_min3_f32 v105, v40, v41, s12
	v_pk_add_f32 v[40:41], v[16:17], v[36:37]
	s_nop 0
	v_min3_f32 v106, v40, v41, s12
	v_pk_add_f32 v[40:41], v[8:9], v[36:37]
	s_nop 0
	v_min3_f32 v107, v40, v41, s12
	v_pk_add_f32 v[40:41], v[4:5], v[36:37]
	v_pk_add_f32 v[36:37], v[0:1], v[36:37]
	v_min3_f32 v40, v40, v41, s12
	v_min3_f32 v41, v36, v37, s12
	s_waitcnt lgkmcnt(0)
	v_pk_add_f32 v[36:37], v[12:13], v[32:33]
	s_nop 0
	v_min3_f32 v124, v36, v37, s12
	v_pk_add_f32 v[36:37], v[20:21], v[32:33]
	s_nop 0
	v_min3_f32 v146, v36, v37, s12
	v_pk_add_f32 v[36:37], v[24:25], v[32:33]
	s_nop 0
	;; [unrolled: 3-line block ×12, first 2 shown]
	v_min3_f32 v66, v36, v37, s12
	v_pk_add_f32 v[36:37], v[4:5], v[32:33]
	v_pk_add_f32 v[32:33], v[0:1], v[32:33]
	v_min3_f32 v68, v36, v37, s12
	v_pk_add_f32 v[36:37], v[2:3], v[54:55]
	s_nop 0
	v_min3_f32 v141, v36, v37, v67
	v_pk_add_f32 v[36:37], v[14:15], v[50:51]
	v_min3_f32 v67, v32, v33, s12
	v_min3_f32 v140, v36, v37, v81
	v_pk_add_f32 v[36:37], v[22:23], v[50:51]
	s_nop 0
	v_min3_f32 v139, v36, v37, v82
	v_pk_add_f32 v[36:37], v[26:27], v[50:51]
	s_nop 0
	;; [unrolled: 3-line block ×6, first 2 shown]
	v_min3_f32 v131, v36, v37, v52
	ds_read_b128 v[52:55], v75 offset:3072
	v_pk_add_f32 v[36:37], v[2:3], v[50:51]
	ds_read_b128 v[48:51], v75 offset:3584
	v_min3_f32 v136, v36, v37, v87
	ds_write_b32 v63, v57 offset:9216
	ds_write2st64_b32 v76, v59, v60 offset0:16 offset1:20
	ds_write2st64_b32 v76, v61, v62 offset0:24 offset1:28
	s_waitcnt lgkmcnt(4)
	v_pk_add_f32 v[32:33], v[12:13], v[52:53]
	v_pk_add_f32 v[36:37], v[28:29], v[52:53]
	v_min3_f32 v69, v32, v33, s12
	v_pk_add_f32 v[32:33], v[14:15], v[46:47]
	s_waitcnt lgkmcnt(3)
	v_pk_add_f32 v[12:13], v[12:13], v[48:49]
	v_min3_f32 v134, v32, v33, v88
	v_pk_add_f32 v[32:33], v[22:23], v[46:47]
	s_waitcnt lgkmcnt(0)
	v_min3_f32 v132, v32, v33, v89
	v_pk_add_f32 v[32:33], v[26:27], v[46:47]
	s_barrier
	v_min3_f32 v130, v32, v33, v90
	v_pk_add_f32 v[32:33], v[30:31], v[46:47]
	s_nop 0
	v_min3_f32 v129, v32, v33, v91
	v_pk_add_f32 v[32:33], v[18:19], v[46:47]
	s_nop 0
	;; [unrolled: 3-line block ×6, first 2 shown]
	v_min3_f32 v81, v32, v33, s12
	v_pk_add_f32 v[32:33], v[2:3], v[46:47]
	v_min3_f32 v46, v36, v37, s12
	v_min3_f32 v125, v32, v33, v95
	v_pk_add_f32 v[32:33], v[14:15], v[42:43]
	v_pk_add_f32 v[36:37], v[16:17], v[52:53]
	v_min3_f32 v123, v32, v33, v96
	v_pk_add_f32 v[32:33], v[22:23], v[42:43]
	v_min3_f32 v47, v36, v37, s12
	v_min3_f32 v122, v32, v33, v97
	v_pk_add_f32 v[32:33], v[26:27], v[42:43]
	v_pk_add_f32 v[36:37], v[0:1], v[52:53]
	v_min3_f32 v121, v32, v33, v98
	v_pk_add_f32 v[32:33], v[30:31], v[42:43]
	v_min3_f32 v36, v36, v37, s12
	v_min3_f32 v120, v32, v33, v99
	v_pk_add_f32 v[32:33], v[18:19], v[42:43]
	v_min3_f32 v37, v12, v13, s12
	v_min3_f32 v119, v32, v33, v100
	v_pk_add_f32 v[32:33], v[10:11], v[42:43]
	v_pk_add_f32 v[12:13], v[14:15], v[34:35]
	v_min3_f32 v118, v32, v33, v101
	v_pk_add_f32 v[32:33], v[6:7], v[42:43]
	v_pk_add_f32 v[0:1], v[0:1], v[48:49]
	v_min3_f32 v117, v32, v33, v44
	v_pk_add_f32 v[32:33], v[8:9], v[52:53]
	v_pk_add_f32 v[16:17], v[16:17], v[48:49]
	v_min3_f32 v44, v32, v33, s12
	v_pk_add_f32 v[32:33], v[4:5], v[52:53]
	v_min3_f32 v16, v16, v17, s12
	v_min3_f32 v82, v32, v33, s12
	v_pk_add_f32 v[32:33], v[2:3], v[42:43]
	v_pk_add_f32 v[8:9], v[8:9], v[48:49]
	v_min3_f32 v116, v32, v33, v45
	v_pk_add_f32 v[32:33], v[14:15], v[38:39]
	v_min3_f32 v8, v8, v9, s12
	v_min3_f32 v115, v32, v33, v102
	v_pk_add_f32 v[32:33], v[22:23], v[38:39]
	v_pk_add_f32 v[4:5], v[4:5], v[48:49]
	;; [unrolled: 6-line block ×3, first 2 shown]
	v_min3_f32 v112, v32, v33, v105
	v_pk_add_f32 v[32:33], v[18:19], v[38:39]
	v_min3_f32 v92, v4, v5, v36
	v_min3_f32 v111, v32, v33, v106
	v_pk_add_f32 v[32:33], v[10:11], v[38:39]
	s_nop 0
	v_min3_f32 v110, v32, v33, v107
	v_min3_f32 v107, v12, v13, v124
	v_pk_add_f32 v[12:13], v[22:23], v[34:35]
	v_pk_add_f32 v[32:33], v[6:7], v[38:39]
	v_min3_f32 v106, v12, v13, v146
	v_pk_add_f32 v[12:13], v[26:27], v[34:35]
	v_min3_f32 v109, v32, v33, v40
	v_min3_f32 v105, v12, v13, v147
	v_pk_add_f32 v[12:13], v[30:31], v[34:35]
	v_pk_add_f32 v[32:33], v[2:3], v[38:39]
	v_min3_f32 v104, v12, v13, v148
	v_pk_add_f32 v[12:13], v[18:19], v[34:35]
	v_min3_f32 v108, v32, v33, v41
	v_min3_f32 v103, v12, v13, v149
	v_pk_add_f32 v[12:13], v[10:11], v[34:35]
	s_nop 0
	v_min3_f32 v102, v12, v13, v66
	v_pk_add_f32 v[12:13], v[6:7], v[34:35]
	s_nop 0
	v_min3_f32 v101, v12, v13, v68
	v_pk_add_f32 v[12:13], v[20:21], v[48:49]
	v_pk_add_f32 v[20:21], v[28:29], v[48:49]
	v_min3_f32 v32, v12, v13, s12
	v_pk_add_f32 v[12:13], v[24:25], v[48:49]
	v_min3_f32 v20, v20, v21, s12
	v_min3_f32 v24, v12, v13, s12
	v_pk_add_f32 v[12:13], v[2:3], v[34:35]
	s_nop 0
	v_min3_f32 v100, v12, v13, v67
	v_pk_add_f32 v[12:13], v[14:15], v[54:55]
	s_nop 0
	;; [unrolled: 3-line block ×8, first 2 shown]
	v_min3_f32 v93, v12, v13, v82
	v_min3_f32 v12, v0, v1, s12
	v_pk_add_f32 v[0:1], v[14:15], v[50:51]
	s_nop 0
	v_min3_f32 v91, v0, v1, v37
	v_pk_add_f32 v[0:1], v[22:23], v[50:51]
	s_nop 0
	;; [unrolled: 3-line block ×8, first 2 shown]
	v_min3_f32 v88, v0, v1, v12
	s_cbranch_scc1 .LBB26_52
; %bb.30:
	v_mov_b32_e32 v0, 0x2400
	v_lshl_add_u32 v124, v70, 4, v0
	v_mov_b32_e32 v0, 0x1000
	v_lshl_add_u32 v146, v71, 4, v0
	v_mad_i64_i32 v[0:1], s[10:11], v58, s36, 0
	v_mov_b32_e32 v57, 0
	v_lshl_add_u64 v[0:1], v[0:1], 2, v[56:57]
	v_lshl_add_u64 v[0:1], v[0:1], 0, s[28:29]
	v_add_u32_e32 v80, 0x2000, v63
	v_add_u32_e32 v81, 0x2000, v74
	;; [unrolled: 1-line block ×3, first 2 shown]
	v_or_b32_e32 v83, 0x1000, v76
	s_add_i32 s37, s22, -8
	v_lshl_add_u64 v[66:67], v[0:1], 0, 48
	s_mov_b32 s28, 0
	v_mov_b32_e32 v147, 0x7f7fffff
	s_branch .LBB26_32
.LBB26_31:                              ;   in Loop: Header=BB26_32 Depth=1
	s_or_b64 exec, exec, s[10:11]
	ds_read_b128 v[0:3], v81
	ds_read_b128 v[4:7], v81 offset:128
	ds_read_b128 v[8:11], v81 offset:256
	;; [unrolled: 1-line block ×7, first 2 shown]
	ds_read_b128 v[118:121], v75
	ds_read_b128 v[126:129], v75 offset:512
	ds_read_b128 v[152:155], v75 offset:1024
	;; [unrolled: 1-line block ×7, first 2 shown]
	s_waitcnt lgkmcnt(7)
	v_pk_add_f32 v[68:69], v[0:1], v[118:119]
	s_add_i32 s28, s28, 8
	v_min3_f32 v37, v68, v69, v37
	v_pk_add_f32 v[68:69], v[4:5], v[118:119]
	s_cmp_ge_i32 s28, s37
	v_min3_f32 v122, v68, v69, v40
	v_pk_add_f32 v[68:69], v[8:9], v[118:119]
	v_lshl_add_u64 v[66:67], v[66:67], 0, 32
	v_min3_f32 v68, v68, v69, v41
	v_pk_add_f32 v[40:41], v[12:13], v[118:119]
	ds_write_b32 v82, v148
	ds_write2st64_b32 v83, v149, v150 offset1:4
	ds_write2st64_b32 v83, v151, v36 offset0:8 offset1:12
	v_min3_f32 v44, v40, v41, v44
	v_pk_add_f32 v[40:41], v[16:17], v[118:119]
	s_waitcnt lgkmcnt(0)
	v_min3_f32 v45, v40, v41, v45
	v_pk_add_f32 v[40:41], v[20:21], v[118:119]
	s_barrier
	v_min3_f32 v48, v40, v41, v48
	v_pk_add_f32 v[40:41], v[24:25], v[118:119]
	s_nop 0
	v_min3_f32 v49, v40, v41, v49
	v_pk_add_f32 v[40:41], v[28:29], v[118:119]
	s_nop 0
	;; [unrolled: 3-line block ×42, first 2 shown]
	v_min3_f32 v42, v40, v41, v42
	v_pk_add_f32 v[40:41], v[0:1], v[168:169]
	v_pk_add_f32 v[0:1], v[0:1], v[32:33]
	v_min3_f32 v43, v40, v41, v43
	v_min3_f32 v39, v0, v1, v39
	v_pk_add_f32 v[0:1], v[4:5], v[32:33]
	v_pk_add_f32 v[40:41], v[4:5], v[168:169]
	v_min3_f32 v4, v0, v1, v111
	v_pk_add_f32 v[0:1], v[8:9], v[32:33]
	v_min3_f32 v156, v40, v41, v105
	v_min3_f32 v5, v0, v1, v112
	v_pk_add_f32 v[0:1], v[12:13], v[32:33]
	v_pk_add_f32 v[40:41], v[8:9], v[168:169]
	v_min3_f32 v8, v0, v1, v113
	;; [unrolled: 6-line block ×7, first 2 shown]
	v_pk_add_f32 v[0:1], v[26:27], v[120:121]
	v_min3_f32 v38, v40, v41, v38
	v_min3_f32 v78, v0, v1, v49
	v_pk_add_f32 v[0:1], v[30:31], v[120:121]
	s_nop 0
	v_min3_f32 v141, v0, v1, v52
	v_pk_add_f32 v[0:1], v[2:3], v[128:129]
	s_nop 0
	;; [unrolled: 3-line block ×57, first 2 shown]
	v_min3_f32 v88, v0, v1, v16
	s_cbranch_scc1 .LBB26_52
.LBB26_32:                              ; =>This Inner Loop Header: Depth=1
	v_add_u32_e32 v68, s28, v72
	v_add_u32_e32 v0, 8, v68
	v_cmp_le_i32_e64 s[10:11], s22, v0
	s_or_b64 s[10:11], s[10:11], vcc
	s_nop 0
	v_cndmask_b32_e64 v148, 0, v147, s[10:11]
	s_or_b64 s[10:11], s[18:19], s[10:11]
	s_xor_b64 s[10:11], s[10:11], -1
	s_and_saveexec_b64 s[12:13], s[10:11]
	s_cbranch_execz .LBB26_34
; %bb.33:                               ;   in Loop: Header=BB26_32 Depth=1
	v_add_co_u32_e64 v0, s[10:11], -16, v66
	s_nop 1
	v_addc_co_u32_e64 v1, s[10:11], -1, v67, s[10:11]
	flat_load_dword v0, v[0:1]
	s_waitcnt vmcnt(0) lgkmcnt(0)
	v_mul_f32_e32 v148, s23, v0
.LBB26_34:                              ;   in Loop: Header=BB26_32 Depth=1
	s_or_b64 exec, exec, s[12:13]
	v_add_u32_e32 v69, s28, v73
	v_add_u32_e32 v0, 8, v69
	v_cmp_le_i32_e64 s[10:11], s22, v0
	v_min_i32_e32 v0, s35, v0
	v_mad_i64_i32 v[0:1], s[12:13], v0, s34, 0
	s_or_b64 s[12:13], s[2:3], s[10:11]
	v_lshl_add_u64 v[0:1], v[0:1], 2, s[26:27]
	v_cndmask_b32_e64 v149, 0, v147, s[12:13]
	s_or_b64 s[12:13], s[18:19], s[12:13]
	s_xor_b64 s[38:39], s[12:13], -1
	v_lshl_add_u64 v[0:1], v[64:65], 2, v[0:1]
	s_and_saveexec_b64 s[12:13], s[38:39]
	s_cbranch_execz .LBB26_36
; %bb.35:                               ;   in Loop: Header=BB26_32 Depth=1
	flat_load_dword v2, v[0:1]
	s_waitcnt vmcnt(0) lgkmcnt(0)
	v_mul_f32_e32 v149, s23, v2
.LBB26_36:                              ;   in Loop: Header=BB26_32 Depth=1
	s_or_b64 exec, exec, s[12:13]
	s_or_b64 s[12:13], s[4:5], s[10:11]
	v_cndmask_b32_e64 v150, 0, v147, s[12:13]
	s_or_b64 s[12:13], s[18:19], s[12:13]
	s_xor_b64 s[38:39], s[12:13], -1
	s_and_saveexec_b64 s[12:13], s[38:39]
	s_cbranch_execz .LBB26_38
; %bb.37:                               ;   in Loop: Header=BB26_32 Depth=1
	flat_load_dword v2, v[0:1] offset:256
	s_waitcnt vmcnt(0) lgkmcnt(0)
	v_mul_f32_e32 v150, s23, v2
.LBB26_38:                              ;   in Loop: Header=BB26_32 Depth=1
	s_or_b64 exec, exec, s[12:13]
	s_or_b64 s[12:13], s[6:7], s[10:11]
	v_cndmask_b32_e64 v151, 0, v147, s[12:13]
	s_or_b64 s[12:13], s[18:19], s[12:13]
	s_xor_b64 s[38:39], s[12:13], -1
	s_and_saveexec_b64 s[12:13], s[38:39]
	s_cbranch_execz .LBB26_40
; %bb.39:                               ;   in Loop: Header=BB26_32 Depth=1
	flat_load_dword v2, v[0:1] offset:512
	s_waitcnt vmcnt(0) lgkmcnt(0)
	v_mul_f32_e32 v151, s23, v2
.LBB26_40:                              ;   in Loop: Header=BB26_32 Depth=1
	;; [unrolled: 12-line block ×3, first 2 shown]
	s_or_b64 exec, exec, s[10:11]
	ds_read_b128 v[28:31], v124
	ds_read_b128 v[24:27], v124 offset:128
	ds_read_b128 v[20:23], v124 offset:256
	;; [unrolled: 1-line block ×7, first 2 shown]
	ds_read_b128 v[60:63], v146
	ds_read_b128 v[56:59], v146 offset:512
	ds_read_b128 v[52:55], v146 offset:1024
	;; [unrolled: 1-line block ×7, first 2 shown]
	v_add_u32_e32 v68, 12, v68
	v_cmp_le_i32_e64 s[10:11], s22, v68
	s_or_b64 s[10:11], s[10:11], vcc
	ds_write_b32 v80, v148
	ds_write2st64_b32 v76, v149, v150 offset1:4
	ds_write2st64_b32 v76, v151, v152 offset0:8 offset1:12
	v_cndmask_b32_e64 v148, 0, v147, s[10:11]
	s_or_b64 s[10:11], s[18:19], s[10:11]
	s_xor_b64 s[12:13], s[10:11], -1
	s_waitcnt lgkmcnt(0)
	s_barrier
	s_and_saveexec_b64 s[10:11], s[12:13]
	s_cbranch_execz .LBB26_44
; %bb.43:                               ;   in Loop: Header=BB26_32 Depth=1
	flat_load_dword v68, v[66:67]
	s_waitcnt vmcnt(0) lgkmcnt(0)
	v_mul_f32_e32 v148, s23, v68
.LBB26_44:                              ;   in Loop: Header=BB26_32 Depth=1
	s_or_b64 exec, exec, s[10:11]
	v_add_u32_e32 v68, 12, v69
	v_cmp_le_i32_e64 s[10:11], s22, v68
	v_min_i32_e32 v68, s35, v68
	v_mad_i64_i32 v[68:69], s[12:13], v68, s34, 0
	s_or_b64 s[12:13], s[2:3], s[10:11]
	v_lshl_add_u64 v[68:69], v[68:69], 2, s[26:27]
	v_cndmask_b32_e64 v149, 0, v147, s[12:13]
	s_or_b64 s[12:13], s[18:19], s[12:13]
	s_xor_b64 s[38:39], s[12:13], -1
	v_lshl_add_u64 v[68:69], v[64:65], 2, v[68:69]
	s_and_saveexec_b64 s[12:13], s[38:39]
	s_cbranch_execz .LBB26_46
; %bb.45:                               ;   in Loop: Header=BB26_32 Depth=1
	flat_load_dword v149, v[68:69]
	s_waitcnt vmcnt(0) lgkmcnt(0)
	v_mul_f32_e32 v149, s23, v149
.LBB26_46:                              ;   in Loop: Header=BB26_32 Depth=1
	s_or_b64 exec, exec, s[12:13]
	s_or_b64 s[12:13], s[4:5], s[10:11]
	v_cndmask_b32_e64 v150, 0, v147, s[12:13]
	s_or_b64 s[12:13], s[18:19], s[12:13]
	s_xor_b64 s[38:39], s[12:13], -1
	s_and_saveexec_b64 s[12:13], s[38:39]
	s_cbranch_execz .LBB26_48
; %bb.47:                               ;   in Loop: Header=BB26_32 Depth=1
	flat_load_dword v150, v[68:69] offset:256
	s_waitcnt vmcnt(0) lgkmcnt(0)
	v_mul_f32_e32 v150, s23, v150
.LBB26_48:                              ;   in Loop: Header=BB26_32 Depth=1
	s_or_b64 exec, exec, s[12:13]
	s_or_b64 s[12:13], s[6:7], s[10:11]
	v_cndmask_b32_e64 v151, 0, v147, s[12:13]
	s_or_b64 s[12:13], s[18:19], s[12:13]
	s_xor_b64 s[38:39], s[12:13], -1
	s_and_saveexec_b64 s[12:13], s[38:39]
	s_cbranch_execz .LBB26_50
; %bb.49:                               ;   in Loop: Header=BB26_32 Depth=1
	flat_load_dword v151, v[68:69] offset:512
	s_waitcnt vmcnt(0) lgkmcnt(0)
	v_mul_f32_e32 v151, s23, v151
.LBB26_50:                              ;   in Loop: Header=BB26_32 Depth=1
	s_or_b64 exec, exec, s[12:13]
	v_pk_add_f32 v[152:153], v[28:29], v[60:61]
	s_or_b64 s[10:11], s[8:9], s[10:11]
	v_min3_f32 v154, v152, v153, v145
	v_pk_add_f32 v[152:153], v[24:25], v[60:61]
	s_nop 0
	v_min3_f32 v152, v152, v153, v144
	v_pk_add_f32 v[144:145], v[20:21], v[60:61]
	s_nop 0
	v_min3_f32 v153, v144, v145, v143
	v_pk_add_f32 v[144:145], v[16:17], v[60:61]
	s_nop 0
	v_min3_f32 v144, v144, v145, v142
	v_pk_add_f32 v[142:143], v[12:13], v[60:61]
	s_nop 0
	v_min3_f32 v79, v142, v143, v79
	v_pk_add_f32 v[142:143], v[8:9], v[60:61]
	s_nop 0
	v_min3_f32 v77, v142, v143, v77
	v_pk_add_f32 v[142:143], v[4:5], v[60:61]
	v_pk_add_f32 v[60:61], v[0:1], v[60:61]
	v_min3_f32 v78, v142, v143, v78
	v_min3_f32 v141, v60, v61, v141
	v_pk_add_f32 v[60:61], v[28:29], v[56:57]
	s_nop 0
	v_min3_f32 v140, v60, v61, v140
	v_pk_add_f32 v[60:61], v[24:25], v[56:57]
	s_nop 0
	v_min3_f32 v139, v60, v61, v139
	v_pk_add_f32 v[60:61], v[20:21], v[56:57]
	s_nop 0
	v_min3_f32 v138, v60, v61, v138
	v_pk_add_f32 v[60:61], v[16:17], v[56:57]
	s_nop 0
	v_min3_f32 v137, v60, v61, v137
	v_pk_add_f32 v[60:61], v[12:13], v[56:57]
	s_nop 0
	v_min3_f32 v135, v60, v61, v135
	v_pk_add_f32 v[60:61], v[8:9], v[56:57]
	s_nop 0
	v_min3_f32 v133, v60, v61, v133
	v_pk_add_f32 v[60:61], v[4:5], v[56:57]
	v_pk_add_f32 v[56:57], v[0:1], v[56:57]
	v_min3_f32 v131, v60, v61, v131
	v_min3_f32 v136, v56, v57, v136
	v_pk_add_f32 v[56:57], v[28:29], v[52:53]
	s_nop 0
	;; [unrolled: 22-line block ×5, first 2 shown]
	v_min3_f32 v107, v44, v45, v107
	v_pk_add_f32 v[44:45], v[24:25], v[40:41]
	s_nop 0
	v_min3_f32 v106, v44, v45, v106
	v_pk_add_f32 v[44:45], v[20:21], v[40:41]
	s_nop 0
	;; [unrolled: 3-line block ×5, first 2 shown]
	v_min3_f32 v142, v44, v45, v102
	v_pk_add_f32 v[44:45], v[4:5], v[40:41]
	v_pk_add_f32 v[40:41], v[0:1], v[40:41]
	v_min3_f32 v143, v44, v45, v101
	v_min3_f32 v145, v40, v41, v100
	v_pk_add_f32 v[40:41], v[28:29], v[36:37]
	v_pk_add_f32 v[28:29], v[28:29], v[32:33]
	v_min3_f32 v155, v40, v41, v99
	v_pk_add_f32 v[40:41], v[24:25], v[36:37]
	v_pk_add_f32 v[24:25], v[24:25], v[32:33]
	;; [unrolled: 3-line block ×7, first 2 shown]
	v_pk_add_f32 v[4:5], v[4:5], v[32:33]
	v_pk_add_f32 v[0:1], v[0:1], v[32:33]
	v_min3_f32 v4, v4, v5, v84
	v_min3_f32 v5, v0, v1, v88
	v_pk_add_f32 v[0:1], v[30:31], v[62:63]
	v_min3_f32 v36, v36, v37, v92
	v_min3_f32 v37, v0, v1, v154
	;; [unrolled: 3-line block ×9, first 2 shown]
	v_pk_add_f32 v[0:1], v[30:31], v[58:59]
	s_nop 0
	v_min3_f32 v53, v0, v1, v140
	v_pk_add_f32 v[0:1], v[26:27], v[58:59]
	s_nop 0
	v_min3_f32 v56, v0, v1, v139
	;; [unrolled: 3-line block ×48, first 2 shown]
	v_pk_add_f32 v[0:1], v[30:31], v[34:35]
	v_cndmask_b32_e64 v36, 0, v147, s[10:11]
	v_min3_f32 v39, v0, v1, v28
	v_pk_add_f32 v[0:1], v[26:27], v[34:35]
	s_or_b64 s[10:11], s[18:19], s[10:11]
	v_min3_f32 v111, v0, v1, v24
	v_pk_add_f32 v[0:1], v[22:23], v[34:35]
	s_xor_b64 s[12:13], s[10:11], -1
	v_min3_f32 v112, v0, v1, v20
	v_pk_add_f32 v[0:1], v[18:19], v[34:35]
	s_nop 0
	v_min3_f32 v113, v0, v1, v16
	v_pk_add_f32 v[0:1], v[14:15], v[34:35]
	s_nop 0
	;; [unrolled: 3-line block ×5, first 2 shown]
	v_min3_f32 v117, v0, v1, v5
	s_and_saveexec_b64 s[10:11], s[12:13]
	s_cbranch_execz .LBB26_31
; %bb.51:                               ;   in Loop: Header=BB26_32 Depth=1
	flat_load_dword v0, v[68:69] offset:768
	s_waitcnt vmcnt(0) lgkmcnt(0)
	v_mul_f32_e32 v36, s23, v0
	s_branch .LBB26_31
.LBB26_52:
	s_load_dwordx2 s[2:3], s[0:1], 0x70
	s_load_dword s29, s[0:1], 0x50
	s_load_dword s28, s[0:1], 0x68
	ds_read_b128 v[32:35], v74 offset:9216
	ds_read_b128 v[28:31], v74 offset:9344
	;; [unrolled: 1-line block ×16, first 2 shown]
	s_waitcnt lgkmcnt(0)
	s_lshl_b64 s[0:1], s[2:3], 2
	s_add_u32 s22, s16, s0
	v_add_u32_e32 v124, s33, v71
	s_addc_u32 s23, s17, s1
	v_mad_i64_i32 v[66:67], s[0:1], v124, s29, 0
	v_add_u32_e32 v64, s31, v70
	v_lshl_add_u64 v[82:83], v[66:67], 2, s[24:25]
	v_mad_i64_i32 v[66:67], s[0:1], v124, s28, 0
	v_cmp_gt_i32_e64 s[18:19], s21, v124
	v_lshl_add_u64 v[80:81], v[66:67], 2, s[22:23]
	v_cmp_gt_i32_e64 s[2:3], s20, v64
	v_cndmask_b32_e64 v66, 0, 1, s[14:15]
	s_and_b64 s[6:7], s[2:3], s[18:19]
	v_ashrrev_i32_e32 v65, 31, v64
	v_cmp_ne_u32_e64 s[0:1], 1, v66
	s_and_saveexec_b64 s[4:5], s[6:7]
	s_cbranch_execz .LBB26_57
; %bb.53:
	s_and_b64 vcc, exec, s[0:1]
	s_cbranch_vccnz .LBB26_55
; %bb.54:
	v_lshl_add_u64 v[66:67], v[64:65], 2, v[82:83]
	flat_load_dword v66, v[66:67]
	s_waitcnt vmcnt(0) lgkmcnt(0)
	v_mul_f32_e32 v66, s30, v66
	s_branch .LBB26_56
.LBB26_55:
	v_mov_b32_e32 v66, 0
.LBB26_56:
	v_pk_add_f32 v[68:69], v[32:33], v[60:61]
	s_nop 0
	v_min3_f32 v67, v68, v69, v145
	v_pk_add_f32 v[68:69], v[34:35], v[62:63]
	s_nop 0
	v_min_f32_e32 v68, v68, v69
	v_min3_f32 v68, v66, v68, v67
	v_lshl_add_u64 v[66:67], v[64:65], 2, v[80:81]
	global_store_dword v[66:67], v68, off
.LBB26_57:
	s_or_b64 exec, exec, s[4:5]
	v_add_u32_e32 v66, 8, v64
	v_cmp_gt_i32_e64 s[4:5], s20, v66
	s_and_b64 s[8:9], s[4:5], s[18:19]
	v_ashrrev_i32_e32 v67, 31, v66
	s_and_saveexec_b64 s[6:7], s[8:9]
	s_cbranch_execz .LBB26_62
; %bb.58:
	s_and_b64 vcc, exec, s[0:1]
	s_cbranch_vccnz .LBB26_60
; %bb.59:
	v_lshl_add_u64 v[68:69], v[66:67], 2, v[82:83]
	flat_load_dword v68, v[68:69]
	s_waitcnt vmcnt(0) lgkmcnt(0)
	v_mul_f32_e32 v68, s30, v68
	s_branch .LBB26_61
.LBB26_60:
	v_mov_b32_e32 v68, 0
.LBB26_61:
	v_pk_add_f32 v[70:71], v[28:29], v[60:61]
	s_nop 0
	v_min3_f32 v69, v70, v71, v144
	v_pk_add_f32 v[70:71], v[30:31], v[62:63]
	s_nop 0
	v_min_f32_e32 v70, v70, v71
	v_min3_f32 v70, v68, v70, v69
	v_lshl_add_u64 v[68:69], v[66:67], 2, v[80:81]
	global_store_dword v[68:69], v70, off
.LBB26_62:
	s_or_b64 exec, exec, s[6:7]
	v_add_u32_e32 v68, 16, v64
	v_cmp_gt_i32_e64 s[6:7], s20, v68
	s_and_b64 s[10:11], s[6:7], s[18:19]
	v_ashrrev_i32_e32 v69, 31, v68
	;; [unrolled: 29-line block ×7, first 2 shown]
	s_and_saveexec_b64 s[18:19], s[26:27]
	s_cbranch_execz .LBB26_92
; %bb.88:
	s_and_b64 vcc, exec, s[0:1]
	s_cbranch_vccnz .LBB26_90
; %bb.89:
	v_lshl_add_u64 v[82:83], v[78:79], 2, v[82:83]
	flat_load_dword v82, v[82:83]
	s_waitcnt vmcnt(0) lgkmcnt(0)
	v_mul_f32_e32 v82, s30, v82
	s_branch .LBB26_91
.LBB26_90:
	v_mov_b32_e32 v82, 0
.LBB26_91:
	v_pk_add_f32 v[60:61], v[0:1], v[60:61]
	s_nop 0
	v_min3_f32 v83, v60, v61, v141
	v_pk_add_f32 v[60:61], v[2:3], v[62:63]
	s_nop 0
	v_min_f32_e32 v60, v60, v61
	v_min3_f32 v62, v82, v60, v83
	v_lshl_add_u64 v[60:61], v[78:79], 2, v[80:81]
	global_store_dword v[60:61], v62, off
.LBB26_92:
	s_or_b64 exec, exec, s[18:19]
	v_add_u32_e32 v80, 32, v124
	v_mad_i64_i32 v[60:61], s[26:27], v80, s29, 0
	v_cmp_gt_i32_e64 s[18:19], s21, v80
	v_lshl_add_u64 v[62:63], v[60:61], 2, s[24:25]
	v_mad_i64_i32 v[60:61], s[26:27], v80, s28, 0
	v_lshl_add_u64 v[60:61], v[60:61], 2, s[22:23]
	s_and_b64 s[34:35], s[2:3], s[18:19]
	s_and_saveexec_b64 s[26:27], s[34:35]
	s_cbranch_execnz .LBB26_100
; %bb.93:
	s_or_b64 exec, exec, s[26:27]
	s_and_b64 s[34:35], s[4:5], s[18:19]
	s_and_saveexec_b64 s[26:27], s[34:35]
	s_cbranch_execnz .LBB26_104
.LBB26_94:
	s_or_b64 exec, exec, s[26:27]
	s_and_b64 s[34:35], s[6:7], s[18:19]
	s_and_saveexec_b64 s[26:27], s[34:35]
	s_cbranch_execnz .LBB26_108
.LBB26_95:
	s_or_b64 exec, exec, s[26:27]
	s_and_b64 s[34:35], s[8:9], s[18:19]
	s_and_saveexec_b64 s[26:27], s[34:35]
	s_cbranch_execnz .LBB26_112
.LBB26_96:
	s_or_b64 exec, exec, s[26:27]
	s_and_b64 s[34:35], s[10:11], s[18:19]
	s_and_saveexec_b64 s[26:27], s[34:35]
	s_cbranch_execnz .LBB26_116
.LBB26_97:
	s_or_b64 exec, exec, s[26:27]
	s_and_b64 s[34:35], s[12:13], s[18:19]
	s_and_saveexec_b64 s[26:27], s[34:35]
	s_cbranch_execnz .LBB26_120
.LBB26_98:
	s_or_b64 exec, exec, s[26:27]
	s_and_b64 s[34:35], s[14:15], s[18:19]
	s_and_saveexec_b64 s[26:27], s[34:35]
	s_cbranch_execnz .LBB26_124
.LBB26_99:
	s_or_b64 exec, exec, s[26:27]
	s_and_b64 s[26:27], s[16:17], s[18:19]
	s_and_saveexec_b64 s[18:19], s[26:27]
	s_cbranch_execnz .LBB26_128
	s_branch .LBB26_132
.LBB26_100:
	s_and_b64 vcc, exec, s[0:1]
	s_cbranch_vccnz .LBB26_102
; %bb.101:
	v_lshl_add_u64 v[80:81], v[64:65], 2, v[62:63]
	flat_load_dword v80, v[80:81]
	s_waitcnt vmcnt(0) lgkmcnt(0)
	v_mul_f32_e32 v80, s30, v80
	s_branch .LBB26_103
.LBB26_102:
	v_mov_b32_e32 v80, 0
.LBB26_103:
	v_pk_add_f32 v[82:83], v[32:33], v[56:57]
	s_nop 0
	v_min3_f32 v81, v82, v83, v140
	v_pk_add_f32 v[82:83], v[34:35], v[58:59]
	s_nop 0
	v_min_f32_e32 v82, v82, v83
	v_min3_f32 v82, v80, v82, v81
	v_lshl_add_u64 v[80:81], v[64:65], 2, v[60:61]
	global_store_dword v[80:81], v82, off
	s_or_b64 exec, exec, s[26:27]
	s_and_b64 s[34:35], s[4:5], s[18:19]
	s_and_saveexec_b64 s[26:27], s[34:35]
	s_cbranch_execz .LBB26_94
.LBB26_104:
	s_and_b64 vcc, exec, s[0:1]
	s_cbranch_vccnz .LBB26_106
; %bb.105:
	v_lshl_add_u64 v[80:81], v[66:67], 2, v[62:63]
	flat_load_dword v80, v[80:81]
	s_waitcnt vmcnt(0) lgkmcnt(0)
	v_mul_f32_e32 v80, s30, v80
	s_branch .LBB26_107
.LBB26_106:
	v_mov_b32_e32 v80, 0
.LBB26_107:
	v_pk_add_f32 v[82:83], v[28:29], v[56:57]
	s_nop 0
	v_min3_f32 v81, v82, v83, v139
	v_pk_add_f32 v[82:83], v[30:31], v[58:59]
	s_nop 0
	v_min_f32_e32 v82, v82, v83
	v_min3_f32 v82, v80, v82, v81
	v_lshl_add_u64 v[80:81], v[66:67], 2, v[60:61]
	global_store_dword v[80:81], v82, off
	s_or_b64 exec, exec, s[26:27]
	s_and_b64 s[34:35], s[6:7], s[18:19]
	s_and_saveexec_b64 s[26:27], s[34:35]
	s_cbranch_execz .LBB26_95
.LBB26_108:
	s_and_b64 vcc, exec, s[0:1]
	s_cbranch_vccnz .LBB26_110
; %bb.109:
	v_lshl_add_u64 v[80:81], v[68:69], 2, v[62:63]
	flat_load_dword v80, v[80:81]
	s_waitcnt vmcnt(0) lgkmcnt(0)
	v_mul_f32_e32 v80, s30, v80
	s_branch .LBB26_111
.LBB26_110:
	v_mov_b32_e32 v80, 0
.LBB26_111:
	v_pk_add_f32 v[82:83], v[24:25], v[56:57]
	s_nop 0
	v_min3_f32 v81, v82, v83, v138
	v_pk_add_f32 v[82:83], v[26:27], v[58:59]
	s_nop 0
	v_min_f32_e32 v82, v82, v83
	v_min3_f32 v82, v80, v82, v81
	v_lshl_add_u64 v[80:81], v[68:69], 2, v[60:61]
	global_store_dword v[80:81], v82, off
	s_or_b64 exec, exec, s[26:27]
	s_and_b64 s[34:35], s[8:9], s[18:19]
	s_and_saveexec_b64 s[26:27], s[34:35]
	s_cbranch_execz .LBB26_96
.LBB26_112:
	s_and_b64 vcc, exec, s[0:1]
	s_cbranch_vccnz .LBB26_114
; %bb.113:
	v_lshl_add_u64 v[80:81], v[70:71], 2, v[62:63]
	flat_load_dword v80, v[80:81]
	s_waitcnt vmcnt(0) lgkmcnt(0)
	v_mul_f32_e32 v80, s30, v80
	s_branch .LBB26_115
.LBB26_114:
	v_mov_b32_e32 v80, 0
.LBB26_115:
	v_pk_add_f32 v[82:83], v[20:21], v[56:57]
	s_nop 0
	v_min3_f32 v81, v82, v83, v137
	v_pk_add_f32 v[82:83], v[22:23], v[58:59]
	s_nop 0
	v_min_f32_e32 v82, v82, v83
	v_min3_f32 v82, v80, v82, v81
	v_lshl_add_u64 v[80:81], v[70:71], 2, v[60:61]
	global_store_dword v[80:81], v82, off
	s_or_b64 exec, exec, s[26:27]
	s_and_b64 s[34:35], s[10:11], s[18:19]
	s_and_saveexec_b64 s[26:27], s[34:35]
	s_cbranch_execz .LBB26_97
.LBB26_116:
	s_and_b64 vcc, exec, s[0:1]
	s_cbranch_vccnz .LBB26_118
; %bb.117:
	v_lshl_add_u64 v[80:81], v[72:73], 2, v[62:63]
	flat_load_dword v80, v[80:81]
	s_waitcnt vmcnt(0) lgkmcnt(0)
	v_mul_f32_e32 v80, s30, v80
	s_branch .LBB26_119
.LBB26_118:
	v_mov_b32_e32 v80, 0
.LBB26_119:
	v_pk_add_f32 v[82:83], v[16:17], v[56:57]
	s_nop 0
	v_min3_f32 v81, v82, v83, v135
	v_pk_add_f32 v[82:83], v[18:19], v[58:59]
	s_nop 0
	v_min_f32_e32 v82, v82, v83
	v_min3_f32 v82, v80, v82, v81
	v_lshl_add_u64 v[80:81], v[72:73], 2, v[60:61]
	global_store_dword v[80:81], v82, off
	s_or_b64 exec, exec, s[26:27]
	s_and_b64 s[34:35], s[12:13], s[18:19]
	s_and_saveexec_b64 s[26:27], s[34:35]
	s_cbranch_execz .LBB26_98
.LBB26_120:
	s_and_b64 vcc, exec, s[0:1]
	s_cbranch_vccnz .LBB26_122
; %bb.121:
	v_lshl_add_u64 v[80:81], v[74:75], 2, v[62:63]
	flat_load_dword v80, v[80:81]
	s_waitcnt vmcnt(0) lgkmcnt(0)
	v_mul_f32_e32 v80, s30, v80
	s_branch .LBB26_123
.LBB26_122:
	v_mov_b32_e32 v80, 0
.LBB26_123:
	v_pk_add_f32 v[82:83], v[12:13], v[56:57]
	s_nop 0
	v_min3_f32 v81, v82, v83, v133
	v_pk_add_f32 v[82:83], v[14:15], v[58:59]
	s_nop 0
	v_min_f32_e32 v82, v82, v83
	v_min3_f32 v82, v80, v82, v81
	v_lshl_add_u64 v[80:81], v[74:75], 2, v[60:61]
	global_store_dword v[80:81], v82, off
	s_or_b64 exec, exec, s[26:27]
	s_and_b64 s[34:35], s[14:15], s[18:19]
	s_and_saveexec_b64 s[26:27], s[34:35]
	s_cbranch_execz .LBB26_99
.LBB26_124:
	s_and_b64 vcc, exec, s[0:1]
	s_cbranch_vccnz .LBB26_126
; %bb.125:
	v_lshl_add_u64 v[80:81], v[76:77], 2, v[62:63]
	flat_load_dword v80, v[80:81]
	s_waitcnt vmcnt(0) lgkmcnt(0)
	v_mul_f32_e32 v80, s30, v80
	s_branch .LBB26_127
.LBB26_126:
	v_mov_b32_e32 v80, 0
.LBB26_127:
	v_pk_add_f32 v[82:83], v[8:9], v[56:57]
	s_nop 0
	v_min3_f32 v81, v82, v83, v131
	v_pk_add_f32 v[82:83], v[10:11], v[58:59]
	s_nop 0
	v_min_f32_e32 v82, v82, v83
	v_min3_f32 v82, v80, v82, v81
	v_lshl_add_u64 v[80:81], v[76:77], 2, v[60:61]
	global_store_dword v[80:81], v82, off
	s_or_b64 exec, exec, s[26:27]
	s_and_b64 s[26:27], s[16:17], s[18:19]
	s_and_saveexec_b64 s[18:19], s[26:27]
	s_cbranch_execz .LBB26_132
.LBB26_128:
	s_and_b64 vcc, exec, s[0:1]
	s_cbranch_vccnz .LBB26_130
; %bb.129:
	v_lshl_add_u64 v[62:63], v[78:79], 2, v[62:63]
	flat_load_dword v62, v[62:63]
	s_waitcnt vmcnt(0) lgkmcnt(0)
	v_mul_f32_e32 v62, s30, v62
	s_branch .LBB26_131
.LBB26_130:
	v_mov_b32_e32 v62, 0
.LBB26_131:
	v_pk_add_f32 v[56:57], v[0:1], v[56:57]
	s_nop 0
	v_min3_f32 v63, v56, v57, v136
	v_pk_add_f32 v[56:57], v[2:3], v[58:59]
	s_nop 0
	v_min_f32_e32 v56, v56, v57
	v_min3_f32 v58, v62, v56, v63
	v_lshl_add_u64 v[56:57], v[78:79], 2, v[60:61]
	global_store_dword v[56:57], v58, off
.LBB26_132:
	s_or_b64 exec, exec, s[18:19]
	v_add_u32_e32 v60, 64, v124
	v_mad_i64_i32 v[56:57], s[26:27], v60, s29, 0
	v_cmp_gt_i32_e64 s[18:19], s21, v60
	v_lshl_add_u64 v[58:59], v[56:57], 2, s[24:25]
	v_mad_i64_i32 v[56:57], s[26:27], v60, s28, 0
	v_lshl_add_u64 v[56:57], v[56:57], 2, s[22:23]
	s_and_b64 s[34:35], s[2:3], s[18:19]
	s_and_saveexec_b64 s[26:27], s[34:35]
	s_cbranch_execnz .LBB26_140
; %bb.133:
	s_or_b64 exec, exec, s[26:27]
	s_and_b64 s[34:35], s[4:5], s[18:19]
	s_and_saveexec_b64 s[26:27], s[34:35]
	s_cbranch_execnz .LBB26_144
.LBB26_134:
	s_or_b64 exec, exec, s[26:27]
	s_and_b64 s[34:35], s[6:7], s[18:19]
	s_and_saveexec_b64 s[26:27], s[34:35]
	s_cbranch_execnz .LBB26_148
.LBB26_135:
	s_or_b64 exec, exec, s[26:27]
	s_and_b64 s[34:35], s[8:9], s[18:19]
	s_and_saveexec_b64 s[26:27], s[34:35]
	s_cbranch_execnz .LBB26_152
.LBB26_136:
	s_or_b64 exec, exec, s[26:27]
	s_and_b64 s[34:35], s[10:11], s[18:19]
	s_and_saveexec_b64 s[26:27], s[34:35]
	s_cbranch_execnz .LBB26_156
.LBB26_137:
	s_or_b64 exec, exec, s[26:27]
	s_and_b64 s[34:35], s[12:13], s[18:19]
	s_and_saveexec_b64 s[26:27], s[34:35]
	s_cbranch_execnz .LBB26_160
.LBB26_138:
	s_or_b64 exec, exec, s[26:27]
	s_and_b64 s[34:35], s[14:15], s[18:19]
	s_and_saveexec_b64 s[26:27], s[34:35]
	s_cbranch_execnz .LBB26_164
.LBB26_139:
	s_or_b64 exec, exec, s[26:27]
	s_and_b64 s[26:27], s[16:17], s[18:19]
	s_and_saveexec_b64 s[18:19], s[26:27]
	s_cbranch_execnz .LBB26_168
	s_branch .LBB26_172
.LBB26_140:
	s_and_b64 vcc, exec, s[0:1]
	s_cbranch_vccnz .LBB26_142
; %bb.141:
	v_lshl_add_u64 v[60:61], v[64:65], 2, v[58:59]
	flat_load_dword v60, v[60:61]
	s_waitcnt vmcnt(0) lgkmcnt(0)
	v_mul_f32_e32 v60, s30, v60
	s_branch .LBB26_143
.LBB26_142:
	v_mov_b32_e32 v60, 0
.LBB26_143:
	v_pk_add_f32 v[62:63], v[32:33], v[52:53]
	s_nop 0
	v_min3_f32 v61, v62, v63, v134
	v_pk_add_f32 v[62:63], v[34:35], v[54:55]
	s_nop 0
	v_min_f32_e32 v62, v62, v63
	v_min3_f32 v62, v60, v62, v61
	v_lshl_add_u64 v[60:61], v[64:65], 2, v[56:57]
	global_store_dword v[60:61], v62, off
	s_or_b64 exec, exec, s[26:27]
	s_and_b64 s[34:35], s[4:5], s[18:19]
	s_and_saveexec_b64 s[26:27], s[34:35]
	s_cbranch_execz .LBB26_134
.LBB26_144:
	s_and_b64 vcc, exec, s[0:1]
	s_cbranch_vccnz .LBB26_146
; %bb.145:
	v_lshl_add_u64 v[60:61], v[66:67], 2, v[58:59]
	flat_load_dword v60, v[60:61]
	s_waitcnt vmcnt(0) lgkmcnt(0)
	v_mul_f32_e32 v60, s30, v60
	s_branch .LBB26_147
.LBB26_146:
	v_mov_b32_e32 v60, 0
.LBB26_147:
	v_pk_add_f32 v[62:63], v[28:29], v[52:53]
	s_nop 0
	v_min3_f32 v61, v62, v63, v132
	v_pk_add_f32 v[62:63], v[30:31], v[54:55]
	s_nop 0
	v_min_f32_e32 v62, v62, v63
	v_min3_f32 v62, v60, v62, v61
	v_lshl_add_u64 v[60:61], v[66:67], 2, v[56:57]
	global_store_dword v[60:61], v62, off
	s_or_b64 exec, exec, s[26:27]
	s_and_b64 s[34:35], s[6:7], s[18:19]
	s_and_saveexec_b64 s[26:27], s[34:35]
	s_cbranch_execz .LBB26_135
.LBB26_148:
	s_and_b64 vcc, exec, s[0:1]
	s_cbranch_vccnz .LBB26_150
; %bb.149:
	v_lshl_add_u64 v[60:61], v[68:69], 2, v[58:59]
	flat_load_dword v60, v[60:61]
	s_waitcnt vmcnt(0) lgkmcnt(0)
	v_mul_f32_e32 v60, s30, v60
	s_branch .LBB26_151
.LBB26_150:
	v_mov_b32_e32 v60, 0
.LBB26_151:
	v_pk_add_f32 v[62:63], v[24:25], v[52:53]
	s_nop 0
	v_min3_f32 v61, v62, v63, v130
	v_pk_add_f32 v[62:63], v[26:27], v[54:55]
	s_nop 0
	v_min_f32_e32 v62, v62, v63
	v_min3_f32 v62, v60, v62, v61
	v_lshl_add_u64 v[60:61], v[68:69], 2, v[56:57]
	global_store_dword v[60:61], v62, off
	s_or_b64 exec, exec, s[26:27]
	s_and_b64 s[34:35], s[8:9], s[18:19]
	s_and_saveexec_b64 s[26:27], s[34:35]
	s_cbranch_execz .LBB26_136
.LBB26_152:
	s_and_b64 vcc, exec, s[0:1]
	s_cbranch_vccnz .LBB26_154
; %bb.153:
	v_lshl_add_u64 v[60:61], v[70:71], 2, v[58:59]
	flat_load_dword v60, v[60:61]
	s_waitcnt vmcnt(0) lgkmcnt(0)
	v_mul_f32_e32 v60, s30, v60
	s_branch .LBB26_155
.LBB26_154:
	v_mov_b32_e32 v60, 0
.LBB26_155:
	v_pk_add_f32 v[62:63], v[20:21], v[52:53]
	s_nop 0
	v_min3_f32 v61, v62, v63, v129
	v_pk_add_f32 v[62:63], v[22:23], v[54:55]
	s_nop 0
	v_min_f32_e32 v62, v62, v63
	v_min3_f32 v62, v60, v62, v61
	v_lshl_add_u64 v[60:61], v[70:71], 2, v[56:57]
	global_store_dword v[60:61], v62, off
	s_or_b64 exec, exec, s[26:27]
	s_and_b64 s[34:35], s[10:11], s[18:19]
	s_and_saveexec_b64 s[26:27], s[34:35]
	s_cbranch_execz .LBB26_137
.LBB26_156:
	s_and_b64 vcc, exec, s[0:1]
	s_cbranch_vccnz .LBB26_158
; %bb.157:
	v_lshl_add_u64 v[60:61], v[72:73], 2, v[58:59]
	flat_load_dword v60, v[60:61]
	s_waitcnt vmcnt(0) lgkmcnt(0)
	v_mul_f32_e32 v60, s30, v60
	s_branch .LBB26_159
.LBB26_158:
	v_mov_b32_e32 v60, 0
.LBB26_159:
	v_pk_add_f32 v[62:63], v[16:17], v[52:53]
	s_nop 0
	v_min3_f32 v61, v62, v63, v128
	v_pk_add_f32 v[62:63], v[18:19], v[54:55]
	s_nop 0
	v_min_f32_e32 v62, v62, v63
	v_min3_f32 v62, v60, v62, v61
	v_lshl_add_u64 v[60:61], v[72:73], 2, v[56:57]
	global_store_dword v[60:61], v62, off
	s_or_b64 exec, exec, s[26:27]
	s_and_b64 s[34:35], s[12:13], s[18:19]
	s_and_saveexec_b64 s[26:27], s[34:35]
	s_cbranch_execz .LBB26_138
.LBB26_160:
	s_and_b64 vcc, exec, s[0:1]
	s_cbranch_vccnz .LBB26_162
; %bb.161:
	v_lshl_add_u64 v[60:61], v[74:75], 2, v[58:59]
	flat_load_dword v60, v[60:61]
	s_waitcnt vmcnt(0) lgkmcnt(0)
	v_mul_f32_e32 v60, s30, v60
	s_branch .LBB26_163
.LBB26_162:
	v_mov_b32_e32 v60, 0
.LBB26_163:
	v_pk_add_f32 v[62:63], v[12:13], v[52:53]
	s_nop 0
	v_min3_f32 v61, v62, v63, v127
	v_pk_add_f32 v[62:63], v[14:15], v[54:55]
	s_nop 0
	v_min_f32_e32 v62, v62, v63
	v_min3_f32 v62, v60, v62, v61
	v_lshl_add_u64 v[60:61], v[74:75], 2, v[56:57]
	global_store_dword v[60:61], v62, off
	s_or_b64 exec, exec, s[26:27]
	s_and_b64 s[34:35], s[14:15], s[18:19]
	s_and_saveexec_b64 s[26:27], s[34:35]
	s_cbranch_execz .LBB26_139
.LBB26_164:
	s_and_b64 vcc, exec, s[0:1]
	s_cbranch_vccnz .LBB26_166
; %bb.165:
	v_lshl_add_u64 v[60:61], v[76:77], 2, v[58:59]
	flat_load_dword v60, v[60:61]
	s_waitcnt vmcnt(0) lgkmcnt(0)
	v_mul_f32_e32 v60, s30, v60
	s_branch .LBB26_167
.LBB26_166:
	v_mov_b32_e32 v60, 0
.LBB26_167:
	v_pk_add_f32 v[62:63], v[8:9], v[52:53]
	s_nop 0
	v_min3_f32 v61, v62, v63, v126
	v_pk_add_f32 v[62:63], v[10:11], v[54:55]
	s_nop 0
	v_min_f32_e32 v62, v62, v63
	v_min3_f32 v62, v60, v62, v61
	v_lshl_add_u64 v[60:61], v[76:77], 2, v[56:57]
	global_store_dword v[60:61], v62, off
	s_or_b64 exec, exec, s[26:27]
	s_and_b64 s[26:27], s[16:17], s[18:19]
	s_and_saveexec_b64 s[18:19], s[26:27]
	s_cbranch_execz .LBB26_172
.LBB26_168:
	s_and_b64 vcc, exec, s[0:1]
	s_cbranch_vccnz .LBB26_170
; %bb.169:
	v_lshl_add_u64 v[58:59], v[78:79], 2, v[58:59]
	flat_load_dword v58, v[58:59]
	s_waitcnt vmcnt(0) lgkmcnt(0)
	v_mul_f32_e32 v58, s30, v58
	s_branch .LBB26_171
.LBB26_170:
	v_mov_b32_e32 v58, 0
.LBB26_171:
	v_pk_add_f32 v[52:53], v[0:1], v[52:53]
	s_nop 0
	v_min3_f32 v59, v52, v53, v125
	v_pk_add_f32 v[52:53], v[2:3], v[54:55]
	s_nop 0
	v_min_f32_e32 v52, v52, v53
	v_min3_f32 v54, v58, v52, v59
	v_lshl_add_u64 v[52:53], v[78:79], 2, v[56:57]
	global_store_dword v[52:53], v54, off
.LBB26_172:
	s_or_b64 exec, exec, s[18:19]
	v_add_u32_e32 v56, 0x60, v124
	v_mad_i64_i32 v[52:53], s[26:27], v56, s29, 0
	v_cmp_gt_i32_e64 s[18:19], s21, v56
	v_lshl_add_u64 v[54:55], v[52:53], 2, s[24:25]
	v_mad_i64_i32 v[52:53], s[26:27], v56, s28, 0
	v_lshl_add_u64 v[52:53], v[52:53], 2, s[22:23]
	s_and_b64 s[34:35], s[2:3], s[18:19]
	s_and_saveexec_b64 s[26:27], s[34:35]
	s_cbranch_execnz .LBB26_180
; %bb.173:
	s_or_b64 exec, exec, s[26:27]
	s_and_b64 s[34:35], s[4:5], s[18:19]
	s_and_saveexec_b64 s[26:27], s[34:35]
	s_cbranch_execnz .LBB26_184
.LBB26_174:
	s_or_b64 exec, exec, s[26:27]
	s_and_b64 s[34:35], s[6:7], s[18:19]
	s_and_saveexec_b64 s[26:27], s[34:35]
	s_cbranch_execnz .LBB26_188
.LBB26_175:
	s_or_b64 exec, exec, s[26:27]
	s_and_b64 s[34:35], s[8:9], s[18:19]
	s_and_saveexec_b64 s[26:27], s[34:35]
	s_cbranch_execnz .LBB26_192
.LBB26_176:
	s_or_b64 exec, exec, s[26:27]
	s_and_b64 s[34:35], s[10:11], s[18:19]
	s_and_saveexec_b64 s[26:27], s[34:35]
	s_cbranch_execnz .LBB26_196
.LBB26_177:
	s_or_b64 exec, exec, s[26:27]
	s_and_b64 s[34:35], s[12:13], s[18:19]
	s_and_saveexec_b64 s[26:27], s[34:35]
	s_cbranch_execnz .LBB26_200
.LBB26_178:
	s_or_b64 exec, exec, s[26:27]
	s_and_b64 s[34:35], s[14:15], s[18:19]
	s_and_saveexec_b64 s[26:27], s[34:35]
	s_cbranch_execnz .LBB26_204
.LBB26_179:
	s_or_b64 exec, exec, s[26:27]
	s_and_b64 s[26:27], s[16:17], s[18:19]
	s_and_saveexec_b64 s[18:19], s[26:27]
	s_cbranch_execnz .LBB26_208
	s_branch .LBB26_212
.LBB26_180:
	s_and_b64 vcc, exec, s[0:1]
	s_cbranch_vccnz .LBB26_182
; %bb.181:
	v_lshl_add_u64 v[56:57], v[64:65], 2, v[54:55]
	flat_load_dword v56, v[56:57]
	s_waitcnt vmcnt(0) lgkmcnt(0)
	v_mul_f32_e32 v56, s30, v56
	s_branch .LBB26_183
.LBB26_182:
	v_mov_b32_e32 v56, 0
.LBB26_183:
	v_pk_add_f32 v[58:59], v[32:33], v[48:49]
	s_nop 0
	v_min3_f32 v57, v58, v59, v123
	v_pk_add_f32 v[58:59], v[34:35], v[50:51]
	s_nop 0
	v_min_f32_e32 v58, v58, v59
	v_min3_f32 v58, v56, v58, v57
	v_lshl_add_u64 v[56:57], v[64:65], 2, v[52:53]
	global_store_dword v[56:57], v58, off
	s_or_b64 exec, exec, s[26:27]
	s_and_b64 s[34:35], s[4:5], s[18:19]
	s_and_saveexec_b64 s[26:27], s[34:35]
	s_cbranch_execz .LBB26_174
.LBB26_184:
	s_and_b64 vcc, exec, s[0:1]
	s_cbranch_vccnz .LBB26_186
; %bb.185:
	v_lshl_add_u64 v[56:57], v[66:67], 2, v[54:55]
	flat_load_dword v56, v[56:57]
	s_waitcnt vmcnt(0) lgkmcnt(0)
	v_mul_f32_e32 v56, s30, v56
	s_branch .LBB26_187
.LBB26_186:
	v_mov_b32_e32 v56, 0
.LBB26_187:
	v_pk_add_f32 v[58:59], v[28:29], v[48:49]
	s_nop 0
	v_min3_f32 v57, v58, v59, v122
	v_pk_add_f32 v[58:59], v[30:31], v[50:51]
	s_nop 0
	v_min_f32_e32 v58, v58, v59
	v_min3_f32 v58, v56, v58, v57
	v_lshl_add_u64 v[56:57], v[66:67], 2, v[52:53]
	global_store_dword v[56:57], v58, off
	s_or_b64 exec, exec, s[26:27]
	s_and_b64 s[34:35], s[6:7], s[18:19]
	s_and_saveexec_b64 s[26:27], s[34:35]
	s_cbranch_execz .LBB26_175
.LBB26_188:
	s_and_b64 vcc, exec, s[0:1]
	s_cbranch_vccnz .LBB26_190
; %bb.189:
	v_lshl_add_u64 v[56:57], v[68:69], 2, v[54:55]
	flat_load_dword v56, v[56:57]
	s_waitcnt vmcnt(0) lgkmcnt(0)
	v_mul_f32_e32 v56, s30, v56
	s_branch .LBB26_191
.LBB26_190:
	v_mov_b32_e32 v56, 0
.LBB26_191:
	v_pk_add_f32 v[58:59], v[24:25], v[48:49]
	s_nop 0
	v_min3_f32 v57, v58, v59, v121
	v_pk_add_f32 v[58:59], v[26:27], v[50:51]
	s_nop 0
	v_min_f32_e32 v58, v58, v59
	v_min3_f32 v58, v56, v58, v57
	v_lshl_add_u64 v[56:57], v[68:69], 2, v[52:53]
	global_store_dword v[56:57], v58, off
	s_or_b64 exec, exec, s[26:27]
	s_and_b64 s[34:35], s[8:9], s[18:19]
	s_and_saveexec_b64 s[26:27], s[34:35]
	s_cbranch_execz .LBB26_176
.LBB26_192:
	s_and_b64 vcc, exec, s[0:1]
	s_cbranch_vccnz .LBB26_194
; %bb.193:
	v_lshl_add_u64 v[56:57], v[70:71], 2, v[54:55]
	flat_load_dword v56, v[56:57]
	s_waitcnt vmcnt(0) lgkmcnt(0)
	v_mul_f32_e32 v56, s30, v56
	s_branch .LBB26_195
.LBB26_194:
	v_mov_b32_e32 v56, 0
.LBB26_195:
	v_pk_add_f32 v[58:59], v[20:21], v[48:49]
	s_nop 0
	v_min3_f32 v57, v58, v59, v120
	v_pk_add_f32 v[58:59], v[22:23], v[50:51]
	s_nop 0
	v_min_f32_e32 v58, v58, v59
	v_min3_f32 v58, v56, v58, v57
	v_lshl_add_u64 v[56:57], v[70:71], 2, v[52:53]
	global_store_dword v[56:57], v58, off
	s_or_b64 exec, exec, s[26:27]
	s_and_b64 s[34:35], s[10:11], s[18:19]
	s_and_saveexec_b64 s[26:27], s[34:35]
	s_cbranch_execz .LBB26_177
.LBB26_196:
	s_and_b64 vcc, exec, s[0:1]
	s_cbranch_vccnz .LBB26_198
; %bb.197:
	v_lshl_add_u64 v[56:57], v[72:73], 2, v[54:55]
	flat_load_dword v56, v[56:57]
	s_waitcnt vmcnt(0) lgkmcnt(0)
	v_mul_f32_e32 v56, s30, v56
	s_branch .LBB26_199
.LBB26_198:
	v_mov_b32_e32 v56, 0
.LBB26_199:
	v_pk_add_f32 v[58:59], v[16:17], v[48:49]
	s_nop 0
	v_min3_f32 v57, v58, v59, v119
	v_pk_add_f32 v[58:59], v[18:19], v[50:51]
	s_nop 0
	v_min_f32_e32 v58, v58, v59
	v_min3_f32 v58, v56, v58, v57
	v_lshl_add_u64 v[56:57], v[72:73], 2, v[52:53]
	global_store_dword v[56:57], v58, off
	s_or_b64 exec, exec, s[26:27]
	s_and_b64 s[34:35], s[12:13], s[18:19]
	s_and_saveexec_b64 s[26:27], s[34:35]
	s_cbranch_execz .LBB26_178
.LBB26_200:
	s_and_b64 vcc, exec, s[0:1]
	s_cbranch_vccnz .LBB26_202
; %bb.201:
	v_lshl_add_u64 v[56:57], v[74:75], 2, v[54:55]
	flat_load_dword v56, v[56:57]
	s_waitcnt vmcnt(0) lgkmcnt(0)
	v_mul_f32_e32 v56, s30, v56
	s_branch .LBB26_203
.LBB26_202:
	v_mov_b32_e32 v56, 0
.LBB26_203:
	v_pk_add_f32 v[58:59], v[12:13], v[48:49]
	s_nop 0
	v_min3_f32 v57, v58, v59, v118
	v_pk_add_f32 v[58:59], v[14:15], v[50:51]
	s_nop 0
	v_min_f32_e32 v58, v58, v59
	v_min3_f32 v58, v56, v58, v57
	v_lshl_add_u64 v[56:57], v[74:75], 2, v[52:53]
	global_store_dword v[56:57], v58, off
	s_or_b64 exec, exec, s[26:27]
	s_and_b64 s[34:35], s[14:15], s[18:19]
	s_and_saveexec_b64 s[26:27], s[34:35]
	s_cbranch_execz .LBB26_179
.LBB26_204:
	s_and_b64 vcc, exec, s[0:1]
	s_cbranch_vccnz .LBB26_206
; %bb.205:
	v_lshl_add_u64 v[56:57], v[76:77], 2, v[54:55]
	flat_load_dword v56, v[56:57]
	s_waitcnt vmcnt(0) lgkmcnt(0)
	v_mul_f32_e32 v56, s30, v56
	s_branch .LBB26_207
.LBB26_206:
	v_mov_b32_e32 v56, 0
.LBB26_207:
	v_pk_add_f32 v[58:59], v[8:9], v[48:49]
	s_nop 0
	v_min3_f32 v57, v58, v59, v117
	v_pk_add_f32 v[58:59], v[10:11], v[50:51]
	s_nop 0
	v_min_f32_e32 v58, v58, v59
	v_min3_f32 v58, v56, v58, v57
	v_lshl_add_u64 v[56:57], v[76:77], 2, v[52:53]
	global_store_dword v[56:57], v58, off
	s_or_b64 exec, exec, s[26:27]
	s_and_b64 s[26:27], s[16:17], s[18:19]
	s_and_saveexec_b64 s[18:19], s[26:27]
	s_cbranch_execz .LBB26_212
.LBB26_208:
	s_and_b64 vcc, exec, s[0:1]
	s_cbranch_vccnz .LBB26_210
; %bb.209:
	v_lshl_add_u64 v[54:55], v[78:79], 2, v[54:55]
	flat_load_dword v54, v[54:55]
	s_waitcnt vmcnt(0) lgkmcnt(0)
	v_mul_f32_e32 v54, s30, v54
	s_branch .LBB26_211
.LBB26_210:
	v_mov_b32_e32 v54, 0
.LBB26_211:
	v_pk_add_f32 v[48:49], v[0:1], v[48:49]
	s_nop 0
	v_min3_f32 v55, v48, v49, v116
	v_pk_add_f32 v[48:49], v[2:3], v[50:51]
	s_nop 0
	v_min_f32_e32 v48, v48, v49
	v_min3_f32 v50, v54, v48, v55
	v_lshl_add_u64 v[48:49], v[78:79], 2, v[52:53]
	global_store_dword v[48:49], v50, off
.LBB26_212:
	s_or_b64 exec, exec, s[18:19]
	v_add_u32_e32 v52, 0x80, v124
	v_mad_i64_i32 v[48:49], s[26:27], v52, s29, 0
	v_cmp_gt_i32_e64 s[18:19], s21, v52
	v_lshl_add_u64 v[50:51], v[48:49], 2, s[24:25]
	v_mad_i64_i32 v[48:49], s[26:27], v52, s28, 0
	v_lshl_add_u64 v[48:49], v[48:49], 2, s[22:23]
	s_and_b64 s[34:35], s[2:3], s[18:19]
	s_and_saveexec_b64 s[26:27], s[34:35]
	s_cbranch_execnz .LBB26_220
; %bb.213:
	s_or_b64 exec, exec, s[26:27]
	s_and_b64 s[34:35], s[4:5], s[18:19]
	s_and_saveexec_b64 s[26:27], s[34:35]
	s_cbranch_execnz .LBB26_224
.LBB26_214:
	s_or_b64 exec, exec, s[26:27]
	s_and_b64 s[34:35], s[6:7], s[18:19]
	s_and_saveexec_b64 s[26:27], s[34:35]
	s_cbranch_execnz .LBB26_228
.LBB26_215:
	s_or_b64 exec, exec, s[26:27]
	s_and_b64 s[34:35], s[8:9], s[18:19]
	s_and_saveexec_b64 s[26:27], s[34:35]
	s_cbranch_execnz .LBB26_232
.LBB26_216:
	s_or_b64 exec, exec, s[26:27]
	s_and_b64 s[34:35], s[10:11], s[18:19]
	s_and_saveexec_b64 s[26:27], s[34:35]
	s_cbranch_execnz .LBB26_236
.LBB26_217:
	s_or_b64 exec, exec, s[26:27]
	s_and_b64 s[34:35], s[12:13], s[18:19]
	s_and_saveexec_b64 s[26:27], s[34:35]
	s_cbranch_execnz .LBB26_240
.LBB26_218:
	s_or_b64 exec, exec, s[26:27]
	s_and_b64 s[34:35], s[14:15], s[18:19]
	s_and_saveexec_b64 s[26:27], s[34:35]
	s_cbranch_execnz .LBB26_244
.LBB26_219:
	s_or_b64 exec, exec, s[26:27]
	s_and_b64 s[26:27], s[16:17], s[18:19]
	s_and_saveexec_b64 s[18:19], s[26:27]
	s_cbranch_execnz .LBB26_248
	s_branch .LBB26_252
.LBB26_220:
	s_and_b64 vcc, exec, s[0:1]
	s_cbranch_vccnz .LBB26_222
; %bb.221:
	v_lshl_add_u64 v[52:53], v[64:65], 2, v[50:51]
	flat_load_dword v52, v[52:53]
	s_waitcnt vmcnt(0) lgkmcnt(0)
	v_mul_f32_e32 v52, s30, v52
	s_branch .LBB26_223
.LBB26_222:
	v_mov_b32_e32 v52, 0
.LBB26_223:
	v_pk_add_f32 v[54:55], v[32:33], v[44:45]
	s_nop 0
	v_min3_f32 v53, v54, v55, v115
	v_pk_add_f32 v[54:55], v[34:35], v[46:47]
	s_nop 0
	v_min_f32_e32 v54, v54, v55
	v_min3_f32 v54, v52, v54, v53
	v_lshl_add_u64 v[52:53], v[64:65], 2, v[48:49]
	global_store_dword v[52:53], v54, off
	s_or_b64 exec, exec, s[26:27]
	s_and_b64 s[34:35], s[4:5], s[18:19]
	s_and_saveexec_b64 s[26:27], s[34:35]
	s_cbranch_execz .LBB26_214
.LBB26_224:
	s_and_b64 vcc, exec, s[0:1]
	s_cbranch_vccnz .LBB26_226
; %bb.225:
	v_lshl_add_u64 v[52:53], v[66:67], 2, v[50:51]
	flat_load_dword v52, v[52:53]
	s_waitcnt vmcnt(0) lgkmcnt(0)
	v_mul_f32_e32 v52, s30, v52
	s_branch .LBB26_227
.LBB26_226:
	v_mov_b32_e32 v52, 0
.LBB26_227:
	v_pk_add_f32 v[54:55], v[28:29], v[44:45]
	s_nop 0
	v_min3_f32 v53, v54, v55, v114
	v_pk_add_f32 v[54:55], v[30:31], v[46:47]
	s_nop 0
	v_min_f32_e32 v54, v54, v55
	v_min3_f32 v54, v52, v54, v53
	v_lshl_add_u64 v[52:53], v[66:67], 2, v[48:49]
	global_store_dword v[52:53], v54, off
	s_or_b64 exec, exec, s[26:27]
	s_and_b64 s[34:35], s[6:7], s[18:19]
	s_and_saveexec_b64 s[26:27], s[34:35]
	s_cbranch_execz .LBB26_215
.LBB26_228:
	s_and_b64 vcc, exec, s[0:1]
	s_cbranch_vccnz .LBB26_230
; %bb.229:
	v_lshl_add_u64 v[52:53], v[68:69], 2, v[50:51]
	flat_load_dword v52, v[52:53]
	s_waitcnt vmcnt(0) lgkmcnt(0)
	v_mul_f32_e32 v52, s30, v52
	s_branch .LBB26_231
.LBB26_230:
	v_mov_b32_e32 v52, 0
.LBB26_231:
	v_pk_add_f32 v[54:55], v[24:25], v[44:45]
	s_nop 0
	v_min3_f32 v53, v54, v55, v113
	v_pk_add_f32 v[54:55], v[26:27], v[46:47]
	s_nop 0
	v_min_f32_e32 v54, v54, v55
	v_min3_f32 v54, v52, v54, v53
	v_lshl_add_u64 v[52:53], v[68:69], 2, v[48:49]
	global_store_dword v[52:53], v54, off
	s_or_b64 exec, exec, s[26:27]
	s_and_b64 s[34:35], s[8:9], s[18:19]
	s_and_saveexec_b64 s[26:27], s[34:35]
	s_cbranch_execz .LBB26_216
.LBB26_232:
	s_and_b64 vcc, exec, s[0:1]
	s_cbranch_vccnz .LBB26_234
; %bb.233:
	v_lshl_add_u64 v[52:53], v[70:71], 2, v[50:51]
	flat_load_dword v52, v[52:53]
	s_waitcnt vmcnt(0) lgkmcnt(0)
	v_mul_f32_e32 v52, s30, v52
	s_branch .LBB26_235
.LBB26_234:
	v_mov_b32_e32 v52, 0
.LBB26_235:
	v_pk_add_f32 v[54:55], v[20:21], v[44:45]
	s_nop 0
	v_min3_f32 v53, v54, v55, v112
	v_pk_add_f32 v[54:55], v[22:23], v[46:47]
	s_nop 0
	v_min_f32_e32 v54, v54, v55
	v_min3_f32 v54, v52, v54, v53
	v_lshl_add_u64 v[52:53], v[70:71], 2, v[48:49]
	global_store_dword v[52:53], v54, off
	s_or_b64 exec, exec, s[26:27]
	s_and_b64 s[34:35], s[10:11], s[18:19]
	s_and_saveexec_b64 s[26:27], s[34:35]
	s_cbranch_execz .LBB26_217
.LBB26_236:
	s_and_b64 vcc, exec, s[0:1]
	s_cbranch_vccnz .LBB26_238
; %bb.237:
	v_lshl_add_u64 v[52:53], v[72:73], 2, v[50:51]
	flat_load_dword v52, v[52:53]
	s_waitcnt vmcnt(0) lgkmcnt(0)
	v_mul_f32_e32 v52, s30, v52
	s_branch .LBB26_239
.LBB26_238:
	v_mov_b32_e32 v52, 0
.LBB26_239:
	v_pk_add_f32 v[54:55], v[16:17], v[44:45]
	s_nop 0
	v_min3_f32 v53, v54, v55, v111
	v_pk_add_f32 v[54:55], v[18:19], v[46:47]
	s_nop 0
	v_min_f32_e32 v54, v54, v55
	v_min3_f32 v54, v52, v54, v53
	v_lshl_add_u64 v[52:53], v[72:73], 2, v[48:49]
	global_store_dword v[52:53], v54, off
	s_or_b64 exec, exec, s[26:27]
	s_and_b64 s[34:35], s[12:13], s[18:19]
	s_and_saveexec_b64 s[26:27], s[34:35]
	s_cbranch_execz .LBB26_218
.LBB26_240:
	s_and_b64 vcc, exec, s[0:1]
	s_cbranch_vccnz .LBB26_242
; %bb.241:
	v_lshl_add_u64 v[52:53], v[74:75], 2, v[50:51]
	flat_load_dword v52, v[52:53]
	s_waitcnt vmcnt(0) lgkmcnt(0)
	v_mul_f32_e32 v52, s30, v52
	s_branch .LBB26_243
.LBB26_242:
	v_mov_b32_e32 v52, 0
.LBB26_243:
	v_pk_add_f32 v[54:55], v[12:13], v[44:45]
	s_nop 0
	v_min3_f32 v53, v54, v55, v110
	v_pk_add_f32 v[54:55], v[14:15], v[46:47]
	s_nop 0
	v_min_f32_e32 v54, v54, v55
	v_min3_f32 v54, v52, v54, v53
	v_lshl_add_u64 v[52:53], v[74:75], 2, v[48:49]
	global_store_dword v[52:53], v54, off
	s_or_b64 exec, exec, s[26:27]
	s_and_b64 s[34:35], s[14:15], s[18:19]
	s_and_saveexec_b64 s[26:27], s[34:35]
	s_cbranch_execz .LBB26_219
.LBB26_244:
	s_and_b64 vcc, exec, s[0:1]
	s_cbranch_vccnz .LBB26_246
; %bb.245:
	v_lshl_add_u64 v[52:53], v[76:77], 2, v[50:51]
	flat_load_dword v52, v[52:53]
	s_waitcnt vmcnt(0) lgkmcnt(0)
	v_mul_f32_e32 v52, s30, v52
	s_branch .LBB26_247
.LBB26_246:
	v_mov_b32_e32 v52, 0
.LBB26_247:
	v_pk_add_f32 v[54:55], v[8:9], v[44:45]
	s_nop 0
	v_min3_f32 v53, v54, v55, v109
	v_pk_add_f32 v[54:55], v[10:11], v[46:47]
	s_nop 0
	v_min_f32_e32 v54, v54, v55
	v_min3_f32 v54, v52, v54, v53
	v_lshl_add_u64 v[52:53], v[76:77], 2, v[48:49]
	global_store_dword v[52:53], v54, off
	s_or_b64 exec, exec, s[26:27]
	s_and_b64 s[26:27], s[16:17], s[18:19]
	s_and_saveexec_b64 s[18:19], s[26:27]
	s_cbranch_execz .LBB26_252
.LBB26_248:
	s_and_b64 vcc, exec, s[0:1]
	s_cbranch_vccnz .LBB26_250
; %bb.249:
	v_lshl_add_u64 v[50:51], v[78:79], 2, v[50:51]
	flat_load_dword v50, v[50:51]
	s_waitcnt vmcnt(0) lgkmcnt(0)
	v_mul_f32_e32 v50, s30, v50
	s_branch .LBB26_251
.LBB26_250:
	v_mov_b32_e32 v50, 0
.LBB26_251:
	v_pk_add_f32 v[44:45], v[0:1], v[44:45]
	s_nop 0
	v_min3_f32 v51, v44, v45, v108
	v_pk_add_f32 v[44:45], v[2:3], v[46:47]
	s_nop 0
	v_min_f32_e32 v44, v44, v45
	v_min3_f32 v46, v50, v44, v51
	v_lshl_add_u64 v[44:45], v[78:79], 2, v[48:49]
	global_store_dword v[44:45], v46, off
.LBB26_252:
	s_or_b64 exec, exec, s[18:19]
	v_add_u32_e32 v48, 0xa0, v124
	v_mad_i64_i32 v[44:45], s[26:27], v48, s29, 0
	v_cmp_gt_i32_e64 s[18:19], s21, v48
	v_lshl_add_u64 v[46:47], v[44:45], 2, s[24:25]
	v_mad_i64_i32 v[44:45], s[26:27], v48, s28, 0
	v_lshl_add_u64 v[44:45], v[44:45], 2, s[22:23]
	s_and_b64 s[34:35], s[2:3], s[18:19]
	s_and_saveexec_b64 s[26:27], s[34:35]
	s_cbranch_execnz .LBB26_260
; %bb.253:
	s_or_b64 exec, exec, s[26:27]
	s_and_b64 s[34:35], s[4:5], s[18:19]
	s_and_saveexec_b64 s[26:27], s[34:35]
	s_cbranch_execnz .LBB26_264
.LBB26_254:
	s_or_b64 exec, exec, s[26:27]
	s_and_b64 s[34:35], s[6:7], s[18:19]
	s_and_saveexec_b64 s[26:27], s[34:35]
	s_cbranch_execnz .LBB26_268
.LBB26_255:
	s_or_b64 exec, exec, s[26:27]
	s_and_b64 s[34:35], s[8:9], s[18:19]
	s_and_saveexec_b64 s[26:27], s[34:35]
	s_cbranch_execnz .LBB26_272
.LBB26_256:
	s_or_b64 exec, exec, s[26:27]
	s_and_b64 s[34:35], s[10:11], s[18:19]
	s_and_saveexec_b64 s[26:27], s[34:35]
	s_cbranch_execnz .LBB26_276
.LBB26_257:
	s_or_b64 exec, exec, s[26:27]
	s_and_b64 s[34:35], s[12:13], s[18:19]
	s_and_saveexec_b64 s[26:27], s[34:35]
	s_cbranch_execnz .LBB26_280
.LBB26_258:
	s_or_b64 exec, exec, s[26:27]
	s_and_b64 s[34:35], s[14:15], s[18:19]
	s_and_saveexec_b64 s[26:27], s[34:35]
	s_cbranch_execnz .LBB26_284
.LBB26_259:
	s_or_b64 exec, exec, s[26:27]
	s_and_b64 s[26:27], s[16:17], s[18:19]
	s_and_saveexec_b64 s[18:19], s[26:27]
	s_cbranch_execnz .LBB26_288
	s_branch .LBB26_292
.LBB26_260:
	s_and_b64 vcc, exec, s[0:1]
	s_cbranch_vccnz .LBB26_262
; %bb.261:
	v_lshl_add_u64 v[48:49], v[64:65], 2, v[46:47]
	flat_load_dword v48, v[48:49]
	s_waitcnt vmcnt(0) lgkmcnt(0)
	v_mul_f32_e32 v48, s30, v48
	s_branch .LBB26_263
.LBB26_262:
	v_mov_b32_e32 v48, 0
.LBB26_263:
	v_pk_add_f32 v[50:51], v[32:33], v[40:41]
	s_nop 0
	v_min3_f32 v49, v50, v51, v107
	v_pk_add_f32 v[50:51], v[34:35], v[42:43]
	s_nop 0
	v_min_f32_e32 v50, v50, v51
	v_min3_f32 v50, v48, v50, v49
	v_lshl_add_u64 v[48:49], v[64:65], 2, v[44:45]
	global_store_dword v[48:49], v50, off
	s_or_b64 exec, exec, s[26:27]
	s_and_b64 s[34:35], s[4:5], s[18:19]
	s_and_saveexec_b64 s[26:27], s[34:35]
	s_cbranch_execz .LBB26_254
.LBB26_264:
	s_and_b64 vcc, exec, s[0:1]
	s_cbranch_vccnz .LBB26_266
; %bb.265:
	v_lshl_add_u64 v[48:49], v[66:67], 2, v[46:47]
	flat_load_dword v48, v[48:49]
	s_waitcnt vmcnt(0) lgkmcnt(0)
	v_mul_f32_e32 v48, s30, v48
	s_branch .LBB26_267
.LBB26_266:
	v_mov_b32_e32 v48, 0
.LBB26_267:
	v_pk_add_f32 v[50:51], v[28:29], v[40:41]
	s_nop 0
	v_min3_f32 v49, v50, v51, v106
	v_pk_add_f32 v[50:51], v[30:31], v[42:43]
	s_nop 0
	v_min_f32_e32 v50, v50, v51
	v_min3_f32 v50, v48, v50, v49
	v_lshl_add_u64 v[48:49], v[66:67], 2, v[44:45]
	global_store_dword v[48:49], v50, off
	s_or_b64 exec, exec, s[26:27]
	s_and_b64 s[34:35], s[6:7], s[18:19]
	s_and_saveexec_b64 s[26:27], s[34:35]
	s_cbranch_execz .LBB26_255
.LBB26_268:
	s_and_b64 vcc, exec, s[0:1]
	s_cbranch_vccnz .LBB26_270
; %bb.269:
	v_lshl_add_u64 v[48:49], v[68:69], 2, v[46:47]
	flat_load_dword v48, v[48:49]
	s_waitcnt vmcnt(0) lgkmcnt(0)
	v_mul_f32_e32 v48, s30, v48
	s_branch .LBB26_271
.LBB26_270:
	v_mov_b32_e32 v48, 0
.LBB26_271:
	v_pk_add_f32 v[50:51], v[24:25], v[40:41]
	s_nop 0
	v_min3_f32 v49, v50, v51, v105
	v_pk_add_f32 v[50:51], v[26:27], v[42:43]
	s_nop 0
	v_min_f32_e32 v50, v50, v51
	v_min3_f32 v50, v48, v50, v49
	v_lshl_add_u64 v[48:49], v[68:69], 2, v[44:45]
	global_store_dword v[48:49], v50, off
	s_or_b64 exec, exec, s[26:27]
	s_and_b64 s[34:35], s[8:9], s[18:19]
	s_and_saveexec_b64 s[26:27], s[34:35]
	s_cbranch_execz .LBB26_256
.LBB26_272:
	s_and_b64 vcc, exec, s[0:1]
	s_cbranch_vccnz .LBB26_274
; %bb.273:
	v_lshl_add_u64 v[48:49], v[70:71], 2, v[46:47]
	flat_load_dword v48, v[48:49]
	s_waitcnt vmcnt(0) lgkmcnt(0)
	v_mul_f32_e32 v48, s30, v48
	s_branch .LBB26_275
.LBB26_274:
	v_mov_b32_e32 v48, 0
.LBB26_275:
	v_pk_add_f32 v[50:51], v[20:21], v[40:41]
	s_nop 0
	v_min3_f32 v49, v50, v51, v104
	v_pk_add_f32 v[50:51], v[22:23], v[42:43]
	s_nop 0
	v_min_f32_e32 v50, v50, v51
	v_min3_f32 v50, v48, v50, v49
	v_lshl_add_u64 v[48:49], v[70:71], 2, v[44:45]
	global_store_dword v[48:49], v50, off
	s_or_b64 exec, exec, s[26:27]
	s_and_b64 s[34:35], s[10:11], s[18:19]
	s_and_saveexec_b64 s[26:27], s[34:35]
	s_cbranch_execz .LBB26_257
.LBB26_276:
	s_and_b64 vcc, exec, s[0:1]
	s_cbranch_vccnz .LBB26_278
; %bb.277:
	v_lshl_add_u64 v[48:49], v[72:73], 2, v[46:47]
	flat_load_dword v48, v[48:49]
	s_waitcnt vmcnt(0) lgkmcnt(0)
	v_mul_f32_e32 v48, s30, v48
	s_branch .LBB26_279
.LBB26_278:
	v_mov_b32_e32 v48, 0
.LBB26_279:
	v_pk_add_f32 v[50:51], v[16:17], v[40:41]
	s_nop 0
	v_min3_f32 v49, v50, v51, v103
	v_pk_add_f32 v[50:51], v[18:19], v[42:43]
	s_nop 0
	v_min_f32_e32 v50, v50, v51
	v_min3_f32 v50, v48, v50, v49
	v_lshl_add_u64 v[48:49], v[72:73], 2, v[44:45]
	global_store_dword v[48:49], v50, off
	s_or_b64 exec, exec, s[26:27]
	s_and_b64 s[34:35], s[12:13], s[18:19]
	s_and_saveexec_b64 s[26:27], s[34:35]
	s_cbranch_execz .LBB26_258
.LBB26_280:
	s_and_b64 vcc, exec, s[0:1]
	s_cbranch_vccnz .LBB26_282
; %bb.281:
	v_lshl_add_u64 v[48:49], v[74:75], 2, v[46:47]
	flat_load_dword v48, v[48:49]
	s_waitcnt vmcnt(0) lgkmcnt(0)
	v_mul_f32_e32 v48, s30, v48
	s_branch .LBB26_283
.LBB26_282:
	v_mov_b32_e32 v48, 0
.LBB26_283:
	v_pk_add_f32 v[50:51], v[12:13], v[40:41]
	s_nop 0
	v_min3_f32 v49, v50, v51, v102
	v_pk_add_f32 v[50:51], v[14:15], v[42:43]
	s_nop 0
	v_min_f32_e32 v50, v50, v51
	v_min3_f32 v50, v48, v50, v49
	v_lshl_add_u64 v[48:49], v[74:75], 2, v[44:45]
	global_store_dword v[48:49], v50, off
	s_or_b64 exec, exec, s[26:27]
	s_and_b64 s[34:35], s[14:15], s[18:19]
	s_and_saveexec_b64 s[26:27], s[34:35]
	s_cbranch_execz .LBB26_259
.LBB26_284:
	s_and_b64 vcc, exec, s[0:1]
	s_cbranch_vccnz .LBB26_286
; %bb.285:
	v_lshl_add_u64 v[48:49], v[76:77], 2, v[46:47]
	flat_load_dword v48, v[48:49]
	s_waitcnt vmcnt(0) lgkmcnt(0)
	v_mul_f32_e32 v48, s30, v48
	s_branch .LBB26_287
.LBB26_286:
	v_mov_b32_e32 v48, 0
.LBB26_287:
	v_pk_add_f32 v[50:51], v[8:9], v[40:41]
	s_nop 0
	v_min3_f32 v49, v50, v51, v101
	v_pk_add_f32 v[50:51], v[10:11], v[42:43]
	s_nop 0
	v_min_f32_e32 v50, v50, v51
	v_min3_f32 v50, v48, v50, v49
	v_lshl_add_u64 v[48:49], v[76:77], 2, v[44:45]
	global_store_dword v[48:49], v50, off
	s_or_b64 exec, exec, s[26:27]
	s_and_b64 s[26:27], s[16:17], s[18:19]
	s_and_saveexec_b64 s[18:19], s[26:27]
	s_cbranch_execz .LBB26_292
.LBB26_288:
	s_and_b64 vcc, exec, s[0:1]
	s_cbranch_vccnz .LBB26_290
; %bb.289:
	v_lshl_add_u64 v[46:47], v[78:79], 2, v[46:47]
	flat_load_dword v46, v[46:47]
	s_waitcnt vmcnt(0) lgkmcnt(0)
	v_mul_f32_e32 v46, s30, v46
	s_branch .LBB26_291
.LBB26_290:
	v_mov_b32_e32 v46, 0
.LBB26_291:
	v_pk_add_f32 v[40:41], v[0:1], v[40:41]
	s_nop 0
	v_min3_f32 v47, v40, v41, v100
	v_pk_add_f32 v[40:41], v[2:3], v[42:43]
	s_nop 0
	v_min_f32_e32 v40, v40, v41
	v_min3_f32 v42, v46, v40, v47
	v_lshl_add_u64 v[40:41], v[78:79], 2, v[44:45]
	global_store_dword v[40:41], v42, off
.LBB26_292:
	s_or_b64 exec, exec, s[18:19]
	v_add_u32_e32 v44, 0xc0, v124
	v_mad_i64_i32 v[40:41], s[26:27], v44, s29, 0
	v_cmp_gt_i32_e64 s[18:19], s21, v44
	v_lshl_add_u64 v[42:43], v[40:41], 2, s[24:25]
	v_mad_i64_i32 v[40:41], s[26:27], v44, s28, 0
	v_lshl_add_u64 v[40:41], v[40:41], 2, s[22:23]
	s_and_b64 s[34:35], s[2:3], s[18:19]
	s_and_saveexec_b64 s[26:27], s[34:35]
	s_cbranch_execnz .LBB26_300
; %bb.293:
	s_or_b64 exec, exec, s[26:27]
	s_and_b64 s[34:35], s[4:5], s[18:19]
	s_and_saveexec_b64 s[26:27], s[34:35]
	s_cbranch_execnz .LBB26_304
.LBB26_294:
	s_or_b64 exec, exec, s[26:27]
	s_and_b64 s[34:35], s[6:7], s[18:19]
	s_and_saveexec_b64 s[26:27], s[34:35]
	s_cbranch_execnz .LBB26_308
.LBB26_295:
	s_or_b64 exec, exec, s[26:27]
	s_and_b64 s[34:35], s[8:9], s[18:19]
	s_and_saveexec_b64 s[26:27], s[34:35]
	s_cbranch_execnz .LBB26_312
.LBB26_296:
	s_or_b64 exec, exec, s[26:27]
	s_and_b64 s[34:35], s[10:11], s[18:19]
	s_and_saveexec_b64 s[26:27], s[34:35]
	s_cbranch_execnz .LBB26_316
.LBB26_297:
	s_or_b64 exec, exec, s[26:27]
	s_and_b64 s[34:35], s[12:13], s[18:19]
	s_and_saveexec_b64 s[26:27], s[34:35]
	s_cbranch_execnz .LBB26_320
.LBB26_298:
	s_or_b64 exec, exec, s[26:27]
	s_and_b64 s[34:35], s[14:15], s[18:19]
	s_and_saveexec_b64 s[26:27], s[34:35]
	s_cbranch_execnz .LBB26_324
.LBB26_299:
	s_or_b64 exec, exec, s[26:27]
	s_and_b64 s[26:27], s[16:17], s[18:19]
	s_and_saveexec_b64 s[18:19], s[26:27]
	s_cbranch_execnz .LBB26_328
	s_branch .LBB26_332
.LBB26_300:
	s_and_b64 vcc, exec, s[0:1]
	s_cbranch_vccnz .LBB26_302
; %bb.301:
	v_lshl_add_u64 v[44:45], v[64:65], 2, v[42:43]
	flat_load_dword v44, v[44:45]
	s_waitcnt vmcnt(0) lgkmcnt(0)
	v_mul_f32_e32 v44, s30, v44
	s_branch .LBB26_303
.LBB26_302:
	v_mov_b32_e32 v44, 0
.LBB26_303:
	v_pk_add_f32 v[46:47], v[32:33], v[36:37]
	s_nop 0
	v_min3_f32 v45, v46, v47, v99
	v_pk_add_f32 v[46:47], v[34:35], v[38:39]
	s_nop 0
	v_min_f32_e32 v46, v46, v47
	v_min3_f32 v46, v44, v46, v45
	v_lshl_add_u64 v[44:45], v[64:65], 2, v[40:41]
	global_store_dword v[44:45], v46, off
	s_or_b64 exec, exec, s[26:27]
	s_and_b64 s[34:35], s[4:5], s[18:19]
	s_and_saveexec_b64 s[26:27], s[34:35]
	s_cbranch_execz .LBB26_294
.LBB26_304:
	s_and_b64 vcc, exec, s[0:1]
	s_cbranch_vccnz .LBB26_306
; %bb.305:
	v_lshl_add_u64 v[44:45], v[66:67], 2, v[42:43]
	flat_load_dword v44, v[44:45]
	s_waitcnt vmcnt(0) lgkmcnt(0)
	v_mul_f32_e32 v44, s30, v44
	s_branch .LBB26_307
.LBB26_306:
	v_mov_b32_e32 v44, 0
.LBB26_307:
	v_pk_add_f32 v[46:47], v[28:29], v[36:37]
	s_nop 0
	v_min3_f32 v45, v46, v47, v98
	v_pk_add_f32 v[46:47], v[30:31], v[38:39]
	s_nop 0
	v_min_f32_e32 v46, v46, v47
	v_min3_f32 v46, v44, v46, v45
	v_lshl_add_u64 v[44:45], v[66:67], 2, v[40:41]
	global_store_dword v[44:45], v46, off
	s_or_b64 exec, exec, s[26:27]
	s_and_b64 s[34:35], s[6:7], s[18:19]
	s_and_saveexec_b64 s[26:27], s[34:35]
	s_cbranch_execz .LBB26_295
.LBB26_308:
	s_and_b64 vcc, exec, s[0:1]
	s_cbranch_vccnz .LBB26_310
; %bb.309:
	v_lshl_add_u64 v[44:45], v[68:69], 2, v[42:43]
	flat_load_dword v44, v[44:45]
	s_waitcnt vmcnt(0) lgkmcnt(0)
	v_mul_f32_e32 v44, s30, v44
	s_branch .LBB26_311
.LBB26_310:
	v_mov_b32_e32 v44, 0
.LBB26_311:
	v_pk_add_f32 v[46:47], v[24:25], v[36:37]
	s_nop 0
	v_min3_f32 v45, v46, v47, v97
	v_pk_add_f32 v[46:47], v[26:27], v[38:39]
	s_nop 0
	v_min_f32_e32 v46, v46, v47
	v_min3_f32 v46, v44, v46, v45
	v_lshl_add_u64 v[44:45], v[68:69], 2, v[40:41]
	global_store_dword v[44:45], v46, off
	s_or_b64 exec, exec, s[26:27]
	s_and_b64 s[34:35], s[8:9], s[18:19]
	s_and_saveexec_b64 s[26:27], s[34:35]
	s_cbranch_execz .LBB26_296
.LBB26_312:
	s_and_b64 vcc, exec, s[0:1]
	s_cbranch_vccnz .LBB26_314
; %bb.313:
	v_lshl_add_u64 v[44:45], v[70:71], 2, v[42:43]
	flat_load_dword v44, v[44:45]
	s_waitcnt vmcnt(0) lgkmcnt(0)
	v_mul_f32_e32 v44, s30, v44
	s_branch .LBB26_315
.LBB26_314:
	v_mov_b32_e32 v44, 0
.LBB26_315:
	v_pk_add_f32 v[46:47], v[20:21], v[36:37]
	s_nop 0
	v_min3_f32 v45, v46, v47, v96
	v_pk_add_f32 v[46:47], v[22:23], v[38:39]
	s_nop 0
	v_min_f32_e32 v46, v46, v47
	v_min3_f32 v46, v44, v46, v45
	v_lshl_add_u64 v[44:45], v[70:71], 2, v[40:41]
	global_store_dword v[44:45], v46, off
	s_or_b64 exec, exec, s[26:27]
	s_and_b64 s[34:35], s[10:11], s[18:19]
	s_and_saveexec_b64 s[26:27], s[34:35]
	s_cbranch_execz .LBB26_297
.LBB26_316:
	s_and_b64 vcc, exec, s[0:1]
	s_cbranch_vccnz .LBB26_318
; %bb.317:
	v_lshl_add_u64 v[44:45], v[72:73], 2, v[42:43]
	flat_load_dword v44, v[44:45]
	s_waitcnt vmcnt(0) lgkmcnt(0)
	v_mul_f32_e32 v44, s30, v44
	s_branch .LBB26_319
.LBB26_318:
	v_mov_b32_e32 v44, 0
.LBB26_319:
	v_pk_add_f32 v[46:47], v[16:17], v[36:37]
	s_nop 0
	v_min3_f32 v45, v46, v47, v95
	v_pk_add_f32 v[46:47], v[18:19], v[38:39]
	s_nop 0
	v_min_f32_e32 v46, v46, v47
	v_min3_f32 v46, v44, v46, v45
	v_lshl_add_u64 v[44:45], v[72:73], 2, v[40:41]
	global_store_dword v[44:45], v46, off
	s_or_b64 exec, exec, s[26:27]
	s_and_b64 s[34:35], s[12:13], s[18:19]
	s_and_saveexec_b64 s[26:27], s[34:35]
	s_cbranch_execz .LBB26_298
.LBB26_320:
	s_and_b64 vcc, exec, s[0:1]
	s_cbranch_vccnz .LBB26_322
; %bb.321:
	v_lshl_add_u64 v[44:45], v[74:75], 2, v[42:43]
	flat_load_dword v44, v[44:45]
	s_waitcnt vmcnt(0) lgkmcnt(0)
	v_mul_f32_e32 v44, s30, v44
	s_branch .LBB26_323
.LBB26_322:
	v_mov_b32_e32 v44, 0
.LBB26_323:
	v_pk_add_f32 v[46:47], v[12:13], v[36:37]
	s_nop 0
	v_min3_f32 v45, v46, v47, v94
	v_pk_add_f32 v[46:47], v[14:15], v[38:39]
	s_nop 0
	v_min_f32_e32 v46, v46, v47
	v_min3_f32 v46, v44, v46, v45
	v_lshl_add_u64 v[44:45], v[74:75], 2, v[40:41]
	global_store_dword v[44:45], v46, off
	s_or_b64 exec, exec, s[26:27]
	s_and_b64 s[34:35], s[14:15], s[18:19]
	s_and_saveexec_b64 s[26:27], s[34:35]
	s_cbranch_execz .LBB26_299
.LBB26_324:
	s_and_b64 vcc, exec, s[0:1]
	s_cbranch_vccnz .LBB26_326
; %bb.325:
	v_lshl_add_u64 v[44:45], v[76:77], 2, v[42:43]
	flat_load_dword v44, v[44:45]
	s_waitcnt vmcnt(0) lgkmcnt(0)
	v_mul_f32_e32 v44, s30, v44
	s_branch .LBB26_327
.LBB26_326:
	v_mov_b32_e32 v44, 0
.LBB26_327:
	v_pk_add_f32 v[46:47], v[8:9], v[36:37]
	s_nop 0
	v_min3_f32 v45, v46, v47, v93
	v_pk_add_f32 v[46:47], v[10:11], v[38:39]
	s_nop 0
	v_min_f32_e32 v46, v46, v47
	v_min3_f32 v46, v44, v46, v45
	v_lshl_add_u64 v[44:45], v[76:77], 2, v[40:41]
	global_store_dword v[44:45], v46, off
	s_or_b64 exec, exec, s[26:27]
	s_and_b64 s[26:27], s[16:17], s[18:19]
	s_and_saveexec_b64 s[18:19], s[26:27]
	s_cbranch_execz .LBB26_332
.LBB26_328:
	s_and_b64 vcc, exec, s[0:1]
	s_cbranch_vccnz .LBB26_330
; %bb.329:
	v_lshl_add_u64 v[42:43], v[78:79], 2, v[42:43]
	flat_load_dword v42, v[42:43]
	s_waitcnt vmcnt(0) lgkmcnt(0)
	v_mul_f32_e32 v42, s30, v42
	s_branch .LBB26_331
.LBB26_330:
	v_mov_b32_e32 v42, 0
.LBB26_331:
	v_pk_add_f32 v[36:37], v[0:1], v[36:37]
	s_nop 0
	v_min3_f32 v43, v36, v37, v92
	v_pk_add_f32 v[36:37], v[2:3], v[38:39]
	s_nop 0
	v_min_f32_e32 v36, v36, v37
	v_min3_f32 v38, v42, v36, v43
	v_lshl_add_u64 v[36:37], v[78:79], 2, v[40:41]
	global_store_dword v[36:37], v38, off
.LBB26_332:
	s_or_b64 exec, exec, s[18:19]
	v_add_u32_e32 v40, 0xe0, v124
	v_cmp_gt_i32_e64 s[18:19], s21, v40
	v_mad_i64_i32 v[36:37], s[20:21], v40, s29, 0
	v_lshl_add_u64 v[38:39], v[36:37], 2, s[24:25]
	v_mad_i64_i32 v[36:37], s[20:21], v40, s28, 0
	v_lshl_add_u64 v[36:37], v[36:37], 2, s[22:23]
	s_and_b64 s[20:21], s[2:3], s[18:19]
	s_and_saveexec_b64 s[2:3], s[20:21]
	s_cbranch_execnz .LBB26_341
; %bb.333:
	s_or_b64 exec, exec, s[2:3]
	s_and_b64 s[4:5], s[4:5], s[18:19]
	s_and_saveexec_b64 s[2:3], s[4:5]
	s_cbranch_execnz .LBB26_345
.LBB26_334:
	s_or_b64 exec, exec, s[2:3]
	s_and_b64 s[4:5], s[6:7], s[18:19]
	s_and_saveexec_b64 s[2:3], s[4:5]
	s_cbranch_execnz .LBB26_349
.LBB26_335:
	s_or_b64 exec, exec, s[2:3]
	s_and_b64 s[4:5], s[8:9], s[18:19]
	s_and_saveexec_b64 s[2:3], s[4:5]
	s_cbranch_execnz .LBB26_353
.LBB26_336:
	s_or_b64 exec, exec, s[2:3]
	s_and_b64 s[4:5], s[10:11], s[18:19]
	s_and_saveexec_b64 s[2:3], s[4:5]
	s_cbranch_execnz .LBB26_357
.LBB26_337:
	s_or_b64 exec, exec, s[2:3]
	s_and_b64 s[4:5], s[12:13], s[18:19]
	s_and_saveexec_b64 s[2:3], s[4:5]
	s_cbranch_execnz .LBB26_361
.LBB26_338:
	s_or_b64 exec, exec, s[2:3]
	s_and_b64 s[4:5], s[14:15], s[18:19]
	s_and_saveexec_b64 s[2:3], s[4:5]
	s_cbranch_execnz .LBB26_365
.LBB26_339:
	s_or_b64 exec, exec, s[2:3]
	s_and_b64 s[2:3], s[16:17], s[18:19]
	s_and_saveexec_b64 s[4:5], s[2:3]
	s_cbranch_execnz .LBB26_369
.LBB26_340:
	s_endpgm
.LBB26_341:
	s_and_b64 vcc, exec, s[0:1]
	s_cbranch_vccnz .LBB26_343
; %bb.342:
	v_lshl_add_u64 v[40:41], v[64:65], 2, v[38:39]
	flat_load_dword v40, v[40:41]
	s_waitcnt vmcnt(0) lgkmcnt(0)
	v_mul_f32_e32 v40, s30, v40
	s_branch .LBB26_344
.LBB26_343:
	v_mov_b32_e32 v40, 0
.LBB26_344:
	v_pk_add_f32 v[32:33], v[32:33], v[4:5]
	s_nop 0
	v_min3_f32 v41, v32, v33, v91
	v_pk_add_f32 v[32:33], v[34:35], v[6:7]
	s_nop 0
	v_min_f32_e32 v32, v32, v33
	v_min3_f32 v34, v40, v32, v41
	v_lshl_add_u64 v[32:33], v[64:65], 2, v[36:37]
	global_store_dword v[32:33], v34, off
	s_or_b64 exec, exec, s[2:3]
	s_and_b64 s[4:5], s[4:5], s[18:19]
	s_and_saveexec_b64 s[2:3], s[4:5]
	s_cbranch_execz .LBB26_334
.LBB26_345:
	s_and_b64 vcc, exec, s[0:1]
	s_cbranch_vccnz .LBB26_347
; %bb.346:
	v_lshl_add_u64 v[32:33], v[66:67], 2, v[38:39]
	flat_load_dword v32, v[32:33]
	s_waitcnt vmcnt(0) lgkmcnt(0)
	v_mul_f32_e32 v32, s30, v32
	s_branch .LBB26_348
.LBB26_347:
	v_mov_b32_e32 v32, 0
.LBB26_348:
	v_pk_add_f32 v[28:29], v[28:29], v[4:5]
	s_nop 0
	v_min3_f32 v33, v28, v29, v90
	v_pk_add_f32 v[28:29], v[30:31], v[6:7]
	s_nop 0
	v_min_f32_e32 v28, v28, v29
	v_min3_f32 v30, v32, v28, v33
	v_lshl_add_u64 v[28:29], v[66:67], 2, v[36:37]
	global_store_dword v[28:29], v30, off
	s_or_b64 exec, exec, s[2:3]
	s_and_b64 s[4:5], s[6:7], s[18:19]
	s_and_saveexec_b64 s[2:3], s[4:5]
	s_cbranch_execz .LBB26_335
.LBB26_349:
	s_and_b64 vcc, exec, s[0:1]
	s_cbranch_vccnz .LBB26_351
; %bb.350:
	v_lshl_add_u64 v[28:29], v[68:69], 2, v[38:39]
	flat_load_dword v28, v[28:29]
	s_waitcnt vmcnt(0) lgkmcnt(0)
	v_mul_f32_e32 v28, s30, v28
	s_branch .LBB26_352
.LBB26_351:
	v_mov_b32_e32 v28, 0
.LBB26_352:
	v_pk_add_f32 v[24:25], v[24:25], v[4:5]
	s_nop 0
	v_min3_f32 v29, v24, v25, v89
	v_pk_add_f32 v[24:25], v[26:27], v[6:7]
	s_nop 0
	v_min_f32_e32 v24, v24, v25
	v_min3_f32 v26, v28, v24, v29
	v_lshl_add_u64 v[24:25], v[68:69], 2, v[36:37]
	global_store_dword v[24:25], v26, off
	s_or_b64 exec, exec, s[2:3]
	s_and_b64 s[4:5], s[8:9], s[18:19]
	s_and_saveexec_b64 s[2:3], s[4:5]
	s_cbranch_execz .LBB26_336
.LBB26_353:
	s_and_b64 vcc, exec, s[0:1]
	s_cbranch_vccnz .LBB26_355
; %bb.354:
	v_lshl_add_u64 v[24:25], v[70:71], 2, v[38:39]
	flat_load_dword v24, v[24:25]
	s_waitcnt vmcnt(0) lgkmcnt(0)
	v_mul_f32_e32 v24, s30, v24
	s_branch .LBB26_356
.LBB26_355:
	v_mov_b32_e32 v24, 0
.LBB26_356:
	v_pk_add_f32 v[20:21], v[20:21], v[4:5]
	s_nop 0
	v_min3_f32 v25, v20, v21, v87
	v_pk_add_f32 v[20:21], v[22:23], v[6:7]
	s_nop 0
	v_min_f32_e32 v20, v20, v21
	v_min3_f32 v22, v24, v20, v25
	v_lshl_add_u64 v[20:21], v[70:71], 2, v[36:37]
	global_store_dword v[20:21], v22, off
	s_or_b64 exec, exec, s[2:3]
	s_and_b64 s[4:5], s[10:11], s[18:19]
	s_and_saveexec_b64 s[2:3], s[4:5]
	s_cbranch_execz .LBB26_337
.LBB26_357:
	s_and_b64 vcc, exec, s[0:1]
	s_cbranch_vccnz .LBB26_359
; %bb.358:
	v_lshl_add_u64 v[20:21], v[72:73], 2, v[38:39]
	flat_load_dword v20, v[20:21]
	s_waitcnt vmcnt(0) lgkmcnt(0)
	v_mul_f32_e32 v20, s30, v20
	s_branch .LBB26_360
.LBB26_359:
	v_mov_b32_e32 v20, 0
.LBB26_360:
	v_pk_add_f32 v[16:17], v[16:17], v[4:5]
	s_nop 0
	v_min3_f32 v21, v16, v17, v86
	v_pk_add_f32 v[16:17], v[18:19], v[6:7]
	s_nop 0
	v_min_f32_e32 v16, v16, v17
	v_min3_f32 v18, v20, v16, v21
	v_lshl_add_u64 v[16:17], v[72:73], 2, v[36:37]
	global_store_dword v[16:17], v18, off
	s_or_b64 exec, exec, s[2:3]
	s_and_b64 s[4:5], s[12:13], s[18:19]
	s_and_saveexec_b64 s[2:3], s[4:5]
	s_cbranch_execz .LBB26_338
.LBB26_361:
	s_and_b64 vcc, exec, s[0:1]
	s_cbranch_vccnz .LBB26_363
; %bb.362:
	v_lshl_add_u64 v[16:17], v[74:75], 2, v[38:39]
	flat_load_dword v16, v[16:17]
	s_waitcnt vmcnt(0) lgkmcnt(0)
	v_mul_f32_e32 v16, s30, v16
	s_branch .LBB26_364
.LBB26_363:
	v_mov_b32_e32 v16, 0
.LBB26_364:
	v_pk_add_f32 v[12:13], v[12:13], v[4:5]
	s_nop 0
	v_min3_f32 v17, v12, v13, v85
	v_pk_add_f32 v[12:13], v[14:15], v[6:7]
	s_nop 0
	v_min_f32_e32 v12, v12, v13
	v_min3_f32 v14, v16, v12, v17
	v_lshl_add_u64 v[12:13], v[74:75], 2, v[36:37]
	global_store_dword v[12:13], v14, off
	s_or_b64 exec, exec, s[2:3]
	s_and_b64 s[4:5], s[14:15], s[18:19]
	s_and_saveexec_b64 s[2:3], s[4:5]
	s_cbranch_execz .LBB26_339
.LBB26_365:
	s_and_b64 vcc, exec, s[0:1]
	s_cbranch_vccnz .LBB26_367
; %bb.366:
	v_lshl_add_u64 v[12:13], v[76:77], 2, v[38:39]
	flat_load_dword v12, v[12:13]
	s_waitcnt vmcnt(0) lgkmcnt(0)
	v_mul_f32_e32 v12, s30, v12
	s_branch .LBB26_368
.LBB26_367:
	v_mov_b32_e32 v12, 0
.LBB26_368:
	v_pk_add_f32 v[8:9], v[8:9], v[4:5]
	s_nop 0
	v_min3_f32 v13, v8, v9, v84
	v_pk_add_f32 v[8:9], v[10:11], v[6:7]
	s_nop 0
	v_min_f32_e32 v8, v8, v9
	v_min3_f32 v10, v12, v8, v13
	v_lshl_add_u64 v[8:9], v[76:77], 2, v[36:37]
	global_store_dword v[8:9], v10, off
	s_or_b64 exec, exec, s[2:3]
	s_and_b64 s[2:3], s[16:17], s[18:19]
	s_and_saveexec_b64 s[4:5], s[2:3]
	s_cbranch_execz .LBB26_340
.LBB26_369:
	s_and_b64 vcc, exec, s[0:1]
	s_cbranch_vccnz .LBB26_371
; %bb.370:
	v_lshl_add_u64 v[8:9], v[78:79], 2, v[38:39]
	flat_load_dword v8, v[8:9]
	s_waitcnt vmcnt(0) lgkmcnt(0)
	v_mul_f32_e32 v8, s30, v8
	s_branch .LBB26_372
.LBB26_371:
	v_mov_b32_e32 v8, 0
.LBB26_372:
	v_pk_add_f32 v[0:1], v[0:1], v[4:5]
	s_nop 0
	v_min3_f32 v4, v0, v1, v88
	v_pk_add_f32 v[0:1], v[2:3], v[6:7]
	s_nop 0
	v_min_f32_e32 v0, v0, v1
	v_min3_f32 v2, v8, v0, v4
	v_lshl_add_u64 v[0:1], v[78:79], 2, v[36:37]
	global_store_dword v[0:1], v2, off
	s_endpgm
	.section	.rodata,"a",@progbits
	.p2align	6, 0x0
	.amdhsa_kernel _ZN12_GLOBAL__N_120geam_min_plus_kernelIf15HIP_vector_typeIfLj2EEfLi8ELi32ELi64ELi256ELi4ELi4ELi64ELi64ELi4ELc84ELc84ELb0ELb1ELb1EfKPKfKPfEEviiiT16_PT17_ilSA_ilS8_SA_ilPT18_ili26rocblas_geam_ex_operation_
		.amdhsa_group_segment_fixed_size 10240
		.amdhsa_private_segment_fixed_size 0
		.amdhsa_kernarg_size 128
		.amdhsa_user_sgpr_count 2
		.amdhsa_user_sgpr_dispatch_ptr 0
		.amdhsa_user_sgpr_queue_ptr 0
		.amdhsa_user_sgpr_kernarg_segment_ptr 1
		.amdhsa_user_sgpr_dispatch_id 0
		.amdhsa_user_sgpr_kernarg_preload_length 0
		.amdhsa_user_sgpr_kernarg_preload_offset 0
		.amdhsa_user_sgpr_private_segment_size 0
		.amdhsa_uses_dynamic_stack 0
		.amdhsa_enable_private_segment 0
		.amdhsa_system_sgpr_workgroup_id_x 1
		.amdhsa_system_sgpr_workgroup_id_y 0
		.amdhsa_system_sgpr_workgroup_id_z 1
		.amdhsa_system_sgpr_workgroup_info 0
		.amdhsa_system_vgpr_workitem_id 1
		.amdhsa_next_free_vgpr 172
		.amdhsa_next_free_sgpr 40
		.amdhsa_accum_offset 172
		.amdhsa_reserve_vcc 1
		.amdhsa_float_round_mode_32 0
		.amdhsa_float_round_mode_16_64 0
		.amdhsa_float_denorm_mode_32 3
		.amdhsa_float_denorm_mode_16_64 3
		.amdhsa_dx10_clamp 1
		.amdhsa_ieee_mode 1
		.amdhsa_fp16_overflow 0
		.amdhsa_tg_split 0
		.amdhsa_exception_fp_ieee_invalid_op 0
		.amdhsa_exception_fp_denorm_src 0
		.amdhsa_exception_fp_ieee_div_zero 0
		.amdhsa_exception_fp_ieee_overflow 0
		.amdhsa_exception_fp_ieee_underflow 0
		.amdhsa_exception_fp_ieee_inexact 0
		.amdhsa_exception_int_div_zero 0
	.end_amdhsa_kernel
	.section	.text._ZN12_GLOBAL__N_120geam_min_plus_kernelIf15HIP_vector_typeIfLj2EEfLi8ELi32ELi64ELi256ELi4ELi4ELi64ELi64ELi4ELc84ELc84ELb0ELb1ELb1EfKPKfKPfEEviiiT16_PT17_ilSA_ilS8_SA_ilPT18_ili26rocblas_geam_ex_operation_,"axG",@progbits,_ZN12_GLOBAL__N_120geam_min_plus_kernelIf15HIP_vector_typeIfLj2EEfLi8ELi32ELi64ELi256ELi4ELi4ELi64ELi64ELi4ELc84ELc84ELb0ELb1ELb1EfKPKfKPfEEviiiT16_PT17_ilSA_ilS8_SA_ilPT18_ili26rocblas_geam_ex_operation_,comdat
.Lfunc_end26:
	.size	_ZN12_GLOBAL__N_120geam_min_plus_kernelIf15HIP_vector_typeIfLj2EEfLi8ELi32ELi64ELi256ELi4ELi4ELi64ELi64ELi4ELc84ELc84ELb0ELb1ELb1EfKPKfKPfEEviiiT16_PT17_ilSA_ilS8_SA_ilPT18_ili26rocblas_geam_ex_operation_, .Lfunc_end26-_ZN12_GLOBAL__N_120geam_min_plus_kernelIf15HIP_vector_typeIfLj2EEfLi8ELi32ELi64ELi256ELi4ELi4ELi64ELi64ELi4ELc84ELc84ELb0ELb1ELb1EfKPKfKPfEEviiiT16_PT17_ilSA_ilS8_SA_ilPT18_ili26rocblas_geam_ex_operation_
                                        ; -- End function
	.section	.AMDGPU.csdata,"",@progbits
; Kernel info:
; codeLenInByte = 18740
; NumSgprs: 46
; NumVgprs: 172
; NumAgprs: 0
; TotalNumVgprs: 172
; ScratchSize: 0
; MemoryBound: 0
; FloatMode: 240
; IeeeMode: 1
; LDSByteSize: 10240 bytes/workgroup (compile time only)
; SGPRBlocks: 5
; VGPRBlocks: 21
; NumSGPRsForWavesPerEU: 46
; NumVGPRsForWavesPerEU: 172
; AccumOffset: 172
; Occupancy: 2
; WaveLimiterHint : 1
; COMPUTE_PGM_RSRC2:SCRATCH_EN: 0
; COMPUTE_PGM_RSRC2:USER_SGPR: 2
; COMPUTE_PGM_RSRC2:TRAP_HANDLER: 0
; COMPUTE_PGM_RSRC2:TGID_X_EN: 1
; COMPUTE_PGM_RSRC2:TGID_Y_EN: 0
; COMPUTE_PGM_RSRC2:TGID_Z_EN: 1
; COMPUTE_PGM_RSRC2:TIDIG_COMP_CNT: 1
; COMPUTE_PGM_RSRC3_GFX90A:ACCUM_OFFSET: 42
; COMPUTE_PGM_RSRC3_GFX90A:TG_SPLIT: 0
	.section	.text._ZN12_GLOBAL__N_120geam_min_plus_kernelIf15HIP_vector_typeIfLj2EES2_Li8ELi32ELi64ELi128ELi4ELi64ELi4ELi4ELi64ELc78ELc78ELb0ELb0ELb0EPKfKS4_KPfEEviiiT16_PT17_ilSA_ilS8_SA_ilPT18_ili26rocblas_geam_ex_operation_,"axG",@progbits,_ZN12_GLOBAL__N_120geam_min_plus_kernelIf15HIP_vector_typeIfLj2EES2_Li8ELi32ELi64ELi128ELi4ELi64ELi4ELi4ELi64ELc78ELc78ELb0ELb0ELb0EPKfKS4_KPfEEviiiT16_PT17_ilSA_ilS8_SA_ilPT18_ili26rocblas_geam_ex_operation_,comdat
	.globl	_ZN12_GLOBAL__N_120geam_min_plus_kernelIf15HIP_vector_typeIfLj2EES2_Li8ELi32ELi64ELi128ELi4ELi64ELi4ELi4ELi64ELc78ELc78ELb0ELb0ELb0EPKfKS4_KPfEEviiiT16_PT17_ilSA_ilS8_SA_ilPT18_ili26rocblas_geam_ex_operation_ ; -- Begin function _ZN12_GLOBAL__N_120geam_min_plus_kernelIf15HIP_vector_typeIfLj2EES2_Li8ELi32ELi64ELi128ELi4ELi64ELi4ELi4ELi64ELc78ELc78ELb0ELb0ELb0EPKfKS4_KPfEEviiiT16_PT17_ilSA_ilS8_SA_ilPT18_ili26rocblas_geam_ex_operation_
	.p2align	8
	.type	_ZN12_GLOBAL__N_120geam_min_plus_kernelIf15HIP_vector_typeIfLj2EES2_Li8ELi32ELi64ELi128ELi4ELi64ELi4ELi4ELi64ELc78ELc78ELb0ELb0ELb0EPKfKS4_KPfEEviiiT16_PT17_ilSA_ilS8_SA_ilPT18_ili26rocblas_geam_ex_operation_,@function
_ZN12_GLOBAL__N_120geam_min_plus_kernelIf15HIP_vector_typeIfLj2EES2_Li8ELi32ELi64ELi128ELi4ELi64ELi4ELi4ELi64ELc78ELc78ELb0ELb0ELb0EPKfKS4_KPfEEviiiT16_PT17_ilSA_ilS8_SA_ilPT18_ili26rocblas_geam_ex_operation_: ; @_ZN12_GLOBAL__N_120geam_min_plus_kernelIf15HIP_vector_typeIfLj2EES2_Li8ELi32ELi64ELi128ELi4ELi64ELi4ELi4ELi64ELc78ELc78ELb0ELb0ELb0EPKfKS4_KPfEEviiiT16_PT17_ilSA_ilS8_SA_ilPT18_ili26rocblas_geam_ex_operation_
; %bb.0:
	s_load_dwordx4 s[12:15], s[0:1], 0x10
	s_load_dwordx4 s[4:7], s[0:1], 0x28
	s_mov_b32 s20, s3
	s_mov_b32 s21, 0
	s_lshl_b64 s[16:17], s[20:21], 2
	s_waitcnt lgkmcnt(0)
	s_add_u32 s18, s12, s16
	s_load_dwordx4 s[8:11], s[0:1], 0x40
	s_addc_u32 s19, s13, s17
	s_load_dword s12, s[18:19], 0x0
	s_load_dwordx2 s[22:23], s[0:1], 0x50
	s_mov_b64 s[18:19], 0
	s_waitcnt lgkmcnt(0)
	s_add_u32 s10, s10, s16
	s_addc_u32 s11, s11, s17
	v_cmp_eq_f32_e64 s[16:17], s12, 0
	v_cmp_neq_f32_e64 s[24:25], s12, 0
	s_and_b64 vcc, exec, s[16:17]
	s_mov_b64 s[16:17], 0
	s_cbranch_vccnz .LBB27_2
; %bb.1:
	s_lshl_b64 s[16:17], s[20:21], 3
	s_add_u32 s14, s14, s16
	s_addc_u32 s15, s15, s17
	s_load_dwordx2 s[14:15], s[14:15], 0x0
	s_lshl_b64 s[4:5], s[4:5], 2
	s_waitcnt lgkmcnt(0)
	s_add_u32 s16, s14, s4
	s_addc_u32 s17, s15, s5
.LBB27_2:
	s_load_dword s26, s[10:11], 0x0
	v_cndmask_b32_e64 v1, 0, 1, s[24:25]
	v_cmp_ne_u32_e64 s[4:5], 1, v1
	s_andn2_b64 vcc, exec, s[24:25]
	s_cbranch_vccnz .LBB27_4
; %bb.3:
	s_lshl_b64 s[10:11], s[20:21], 3
	s_add_u32 s6, s6, s10
	s_addc_u32 s7, s7, s11
	s_load_dwordx2 s[6:7], s[6:7], 0x0
	s_lshl_b64 s[8:9], s[8:9], 2
	s_waitcnt lgkmcnt(0)
	s_add_u32 s18, s6, s8
	s_addc_u32 s19, s7, s9
.LBB27_4:
	s_load_dwordx4 s[8:11], s[0:1], 0x60
	s_waitcnt lgkmcnt(0)
	v_cmp_eq_f32_e64 s[6:7], s26, 0
	s_and_b64 s[6:7], exec, s[6:7]
	s_mov_b64 vcc, s[6:7]
	s_cbranch_vccnz .LBB27_6
; %bb.5:
	s_lshl_b64 s[14:15], s[20:21], 3
	s_add_u32 s14, s22, s14
	s_addc_u32 s15, s23, s15
	s_load_dwordx2 s[14:15], s[14:15], 0x0
	s_lshl_b64 s[8:9], s[8:9], 2
	s_waitcnt lgkmcnt(0)
	s_add_u32 s8, s14, s8
	s_addc_u32 s9, s15, s9
	s_branch .LBB27_7
.LBB27_6:
	s_mov_b64 s[8:9], 0
.LBB27_7:
	s_load_dword s14, s[0:1], 0x20
	s_load_dword s3, s[0:1], 0x0
	s_lshl_b64 s[20:21], s[20:21], 3
	v_and_b32_e32 v210, 0x3ff, v0
	v_bfe_u32 v211, v0, 10, 10
	s_waitcnt lgkmcnt(0)
	s_ashr_i32 s15, s14, 31
	s_add_u32 s10, s10, s20
	s_addc_u32 s11, s11, s21
	s_add_i32 s3, s3, -1
	s_ashr_i32 s13, s3, 31
	s_lshr_b32 s13, s13, 26
	s_add_i32 s3, s3, s13
	s_ashr_i32 s3, s3, 6
	s_add_i32 s20, s3, 1
	v_cvt_f32_u32_e32 v1, s20
	s_not_b32 s3, s3
	v_lshl_add_u32 v2, v211, 3, v210
	v_and_b32_e32 v5, 63, v2
	v_rcp_iflag_f32_e32 v1, v1
	v_lshrrev_b32_e32 v4, 6, v2
	v_mul_f32_e32 v0, 0x4f7ffffe, v1
	v_cvt_u32_f32_e32 v0, v0
	s_nop 0
	v_readfirstlane_b32 s13, v0
	s_mul_i32 s3, s3, s13
	s_mul_hi_u32 s3, s13, s3
	s_add_i32 s13, s13, s3
	s_mul_hi_u32 s3, s2, s13
	s_mul_i32 s13, s3, s20
	s_sub_i32 s13, s2, s13
	s_add_i32 s21, s3, 1
	s_sub_i32 s22, s13, s20
	s_cmp_ge_u32 s13, s20
	s_cselect_b32 s3, s21, s3
	s_cselect_b32 s13, s22, s13
	s_add_i32 s21, s3, 1
	s_cmp_ge_u32 s13, s20
	s_cselect_b32 s13, s21, s3
	s_mul_i32 s3, s13, s20
	s_sub_i32 s20, s2, s3
	s_lshl_b32 s20, s20, 6
	v_or_b32_e32 v0, s20, v5
	s_and_b64 vcc, exec, s[4:5]
	v_ashrrev_i32_e32 v1, 31, v0
	s_cbranch_vccnz .LBB27_9
; %bb.8:
	v_mad_i64_i32 v[6:7], s[22:23], s14, v4, 0
	v_lshl_add_u64 v[6:7], v[6:7], 2, s[16:17]
	v_lshl_add_u64 v[6:7], v[0:1], 2, v[6:7]
	flat_load_dword v3, v[6:7]
	s_waitcnt vmcnt(0) lgkmcnt(0)
	v_mul_f32_e32 v10, s12, v3
	s_branch .LBB27_10
.LBB27_9:
	v_mov_b32_e32 v10, 0
.LBB27_10:
	s_load_dword s23, s[0:1], 0x38
	v_lshrrev_b32_e32 v11, 2, v2
	s_lshl_b32 s21, s13, 7
	v_and_b32_e32 v3, 3, v210
	v_add_u32_e32 v6, s21, v11
	s_and_b64 vcc, exec, s[4:5]
	v_lshlrev_b32_e32 v48, 2, v3
	v_add_u32_e32 v7, 64, v6
	s_cbranch_vccnz .LBB27_14
; %bb.11:
	v_mov_b32_e32 v49, 0
	v_lshl_add_u64 v[2:3], s[18:19], 0, v[48:49]
	s_waitcnt lgkmcnt(0)
	v_mad_i64_i32 v[8:9], s[24:25], v6, s23, 0
	v_lshl_add_u64 v[8:9], v[8:9], 2, v[2:3]
	v_mad_i64_i32 v[12:13], s[24:25], v7, s23, 0
	v_lshl_add_u64 v[2:3], v[12:13], 2, v[2:3]
	flat_load_dword v12, v[8:9]
	flat_load_dword v13, v[2:3]
	s_waitcnt vmcnt(0) lgkmcnt(0)
	v_pk_mul_f32 v[2:3], s[12:13], v[12:13] op_sel_hi:[0,1]
	s_and_b64 vcc, exec, s[4:5]
	s_cbranch_vccnz .LBB27_15
.LBB27_12:
	v_add_u32_e32 v8, 4, v4
	v_mad_i64_i32 v[8:9], s[24:25], s14, v8, 0
	v_lshl_add_u64 v[8:9], v[8:9], 2, s[16:17]
	v_lshl_add_u64 v[0:1], v[0:1], 2, v[8:9]
	flat_load_dword v0, v[0:1]
	s_waitcnt vmcnt(0) lgkmcnt(0)
	v_mul_f32_e32 v8, s12, v0
	s_and_b64 vcc, exec, s[4:5]
	s_cbranch_vccnz .LBB27_16
.LBB27_13:
	v_mov_b32_e32 v49, 0
	v_lshl_add_u64 v[0:1], s[18:19], 0, v[48:49]
	s_waitcnt lgkmcnt(0)
	v_mad_i64_i32 v[12:13], s[24:25], v6, s23, 0
	v_lshl_add_u64 v[12:13], v[12:13], 2, v[0:1]
	v_mad_i64_i32 v[14:15], s[24:25], v7, s23, 0
	v_lshl_add_u64 v[0:1], v[14:15], 2, v[0:1]
	flat_load_dword v14, v[12:13] offset:16
	flat_load_dword v15, v[0:1] offset:16
	s_waitcnt vmcnt(0) lgkmcnt(0)
	v_pk_mul_f32 v[0:1], s[12:13], v[14:15] op_sel_hi:[0,1]
	s_branch .LBB27_17
.LBB27_14:
	v_mov_b32_e32 v2, 0
	v_mov_b32_e32 v3, 0
	s_and_b64 vcc, exec, s[4:5]
	s_cbranch_vccz .LBB27_12
.LBB27_15:
	v_mov_b32_e32 v8, 0
	s_and_b64 vcc, exec, s[4:5]
	s_cbranch_vccz .LBB27_13
.LBB27_16:
	v_mov_b32_e32 v0, 0
	v_mov_b32_e32 v1, 0
.LBB27_17:
	v_lshlrev_b32_e32 v9, 4, v5
	v_lshl_add_u32 v9, v4, 2, v9
	v_lshl_or_b32 v214, v11, 4, v48
	v_lshlrev_b32_e32 v213, 4, v211
	s_load_dwordx2 s[10:11], s[10:11], 0x0
	ds_write_b32 v9, v10 offset:4096
	ds_write2st64_b32 v214, v2, v3 offset1:4
	s_waitcnt lgkmcnt(0)
	s_barrier
	ds_read_b128 v[10:13], v213
	v_lshlrev_b32_e32 v212, 4, v210
	ds_read_b128 v[14:17], v212 offset:4992
	ds_read_b128 v[18:21], v213 offset:512
	;; [unrolled: 1-line block ×5, first 2 shown]
	s_waitcnt lgkmcnt(5)
	v_max_f32_e32 v49, v11, v11
	s_waitcnt lgkmcnt(4)
	v_max_f32_e32 v58, v15, v15
	v_max_f32_e32 v54, v10, v10
	;; [unrolled: 1-line block ×3, first 2 shown]
	ds_read_b128 v[34:37], v212 offset:4096
	ds_read_b128 v[38:41], v212 offset:4224
	v_max_f32_e32 v108, v13, v13
	v_max_f32_e32 v109, v12, v12
	;; [unrolled: 1-line block ×4, first 2 shown]
	ds_read_b128 v[10:13], v212 offset:4352
	ds_read_b128 v[14:17], v212 offset:4480
	s_waitcnt lgkmcnt(4)
	v_max_f32_e32 v60, v31, v31
	v_max_f32_e32 v61, v30, v30
	;; [unrolled: 1-line block ×4, first 2 shown]
	s_waitcnt lgkmcnt(2)
	v_max_f32_e32 v26, v38, v38
	v_max_f32_e32 v27, v39, v39
	s_waitcnt lgkmcnt(1)
	v_max_f32_e32 v30, v10, v10
	v_max_f32_e32 v31, v11, v11
	;; [unrolled: 3-line block ×3, first 2 shown]
	v_max_f32_e32 v75, v13, v13
	ds_read_b128 v[10:13], v212 offset:4608
	v_max_f32_e32 v39, v15, v15
	v_max_f32_e32 v78, v16, v16
	;; [unrolled: 1-line block ×3, first 2 shown]
	ds_read_b128 v[14:17], v212 offset:4736
	v_max_f32_e32 v56, v19, v19
	v_max_f32_e32 v57, v18, v18
	;; [unrolled: 1-line block ×4, first 2 shown]
	s_waitcnt lgkmcnt(0)
	v_max_f32_e32 v52, v14, v14
	v_max_f32_e32 v53, v15, v15
	;; [unrolled: 1-line block ×6, first 2 shown]
	v_min_f32_e32 v50, v52, v54
	v_min_f32_e32 v51, v53, v49
	;; [unrolled: 1-line block ×10, first 2 shown]
	v_max_f32_e32 v126, v21, v21
	v_max_f32_e32 v127, v20, v20
	;; [unrolled: 1-line block ×9, first 2 shown]
	v_min_f32_e32 v2, v18, v54
	v_min_f32_e32 v3, v19, v49
	;; [unrolled: 1-line block ×34, first 2 shown]
	v_pk_add_f32 v[52:53], v[52:53], 0 op_sel_hi:[1,0]
	v_min_f32_e32 v59, v124, v108
	v_min_f32_e32 v58, v125, v109
	v_max_f32_e32 v128, v33, v33
	v_pk_add_f32 v[90:91], v[58:59], v[52:53]
	v_pk_add_f32 v[52:53], v[54:55], 0 op_sel_hi:[1,0]
	v_min_f32_e32 v55, v124, v126
	v_min_f32_e32 v54, v125, v127
	v_max_f32_e32 v68, v36, v36
	v_max_f32_e32 v69, v37, v37
	v_pk_add_f32 v[76:77], v[54:55], v[52:53]
	v_pk_add_f32 v[52:53], v[56:57], 0 op_sel_hi:[1,0]
	v_min_f32_e32 v55, v124, v128
	v_min_f32_e32 v54, v125, v129
	v_max_f32_e32 v130, v29, v29
	v_max_f32_e32 v131, v28, v28
	;; [unrolled: 1-line block ×4, first 2 shown]
	v_min_f32_e32 v25, v31, v49
	v_min_f32_e32 v28, v30, v61
	;; [unrolled: 1-line block ×17, first 2 shown]
	v_pk_add_f32 v[62:63], v[54:55], v[52:53]
	v_pk_add_f32 v[2:3], v[2:3], 0 op_sel_hi:[1,0]
	v_min_f32_e32 v52, v68, v109
	v_min_f32_e32 v53, v69, v108
	v_pk_add_f32 v[122:123], v[52:53], v[2:3]
	v_pk_add_f32 v[2:3], v[10:11], 0 op_sel_hi:[1,0]
	v_min_f32_e32 v10, v68, v127
	v_min_f32_e32 v11, v69, v126
	v_pk_add_f32 v[88:89], v[10:11], v[2:3]
	v_pk_add_f32 v[2:3], v[12:13], 0 op_sel_hi:[1,0]
	v_min_f32_e32 v10, v68, v129
	v_min_f32_e32 v11, v69, v128
	v_min_f32_e32 v99, v73, v49
	v_min_f32_e32 v102, v72, v61
	;; [unrolled: 1-line block ×3, first 2 shown]
	v_pk_add_f32 v[72:73], v[10:11], v[2:3]
	v_min_f32_e32 v3, v69, v130
	v_min_f32_e32 v2, v68, v131
	v_pk_add_f32 v[10:11], v[14:15], 0 op_sel_hi:[1,0]
	s_load_dword s22, s[0:1], 0x8
	v_pk_add_f32 v[58:59], v[2:3], v[10:11]
	v_pk_add_f32 v[2:3], v[16:17], 0 op_sel_hi:[1,0]
	v_min_f32_e32 v10, v70, v109
	v_min_f32_e32 v11, v71, v108
	v_pk_add_f32 v[120:121], v[10:11], v[2:3]
	v_pk_add_f32 v[2:3], v[18:19], 0 op_sel_hi:[1,0]
	v_min_f32_e32 v10, v70, v127
	v_min_f32_e32 v11, v71, v126
	;; [unrolled: 4-line block ×3, first 2 shown]
	v_pk_add_f32 v[68:69], v[10:11], v[2:3]
	v_min_f32_e32 v3, v71, v130
	v_min_f32_e32 v2, v70, v131
	v_pk_add_f32 v[10:11], v[22:23], 0 op_sel_hi:[1,0]
	s_waitcnt lgkmcnt(0)
	s_cmp_lt_i32 s22, 9
	v_pk_add_f32 v[52:53], v[2:3], v[10:11]
	v_pk_add_f32 v[2:3], v[24:25], 0 op_sel_hi:[1,0]
	v_min_f32_e32 v10, v74, v109
	v_min_f32_e32 v11, v75, v108
	v_pk_add_f32 v[118:119], v[10:11], v[2:3]
	v_pk_add_f32 v[2:3], v[26:27], 0 op_sel_hi:[1,0]
	v_min_f32_e32 v10, v74, v127
	v_min_f32_e32 v11, v75, v126
	;; [unrolled: 4-line block ×3, first 2 shown]
	v_pk_add_f32 v[70:71], v[10:11], v[2:3]
	v_min_f32_e32 v3, v75, v130
	v_min_f32_e32 v2, v74, v131
	v_pk_add_f32 v[10:11], v[30:31], 0 op_sel_hi:[1,0]
	ds_write2st64_b32 v214, v0, v1 offset0:8 offset1:12
	ds_write_b32 v9, v8 offset:5120
	v_pk_add_f32 v[54:55], v[2:3], v[10:11]
	v_pk_add_f32 v[2:3], v[32:33], 0 op_sel_hi:[1,0]
	v_min_f32_e32 v10, v78, v109
	v_min_f32_e32 v11, v79, v108
	v_pk_add_f32 v[116:117], v[10:11], v[2:3]
	v_pk_add_f32 v[2:3], v[34:35], 0 op_sel_hi:[1,0]
	v_min_f32_e32 v10, v78, v127
	v_min_f32_e32 v11, v79, v126
	v_pk_add_f32 v[92:93], v[10:11], v[2:3]
	v_pk_add_f32 v[2:3], v[36:37], 0 op_sel_hi:[1,0]
	v_min_f32_e32 v10, v78, v129
	v_min_f32_e32 v11, v79, v128
	v_pk_add_f32 v[74:75], v[10:11], v[2:3]
	v_min_f32_e32 v3, v79, v130
	v_min_f32_e32 v2, v78, v131
	v_pk_add_f32 v[10:11], v[38:39], 0 op_sel_hi:[1,0]
	s_waitcnt lgkmcnt(0)
	v_pk_add_f32 v[56:57], v[2:3], v[10:11]
	v_pk_add_f32 v[2:3], v[40:41], 0 op_sel_hi:[1,0]
	v_min_f32_e32 v10, v80, v109
	v_min_f32_e32 v11, v81, v108
	v_pk_add_f32 v[114:115], v[10:11], v[2:3]
	v_pk_add_f32 v[2:3], v[42:43], 0 op_sel_hi:[1,0]
	v_min_f32_e32 v10, v80, v127
	v_min_f32_e32 v11, v81, v126
	;; [unrolled: 4-line block ×3, first 2 shown]
	v_pk_add_f32 v[78:79], v[10:11], v[2:3]
	v_min_f32_e32 v3, v81, v130
	v_min_f32_e32 v2, v80, v131
	v_pk_add_f32 v[10:11], v[46:47], 0 op_sel_hi:[1,0]
	s_barrier
	v_pk_add_f32 v[60:61], v[2:3], v[10:11]
	v_pk_add_f32 v[2:3], v[50:51], 0 op_sel_hi:[1,0]
	v_min_f32_e32 v10, v110, v109
	v_min_f32_e32 v11, v111, v108
	v_pk_add_f32 v[112:113], v[10:11], v[2:3]
	v_pk_add_f32 v[2:3], v[64:65], 0 op_sel_hi:[1,0]
	v_min_f32_e32 v10, v110, v127
	v_min_f32_e32 v11, v111, v126
	;; [unrolled: 4-line block ×3, first 2 shown]
	v_pk_add_f32 v[80:81], v[10:11], v[2:3]
	v_min_f32_e32 v3, v111, v130
	v_min_f32_e32 v2, v110, v131
	v_pk_add_f32 v[10:11], v[82:83], 0 op_sel_hi:[1,0]
	s_nop 0
	v_pk_add_f32 v[64:65], v[2:3], v[10:11]
	v_min_f32_e32 v2, v132, v109
	v_min_f32_e32 v3, v133, v108
	v_pk_add_f32 v[10:11], v[98:99], 0 op_sel_hi:[1,0]
	s_nop 0
	v_pk_add_f32 v[110:111], v[2:3], v[10:11]
	v_min_f32_e32 v2, v132, v127
	v_min_f32_e32 v3, v133, v126
	v_pk_add_f32 v[10:11], v[100:101], 0 op_sel_hi:[1,0]
	s_nop 0
	v_pk_add_f32 v[98:99], v[2:3], v[10:11]
	v_min_f32_e32 v2, v132, v129
	v_min_f32_e32 v3, v133, v128
	v_pk_add_f32 v[10:11], v[102:103], 0 op_sel_hi:[1,0]
	s_nop 0
	v_pk_add_f32 v[82:83], v[2:3], v[10:11]
	v_min_f32_e32 v3, v133, v130
	v_min_f32_e32 v2, v132, v131
	v_pk_add_f32 v[10:11], v[104:105], 0 op_sel_hi:[1,0]
	s_nop 0
	v_pk_add_f32 v[66:67], v[2:3], v[10:11]
	v_min_f32_e32 v3, v124, v130
	v_min_f32_e32 v2, v125, v131
	v_pk_add_f32 v[10:11], v[106:107], 0 op_sel_hi:[1,0]
	s_nop 0
	v_pk_add_f32 v[50:51], v[2:3], v[10:11]
	s_cbranch_scc1 .LBB27_31
; %bb.18:
	v_mov_b32_e32 v0, 0x1400
	v_lshl_add_u32 v219, v210, 4, v0
	v_mov_b32_e32 v0, 0x800
	v_lshl_add_u32 v220, v211, 4, v0
	v_mad_i64_i32 v[0:1], s[24:25], s23, v7, 0
	v_lshl_add_u64 v[100:101], v[0:1], 2, s[18:19]
	v_mad_i64_i32 v[0:1], s[24:25], s23, v6, 0
	v_lshl_add_u64 v[102:103], v[0:1], 2, s[18:19]
	v_add_u32_e32 v0, 8, v4
	v_mad_i64_i32 v[0:1], s[18:19], v0, s14, 0
	v_lshlrev_b64 v[104:105], 2, v[0:1]
	v_lshl_or_b32 v0, s2, 6, v5
	s_lshl_b32 s2, s3, 6
	v_subrev_u32_e32 v0, s2, v0
	v_ashrrev_i32_e32 v1, 31, v0
	v_lshl_add_u64 v[106:107], v[0:1], 2, s[16:17]
	v_add_u32_e32 v0, 12, v4
	s_lshl_b64 s[2:3], s[14:15], 5
	v_mad_i64_i32 v[0:1], s[14:15], v0, s14, 0
	v_or_b32_e32 v215, 0x1000, v9
	v_add_u32_e32 v216, 0x1000, v212
	v_add_u32_e32 v217, 0x1400, v9
	;; [unrolled: 1-line block ×3, first 2 shown]
	s_add_i32 s22, s22, -8
	s_mov_b32 s13, s12
	v_mov_b32_e32 v49, 0
	v_lshlrev_b64 v[108:109], 2, v[0:1]
	s_mov_b32 s14, 0
	s_branch .LBB27_21
.LBB27_19:                              ;   in Loop: Header=BB27_21 Depth=1
	flat_load_dword v16, v[124:125] offset:48
	flat_load_dword v17, v[126:127] offset:48
	s_waitcnt vmcnt(0) lgkmcnt(0)
	v_pk_mul_f32 v[16:17], s[12:13], v[16:17]
.LBB27_20:                              ;   in Loop: Header=BB27_21 Depth=1
	v_pk_add_f32 v[40:41], v[40:41], v[90:91]
	v_pk_add_f32 v[32:33], v[32:33], v[62:63]
	;; [unrolled: 1-line block ×32, first 2 shown]
	ds_read_b128 v[0:3], v213
	ds_read_b128 v[8:11], v213 offset:512
	v_pk_add_f32 v[22:23], v[6:7], v[82:83]
	ds_read_b128 v[4:7], v216 offset:896
	ds_read_b128 v[12:15], v216 offset:768
	ds_read_b128 v[82:85], v213 offset:1536
	ds_read_b128 v[86:89], v213 offset:1024
	v_pk_add_f32 v[90:91], v[136:137], v[70:71]
	v_pk_add_f32 v[92:93], v[144:145], v[92:93]
	;; [unrolled: 1-line block ×6, first 2 shown]
	ds_read_b128 v[90:93], v216
	v_pk_add_f32 v[36:37], v[36:37], v[76:77]
	v_pk_add_f32 v[116:117], v[146:147], v[116:117]
	;; [unrolled: 1-line block ×9, first 2 shown]
	s_waitcnt lgkmcnt(4)
	v_max_f32_e32 v117, v5, v5
	v_max_f32_e32 v119, v4, v4
	v_max_f32_e32 v120, v9, v9
	v_max_f32_e32 v121, v8, v8
	s_waitcnt lgkmcnt(1)
	v_max_f32_e32 v122, v87, v87
	v_max_f32_e32 v123, v86, v86
	v_min_f32_e32 v5, v117, v120
	v_min_f32_e32 v4, v119, v121
	;; [unrolled: 1-line block ×4, first 2 shown]
	v_max_f32_e32 v116, v1, v1
	v_max_f32_e32 v118, v0, v0
	v_pk_add_f32 v[4:5], v[4:5], v[80:81]
	v_pk_add_f32 v[8:9], v[8:9], v[78:79]
	ds_read_b128 v[78:81], v216 offset:128
	s_waitcnt lgkmcnt(1)
	v_max_f32_e32 v90, v90, v90
	v_max_f32_e32 v91, v91, v91
	v_min_f32_e32 v86, v90, v118
	v_min_f32_e32 v87, v91, v116
	v_pk_add_f32 v[94:95], v[150:151], v[94:95]
	v_pk_add_f32 v[86:87], v[86:87], v[72:73]
	v_min_f32_e32 v72, v90, v121
	v_min_f32_e32 v73, v91, v120
	v_pk_add_f32 v[96:97], v[156:157], v[96:97]
	v_pk_add_f32 v[40:41], v[190:191], v[94:95]
	;; [unrolled: 1-line block ×3, first 2 shown]
	v_min_f32_e32 v72, v90, v123
	v_min_f32_e32 v73, v91, v122
	v_pk_add_f32 v[32:33], v[200:201], v[96:97]
	v_pk_add_f32 v[96:97], v[72:73], v[76:77]
	v_max_f32_e32 v76, v83, v83
	v_max_f32_e32 v77, v82, v82
	v_pk_add_f32 v[70:71], v[26:27], v[24:25]
	v_min_f32_e32 v73, v91, v76
	v_min_f32_e32 v72, v90, v77
	s_waitcnt lgkmcnt(0)
	v_max_f32_e32 v74, v78, v78
	v_max_f32_e32 v75, v79, v79
	v_pk_add_f32 v[70:71], v[72:73], v[70:71]
	v_min_f32_e32 v72, v74, v118
	v_min_f32_e32 v73, v75, v116
	v_pk_add_f32 v[78:79], v[72:73], v[64:65]
	v_min_f32_e32 v64, v74, v121
	v_min_f32_e32 v65, v75, v120
	;; [unrolled: 3-line block ×3, first 2 shown]
	v_pk_add_f32 v[68:69], v[64:65], v[68:69]
	ds_read_b128 v[64:67], v216 offset:256
	v_pk_add_f32 v[98:99], v[162:163], v[98:99]
	v_min_f32_e32 v73, v75, v76
	v_min_f32_e32 v72, v74, v77
	v_pk_add_f32 v[24:25], v[206:207], v[98:99]
	v_pk_add_f32 v[98:99], v[72:73], v[62:63]
	ds_read_b128 v[72:75], v216 offset:384
	s_waitcnt lgkmcnt(1)
	v_max_f32_e32 v90, v64, v64
	v_max_f32_e32 v91, v65, v65
	v_min_f32_e32 v62, v90, v118
	v_min_f32_e32 v63, v91, v116
	v_pk_add_f32 v[56:57], v[62:63], v[56:57]
	v_min_f32_e32 v62, v90, v121
	v_min_f32_e32 v63, v91, v120
	v_pk_add_f32 v[54:55], v[142:143], v[54:55]
	v_pk_add_f32 v[110:111], v[164:165], v[110:111]
	;; [unrolled: 1-line block ×3, first 2 shown]
	v_min_f32_e32 v58, v90, v123
	v_min_f32_e32 v59, v91, v122
	v_pk_add_f32 v[54:55], v[182:183], v[54:55]
	v_pk_add_f32 v[26:27], v[208:209], v[110:111]
	;; [unrolled: 1-line block ×3, first 2 shown]
	v_min_f32_e32 v59, v91, v76
	v_min_f32_e32 v58, v90, v77
	s_waitcnt lgkmcnt(0)
	v_max_f32_e32 v62, v72, v72
	v_max_f32_e32 v63, v73, v73
	v_pk_add_f32 v[112:113], v[158:159], v[112:113]
	v_pk_add_f32 v[54:55], v[58:59], v[54:55]
	v_min_f32_e32 v58, v62, v118
	v_min_f32_e32 v59, v63, v116
	v_pk_add_f32 v[30:31], v[202:203], v[112:113]
	v_pk_add_f32 v[112:113], v[58:59], v[46:47]
	ds_read_b128 v[58:61], v216 offset:512
	v_min_f32_e32 v46, v62, v121
	v_min_f32_e32 v47, v63, v120
	v_pk_add_f32 v[114:115], v[152:153], v[114:115]
	v_pk_add_f32 v[50:51], v[46:47], v[50:51]
	v_min_f32_e32 v46, v62, v123
	v_min_f32_e32 v47, v63, v122
	v_pk_add_f32 v[38:39], v[192:193], v[114:115]
	v_pk_add_f32 v[114:115], v[46:47], v[52:53]
	v_min_f32_e32 v47, v63, v76
	v_min_f32_e32 v46, v62, v77
	v_pk_add_f32 v[18:19], v[198:199], v[124:125]
	v_pk_add_f32 v[124:125], v[46:47], v[44:45]
	ds_read_b128 v[44:47], v216 offset:640
	s_waitcnt lgkmcnt(1)
	v_max_f32_e32 v58, v58, v58
	v_max_f32_e32 v59, v59, v59
	v_min_f32_e32 v52, v58, v118
	v_min_f32_e32 v53, v59, v116
	v_pk_add_f32 v[38:39], v[52:53], v[38:39]
	v_min_f32_e32 v52, v58, v121
	v_min_f32_e32 v53, v59, v120
	v_pk_add_f32 v[40:41], v[52:53], v[40:41]
	;; [unrolled: 3-line block ×4, first 2 shown]
	s_waitcnt lgkmcnt(0)
	v_max_f32_e32 v52, v44, v44
	v_max_f32_e32 v53, v45, v45
	v_min_f32_e32 v44, v52, v118
	v_min_f32_e32 v45, v53, v116
	v_pk_add_f32 v[30:31], v[44:45], v[30:31]
	v_min_f32_e32 v44, v52, v121
	v_min_f32_e32 v45, v53, v120
	v_pk_add_f32 v[32:33], v[44:45], v[32:33]
	v_min_f32_e32 v44, v52, v123
	v_min_f32_e32 v45, v53, v122
	v_pk_add_f32 v[34:35], v[44:45], v[34:35]
	v_min_f32_e32 v45, v53, v76
	v_min_f32_e32 v44, v52, v77
	v_pk_add_f32 v[28:29], v[44:45], v[28:29]
	v_max_f32_e32 v44, v12, v12
	v_max_f32_e32 v45, v13, v13
	v_min_f32_e32 v12, v44, v118
	v_min_f32_e32 v13, v45, v116
	v_pk_add_f32 v[12:13], v[12:13], v[26:27]
	v_min_f32_e32 v26, v44, v121
	v_min_f32_e32 v27, v45, v120
	v_pk_add_f32 v[24:25], v[26:27], v[24:25]
	;; [unrolled: 3-line block ×4, first 2 shown]
	v_min_f32_e32 v27, v117, v76
	v_min_f32_e32 v26, v119, v77
	;; [unrolled: 1-line block ×4, first 2 shown]
	v_pk_add_f32 v[18:19], v[26:27], v[18:19]
	v_max_f32_e32 v26, v3, v3
	v_max_f32_e32 v7, v7, v7
	v_max_f32_e32 v27, v2, v2
	v_max_f32_e32 v6, v6, v6
	v_pk_add_f32 v[0:1], v[0:1], v[126:127]
	v_min_f32_e32 v3, v7, v26
	v_min_f32_e32 v2, v6, v27
	v_pk_add_f32 v[90:91], v[2:3], v[0:1]
	v_max_f32_e32 v2, v11, v11
	v_max_f32_e32 v3, v10, v10
	v_min_f32_e32 v1, v7, v2
	v_min_f32_e32 v0, v6, v3
	v_pk_add_f32 v[76:77], v[0:1], v[4:5]
	v_max_f32_e32 v4, v89, v89
	v_max_f32_e32 v5, v88, v88
	;; [unrolled: 5-line block ×3, first 2 shown]
	v_min_f32_e32 v0, v8, v27
	v_min_f32_e32 v1, v9, v26
	v_pk_add_f32 v[122:123], v[0:1], v[86:87]
	v_min_f32_e32 v0, v8, v3
	v_min_f32_e32 v1, v9, v2
	v_pk_add_f32 v[88:89], v[0:1], v[94:95]
	v_min_f32_e32 v0, v8, v5
	v_min_f32_e32 v1, v9, v4
	v_max_f32_e32 v10, v85, v85
	v_pk_add_f32 v[72:73], v[0:1], v[96:97]
	v_min_f32_e32 v1, v9, v10
	v_max_f32_e32 v9, v84, v84
	v_min_f32_e32 v0, v8, v9
	v_max_f32_e32 v8, v80, v80
	v_max_f32_e32 v11, v81, v81
	v_pk_add_f32 v[58:59], v[0:1], v[70:71]
	v_min_f32_e32 v0, v8, v27
	v_min_f32_e32 v1, v11, v26
	v_pk_add_f32 v[120:121], v[0:1], v[78:79]
	v_min_f32_e32 v0, v8, v3
	v_min_f32_e32 v1, v11, v2
	v_pk_add_f32 v[84:85], v[0:1], v[82:83]
	v_min_f32_e32 v0, v8, v5
	v_min_f32_e32 v1, v11, v4
	v_pk_add_f32 v[68:69], v[0:1], v[68:69]
	v_min_f32_e32 v1, v11, v10
	v_min_f32_e32 v0, v8, v9
	v_max_f32_e32 v8, v66, v66
	v_max_f32_e32 v11, v67, v67
	v_pk_add_f32 v[52:53], v[0:1], v[98:99]
	v_min_f32_e32 v0, v8, v27
	v_min_f32_e32 v1, v11, v26
	v_pk_add_f32 v[118:119], v[0:1], v[56:57]
	v_min_f32_e32 v0, v8, v3
	v_min_f32_e32 v1, v11, v2
	v_pk_add_f32 v[86:87], v[0:1], v[64:65]
	v_min_f32_e32 v0, v8, v5
	v_min_f32_e32 v1, v11, v4
	v_pk_add_f32 v[70:71], v[0:1], v[110:111]
	v_min_f32_e32 v1, v11, v10
	;; [unrolled: 14-line block ×6, first 2 shown]
	v_min_f32_e32 v0, v8, v9
	v_pk_add_f32 v[66:67], v[0:1], v[22:23]
	v_min_f32_e32 v1, v7, v10
	v_min_f32_e32 v0, v6, v9
	s_add_i32 s14, s14, 8
	v_pk_add_f32 v[50:51], v[0:1], v[18:19]
	v_lshl_add_u64 v[100:101], v[100:101], 0, 32
	v_lshl_add_u64 v[102:103], v[102:103], 0, 32
	s_cmp_ge_i32 s14, s22
	v_lshl_add_u64 v[106:107], v[106:107], 0, s[2:3]
	ds_write_b32 v217, v221
	ds_write2st64_b32 v218, v16, v17 offset1:4
	s_waitcnt lgkmcnt(0)
	s_barrier
	s_cbranch_scc1 .LBB27_31
.LBB27_21:                              ; =>This Inner Loop Header: Depth=1
	s_and_b64 vcc, exec, s[4:5]
	v_mov_b32_e32 v130, 0
	s_cbranch_vccnz .LBB27_23
; %bb.22:                               ;   in Loop: Header=BB27_21 Depth=1
	v_lshl_add_u64 v[0:1], v[106:107], 0, v[104:105]
	flat_load_dword v0, v[0:1]
	s_waitcnt vmcnt(0) lgkmcnt(0)
	v_mul_f32_e32 v130, s12, v0
.LBB27_23:                              ;   in Loop: Header=BB27_21 Depth=1
	s_and_b64 vcc, exec, s[4:5]
	v_lshl_add_u64 v[124:125], v[102:103], 0, v[48:49]
	v_lshl_add_u64 v[126:127], v[100:101], 0, v[48:49]
	s_cbranch_vccnz .LBB27_25
; %bb.24:                               ;   in Loop: Header=BB27_21 Depth=1
	flat_load_dword v0, v[124:125] offset:32
	flat_load_dword v1, v[126:127] offset:32
	s_waitcnt vmcnt(0) lgkmcnt(0)
	v_pk_mul_f32 v[128:129], s[12:13], v[0:1]
	s_branch .LBB27_26
.LBB27_25:                              ;   in Loop: Header=BB27_21 Depth=1
	v_mov_b32_e32 v128, 0
	v_mov_b32_e32 v129, 0
.LBB27_26:                              ;   in Loop: Header=BB27_21 Depth=1
	ds_read_b128 v[40:43], v220
	ds_read_b128 v[36:39], v220 offset:512
	ds_read_b128 v[24:27], v220 offset:1536
	;; [unrolled: 1-line block ×3, first 2 shown]
	ds_read_b128 v[28:31], v219
	ds_read_b128 v[20:23], v219 offset:128
	ds_read_b128 v[16:19], v219 offset:256
	;; [unrolled: 1-line block ×7, first 2 shown]
	s_and_b64 vcc, exec, s[4:5]
	ds_write_b32 v215, v130
	ds_write2st64_b32 v214, v128, v129 offset1:4
	s_waitcnt lgkmcnt(0)
	s_barrier
	s_cbranch_vccnz .LBB27_28
; %bb.27:                               ;   in Loop: Header=BB27_21 Depth=1
	v_lshl_add_u64 v[128:129], v[106:107], 0, v[108:109]
	flat_load_dword v128, v[128:129]
	s_waitcnt vmcnt(0) lgkmcnt(0)
	v_mul_f32_e32 v221, s12, v128
	s_branch .LBB27_29
.LBB27_28:                              ;   in Loop: Header=BB27_21 Depth=1
	v_mov_b32_e32 v221, 0
.LBB27_29:                              ;   in Loop: Header=BB27_21 Depth=1
	v_max_f32_e32 v162, v41, v41
	v_max_f32_e32 v163, v40, v40
	;; [unrolled: 1-line block ×10, first 2 shown]
	v_min_f32_e32 v140, v16, v163
	v_min_f32_e32 v141, v17, v162
	v_min_f32_e32 v138, v16, v167
	v_min_f32_e32 v139, v17, v166
	v_min_f32_e32 v136, v16, v171
	v_min_f32_e32 v137, v17, v169
	v_min_f32_e32 v143, v17, v172
	v_min_f32_e32 v142, v16, v173
	v_max_f32_e32 v16, v12, v12
	v_max_f32_e32 v17, v13, v13
	v_min_f32_e32 v146, v16, v163
	v_min_f32_e32 v147, v17, v162
	v_min_f32_e32 v144, v16, v167
	v_min_f32_e32 v145, v17, v166
	v_min_f32_e32 v12, v16, v171
	v_min_f32_e32 v13, v17, v169
	v_min_f32_e32 v149, v17, v172
	v_min_f32_e32 v148, v16, v173
	v_max_f32_e32 v16, v8, v8
	v_max_f32_e32 v17, v9, v9
	;; [unrolled: 10-line block ×3, first 2 shown]
	v_max_f32_e32 v168, v45, v45
	v_max_f32_e32 v170, v44, v44
	;; [unrolled: 1-line block ×6, first 2 shown]
	v_min_f32_e32 v158, v16, v163
	v_min_f32_e32 v159, v17, v162
	;; [unrolled: 1-line block ×8, first 2 shown]
	v_max_f32_e32 v16, v0, v0
	v_max_f32_e32 v17, v1, v1
	v_min_f32_e32 v41, v168, v162
	v_min_f32_e32 v40, v170, v163
	;; [unrolled: 1-line block ×17, first 2 shown]
	v_max_f32_e32 v16, v43, v43
	v_max_f32_e32 v198, v42, v42
	;; [unrolled: 1-line block ×10, first 2 shown]
	v_min_f32_e32 v36, v170, v167
	v_min_f32_e32 v33, v168, v169
	;; [unrolled: 1-line block ×14, first 2 shown]
	v_max_f32_e32 v17, v47, v47
	v_max_f32_e32 v222, v46, v46
	;; [unrolled: 1-line block ×12, first 2 shown]
	v_min_f32_e32 v202, v6, v198
	v_min_f32_e32 v203, v7, v16
	;; [unrolled: 1-line block ×8, first 2 shown]
	v_max_f32_e32 v6, v2, v2
	v_max_f32_e32 v7, v3, v3
	v_min_f32_e32 v32, v170, v171
	v_min_f32_e32 v43, v17, v16
	;; [unrolled: 1-line block ×56, first 2 shown]
	s_and_b64 vcc, exec, s[4:5]
	v_min_f32_e32 v198, v222, v226
	s_cbranch_vccz .LBB27_19
; %bb.30:                               ;   in Loop: Header=BB27_21 Depth=1
	v_mov_b32_e32 v16, 0
	v_mov_b32_e32 v17, 0
	s_branch .LBB27_20
.LBB27_31:
	s_load_dword s12, s[0:1], 0x58
	ds_read_b128 v[40:43], v213 offset:2048
	ds_read_b128 v[44:47], v212 offset:5120
	v_add_u32_e32 v102, s21, v211
	v_cmp_neq_f32_e64 s[4:5], s26, 0
	v_add_u32_e32 v48, s20, v210
	s_waitcnt lgkmcnt(0)
	v_mad_i64_i32 v[0:1], s[2:3], v102, s12, 0
	v_ashrrev_i32_e32 v49, 31, v48
	v_lshl_add_u64 v[100:101], v[0:1], 2, s[8:9]
	s_and_b64 vcc, exec, s[4:5]
	v_mov_b32_e32 v105, 0
	v_mov_b32_e32 v104, 0
	s_cbranch_vccz .LBB27_33
; %bb.32:
	v_lshl_add_u64 v[0:1], v[48:49], 2, v[100:101]
	flat_load_dword v0, v[0:1]
	s_waitcnt vmcnt(0) lgkmcnt(0)
	v_mul_f32_e32 v104, s26, v0
.LBB27_33:
	ds_read_b128 v[12:15], v212 offset:6016
	ds_read_b128 v[0:3], v213 offset:3584
	;; [unrolled: 1-line block ×6, first 2 shown]
	s_load_dword s13, s[0:1], 0x70
	s_load_dwordx2 s[2:3], s[0:1], 0x78
	v_max_f32_e32 v124, v40, v40
	v_max_f32_e32 v44, v44, v44
	v_max_f32_e32 v125, v41, v41
	v_max_f32_e32 v103, v45, v45
	ds_read_b128 v[28:31], v212 offset:5504
	ds_read_b128 v[24:27], v212 offset:5632
	;; [unrolled: 1-line block ×4, first 2 shown]
	v_min_f32_e32 v40, v44, v124
	v_min_f32_e32 v41, v103, v125
	v_pk_add_f32 v[40:41], v[40:41], v[122:123]
	v_max_f32_e32 v122, v42, v42
	v_max_f32_e32 v45, v46, v46
	;; [unrolled: 1-line block ×4, first 2 shown]
	s_waitcnt lgkmcnt(0)
	s_lshl_b64 s[0:1], s[2:3], 2
	v_min_f32_e32 v42, v45, v122
	v_min_f32_e32 v43, v46, v123
	s_add_u32 s2, s10, s0
	v_pk_add_f32 v[106:107], v[42:43], v[40:41]
	s_addc_u32 s3, s11, s1
	v_mad_i64_i32 v[42:43], s[0:1], v102, s13, 0
	v_add_f32_e32 v47, v106, v107
	v_add_u32_e32 v40, 8, v48
	v_lshl_add_u64 v[42:43], v[42:43], 2, s[2:3]
	v_add_f32_e32 v47, v47, v104
	v_cndmask_b32_e64 v104, 0, 1, s[4:5]
	v_ashrrev_i32_e32 v41, 31, v40
	v_lshl_add_u64 v[106:107], v[48:49], 2, v[42:43]
	v_cmp_ne_u32_e64 s[0:1], 1, v104
	s_andn2_b64 vcc, exec, s[4:5]
	global_store_dword v[106:107], v47, off
	s_cbranch_vccnz .LBB27_35
; %bb.34:
	v_lshl_add_u64 v[104:105], v[40:41], 2, v[100:101]
	flat_load_dword v47, v[104:105]
	s_waitcnt vmcnt(0) lgkmcnt(0)
	v_mul_f32_e32 v105, s26, v47
.LBB27_35:
	v_max_f32_e32 v47, v36, v36
	v_max_f32_e32 v104, v37, v37
	v_min_f32_e32 v36, v47, v124
	v_min_f32_e32 v37, v104, v125
	v_max_f32_e32 v38, v38, v38
	v_max_f32_e32 v39, v39, v39
	v_pk_add_f32 v[36:37], v[36:37], v[120:121]
	v_min_f32_e32 v106, v38, v122
	v_min_f32_e32 v107, v39, v123
	v_pk_add_f32 v[36:37], v[106:107], v[36:37]
	s_and_b64 vcc, exec, s[0:1]
	v_add_f32_e32 v106, v36, v37
	v_add_u32_e32 v36, 16, v48
	v_add_f32_e32 v105, v106, v105
	v_lshl_add_u64 v[106:107], v[40:41], 2, v[42:43]
	v_ashrrev_i32_e32 v37, 31, v36
	global_store_dword v[106:107], v105, off
	v_mov_b32_e32 v109, 0
	v_mov_b32_e32 v107, 0
	s_cbranch_vccnz .LBB27_37
; %bb.36:
	v_lshl_add_u64 v[106:107], v[36:37], 2, v[100:101]
	flat_load_dword v105, v[106:107]
	s_waitcnt vmcnt(0) lgkmcnt(0)
	v_mul_f32_e32 v107, s26, v105
.LBB27_37:
	v_max_f32_e32 v105, v32, v32
	v_max_f32_e32 v106, v33, v33
	v_min_f32_e32 v32, v105, v124
	v_min_f32_e32 v33, v106, v125
	v_max_f32_e32 v34, v34, v34
	v_max_f32_e32 v35, v35, v35
	v_pk_add_f32 v[32:33], v[32:33], v[118:119]
	v_min_f32_e32 v118, v34, v122
	v_min_f32_e32 v119, v35, v123
	v_pk_add_f32 v[32:33], v[118:119], v[32:33]
	v_lshl_add_u64 v[118:119], v[36:37], 2, v[42:43]
	v_add_f32_e32 v108, v32, v33
	v_add_u32_e32 v32, 24, v48
	v_ashrrev_i32_e32 v33, 31, v32
	v_add_f32_e32 v107, v108, v107
	s_and_b64 vcc, exec, s[0:1]
	global_store_dword v[118:119], v107, off
	s_cbranch_vccnz .LBB27_39
; %bb.38:
	v_lshl_add_u64 v[108:109], v[32:33], 2, v[100:101]
	flat_load_dword v107, v[108:109]
	s_waitcnt vmcnt(0) lgkmcnt(0)
	v_mul_f32_e32 v109, s26, v107
.LBB27_39:
	v_max_f32_e32 v107, v28, v28
	v_max_f32_e32 v108, v29, v29
	v_min_f32_e32 v28, v107, v124
	v_min_f32_e32 v29, v108, v125
	v_max_f32_e32 v30, v30, v30
	v_max_f32_e32 v31, v31, v31
	v_pk_add_f32 v[28:29], v[28:29], v[116:117]
	v_min_f32_e32 v116, v30, v122
	v_min_f32_e32 v117, v31, v123
	v_pk_add_f32 v[28:29], v[116:117], v[28:29]
	s_and_b64 vcc, exec, s[0:1]
	v_add_f32_e32 v116, v28, v29
	v_add_u32_e32 v28, 32, v48
	v_add_f32_e32 v109, v116, v109
	v_lshl_add_u64 v[116:117], v[32:33], 2, v[42:43]
	v_ashrrev_i32_e32 v29, 31, v28
	global_store_dword v[116:117], v109, off
	v_mov_b32_e32 v117, 0
	v_mov_b32_e32 v118, 0
	s_cbranch_vccnz .LBB27_41
; %bb.40:
	v_lshl_add_u64 v[118:119], v[28:29], 2, v[100:101]
	flat_load_dword v109, v[118:119]
	s_waitcnt vmcnt(0) lgkmcnt(0)
	v_mul_f32_e32 v118, s26, v109
.LBB27_41:
	v_max_f32_e32 v109, v24, v24
	v_max_f32_e32 v116, v25, v25
	v_min_f32_e32 v24, v109, v124
	v_min_f32_e32 v25, v116, v125
	v_max_f32_e32 v26, v26, v26
	v_max_f32_e32 v27, v27, v27
	v_pk_add_f32 v[24:25], v[24:25], v[114:115]
	v_min_f32_e32 v114, v26, v122
	v_min_f32_e32 v115, v27, v123
	v_pk_add_f32 v[24:25], v[114:115], v[24:25]
	s_and_b64 vcc, exec, s[0:1]
	v_add_f32_e32 v114, v24, v25
	v_add_u32_e32 v24, 40, v48
	v_ashrrev_i32_e32 v25, 31, v24
	v_add_f32_e32 v118, v114, v118
	v_lshl_add_u64 v[114:115], v[28:29], 2, v[42:43]
	global_store_dword v[114:115], v118, off
	s_cbranch_vccnz .LBB27_43
; %bb.42:
	v_lshl_add_u64 v[114:115], v[24:25], 2, v[100:101]
	flat_load_dword v114, v[114:115]
	s_waitcnt vmcnt(0) lgkmcnt(0)
	v_mul_f32_e32 v117, s26, v114
.LBB27_43:
	v_max_f32_e32 v114, v20, v20
	v_max_f32_e32 v115, v21, v21
	v_min_f32_e32 v20, v114, v124
	v_min_f32_e32 v21, v115, v125
	v_max_f32_e32 v22, v22, v22
	v_max_f32_e32 v23, v23, v23
	v_pk_add_f32 v[20:21], v[20:21], v[112:113]
	v_min_f32_e32 v112, v22, v122
	v_min_f32_e32 v113, v23, v123
	v_pk_add_f32 v[20:21], v[112:113], v[20:21]
	s_and_b64 vcc, exec, s[0:1]
	v_add_f32_e32 v112, v20, v21
	v_add_u32_e32 v20, 48, v48
	v_add_f32_e32 v117, v112, v117
	v_lshl_add_u64 v[112:113], v[24:25], 2, v[42:43]
	v_ashrrev_i32_e32 v21, 31, v20
	global_store_dword v[112:113], v117, off
	v_mov_b32_e32 v117, 0
	v_mov_b32_e32 v118, 0
	s_cbranch_vccnz .LBB27_45
; %bb.44:
	v_lshl_add_u64 v[112:113], v[20:21], 2, v[100:101]
	flat_load_dword v112, v[112:113]
	s_waitcnt vmcnt(0) lgkmcnt(0)
	v_mul_f32_e32 v118, s26, v112
.LBB27_45:
	v_max_f32_e32 v112, v16, v16
	v_max_f32_e32 v113, v17, v17
	v_min_f32_e32 v16, v112, v124
	v_min_f32_e32 v17, v113, v125
	v_pk_add_f32 v[16:17], v[16:17], v[110:111]
	v_max_f32_e32 v110, v18, v18
	v_max_f32_e32 v111, v19, v19
	v_min_f32_e32 v18, v110, v122
	v_min_f32_e32 v19, v111, v123
	v_pk_add_f32 v[16:17], v[18:19], v[16:17]
	s_and_b64 vcc, exec, s[0:1]
	v_add_f32_e32 v18, v16, v17
	v_add_u32_e32 v16, 56, v48
	v_ashrrev_i32_e32 v17, 31, v16
	v_add_f32_e32 v118, v18, v118
	v_lshl_add_u64 v[18:19], v[20:21], 2, v[42:43]
	global_store_dword v[18:19], v118, off
	s_cbranch_vccnz .LBB27_47
; %bb.46:
	v_lshl_add_u64 v[18:19], v[16:17], 2, v[100:101]
	flat_load_dword v18, v[18:19]
	s_waitcnt vmcnt(0) lgkmcnt(0)
	v_mul_f32_e32 v117, s26, v18
.LBB27_47:
	v_max_f32_e32 v18, v13, v13
	v_max_f32_e32 v19, v12, v12
	v_min_f32_e32 v13, v18, v125
	v_min_f32_e32 v12, v19, v124
	v_max_f32_e32 v15, v15, v15
	v_max_f32_e32 v14, v14, v14
	v_pk_add_f32 v[12:13], v[12:13], v[90:91]
	v_min_f32_e32 v91, v15, v123
	v_min_f32_e32 v90, v14, v122
	v_pk_add_f32 v[12:13], v[90:91], v[12:13]
	v_add_u32_e32 v91, 32, v102
	v_add_f32_e32 v12, v12, v13
	v_add_f32_e32 v90, v12, v117
	v_lshl_add_u64 v[12:13], v[16:17], 2, v[42:43]
	global_store_dword v[12:13], v90, off
	v_mad_i64_i32 v[12:13], s[4:5], v91, s12, 0
	v_lshl_add_u64 v[12:13], v[12:13], 2, s[8:9]
	s_and_b64 vcc, exec, s[0:1]
	v_mov_b32_e32 v90, 0
	v_mov_b32_e32 v100, 0
	s_cbranch_vccnz .LBB27_49
; %bb.48:
	v_lshl_add_u64 v[42:43], v[48:49], 2, v[12:13]
	flat_load_dword v42, v[42:43]
	s_waitcnt vmcnt(0) lgkmcnt(0)
	v_mul_f32_e32 v100, s26, v42
.LBB27_49:
	v_max_f32_e32 v42, v8, v8
	v_max_f32_e32 v43, v9, v9
	v_min_f32_e32 v8, v44, v42
	v_min_f32_e32 v9, v103, v43
	v_max_f32_e32 v10, v10, v10
	v_max_f32_e32 v11, v11, v11
	v_pk_add_f32 v[8:9], v[8:9], v[88:89]
	v_min_f32_e32 v88, v45, v10
	v_min_f32_e32 v89, v46, v11
	v_pk_add_f32 v[88:89], v[88:89], v[8:9]
	v_mad_i64_i32 v[8:9], s[4:5], v91, s13, 0
	v_lshl_add_u64 v[8:9], v[8:9], 2, s[2:3]
	v_add_f32_e32 v88, v88, v89
	v_add_f32_e32 v91, v88, v100
	v_lshl_add_u64 v[88:89], v[48:49], 2, v[8:9]
	s_and_b64 vcc, exec, s[0:1]
	global_store_dword v[88:89], v91, off
	s_cbranch_vccnz .LBB27_51
; %bb.50:
	v_lshl_add_u64 v[88:89], v[40:41], 2, v[12:13]
	flat_load_dword v88, v[88:89]
	s_waitcnt vmcnt(0) lgkmcnt(0)
	v_mul_f32_e32 v90, s26, v88
.LBB27_51:
	v_min_f32_e32 v88, v47, v42
	v_min_f32_e32 v89, v104, v43
	v_pk_add_f32 v[84:85], v[88:89], v[84:85]
	v_min_f32_e32 v88, v38, v10
	v_min_f32_e32 v89, v39, v11
	v_pk_add_f32 v[84:85], v[88:89], v[84:85]
	s_and_b64 vcc, exec, s[0:1]
	v_add_f32_e32 v84, v84, v85
	v_add_f32_e32 v88, v84, v90
	v_lshl_add_u64 v[84:85], v[40:41], 2, v[8:9]
	global_store_dword v[84:85], v88, off
	v_mov_b32_e32 v84, 0
	v_mov_b32_e32 v85, 0
	s_cbranch_vccnz .LBB27_53
; %bb.52:
	v_lshl_add_u64 v[88:89], v[36:37], 2, v[12:13]
	flat_load_dword v85, v[88:89]
	s_waitcnt vmcnt(0) lgkmcnt(0)
	v_mul_f32_e32 v85, s26, v85
.LBB27_53:
	v_min_f32_e32 v88, v105, v42
	v_min_f32_e32 v89, v106, v43
	v_pk_add_f32 v[86:87], v[88:89], v[86:87]
	v_min_f32_e32 v88, v34, v10
	v_min_f32_e32 v89, v35, v11
	v_pk_add_f32 v[86:87], v[88:89], v[86:87]
	s_and_b64 vcc, exec, s[0:1]
	v_add_f32_e32 v86, v86, v87
	v_add_f32_e32 v85, v86, v85
	v_lshl_add_u64 v[86:87], v[36:37], 2, v[8:9]
	global_store_dword v[86:87], v85, off
	s_cbranch_vccnz .LBB27_55
; %bb.54:
	v_lshl_add_u64 v[84:85], v[32:33], 2, v[12:13]
	flat_load_dword v84, v[84:85]
	s_waitcnt vmcnt(0) lgkmcnt(0)
	v_mul_f32_e32 v84, s26, v84
.LBB27_55:
	v_min_f32_e32 v86, v107, v42
	v_min_f32_e32 v87, v108, v43
	v_pk_add_f32 v[86:87], v[86:87], v[92:93]
	v_min_f32_e32 v88, v30, v10
	v_min_f32_e32 v89, v31, v11
	v_pk_add_f32 v[86:87], v[88:89], v[86:87]
	s_and_b64 vcc, exec, s[0:1]
	v_add_f32_e32 v85, v86, v87
	v_add_f32_e32 v86, v85, v84
	v_lshl_add_u64 v[84:85], v[32:33], 2, v[8:9]
	global_store_dword v[84:85], v86, off
	v_mov_b32_e32 v84, 0
	v_mov_b32_e32 v85, 0
	s_cbranch_vccnz .LBB27_57
; %bb.56:
	v_lshl_add_u64 v[86:87], v[28:29], 2, v[12:13]
	flat_load_dword v85, v[86:87]
	s_waitcnt vmcnt(0) lgkmcnt(0)
	v_mul_f32_e32 v85, s26, v85
.LBB27_57:
	v_min_f32_e32 v86, v109, v42
	v_min_f32_e32 v87, v116, v43
	v_pk_add_f32 v[86:87], v[86:87], v[94:95]
	v_min_f32_e32 v88, v26, v10
	v_min_f32_e32 v89, v27, v11
	v_pk_add_f32 v[86:87], v[88:89], v[86:87]
	s_and_b64 vcc, exec, s[0:1]
	v_add_f32_e32 v86, v86, v87
	v_add_f32_e32 v85, v86, v85
	v_lshl_add_u64 v[86:87], v[28:29], 2, v[8:9]
	;; [unrolled: 38-line block ×3, first 2 shown]
	global_store_dword v[86:87], v85, off
	s_cbranch_vccnz .LBB27_63
; %bb.62:
	v_lshl_add_u64 v[12:13], v[16:17], 2, v[12:13]
	flat_load_dword v12, v[12:13]
	s_waitcnt vmcnt(0) lgkmcnt(0)
	v_mul_f32_e32 v84, s26, v12
.LBB27_63:
	v_min_f32_e32 v13, v18, v43
	v_min_f32_e32 v12, v19, v42
	v_pk_add_f32 v[12:13], v[12:13], v[76:77]
	v_min_f32_e32 v11, v15, v11
	v_min_f32_e32 v10, v14, v10
	v_pk_add_f32 v[10:11], v[10:11], v[12:13]
	v_lshl_add_u64 v[8:9], v[16:17], 2, v[8:9]
	v_add_f32_e32 v10, v10, v11
	v_add_f32_e32 v10, v10, v84
	v_add_u32_e32 v13, 64, v102
	global_store_dword v[8:9], v10, off
	v_mad_i64_i32 v[8:9], s[4:5], v13, s12, 0
	v_lshl_add_u64 v[8:9], v[8:9], 2, s[8:9]
	s_and_b64 vcc, exec, s[0:1]
	v_mov_b32_e32 v12, 0
	v_mov_b32_e32 v42, 0
	s_cbranch_vccnz .LBB27_65
; %bb.64:
	v_lshl_add_u64 v[10:11], v[48:49], 2, v[8:9]
	flat_load_dword v10, v[10:11]
	s_waitcnt vmcnt(0) lgkmcnt(0)
	v_mul_f32_e32 v42, s26, v10
.LBB27_65:
	v_max_f32_e32 v10, v4, v4
	v_max_f32_e32 v11, v5, v5
	v_min_f32_e32 v4, v44, v10
	v_min_f32_e32 v5, v103, v11
	v_max_f32_e32 v6, v6, v6
	v_max_f32_e32 v7, v7, v7
	v_pk_add_f32 v[4:5], v[4:5], v[72:73]
	v_min_f32_e32 v72, v45, v6
	v_min_f32_e32 v73, v46, v7
	v_pk_add_f32 v[72:73], v[72:73], v[4:5]
	v_mad_i64_i32 v[4:5], s[4:5], v13, s13, 0
	v_lshl_add_u64 v[4:5], v[4:5], 2, s[2:3]
	v_add_f32_e32 v13, v72, v73
	v_add_f32_e32 v13, v13, v42
	v_lshl_add_u64 v[42:43], v[48:49], 2, v[4:5]
	s_and_b64 vcc, exec, s[0:1]
	global_store_dword v[42:43], v13, off
	s_cbranch_vccnz .LBB27_67
; %bb.66:
	v_lshl_add_u64 v[12:13], v[40:41], 2, v[8:9]
	flat_load_dword v12, v[12:13]
	s_waitcnt vmcnt(0) lgkmcnt(0)
	v_mul_f32_e32 v12, s26, v12
.LBB27_67:
	v_min_f32_e32 v42, v47, v10
	v_min_f32_e32 v43, v104, v11
	v_pk_add_f32 v[42:43], v[42:43], v[68:69]
	v_min_f32_e32 v68, v38, v6
	v_min_f32_e32 v69, v39, v7
	v_pk_add_f32 v[42:43], v[68:69], v[42:43]
	s_and_b64 vcc, exec, s[0:1]
	v_add_f32_e32 v13, v42, v43
	v_add_f32_e32 v42, v13, v12
	v_lshl_add_u64 v[12:13], v[40:41], 2, v[4:5]
	global_store_dword v[12:13], v42, off
	v_mov_b32_e32 v12, 0
	v_mov_b32_e32 v13, 0
	s_cbranch_vccnz .LBB27_69
; %bb.68:
	v_lshl_add_u64 v[42:43], v[36:37], 2, v[8:9]
	flat_load_dword v13, v[42:43]
	s_waitcnt vmcnt(0) lgkmcnt(0)
	v_mul_f32_e32 v13, s26, v13
.LBB27_69:
	v_min_f32_e32 v42, v105, v10
	v_min_f32_e32 v43, v106, v11
	v_pk_add_f32 v[42:43], v[42:43], v[70:71]
	v_min_f32_e32 v68, v34, v6
	v_min_f32_e32 v69, v35, v7
	v_pk_add_f32 v[42:43], v[68:69], v[42:43]
	s_and_b64 vcc, exec, s[0:1]
	v_add_f32_e32 v42, v42, v43
	v_add_f32_e32 v13, v42, v13
	v_lshl_add_u64 v[42:43], v[36:37], 2, v[4:5]
	global_store_dword v[42:43], v13, off
	s_cbranch_vccnz .LBB27_71
; %bb.70:
	v_lshl_add_u64 v[12:13], v[32:33], 2, v[8:9]
	flat_load_dword v12, v[12:13]
	s_waitcnt vmcnt(0) lgkmcnt(0)
	v_mul_f32_e32 v12, s26, v12
.LBB27_71:
	v_min_f32_e32 v42, v107, v10
	v_min_f32_e32 v43, v108, v11
	v_pk_add_f32 v[42:43], v[42:43], v[74:75]
	v_min_f32_e32 v68, v30, v6
	v_min_f32_e32 v69, v31, v7
	v_pk_add_f32 v[42:43], v[68:69], v[42:43]
	s_and_b64 vcc, exec, s[0:1]
	v_add_f32_e32 v13, v42, v43
	v_add_f32_e32 v42, v13, v12
	v_lshl_add_u64 v[12:13], v[32:33], 2, v[4:5]
	global_store_dword v[12:13], v42, off
	v_mov_b32_e32 v12, 0
	v_mov_b32_e32 v13, 0
	s_cbranch_vccnz .LBB27_73
; %bb.72:
	v_lshl_add_u64 v[42:43], v[28:29], 2, v[8:9]
	flat_load_dword v13, v[42:43]
	s_waitcnt vmcnt(0) lgkmcnt(0)
	v_mul_f32_e32 v13, s26, v13
.LBB27_73:
	v_min_f32_e32 v42, v109, v10
	v_min_f32_e32 v43, v116, v11
	v_pk_add_f32 v[42:43], v[42:43], v[78:79]
	v_min_f32_e32 v68, v26, v6
	v_min_f32_e32 v69, v27, v7
	v_pk_add_f32 v[42:43], v[68:69], v[42:43]
	s_and_b64 vcc, exec, s[0:1]
	v_add_f32_e32 v42, v42, v43
	v_add_f32_e32 v13, v42, v13
	v_lshl_add_u64 v[42:43], v[28:29], 2, v[4:5]
	;; [unrolled: 38-line block ×3, first 2 shown]
	global_store_dword v[42:43], v13, off
	s_cbranch_vccnz .LBB27_79
; %bb.78:
	v_lshl_add_u64 v[8:9], v[16:17], 2, v[8:9]
	flat_load_dword v8, v[8:9]
	s_waitcnt vmcnt(0) lgkmcnt(0)
	v_mul_f32_e32 v12, s26, v8
.LBB27_79:
	v_min_f32_e32 v9, v18, v11
	v_min_f32_e32 v8, v19, v10
	v_pk_add_f32 v[8:9], v[8:9], v[62:63]
	v_min_f32_e32 v7, v15, v7
	v_min_f32_e32 v6, v14, v6
	v_pk_add_f32 v[6:7], v[6:7], v[8:9]
	v_lshl_add_u64 v[4:5], v[16:17], 2, v[4:5]
	v_add_f32_e32 v6, v6, v7
	v_add_f32_e32 v6, v6, v12
	v_add_u32_e32 v9, 0x60, v102
	global_store_dword v[4:5], v6, off
	v_mad_i64_i32 v[4:5], s[4:5], v9, s12, 0
	v_lshl_add_u64 v[4:5], v[4:5], 2, s[8:9]
	s_and_b64 vcc, exec, s[0:1]
	v_mov_b32_e32 v8, 0
	v_mov_b32_e32 v10, 0
	s_cbranch_vccnz .LBB27_81
; %bb.80:
	v_lshl_add_u64 v[6:7], v[48:49], 2, v[4:5]
	flat_load_dword v6, v[6:7]
	s_waitcnt vmcnt(0) lgkmcnt(0)
	v_mul_f32_e32 v10, s26, v6
.LBB27_81:
	v_max_f32_e32 v6, v1, v1
	v_max_f32_e32 v7, v0, v0
	v_min_f32_e32 v1, v103, v6
	v_min_f32_e32 v0, v44, v7
	v_max_f32_e32 v3, v3, v3
	v_max_f32_e32 v2, v2, v2
	v_pk_add_f32 v[0:1], v[0:1], v[58:59]
	v_min_f32_e32 v13, v46, v3
	v_min_f32_e32 v12, v45, v2
	v_pk_add_f32 v[12:13], v[12:13], v[0:1]
	v_mad_i64_i32 v[0:1], s[4:5], v9, s13, 0
	v_lshl_add_u64 v[0:1], v[0:1], 2, s[2:3]
	v_add_f32_e32 v9, v12, v13
	v_add_f32_e32 v9, v9, v10
	v_lshl_add_u64 v[10:11], v[48:49], 2, v[0:1]
	s_and_b64 vcc, exec, s[0:1]
	global_store_dword v[10:11], v9, off
	s_cbranch_vccnz .LBB27_83
; %bb.82:
	v_lshl_add_u64 v[8:9], v[40:41], 2, v[4:5]
	flat_load_dword v8, v[8:9]
	s_waitcnt vmcnt(0) lgkmcnt(0)
	v_mul_f32_e32 v8, s26, v8
.LBB27_83:
	v_min_f32_e32 v11, v104, v6
	v_min_f32_e32 v10, v47, v7
	v_pk_add_f32 v[10:11], v[10:11], v[52:53]
	v_min_f32_e32 v13, v39, v3
	v_min_f32_e32 v12, v38, v2
	v_pk_add_f32 v[10:11], v[12:13], v[10:11]
	s_and_b64 vcc, exec, s[0:1]
	v_add_f32_e32 v9, v10, v11
	v_add_f32_e32 v10, v9, v8
	v_lshl_add_u64 v[8:9], v[40:41], 2, v[0:1]
	global_store_dword v[8:9], v10, off
	v_mov_b32_e32 v8, 0
	v_mov_b32_e32 v9, 0
	s_cbranch_vccnz .LBB27_85
; %bb.84:
	v_lshl_add_u64 v[10:11], v[36:37], 2, v[4:5]
	flat_load_dword v9, v[10:11]
	s_waitcnt vmcnt(0) lgkmcnt(0)
	v_mul_f32_e32 v9, s26, v9
.LBB27_85:
	v_min_f32_e32 v11, v106, v6
	v_min_f32_e32 v10, v105, v7
	v_pk_add_f32 v[10:11], v[10:11], v[54:55]
	v_min_f32_e32 v13, v35, v3
	v_min_f32_e32 v12, v34, v2
	v_pk_add_f32 v[10:11], v[12:13], v[10:11]
	s_and_b64 vcc, exec, s[0:1]
	v_add_f32_e32 v10, v10, v11
	v_add_f32_e32 v9, v10, v9
	v_lshl_add_u64 v[10:11], v[36:37], 2, v[0:1]
	global_store_dword v[10:11], v9, off
	s_cbranch_vccnz .LBB27_87
; %bb.86:
	v_lshl_add_u64 v[8:9], v[32:33], 2, v[4:5]
	flat_load_dword v8, v[8:9]
	s_waitcnt vmcnt(0) lgkmcnt(0)
	v_mul_f32_e32 v8, s26, v8
.LBB27_87:
	v_min_f32_e32 v11, v108, v6
	v_min_f32_e32 v10, v107, v7
	v_pk_add_f32 v[10:11], v[10:11], v[56:57]
	v_min_f32_e32 v13, v31, v3
	v_min_f32_e32 v12, v30, v2
	v_pk_add_f32 v[10:11], v[12:13], v[10:11]
	s_and_b64 vcc, exec, s[0:1]
	v_add_f32_e32 v9, v10, v11
	v_add_f32_e32 v10, v9, v8
	v_lshl_add_u64 v[8:9], v[32:33], 2, v[0:1]
	global_store_dword v[8:9], v10, off
	v_mov_b32_e32 v8, 0
	v_mov_b32_e32 v9, 0
	s_cbranch_vccnz .LBB27_89
; %bb.88:
	v_lshl_add_u64 v[10:11], v[28:29], 2, v[4:5]
	flat_load_dword v9, v[10:11]
	s_waitcnt vmcnt(0) lgkmcnt(0)
	v_mul_f32_e32 v9, s26, v9
.LBB27_89:
	v_min_f32_e32 v11, v116, v6
	v_min_f32_e32 v10, v109, v7
	v_pk_add_f32 v[10:11], v[10:11], v[60:61]
	v_min_f32_e32 v13, v27, v3
	v_min_f32_e32 v12, v26, v2
	v_pk_add_f32 v[10:11], v[12:13], v[10:11]
	s_and_b64 vcc, exec, s[0:1]
	v_add_f32_e32 v10, v10, v11
	v_add_f32_e32 v9, v10, v9
	v_lshl_add_u64 v[10:11], v[28:29], 2, v[0:1]
	global_store_dword v[10:11], v9, off
	s_cbranch_vccnz .LBB27_91
; %bb.90:
	v_lshl_add_u64 v[8:9], v[24:25], 2, v[4:5]
	flat_load_dword v8, v[8:9]
	s_waitcnt vmcnt(0) lgkmcnt(0)
	v_mul_f32_e32 v8, s26, v8
.LBB27_91:
	v_min_f32_e32 v11, v115, v6
	v_min_f32_e32 v10, v114, v7
	v_pk_add_f32 v[10:11], v[10:11], v[64:65]
	v_min_f32_e32 v13, v23, v3
	v_min_f32_e32 v12, v22, v2
	v_pk_add_f32 v[10:11], v[12:13], v[10:11]
	v_min_f32_e32 v13, v111, v3
	v_add_f32_e32 v9, v10, v11
	v_min_f32_e32 v11, v113, v6
	v_min_f32_e32 v10, v112, v7
	v_pk_add_f32 v[10:11], v[10:11], v[66:67]
	v_min_f32_e32 v12, v110, v2
	v_pk_add_f32 v[10:11], v[12:13], v[10:11]
	v_add_f32_e32 v12, v9, v8
	v_lshl_add_u64 v[8:9], v[24:25], 2, v[0:1]
	global_store_dword v[8:9], v12, off
	v_add_f32_e32 v8, v10, v11
	s_mov_b64 vcc, s[6:7]
	s_cbranch_vccz .LBB27_94
; %bb.92:
	v_add_f32_e32 v9, 0, v8
	v_lshl_add_u64 v[10:11], v[20:21], 2, v[0:1]
	s_mov_b32 s2, 0
	global_store_dword v[10:11], v9, off
	s_cbranch_execz .LBB27_95
; %bb.93:
	v_mov_b32_e32 v4, s2
	s_branch .LBB27_96
.LBB27_94:
                                        ; implicit-def: $sgpr2
.LBB27_95:
	v_lshlrev_b64 v[10:11], 2, v[20:21]
	v_lshl_add_u64 v[12:13], v[4:5], 0, v[10:11]
	flat_load_dword v9, v[12:13]
	v_lshl_add_u64 v[10:11], v[0:1], 0, v[10:11]
	v_lshl_add_u64 v[4:5], v[16:17], 2, v[4:5]
	s_waitcnt vmcnt(0) lgkmcnt(0)
	v_fmac_f32_e32 v8, s26, v9
	global_store_dword v[10:11], v8, off
	flat_load_dword v4, v[4:5]
	s_waitcnt vmcnt(0) lgkmcnt(0)
	v_mul_f32_e32 v4, s26, v4
.LBB27_96:
	v_min_f32_e32 v9, v18, v6
	v_min_f32_e32 v8, v19, v7
	;; [unrolled: 1-line block ×4, first 2 shown]
	v_pk_add_f32 v[6:7], v[8:9], v[50:51]
	v_lshl_add_u64 v[0:1], v[16:17], 2, v[0:1]
	v_pk_add_f32 v[2:3], v[2:3], v[6:7]
	s_nop 0
	v_add_f32_e32 v2, v2, v3
	v_add_f32_e32 v2, v2, v4
	global_store_dword v[0:1], v2, off
	s_endpgm
	.section	.rodata,"a",@progbits
	.p2align	6, 0x0
	.amdhsa_kernel _ZN12_GLOBAL__N_120geam_min_plus_kernelIf15HIP_vector_typeIfLj2EES2_Li8ELi32ELi64ELi128ELi4ELi64ELi4ELi4ELi64ELc78ELc78ELb0ELb0ELb0EPKfKS4_KPfEEviiiT16_PT17_ilSA_ilS8_SA_ilPT18_ili26rocblas_geam_ex_operation_
		.amdhsa_group_segment_fixed_size 6144
		.amdhsa_private_segment_fixed_size 0
		.amdhsa_kernarg_size 136
		.amdhsa_user_sgpr_count 2
		.amdhsa_user_sgpr_dispatch_ptr 0
		.amdhsa_user_sgpr_queue_ptr 0
		.amdhsa_user_sgpr_kernarg_segment_ptr 1
		.amdhsa_user_sgpr_dispatch_id 0
		.amdhsa_user_sgpr_kernarg_preload_length 0
		.amdhsa_user_sgpr_kernarg_preload_offset 0
		.amdhsa_user_sgpr_private_segment_size 0
		.amdhsa_uses_dynamic_stack 0
		.amdhsa_enable_private_segment 0
		.amdhsa_system_sgpr_workgroup_id_x 1
		.amdhsa_system_sgpr_workgroup_id_y 0
		.amdhsa_system_sgpr_workgroup_id_z 1
		.amdhsa_system_sgpr_workgroup_info 0
		.amdhsa_system_vgpr_workitem_id 1
		.amdhsa_next_free_vgpr 227
		.amdhsa_next_free_sgpr 27
		.amdhsa_accum_offset 228
		.amdhsa_reserve_vcc 1
		.amdhsa_float_round_mode_32 0
		.amdhsa_float_round_mode_16_64 0
		.amdhsa_float_denorm_mode_32 3
		.amdhsa_float_denorm_mode_16_64 3
		.amdhsa_dx10_clamp 1
		.amdhsa_ieee_mode 1
		.amdhsa_fp16_overflow 0
		.amdhsa_tg_split 0
		.amdhsa_exception_fp_ieee_invalid_op 0
		.amdhsa_exception_fp_denorm_src 0
		.amdhsa_exception_fp_ieee_div_zero 0
		.amdhsa_exception_fp_ieee_overflow 0
		.amdhsa_exception_fp_ieee_underflow 0
		.amdhsa_exception_fp_ieee_inexact 0
		.amdhsa_exception_int_div_zero 0
	.end_amdhsa_kernel
	.section	.text._ZN12_GLOBAL__N_120geam_min_plus_kernelIf15HIP_vector_typeIfLj2EES2_Li8ELi32ELi64ELi128ELi4ELi64ELi4ELi4ELi64ELc78ELc78ELb0ELb0ELb0EPKfKS4_KPfEEviiiT16_PT17_ilSA_ilS8_SA_ilPT18_ili26rocblas_geam_ex_operation_,"axG",@progbits,_ZN12_GLOBAL__N_120geam_min_plus_kernelIf15HIP_vector_typeIfLj2EES2_Li8ELi32ELi64ELi128ELi4ELi64ELi4ELi4ELi64ELc78ELc78ELb0ELb0ELb0EPKfKS4_KPfEEviiiT16_PT17_ilSA_ilS8_SA_ilPT18_ili26rocblas_geam_ex_operation_,comdat
.Lfunc_end27:
	.size	_ZN12_GLOBAL__N_120geam_min_plus_kernelIf15HIP_vector_typeIfLj2EES2_Li8ELi32ELi64ELi128ELi4ELi64ELi4ELi4ELi64ELc78ELc78ELb0ELb0ELb0EPKfKS4_KPfEEviiiT16_PT17_ilSA_ilS8_SA_ilPT18_ili26rocblas_geam_ex_operation_, .Lfunc_end27-_ZN12_GLOBAL__N_120geam_min_plus_kernelIf15HIP_vector_typeIfLj2EES2_Li8ELi32ELi64ELi128ELi4ELi64ELi4ELi4ELi64ELc78ELc78ELb0ELb0ELb0EPKfKS4_KPfEEviiiT16_PT17_ilSA_ilS8_SA_ilPT18_ili26rocblas_geam_ex_operation_
                                        ; -- End function
	.section	.AMDGPU.csdata,"",@progbits
; Kernel info:
; codeLenInByte = 8964
; NumSgprs: 33
; NumVgprs: 227
; NumAgprs: 0
; TotalNumVgprs: 227
; ScratchSize: 0
; MemoryBound: 0
; FloatMode: 240
; IeeeMode: 1
; LDSByteSize: 6144 bytes/workgroup (compile time only)
; SGPRBlocks: 4
; VGPRBlocks: 28
; NumSGPRsForWavesPerEU: 33
; NumVGPRsForWavesPerEU: 227
; AccumOffset: 228
; Occupancy: 2
; WaveLimiterHint : 1
; COMPUTE_PGM_RSRC2:SCRATCH_EN: 0
; COMPUTE_PGM_RSRC2:USER_SGPR: 2
; COMPUTE_PGM_RSRC2:TRAP_HANDLER: 0
; COMPUTE_PGM_RSRC2:TGID_X_EN: 1
; COMPUTE_PGM_RSRC2:TGID_Y_EN: 0
; COMPUTE_PGM_RSRC2:TGID_Z_EN: 1
; COMPUTE_PGM_RSRC2:TIDIG_COMP_CNT: 1
; COMPUTE_PGM_RSRC3_GFX90A:ACCUM_OFFSET: 56
; COMPUTE_PGM_RSRC3_GFX90A:TG_SPLIT: 0
	.section	.text._ZN12_GLOBAL__N_120geam_min_plus_kernelIf15HIP_vector_typeIfLj2EES2_Li8ELi32ELi64ELi128ELi4ELi64ELi4ELi4ELi64ELc78ELc78ELb1ELb0ELb0EfKPKfKPfEEviiiT16_PT17_ilSA_ilS8_SA_ilPT18_ili26rocblas_geam_ex_operation_,"axG",@progbits,_ZN12_GLOBAL__N_120geam_min_plus_kernelIf15HIP_vector_typeIfLj2EES2_Li8ELi32ELi64ELi128ELi4ELi64ELi4ELi4ELi64ELc78ELc78ELb1ELb0ELb0EfKPKfKPfEEviiiT16_PT17_ilSA_ilS8_SA_ilPT18_ili26rocblas_geam_ex_operation_,comdat
	.globl	_ZN12_GLOBAL__N_120geam_min_plus_kernelIf15HIP_vector_typeIfLj2EES2_Li8ELi32ELi64ELi128ELi4ELi64ELi4ELi4ELi64ELc78ELc78ELb1ELb0ELb0EfKPKfKPfEEviiiT16_PT17_ilSA_ilS8_SA_ilPT18_ili26rocblas_geam_ex_operation_ ; -- Begin function _ZN12_GLOBAL__N_120geam_min_plus_kernelIf15HIP_vector_typeIfLj2EES2_Li8ELi32ELi64ELi128ELi4ELi64ELi4ELi4ELi64ELc78ELc78ELb1ELb0ELb0EfKPKfKPfEEviiiT16_PT17_ilSA_ilS8_SA_ilPT18_ili26rocblas_geam_ex_operation_
	.p2align	8
	.type	_ZN12_GLOBAL__N_120geam_min_plus_kernelIf15HIP_vector_typeIfLj2EES2_Li8ELi32ELi64ELi128ELi4ELi64ELi4ELi4ELi64ELc78ELc78ELb1ELb0ELb0EfKPKfKPfEEviiiT16_PT17_ilSA_ilS8_SA_ilPT18_ili26rocblas_geam_ex_operation_,@function
_ZN12_GLOBAL__N_120geam_min_plus_kernelIf15HIP_vector_typeIfLj2EES2_Li8ELi32ELi64ELi128ELi4ELi64ELi4ELi4ELi64ELc78ELc78ELb1ELb0ELb0EfKPKfKPfEEviiiT16_PT17_ilSA_ilS8_SA_ilPT18_ili26rocblas_geam_ex_operation_: ; @_ZN12_GLOBAL__N_120geam_min_plus_kernelIf15HIP_vector_typeIfLj2EES2_Li8ELi32ELi64ELi128ELi4ELi64ELi4ELi4ELi64ELc78ELc78ELb1ELb0ELb0EfKPKfKPfEEviiiT16_PT17_ilSA_ilS8_SA_ilPT18_ili26rocblas_geam_ex_operation_
; %bb.0:
	s_load_dwordx2 s[12:13], s[0:1], 0x8
	s_load_dwordx4 s[4:7], s[0:1], 0x20
	s_mov_b32 s20, s3
	s_mov_b32 s21, 0
	s_waitcnt lgkmcnt(0)
	v_cmp_eq_f32_e64 s[8:9], s13, 0
	s_and_b64 vcc, exec, s[8:9]
	s_cbranch_vccnz .LBB28_3
; %bb.1:
	s_load_dwordx2 s[10:11], s[0:1], 0x10
	s_lshl_b64 s[14:15], s[20:21], 3
	s_waitcnt lgkmcnt(0)
	s_add_u32 s10, s10, s14
	s_addc_u32 s11, s11, s15
	s_load_dwordx2 s[10:11], s[10:11], 0x0
	s_lshl_b64 s[4:5], s[4:5], 2
	s_waitcnt lgkmcnt(0)
	s_add_u32 s14, s10, s4
	s_addc_u32 s15, s11, s5
	s_andn2_b64 vcc, exec, s[8:9]
	s_cbranch_vccnz .LBB28_4
.LBB28_2:
	s_mov_b64 s[16:17], 0
	s_cbranch_execz .LBB28_5
	s_branch .LBB28_6
.LBB28_3:
	s_mov_b64 s[14:15], 0
	s_andn2_b64 vcc, exec, s[8:9]
	s_cbranch_vccz .LBB28_2
.LBB28_4:
                                        ; implicit-def: $sgpr16_sgpr17
.LBB28_5:
	s_lshl_b64 s[8:9], s[20:21], 3
	s_add_u32 s6, s6, s8
	s_load_dwordx2 s[4:5], s[0:1], 0x38
	s_addc_u32 s7, s7, s9
	s_load_dwordx2 s[6:7], s[6:7], 0x0
	s_waitcnt lgkmcnt(0)
	s_lshl_b64 s[4:5], s[4:5], 2
	s_add_u32 s16, s6, s4
	s_addc_u32 s17, s7, s5
.LBB28_6:
	s_load_dword s13, s[0:1], 0x40
	s_load_dwordx4 s[8:11], s[0:1], 0x58
	s_waitcnt lgkmcnt(0)
	v_cmp_eq_f32_e64 s[4:5], s13, 0
	s_and_b64 s[4:5], exec, s[4:5]
	s_mov_b64 vcc, s[4:5]
	s_cbranch_vccnz .LBB28_8
; %bb.7:
	s_load_dwordx2 s[6:7], s[0:1], 0x48
	s_lshl_b64 s[18:19], s[20:21], 3
	s_waitcnt lgkmcnt(0)
	s_add_u32 s6, s6, s18
	s_addc_u32 s7, s7, s19
	s_load_dwordx2 s[6:7], s[6:7], 0x0
	s_lshl_b64 s[8:9], s[8:9], 2
	s_waitcnt lgkmcnt(0)
	s_add_u32 s6, s6, s8
	s_addc_u32 s7, s7, s9
	s_branch .LBB28_9
.LBB28_8:
	s_mov_b64 s[6:7], 0
.LBB28_9:
	s_load_dword s3, s[0:1], 0x0
	s_load_dword s18, s[0:1], 0x18
	;; [unrolled: 1-line block ×3, first 2 shown]
	s_lshl_b64 s[8:9], s[20:21], 3
	s_add_u32 s8, s10, s8
	s_addc_u32 s9, s11, s9
	s_waitcnt lgkmcnt(0)
	s_add_i32 s3, s3, -1
	s_ashr_i32 s10, s3, 31
	s_lshr_b32 s10, s10, 26
	s_add_i32 s3, s3, s10
	s_ashr_i32 s3, s3, 6
	s_add_i32 s10, s3, 1
	v_cvt_f32_u32_e32 v1, s10
	s_not_b32 s3, s3
	v_and_b32_e32 v138, 0x3ff, v0
	v_bfe_u32 v139, v0, 10, 10
	v_rcp_iflag_f32_e32 v1, v1
	v_lshl_add_u32 v0, v139, 3, v138
	v_lshrrev_b32_e32 v9, 2, v0
	v_and_b32_e32 v8, 63, v0
	v_mul_f32_e32 v1, 0x4f7ffffe, v1
	v_cvt_u32_f32_e32 v1, v1
	v_and_b32_e32 v4, 3, v138
	v_lshrrev_b32_e32 v26, 6, v0
	v_lshlrev_b32_e32 v38, 2, v4
	v_readfirstlane_b32 s11, v1
	s_mul_i32 s3, s3, s11
	s_mul_hi_u32 s3, s11, s3
	s_add_i32 s11, s11, s3
	s_mul_hi_u32 s3, s2, s11
	s_mul_i32 s11, s3, s10
	s_sub_i32 s11, s2, s11
	s_add_i32 s20, s3, 1
	s_sub_i32 s21, s11, s10
	s_cmp_ge_u32 s11, s10
	s_cselect_b32 s3, s20, s3
	s_cselect_b32 s11, s21, s11
	s_add_i32 s20, s3, 1
	s_cmp_ge_u32 s11, s10
	s_cselect_b32 s3, s20, s3
	s_mul_i32 s10, s3, s10
	s_sub_i32 s2, s2, s10
	s_lshl_b32 s11, s3, 7
	s_lshl_b32 s10, s2, 6
	v_add_u32_e32 v10, s11, v9
	v_or_b32_e32 v20, s10, v8
	v_mov_b32_e32 v39, 0
	v_mad_i64_i32 v[22:23], s[2:3], v10, s19, 0
	v_add_u32_e32 v10, 64, v10
	v_mad_i64_i32 v[0:1], s[2:3], s18, v26, 0
	v_ashrrev_i32_e32 v21, 31, v20
	v_lshl_add_u64 v[4:5], s[16:17], 0, v[38:39]
	v_mad_i64_i32 v[24:25], s[2:3], v10, s19, 0
	v_lshl_add_u64 v[0:1], v[0:1], 2, s[14:15]
	v_lshlrev_b64 v[2:3], 2, v[20:21]
	v_lshl_add_u64 v[6:7], v[22:23], 2, v[4:5]
	v_lshl_add_u64 v[4:5], v[24:25], 2, v[4:5]
	;; [unrolled: 1-line block ×3, first 2 shown]
	flat_load_dword v11, v[6:7]
	flat_load_dword v10, v[4:5]
	;; [unrolled: 1-line block ×3, first 2 shown]
	v_add_u32_e32 v0, 4, v26
	v_lshlrev_b32_e32 v1, 4, v8
	s_load_dwordx2 s[2:3], s[8:9], 0x0
	v_lshl_add_u32 v27, v26, 2, v1
	v_mad_i64_i32 v[0:1], s[8:9], s18, v0, 0
	v_lshl_add_u64 v[0:1], v[0:1], 2, s[14:15]
	flat_load_dword v28, v[4:5] offset:16
	flat_load_dword v29, v[6:7] offset:16
	v_lshl_add_u64 v[0:1], v[0:1], 0, v[2:3]
	flat_load_dword v30, v[0:1]
	v_lshlrev_b32_e32 v141, 4, v139
	v_lshl_or_b32 v142, v9, 4, v38
	v_lshlrev_b32_e32 v140, 4, v138
	s_cmp_lt_i32 s12, 9
	s_waitcnt vmcnt(0) lgkmcnt(0)
	ds_write2st64_b32 v142, v11, v10 offset1:4
	ds_write_b32 v27, v12 offset:4096
	s_waitcnt lgkmcnt(0)
	s_barrier
	ds_read_b128 v[4:7], v141
	ds_read_b128 v[8:11], v141 offset:512
	ds_read_b128 v[0:3], v141 offset:1536
	;; [unrolled: 1-line block ×9, first 2 shown]
	s_waitcnt lgkmcnt(7)
	v_max_f32_e32 v67, v1, v1
	v_max_f32_e32 v68, v0, v0
	;; [unrolled: 1-line block ×4, first 2 shown]
	ds_read_b128 v[0:3], v140 offset:4608
	v_max_f32_e32 v31, v5, v5
	v_max_f32_e32 v57, v4, v4
	;; [unrolled: 1-line block ×4, first 2 shown]
	ds_read_b128 v[4:7], v140 offset:4736
	s_waitcnt lgkmcnt(5)
	v_max_f32_e32 v56, v41, v41
	v_max_f32_e32 v58, v40, v40
	;; [unrolled: 1-line block ×8, first 2 shown]
	s_waitcnt lgkmcnt(3)
	v_max_f32_e32 v34, v48, v48
	v_max_f32_e32 v35, v49, v49
	v_max_f32_e32 v75, v50, v50
	v_max_f32_e32 v86, v51, v51
	s_waitcnt lgkmcnt(2)
	v_max_f32_e32 v48, v52, v52
	v_max_f32_e32 v49, v53, v53
	s_waitcnt lgkmcnt(1)
	v_max_f32_e32 v50, v0, v0
	v_max_f32_e32 v51, v1, v1
	;; [unrolled: 1-line block ×6, first 2 shown]
	s_waitcnt lgkmcnt(0)
	v_max_f32_e32 v52, v4, v4
	v_max_f32_e32 v53, v5, v5
	;; [unrolled: 1-line block ×6, first 2 shown]
	v_min_f32_e32 v36, v48, v57
	v_min_f32_e32 v37, v49, v31
	;; [unrolled: 1-line block ×18, first 2 shown]
	v_max_f32_e32 v122, v11, v11
	v_max_f32_e32 v123, v10, v10
	;; [unrolled: 1-line block ×6, first 2 shown]
	v_min_f32_e32 v0, v8, v57
	v_min_f32_e32 v2, v8, v64
	;; [unrolled: 1-line block ×22, first 2 shown]
	v_pk_add_f32 v[50:51], v[50:51], 0 op_sel_hi:[1,0]
	v_min_f32_e32 v57, v120, v116
	v_min_f32_e32 v56, v121, v117
	v_max_f32_e32 v9, v17, v17
	v_max_f32_e32 v124, v15, v15
	;; [unrolled: 1-line block ×3, first 2 shown]
	v_min_f32_e32 v54, v58, v66
	v_pk_add_f32 v[84:85], v[56:57], v[50:51]
	v_pk_add_f32 v[50:51], v[52:53], 0 op_sel_hi:[1,0]
	v_min_f32_e32 v53, v120, v122
	v_min_f32_e32 v52, v121, v123
	v_max_f32_e32 v69, v18, v18
	v_max_f32_e32 v72, v19, v19
	v_min_f32_e32 v1, v9, v31
	v_min_f32_e32 v109, v71, v31
	;; [unrolled: 1-line block ×8, first 2 shown]
	v_pk_add_f32 v[70:71], v[52:53], v[50:51]
	v_pk_add_f32 v[50:51], v[54:55], 0 op_sel_hi:[1,0]
	v_min_f32_e32 v53, v120, v124
	v_min_f32_e32 v52, v121, v125
	v_max_f32_e32 v103, v3, v3
	v_min_f32_e32 v3, v9, v59
	v_pk_add_f32 v[54:55], v[52:53], v[50:51]
	v_pk_add_f32 v[0:1], v[0:1], 0 op_sel_hi:[1,0]
	v_min_f32_e32 v50, v69, v117
	v_min_f32_e32 v51, v72, v116
	v_min_f32_e32 v5, v9, v65
	v_pk_add_f32 v[96:97], v[50:51], v[0:1]
	v_pk_add_f32 v[0:1], v[2:3], 0 op_sel_hi:[1,0]
	v_min_f32_e32 v2, v69, v123
	v_min_f32_e32 v3, v72, v122
	v_max_f32_e32 v17, v33, v33
	v_max_f32_e32 v129, v7, v7
	v_min_f32_e32 v7, v9, v67
	v_pk_add_f32 v[80:81], v[2:3], v[0:1]
	v_pk_add_f32 v[0:1], v[4:5], 0 op_sel_hi:[1,0]
	v_min_f32_e32 v2, v69, v125
	v_min_f32_e32 v3, v72, v124
	;; [unrolled: 1-line block ×11, first 2 shown]
	v_pk_add_f32 v[66:67], v[2:3], v[0:1]
	v_min_f32_e32 v1, v72, v126
	v_min_f32_e32 v0, v69, v127
	v_pk_add_f32 v[2:3], v[6:7], 0 op_sel_hi:[1,0]
	v_min_f32_e32 v118, v58, v68
	v_pk_add_f32 v[58:59], v[0:1], v[2:3]
	v_pk_add_f32 v[0:1], v[8:9], 0 op_sel_hi:[1,0]
	v_min_f32_e32 v2, v73, v117
	v_min_f32_e32 v3, v74, v116
	v_pk_add_f32 v[92:93], v[2:3], v[0:1]
	v_pk_add_f32 v[0:1], v[10:11], 0 op_sel_hi:[1,0]
	v_min_f32_e32 v2, v73, v123
	;; [unrolled: 4-line block ×3, first 2 shown]
	v_min_f32_e32 v3, v74, v124
	v_min_f32_e32 v18, v34, v64
	v_pk_add_f32 v[64:65], v[2:3], v[0:1]
	v_min_f32_e32 v1, v74, v126
	v_min_f32_e32 v0, v73, v127
	v_pk_add_f32 v[2:3], v[14:15], 0 op_sel_hi:[1,0]
	v_min_f32_e32 v34, v34, v68
	v_pk_add_f32 v[50:51], v[0:1], v[2:3]
	v_pk_add_f32 v[0:1], v[16:17], 0 op_sel_hi:[1,0]
	v_min_f32_e32 v2, v75, v117
	v_min_f32_e32 v3, v86, v116
	v_pk_add_f32 v[94:95], v[2:3], v[0:1]
	v_pk_add_f32 v[0:1], v[18:19], 0 op_sel_hi:[1,0]
	v_min_f32_e32 v2, v75, v123
	;; [unrolled: 4-line block ×3, first 2 shown]
	v_min_f32_e32 v3, v86, v124
	v_pk_add_f32 v[68:69], v[2:3], v[0:1]
	v_min_f32_e32 v1, v86, v126
	v_min_f32_e32 v0, v75, v127
	v_pk_add_f32 v[2:3], v[34:35], 0 op_sel_hi:[1,0]
	ds_write2st64_b32 v142, v29, v28 offset0:8 offset1:12
	ds_write_b32 v27, v30 offset:5120
	v_pk_add_f32 v[52:53], v[0:1], v[2:3]
	v_pk_add_f32 v[0:1], v[36:37], 0 op_sel_hi:[1,0]
	v_min_f32_e32 v2, v88, v117
	v_min_f32_e32 v3, v89, v116
	v_pk_add_f32 v[98:99], v[2:3], v[0:1]
	v_pk_add_f32 v[0:1], v[40:41], 0 op_sel_hi:[1,0]
	v_min_f32_e32 v2, v88, v123
	v_min_f32_e32 v3, v89, v122
	v_pk_add_f32 v[86:87], v[2:3], v[0:1]
	v_pk_add_f32 v[0:1], v[42:43], 0 op_sel_hi:[1,0]
	v_min_f32_e32 v2, v88, v125
	v_min_f32_e32 v3, v89, v124
	v_pk_add_f32 v[72:73], v[2:3], v[0:1]
	v_min_f32_e32 v1, v89, v126
	v_min_f32_e32 v0, v88, v127
	v_pk_add_f32 v[2:3], v[44:45], 0 op_sel_hi:[1,0]
	s_waitcnt lgkmcnt(0)
	v_pk_add_f32 v[56:57], v[0:1], v[2:3]
	v_pk_add_f32 v[0:1], v[46:47], 0 op_sel_hi:[1,0]
	v_min_f32_e32 v2, v102, v117
	v_min_f32_e32 v3, v103, v116
	v_pk_add_f32 v[100:101], v[2:3], v[0:1]
	v_pk_add_f32 v[0:1], v[48:49], 0 op_sel_hi:[1,0]
	v_min_f32_e32 v2, v102, v123
	v_min_f32_e32 v3, v103, v122
	v_pk_add_f32 v[88:89], v[2:3], v[0:1]
	v_pk_add_f32 v[0:1], v[60:61], 0 op_sel_hi:[1,0]
	v_min_f32_e32 v2, v102, v125
	v_min_f32_e32 v3, v103, v124
	v_pk_add_f32 v[74:75], v[2:3], v[0:1]
	v_min_f32_e32 v1, v103, v126
	v_min_f32_e32 v0, v102, v127
	v_pk_add_f32 v[2:3], v[62:63], 0 op_sel_hi:[1,0]
	s_barrier
	v_pk_add_f32 v[60:61], v[0:1], v[2:3]
	v_pk_add_f32 v[0:1], v[76:77], 0 op_sel_hi:[1,0]
	v_min_f32_e32 v2, v128, v117
	v_min_f32_e32 v3, v129, v116
	v_pk_add_f32 v[102:103], v[2:3], v[0:1]
	v_pk_add_f32 v[0:1], v[90:91], 0 op_sel_hi:[1,0]
	v_min_f32_e32 v2, v128, v123
	v_min_f32_e32 v3, v129, v122
	;; [unrolled: 4-line block ×3, first 2 shown]
	v_pk_add_f32 v[76:77], v[2:3], v[0:1]
	v_min_f32_e32 v1, v129, v126
	v_min_f32_e32 v0, v128, v127
	v_pk_add_f32 v[2:3], v[106:107], 0 op_sel_hi:[1,0]
	s_nop 0
	v_pk_add_f32 v[62:63], v[0:1], v[2:3]
	v_min_f32_e32 v0, v130, v117
	v_min_f32_e32 v1, v131, v116
	v_pk_add_f32 v[2:3], v[108:109], 0 op_sel_hi:[1,0]
	s_nop 0
	;; [unrolled: 5-line block ×6, first 2 shown]
	v_pk_add_f32 v[104:105], v[0:1], v[2:3]
	s_cbranch_scc1 .LBB28_12
; %bb.10:
	v_mov_b32_e32 v0, 0x1400
	v_lshl_add_u32 v147, v138, 4, v0
	v_mov_b32_e32 v0, 0x800
	v_lshl_add_u32 v148, v139, 4, v0
	v_add_u32_e32 v0, 8, v26
	v_mad_i64_i32 v[0:1], s[8:9], v0, s18, 0
	v_lshlrev_b64 v[46:47], 2, v[0:1]
	v_add_u32_e32 v0, 12, v26
	s_ashr_i32 s19, s18, 31
	v_lshl_add_u64 v[40:41], v[20:21], 2, s[14:15]
	v_mad_i64_i32 v[0:1], s[14:15], v0, s18, 0
	v_or_b32_e32 v143, 0x1000, v27
	v_add_u32_e32 v144, 0x1000, v140
	v_add_u32_e32 v145, 0x1400, v27
	;; [unrolled: 1-line block ×3, first 2 shown]
	s_add_i32 s12, s12, -8
	v_lshl_add_u64 v[42:43], v[24:25], 2, s[16:17]
	v_lshl_add_u64 v[44:45], v[22:23], 2, s[16:17]
	s_lshl_b64 s[8:9], s[18:19], 5
	v_lshlrev_b64 v[48:49], 2, v[0:1]
	s_mov_b32 s14, 0
.LBB28_11:                              ; =>This Inner Loop Header: Depth=1
	v_lshl_add_u64 v[0:1], v[40:41], 0, v[46:47]
	flat_load_dword v151, v[0:1]
	v_lshl_add_u64 v[112:113], v[44:45], 0, v[38:39]
	v_lshl_add_u64 v[114:115], v[42:43], 0, v[38:39]
	flat_load_dword v149, v[112:113] offset:32
	flat_load_dword v150, v[114:115] offset:32
	ds_read_b128 v[14:17], v147 offset:896
	ds_read_b128 v[4:7], v148 offset:1536
	ds_read_b128 v[18:21], v148
	ds_read_b128 v[22:25], v148 offset:512
	ds_read_b128 v[26:29], v148 offset:1024
	ds_read_b128 v[30:33], v147
	ds_read_b128 v[34:37], v147 offset:128
	s_waitcnt lgkmcnt(0)
	v_max_f32_e32 v19, v19, v19
	v_max_f32_e32 v152, v15, v15
	;; [unrolled: 1-line block ×4, first 2 shown]
	v_min_f32_e32 v1, v152, v19
	v_min_f32_e32 v0, v153, v18
	ds_read_b128 v[12:15], v147 offset:256
	v_max_f32_e32 v23, v23, v23
	v_max_f32_e32 v22, v22, v22
	v_pk_add_f32 v[120:121], v[0:1], v[84:85]
	v_min_f32_e32 v1, v152, v23
	v_min_f32_e32 v0, v153, v22
	v_max_f32_e32 v154, v27, v27
	v_max_f32_e32 v155, v26, v26
	v_pk_add_f32 v[122:123], v[0:1], v[70:71]
	v_min_f32_e32 v1, v152, v154
	v_min_f32_e32 v0, v153, v155
	;; [unrolled: 5-line block ×3, first 2 shown]
	v_pk_add_f32 v[126:127], v[0:1], v[96:97]
	v_min_f32_e32 v0, v2, v22
	v_min_f32_e32 v1, v3, v23
	v_pk_add_f32 v[128:129], v[0:1], v[80:81]
	v_min_f32_e32 v0, v2, v155
	v_min_f32_e32 v1, v3, v154
	v_max_f32_e32 v30, v5, v5
	v_max_f32_e32 v31, v4, v4
	v_pk_add_f32 v[130:131], v[0:1], v[66:67]
	v_min_f32_e32 v1, v3, v30
	v_min_f32_e32 v0, v2, v31
	v_max_f32_e32 v2, v34, v34
	v_max_f32_e32 v3, v35, v35
	v_pk_add_f32 v[80:81], v[0:1], v[58:59]
	v_min_f32_e32 v0, v2, v18
	v_min_f32_e32 v1, v3, v19
	v_pk_add_f32 v[132:133], v[0:1], v[92:93]
	v_min_f32_e32 v0, v2, v22
	v_min_f32_e32 v1, v3, v23
	;; [unrolled: 3-line block ×4, first 2 shown]
	s_waitcnt lgkmcnt(0)
	v_max_f32_e32 v2, v12, v12
	v_max_f32_e32 v3, v13, v13
	ds_read_b128 v[10:13], v147 offset:384
	v_pk_add_f32 v[136:137], v[0:1], v[50:51]
	v_min_f32_e32 v0, v2, v18
	v_min_f32_e32 v1, v3, v19
	v_pk_add_f32 v[84:85], v[0:1], v[94:95]
	v_min_f32_e32 v0, v2, v22
	v_min_f32_e32 v1, v3, v23
	;; [unrolled: 3-line block ×4, first 2 shown]
	s_waitcnt lgkmcnt(0)
	v_max_f32_e32 v2, v10, v10
	v_max_f32_e32 v3, v11, v11
	ds_read_b128 v[8:11], v147 offset:512
	v_pk_add_f32 v[118:119], v[0:1], v[52:53]
	v_min_f32_e32 v0, v2, v18
	v_min_f32_e32 v1, v3, v19
	v_pk_add_f32 v[78:79], v[0:1], v[98:99]
	v_min_f32_e32 v0, v2, v22
	v_min_f32_e32 v1, v3, v23
	;; [unrolled: 3-line block ×4, first 2 shown]
	s_waitcnt lgkmcnt(0)
	v_max_f32_e32 v2, v8, v8
	v_max_f32_e32 v3, v9, v9
	v_pk_add_f32 v[92:93], v[0:1], v[56:57]
	v_min_f32_e32 v0, v2, v18
	v_min_f32_e32 v1, v3, v19
	v_pk_add_f32 v[66:67], v[0:1], v[100:101]
	v_min_f32_e32 v0, v2, v22
	v_min_f32_e32 v1, v3, v23
	;; [unrolled: 3-line block ×4, first 2 shown]
	ds_read_b128 v[2:5], v147 offset:640
	v_pk_add_f32 v[72:73], v[0:1], v[60:61]
	v_max_f32_e32 v98, v21, v21
	v_max_f32_e32 v99, v20, v20
	;; [unrolled: 1-line block ×3, first 2 shown]
	s_waitcnt lgkmcnt(0)
	v_max_f32_e32 v2, v2, v2
	v_max_f32_e32 v3, v3, v3
	v_min_f32_e32 v0, v2, v18
	v_min_f32_e32 v1, v3, v19
	v_pk_add_f32 v[50:51], v[0:1], v[102:103]
	v_min_f32_e32 v0, v2, v22
	v_min_f32_e32 v1, v3, v23
	v_pk_add_f32 v[52:53], v[0:1], v[90:91]
	v_min_f32_e32 v0, v2, v155
	v_min_f32_e32 v1, v3, v154
	v_pk_add_f32 v[54:55], v[0:1], v[76:77]
	v_min_f32_e32 v1, v3, v30
	v_min_f32_e32 v0, v2, v31
	v_pk_add_f32 v[56:57], v[0:1], v[62:63]
	ds_read_b128 v[0:3], v147 offset:768
	v_max_f32_e32 v24, v24, v24
	v_max_f32_e32 v29, v29, v29
	;; [unrolled: 1-line block ×11, first 2 shown]
	v_min_f32_e32 v32, v62, v99
	v_min_f32_e32 v33, v63, v98
	;; [unrolled: 1-line block ×12, first 2 shown]
	v_pk_add_f32 v[74:75], v[6:7], v[80:81]
	v_min_f32_e32 v6, v76, v99
	v_min_f32_e32 v7, v77, v98
	;; [unrolled: 1-line block ×4, first 2 shown]
	v_pk_add_f32 v[62:63], v[62:63], v[64:65]
	v_min_f32_e32 v65, v77, v102
	v_min_f32_e32 v64, v76, v103
	v_pk_add_f32 v[76:77], v[14:15], v[84:85]
	v_min_f32_e32 v14, v88, v24
	v_min_f32_e32 v15, v89, v25
	;; [unrolled: 3-line block ×3, first 2 shown]
	s_waitcnt lgkmcnt(0)
	v_max_f32_e32 v8, v0, v0
	v_max_f32_e32 v9, v1, v1
	v_pk_add_f32 v[84:85], v[14:15], v[96:97]
	v_min_f32_e32 v15, v89, v102
	v_min_f32_e32 v14, v88, v103
	;; [unrolled: 1-line block ×4, first 2 shown]
	v_pk_add_f32 v[88:89], v[14:15], v[118:119]
	v_max_f32_e32 v14, v12, v12
	v_max_f32_e32 v15, v13, v13
	v_pk_add_f32 v[26:27], v[0:1], v[116:117]
	v_min_f32_e32 v0, v8, v22
	v_min_f32_e32 v1, v9, v23
	;; [unrolled: 1-line block ×4, first 2 shown]
	v_pk_add_f32 v[22:23], v[0:1], v[110:111]
	v_min_f32_e32 v0, v8, v155
	v_min_f32_e32 v1, v9, v154
	v_pk_add_f32 v[90:91], v[12:13], v[78:79]
	v_min_f32_e32 v12, v14, v24
	v_min_f32_e32 v13, v15, v25
	v_pk_add_f32 v[18:19], v[0:1], v[108:109]
	v_min_f32_e32 v1, v9, v30
	v_min_f32_e32 v0, v8, v31
	v_pk_add_f32 v[96:97], v[12:13], v[82:83]
	v_min_f32_e32 v12, v14, v28
	v_min_f32_e32 v13, v15, v29
	v_pk_add_f32 v[8:9], v[0:1], v[106:107]
	v_min_f32_e32 v1, v152, v30
	v_min_f32_e32 v0, v153, v31
	v_pk_add_f32 v[100:101], v[12:13], v[86:87]
	v_min_f32_e32 v13, v15, v102
	v_min_f32_e32 v12, v14, v103
	v_pk_add_f32 v[0:1], v[0:1], v[104:105]
	v_pk_add_f32 v[104:105], v[12:13], v[92:93]
	v_max_f32_e32 v12, v10, v10
	v_max_f32_e32 v13, v11, v11
	v_min_f32_e32 v10, v12, v99
	v_min_f32_e32 v11, v13, v98
	v_pk_add_f32 v[108:109], v[10:11], v[66:67]
	v_min_f32_e32 v10, v12, v24
	v_min_f32_e32 v11, v13, v25
	v_pk_add_f32 v[110:111], v[10:11], v[68:69]
	;; [unrolled: 3-line block ×3, first 2 shown]
	v_min_f32_e32 v11, v13, v102
	v_min_f32_e32 v10, v12, v103
	v_max_f32_e32 v21, v17, v17
	v_max_f32_e32 v20, v16, v16
	v_pk_add_f32 v[118:119], v[10:11], v[72:73]
	v_max_f32_e32 v10, v4, v4
	v_max_f32_e32 v11, v5, v5
	v_min_f32_e32 v17, v21, v98
	v_min_f32_e32 v16, v20, v99
	v_min_f32_e32 v4, v10, v99
	v_min_f32_e32 v5, v11, v98
	v_pk_add_f32 v[16:17], v[16:17], v[120:121]
	v_min_f32_e32 v31, v21, v25
	v_min_f32_e32 v30, v20, v24
	v_pk_add_f32 v[120:121], v[4:5], v[50:51]
	v_min_f32_e32 v4, v10, v24
	v_min_f32_e32 v5, v11, v25
	;; [unrolled: 3-line block ×4, first 2 shown]
	v_pk_add_f32 v[34:35], v[34:35], v[124:125]
	v_pk_add_f32 v[124:125], v[4:5], v[54:55]
	v_min_f32_e32 v5, v11, v102
	v_min_f32_e32 v4, v10, v103
	v_pk_add_f32 v[32:33], v[32:33], v[126:127]
	v_pk_add_f32 v[126:127], v[4:5], v[56:57]
	v_max_f32_e32 v4, v2, v2
	v_max_f32_e32 v5, v3, v3
	v_min_f32_e32 v2, v4, v99
	v_min_f32_e32 v3, v5, v98
	v_pk_add_f32 v[58:59], v[58:59], v[128:129]
	v_pk_add_f32 v[128:129], v[2:3], v[26:27]
	v_min_f32_e32 v2, v4, v24
	v_min_f32_e32 v3, v5, v25
	v_pk_add_f32 v[60:61], v[60:61], v[130:131]
	v_pk_add_f32 v[130:131], v[2:3], v[22:23]
	;; [unrolled: 4-line block ×5, first 2 shown]
	v_lshl_add_u64 v[0:1], v[40:41], 0, v[48:49]
	s_waitcnt vmcnt(0)
	ds_write_b32 v143, v151
	ds_write2st64_b32 v142, v149, v150 offset1:4
	s_waitcnt lgkmcnt(0)
	s_barrier
	flat_load_dword v149, v[0:1]
	flat_load_dword v150, v[112:113] offset:48
	flat_load_dword v151, v[114:115] offset:48
	ds_read_b128 v[18:21], v144 offset:896
	ds_read_b128 v[8:11], v141 offset:1536
	ds_read_b128 v[26:29], v141
	s_add_i32 s14, s14, 8
	v_lshl_add_u64 v[42:43], v[42:43], 0, 32
	s_waitcnt lgkmcnt(0)
	v_max_f32_e32 v113, v19, v19
	v_max_f32_e32 v115, v18, v18
	;; [unrolled: 1-line block ×4, first 2 shown]
	ds_read_b128 v[24:27], v141 offset:512
	v_min_f32_e32 v1, v113, v112
	v_min_f32_e32 v0, v115, v114
	v_pk_add_f32 v[106:107], v[0:1], v[16:17]
	ds_read_b128 v[16:19], v144
	s_waitcnt lgkmcnt(0)
	v_max_f32_e32 v152, v25, v25
	v_max_f32_e32 v153, v24, v24
	ds_read_b128 v[22:25], v141 offset:1024
	v_min_f32_e32 v1, v113, v152
	v_min_f32_e32 v0, v115, v153
	v_max_f32_e32 v2, v16, v16
	v_max_f32_e32 v3, v17, v17
	ds_read_b128 v[14:17], v144 offset:128
	s_waitcnt lgkmcnt(0)
	v_max_f32_e32 v23, v23, v23
	v_max_f32_e32 v22, v22, v22
	v_pk_add_f32 v[70:71], v[0:1], v[30:31]
	v_min_f32_e32 v1, v113, v23
	v_min_f32_e32 v0, v115, v22
	v_pk_add_f32 v[54:55], v[0:1], v[34:35]
	v_min_f32_e32 v0, v2, v114
	v_min_f32_e32 v1, v3, v112
	;; [unrolled: 3-line block ×4, first 2 shown]
	v_max_f32_e32 v154, v9, v9
	v_max_f32_e32 v155, v8, v8
	v_pk_add_f32 v[92:93], v[0:1], v[60:61]
	v_min_f32_e32 v1, v3, v154
	v_min_f32_e32 v0, v2, v155
	v_max_f32_e32 v2, v14, v14
	v_max_f32_e32 v3, v15, v15
	ds_read_b128 v[12:15], v144 offset:256
	v_pk_add_f32 v[50:51], v[0:1], v[74:75]
	v_min_f32_e32 v0, v2, v114
	v_min_f32_e32 v1, v3, v112
	v_pk_add_f32 v[78:79], v[0:1], v[6:7]
	ds_read_b128 v[6:9], v144 offset:384
	v_min_f32_e32 v0, v2, v153
	v_min_f32_e32 v1, v3, v152
	v_pk_add_f32 v[82:83], v[0:1], v[36:37]
	v_min_f32_e32 v0, v2, v22
	v_min_f32_e32 v1, v3, v23
	v_pk_add_f32 v[94:95], v[0:1], v[62:63]
	v_min_f32_e32 v1, v3, v154
	v_min_f32_e32 v0, v2, v155
	s_waitcnt lgkmcnt(0)
	v_max_f32_e32 v2, v12, v12
	v_max_f32_e32 v3, v13, v13
	v_pk_add_f32 v[102:103], v[0:1], v[64:65]
	v_min_f32_e32 v0, v2, v114
	v_min_f32_e32 v1, v3, v112
	v_pk_add_f32 v[52:53], v[0:1], v[76:77]
	v_min_f32_e32 v0, v2, v153
	v_min_f32_e32 v1, v3, v152
	v_max_f32_e32 v29, v29, v29
	v_max_f32_e32 v21, v21, v21
	;; [unrolled: 1-line block ×4, first 2 shown]
	v_pk_add_f32 v[68:69], v[0:1], v[80:81]
	v_min_f32_e32 v0, v2, v22
	v_min_f32_e32 v1, v3, v23
	;; [unrolled: 1-line block ×4, first 2 shown]
	v_max_f32_e32 v27, v27, v27
	v_max_f32_e32 v26, v26, v26
	v_pk_add_f32 v[86:87], v[0:1], v[84:85]
	v_pk_add_f32 v[84:85], v[64:65], v[106:107]
	v_min_f32_e32 v65, v21, v27
	v_min_f32_e32 v64, v20, v26
	v_max_f32_e32 v25, v25, v25
	v_max_f32_e32 v24, v24, v24
	v_min_f32_e32 v1, v3, v154
	v_min_f32_e32 v0, v2, v155
	v_max_f32_e32 v2, v6, v6
	v_max_f32_e32 v3, v7, v7
	v_pk_add_f32 v[70:71], v[64:65], v[70:71]
	v_min_f32_e32 v65, v21, v25
	v_min_f32_e32 v64, v20, v24
	v_pk_add_f32 v[98:99], v[0:1], v[88:89]
	v_min_f32_e32 v0, v2, v114
	v_min_f32_e32 v1, v3, v112
	v_pk_add_f32 v[54:55], v[64:65], v[54:55]
	v_max_f32_e32 v64, v18, v18
	v_max_f32_e32 v65, v19, v19
	v_pk_add_f32 v[56:57], v[0:1], v[90:91]
	v_min_f32_e32 v0, v2, v153
	v_min_f32_e32 v1, v3, v152
	;; [unrolled: 1-line block ×4, first 2 shown]
	v_pk_add_f32 v[72:73], v[0:1], v[96:97]
	v_pk_add_f32 v[96:97], v[18:19], v[66:67]
	v_min_f32_e32 v18, v64, v26
	v_min_f32_e32 v19, v65, v27
	v_pk_add_f32 v[80:81], v[18:19], v[58:59]
	v_min_f32_e32 v18, v64, v24
	v_min_f32_e32 v19, v65, v25
	v_max_f32_e32 v11, v11, v11
	v_max_f32_e32 v10, v10, v10
	v_pk_add_f32 v[66:67], v[18:19], v[92:93]
	v_min_f32_e32 v19, v65, v11
	v_min_f32_e32 v18, v64, v10
	ds_read_b128 v[4:7], v144 offset:512
	v_pk_add_f32 v[58:59], v[18:19], v[50:51]
	v_max_f32_e32 v18, v16, v16
	v_max_f32_e32 v19, v17, v17
	v_min_f32_e32 v16, v18, v28
	v_min_f32_e32 v17, v19, v29
	v_pk_add_f32 v[92:93], v[16:17], v[78:79]
	v_min_f32_e32 v16, v18, v26
	v_min_f32_e32 v17, v19, v27
	v_pk_add_f32 v[78:79], v[16:17], v[82:83]
	v_min_f32_e32 v16, v18, v24
	v_min_f32_e32 v17, v19, v25
	;; [unrolled: 1-line block ×4, first 2 shown]
	v_pk_add_f32 v[64:65], v[16:17], v[94:95]
	v_min_f32_e32 v17, v19, v11
	v_min_f32_e32 v16, v18, v10
	v_pk_add_f32 v[88:89], v[0:1], v[100:101]
	v_min_f32_e32 v1, v3, v154
	v_min_f32_e32 v0, v2, v155
	s_waitcnt lgkmcnt(0)
	v_max_f32_e32 v2, v4, v4
	v_max_f32_e32 v3, v5, v5
	v_pk_add_f32 v[50:51], v[16:17], v[102:103]
	v_max_f32_e32 v16, v14, v14
	v_max_f32_e32 v17, v15, v15
	v_pk_add_f32 v[100:101], v[0:1], v[104:105]
	v_min_f32_e32 v0, v2, v114
	v_min_f32_e32 v1, v3, v112
	;; [unrolled: 1-line block ×4, first 2 shown]
	v_pk_add_f32 v[60:61], v[0:1], v[108:109]
	v_min_f32_e32 v0, v2, v153
	v_min_f32_e32 v1, v3, v152
	v_pk_add_f32 v[94:95], v[14:15], v[52:53]
	v_min_f32_e32 v14, v16, v26
	v_min_f32_e32 v15, v17, v27
	;; [unrolled: 3-line block ×5, first 2 shown]
	ds_read_b128 v[2:5], v144 offset:640
	v_pk_add_f32 v[68:69], v[14:15], v[86:87]
	v_min_f32_e32 v15, v17, v11
	v_min_f32_e32 v14, v16, v10
	v_pk_add_f32 v[52:53], v[14:15], v[98:99]
	v_max_f32_e32 v14, v8, v8
	v_max_f32_e32 v15, v9, v9
	v_min_f32_e32 v8, v14, v28
	v_min_f32_e32 v9, v15, v29
	v_pk_add_f32 v[98:99], v[8:9], v[56:57]
	v_min_f32_e32 v8, v14, v26
	v_min_f32_e32 v9, v15, v27
	v_pk_add_f32 v[86:87], v[8:9], v[72:73]
	v_min_f32_e32 v8, v14, v24
	v_min_f32_e32 v9, v15, v25
	s_waitcnt lgkmcnt(0)
	v_max_f32_e32 v2, v2, v2
	v_max_f32_e32 v3, v3, v3
	v_pk_add_f32 v[72:73], v[8:9], v[88:89]
	v_min_f32_e32 v9, v15, v11
	v_min_f32_e32 v8, v14, v10
	v_pk_add_f32 v[90:91], v[0:1], v[118:119]
	v_min_f32_e32 v0, v2, v114
	v_min_f32_e32 v1, v3, v112
	v_pk_add_f32 v[56:57], v[8:9], v[100:101]
	v_max_f32_e32 v8, v6, v6
	v_max_f32_e32 v9, v7, v7
	v_pk_add_f32 v[34:35], v[0:1], v[120:121]
	v_min_f32_e32 v0, v2, v153
	v_min_f32_e32 v1, v3, v152
	;; [unrolled: 1-line block ×4, first 2 shown]
	v_pk_add_f32 v[36:37], v[0:1], v[122:123]
	v_min_f32_e32 v0, v2, v22
	v_min_f32_e32 v1, v3, v23
	v_pk_add_f32 v[100:101], v[6:7], v[60:61]
	v_min_f32_e32 v6, v8, v26
	v_min_f32_e32 v7, v9, v27
	;; [unrolled: 3-line block ×4, first 2 shown]
	v_pk_add_f32 v[104:105], v[0:1], v[126:127]
	ds_read_b128 v[0:3], v144 offset:768
	v_pk_add_f32 v[74:75], v[6:7], v[76:77]
	v_min_f32_e32 v7, v9, v11
	v_min_f32_e32 v6, v8, v10
	v_pk_add_f32 v[60:61], v[6:7], v[90:91]
	v_max_f32_e32 v6, v4, v4
	v_max_f32_e32 v7, v5, v5
	v_min_f32_e32 v4, v6, v28
	v_min_f32_e32 v5, v7, v29
	v_pk_add_f32 v[102:103], v[4:5], v[34:35]
	v_min_f32_e32 v4, v6, v26
	v_min_f32_e32 v5, v7, v27
	v_pk_add_f32 v[90:91], v[4:5], v[36:37]
	v_min_f32_e32 v4, v6, v24
	v_min_f32_e32 v5, v7, v25
	s_waitcnt lgkmcnt(0)
	v_max_f32_e32 v12, v0, v0
	v_max_f32_e32 v13, v1, v1
	v_pk_add_f32 v[76:77], v[4:5], v[62:63]
	v_min_f32_e32 v5, v7, v11
	v_min_f32_e32 v4, v6, v10
	v_min_f32_e32 v0, v12, v114
	v_min_f32_e32 v1, v13, v112
	v_pk_add_f32 v[62:63], v[4:5], v[104:105]
	v_max_f32_e32 v4, v2, v2
	v_max_f32_e32 v5, v3, v3
	v_pk_add_f32 v[32:33], v[0:1], v[128:129]
	v_min_f32_e32 v0, v12, v153
	v_min_f32_e32 v1, v13, v152
	;; [unrolled: 1-line block ×4, first 2 shown]
	v_pk_add_f32 v[30:31], v[0:1], v[130:131]
	v_min_f32_e32 v0, v12, v22
	v_min_f32_e32 v1, v13, v23
	v_pk_add_f32 v[116:117], v[2:3], v[32:33]
	v_min_f32_e32 v2, v4, v26
	v_min_f32_e32 v3, v5, v27
	;; [unrolled: 3-line block ×6, first 2 shown]
	v_pk_add_f32 v[0:1], v[0:1], v[136:137]
	v_pk_add_f32 v[106:107], v[2:3], v[12:13]
	v_min_f32_e32 v3, v21, v11
	v_min_f32_e32 v2, v20, v10
	v_pk_add_f32 v[104:105], v[2:3], v[0:1]
	v_lshl_add_u64 v[44:45], v[44:45], 0, 32
	v_lshl_add_u64 v[40:41], v[40:41], 0, s[8:9]
	s_cmp_ge_i32 s14, s12
	s_waitcnt vmcnt(0)
	ds_write_b32 v145, v149
	ds_write2st64_b32 v146, v150, v151 offset1:4
	s_waitcnt lgkmcnt(0)
	s_barrier
	s_cbranch_scc0 .LBB28_11
.LBB28_12:
	s_load_dword s12, s[0:1], 0x50
	ds_read_b128 v[40:43], v141 offset:2048
	ds_read_b128 v[44:47], v140 offset:5120
	v_add_u32_e32 v114, s11, v139
	v_cmp_neq_f32_e64 s[8:9], s13, 0
	v_add_u32_e32 v48, s10, v138
	s_waitcnt lgkmcnt(0)
	v_mad_i64_i32 v[0:1], s[10:11], v114, s12, 0
	v_ashrrev_i32_e32 v49, 31, v48
	v_lshl_add_u64 v[112:113], v[0:1], 2, s[6:7]
	s_and_b64 vcc, exec, s[8:9]
	v_mov_b32_e32 v122, 0
	v_mov_b32_e32 v123, 0
	s_cbranch_vccz .LBB28_14
; %bb.13:
	v_lshl_add_u64 v[0:1], v[48:49], 2, v[112:113]
	flat_load_dword v0, v[0:1]
	s_waitcnt vmcnt(0) lgkmcnt(0)
	v_mul_f32_e32 v123, s13, v0
.LBB28_14:
	ds_read_b128 v[12:15], v140 offset:6016
	ds_read_b128 v[0:3], v141 offset:3584
	;; [unrolled: 1-line block ×6, first 2 shown]
	s_load_dword s10, s[0:1], 0x68
	s_load_dwordx2 s[14:15], s[0:1], 0x70
	ds_read_b128 v[28:31], v140 offset:5504
	ds_read_b128 v[24:27], v140 offset:5632
	;; [unrolled: 1-line block ×4, first 2 shown]
	v_max_f32_e32 v118, v40, v40
	v_max_f32_e32 v44, v44, v44
	;; [unrolled: 1-line block ×4, first 2 shown]
	v_min_f32_e32 v40, v44, v118
	v_min_f32_e32 v41, v115, v120
	v_max_f32_e32 v119, v42, v42
	v_max_f32_e32 v45, v46, v46
	;; [unrolled: 1-line block ×4, first 2 shown]
	s_waitcnt lgkmcnt(0)
	s_lshl_b64 s[0:1], s[14:15], 2
	v_pk_add_f32 v[40:41], v[40:41], v[96:97]
	v_min_f32_e32 v42, v45, v119
	v_min_f32_e32 v43, v46, v121
	s_add_u32 s2, s2, s0
	v_pk_add_f32 v[96:97], v[42:43], v[40:41]
	s_addc_u32 s3, s3, s1
	v_mad_i64_i32 v[42:43], s[0:1], v114, s10, 0
	v_add_f32_e32 v47, v96, v97
	v_add_u32_e32 v40, 8, v48
	v_lshl_add_u64 v[42:43], v[42:43], 2, s[2:3]
	v_add_f32_e32 v47, v47, v123
	v_cndmask_b32_e64 v123, 0, 1, s[8:9]
	v_ashrrev_i32_e32 v41, 31, v40
	v_lshl_add_u64 v[96:97], v[48:49], 2, v[42:43]
	v_cmp_ne_u32_e64 s[0:1], 1, v123
	s_andn2_b64 vcc, exec, s[8:9]
	global_store_dword v[96:97], v47, off
	s_cbranch_vccnz .LBB28_16
; %bb.15:
	v_lshl_add_u64 v[96:97], v[40:41], 2, v[112:113]
	flat_load_dword v47, v[96:97]
	s_waitcnt vmcnt(0) lgkmcnt(0)
	v_mul_f32_e32 v122, s13, v47
.LBB28_16:
	v_max_f32_e32 v47, v36, v36
	v_max_f32_e32 v96, v37, v37
	v_min_f32_e32 v36, v47, v118
	v_min_f32_e32 v37, v96, v120
	v_max_f32_e32 v38, v38, v38
	v_max_f32_e32 v39, v39, v39
	v_pk_add_f32 v[36:37], v[36:37], v[92:93]
	v_min_f32_e32 v92, v38, v119
	v_min_f32_e32 v93, v39, v121
	v_pk_add_f32 v[36:37], v[92:93], v[36:37]
	s_and_b64 vcc, exec, s[0:1]
	v_add_f32_e32 v92, v36, v37
	v_add_u32_e32 v36, 16, v48
	v_add_f32_e32 v97, v92, v122
	v_lshl_add_u64 v[92:93], v[40:41], 2, v[42:43]
	v_ashrrev_i32_e32 v37, 31, v36
	global_store_dword v[92:93], v97, off
	v_mov_b32_e32 v97, 0
	v_mov_b32_e32 v122, 0
	s_cbranch_vccnz .LBB28_18
; %bb.17:
	v_lshl_add_u64 v[92:93], v[36:37], 2, v[112:113]
	flat_load_dword v92, v[92:93]
	s_waitcnt vmcnt(0) lgkmcnt(0)
	v_mul_f32_e32 v122, s13, v92
.LBB28_18:
	v_max_f32_e32 v92, v32, v32
	v_max_f32_e32 v93, v33, v33
	v_min_f32_e32 v32, v92, v118
	v_min_f32_e32 v33, v93, v120
	v_max_f32_e32 v34, v34, v34
	v_max_f32_e32 v35, v35, v35
	v_pk_add_f32 v[32:33], v[32:33], v[94:95]
	v_min_f32_e32 v94, v34, v119
	v_min_f32_e32 v95, v35, v121
	v_pk_add_f32 v[32:33], v[94:95], v[32:33]
	s_and_b64 vcc, exec, s[0:1]
	v_add_f32_e32 v94, v32, v33
	v_add_u32_e32 v32, 24, v48
	v_ashrrev_i32_e32 v33, 31, v32
	v_add_f32_e32 v122, v94, v122
	v_lshl_add_u64 v[94:95], v[36:37], 2, v[42:43]
	global_store_dword v[94:95], v122, off
	s_cbranch_vccnz .LBB28_20
; %bb.19:
	v_lshl_add_u64 v[94:95], v[32:33], 2, v[112:113]
	flat_load_dword v94, v[94:95]
	s_waitcnt vmcnt(0) lgkmcnt(0)
	v_mul_f32_e32 v97, s13, v94
.LBB28_20:
	v_max_f32_e32 v94, v28, v28
	v_max_f32_e32 v95, v29, v29
	v_min_f32_e32 v28, v94, v118
	v_min_f32_e32 v29, v95, v120
	v_max_f32_e32 v30, v30, v30
	v_max_f32_e32 v31, v31, v31
	v_pk_add_f32 v[28:29], v[28:29], v[98:99]
	v_min_f32_e32 v98, v30, v119
	v_min_f32_e32 v99, v31, v121
	v_pk_add_f32 v[28:29], v[98:99], v[28:29]
	s_and_b64 vcc, exec, s[0:1]
	v_add_f32_e32 v98, v28, v29
	v_add_u32_e32 v28, 32, v48
	v_add_f32_e32 v97, v98, v97
	v_lshl_add_u64 v[98:99], v[32:33], 2, v[42:43]
	v_ashrrev_i32_e32 v29, 31, v28
	global_store_dword v[98:99], v97, off
	v_mov_b32_e32 v122, 0
	v_mov_b32_e32 v99, 0
	s_cbranch_vccnz .LBB28_22
; %bb.21:
	v_lshl_add_u64 v[98:99], v[28:29], 2, v[112:113]
	flat_load_dword v97, v[98:99]
	s_waitcnt vmcnt(0) lgkmcnt(0)
	v_mul_f32_e32 v99, s13, v97
.LBB28_22:
	v_max_f32_e32 v97, v24, v24
	v_max_f32_e32 v98, v25, v25
	v_min_f32_e32 v24, v97, v118
	v_min_f32_e32 v25, v98, v120
	v_max_f32_e32 v26, v26, v26
	v_max_f32_e32 v27, v27, v27
	v_pk_add_f32 v[24:25], v[24:25], v[100:101]
	v_min_f32_e32 v100, v26, v119
	v_min_f32_e32 v101, v27, v121
	v_pk_add_f32 v[24:25], v[100:101], v[24:25]
	s_and_b64 vcc, exec, s[0:1]
	v_add_f32_e32 v100, v24, v25
	v_add_u32_e32 v24, 40, v48
	v_ashrrev_i32_e32 v25, 31, v24
	v_add_f32_e32 v99, v100, v99
	v_lshl_add_u64 v[100:101], v[28:29], 2, v[42:43]
	global_store_dword v[100:101], v99, off
	s_cbranch_vccnz .LBB28_24
; %bb.23:
	v_lshl_add_u64 v[100:101], v[24:25], 2, v[112:113]
	flat_load_dword v99, v[100:101]
	s_waitcnt vmcnt(0) lgkmcnt(0)
	v_mul_f32_e32 v122, s13, v99
.LBB28_24:
	v_max_f32_e32 v99, v20, v20
	v_max_f32_e32 v100, v21, v21
	v_min_f32_e32 v20, v99, v118
	v_min_f32_e32 v21, v100, v120
	v_max_f32_e32 v22, v22, v22
	v_max_f32_e32 v23, v23, v23
	v_pk_add_f32 v[20:21], v[20:21], v[102:103]
	v_min_f32_e32 v102, v22, v119
	v_min_f32_e32 v103, v23, v121
	v_pk_add_f32 v[20:21], v[102:103], v[20:21]
	v_lshl_add_u64 v[102:103], v[24:25], 2, v[42:43]
	v_add_f32_e32 v101, v20, v21
	v_add_u32_e32 v20, 48, v48
	v_ashrrev_i32_e32 v21, 31, v20
	v_add_f32_e32 v101, v101, v122
	s_and_b64 vcc, exec, s[0:1]
	v_mov_b32_e32 v122, 0
	v_mov_b32_e32 v123, 0
	global_store_dword v[102:103], v101, off
	s_cbranch_vccnz .LBB28_26
; %bb.25:
	v_lshl_add_u64 v[102:103], v[20:21], 2, v[112:113]
	flat_load_dword v101, v[102:103]
	s_waitcnt vmcnt(0) lgkmcnt(0)
	v_mul_f32_e32 v123, s13, v101
.LBB28_26:
	v_max_f32_e32 v101, v16, v16
	v_max_f32_e32 v103, v17, v17
	v_min_f32_e32 v16, v101, v118
	v_min_f32_e32 v17, v103, v120
	v_pk_add_f32 v[16:17], v[16:17], v[116:117]
	v_max_f32_e32 v102, v18, v18
	v_max_f32_e32 v116, v19, v19
	v_min_f32_e32 v18, v102, v119
	v_min_f32_e32 v19, v116, v121
	v_pk_add_f32 v[16:17], v[18:19], v[16:17]
	s_and_b64 vcc, exec, s[0:1]
	v_add_f32_e32 v18, v16, v17
	v_add_u32_e32 v16, 56, v48
	v_ashrrev_i32_e32 v17, 31, v16
	v_add_f32_e32 v117, v18, v123
	v_lshl_add_u64 v[18:19], v[20:21], 2, v[42:43]
	global_store_dword v[18:19], v117, off
	s_cbranch_vccnz .LBB28_28
; %bb.27:
	v_lshl_add_u64 v[18:19], v[16:17], 2, v[112:113]
	flat_load_dword v18, v[18:19]
	s_waitcnt vmcnt(0) lgkmcnt(0)
	v_mul_f32_e32 v122, s13, v18
.LBB28_28:
	v_max_f32_e32 v18, v13, v13
	v_max_f32_e32 v19, v12, v12
	v_min_f32_e32 v13, v18, v120
	v_min_f32_e32 v12, v19, v118
	v_max_f32_e32 v15, v15, v15
	v_max_f32_e32 v14, v14, v14
	v_pk_add_f32 v[12:13], v[12:13], v[84:85]
	v_min_f32_e32 v85, v15, v121
	v_min_f32_e32 v84, v14, v119
	v_pk_add_f32 v[12:13], v[84:85], v[12:13]
	v_add_u32_e32 v85, 32, v114
	v_add_f32_e32 v12, v12, v13
	v_add_f32_e32 v84, v12, v122
	v_lshl_add_u64 v[12:13], v[16:17], 2, v[42:43]
	global_store_dword v[12:13], v84, off
	v_mad_i64_i32 v[12:13], s[8:9], v85, s12, 0
	v_lshl_add_u64 v[12:13], v[12:13], 2, s[6:7]
	s_and_b64 vcc, exec, s[0:1]
	v_mov_b32_e32 v84, 0
	v_mov_b32_e32 v112, 0
	s_cbranch_vccnz .LBB28_30
; %bb.29:
	v_lshl_add_u64 v[42:43], v[48:49], 2, v[12:13]
	flat_load_dword v42, v[42:43]
	s_waitcnt vmcnt(0) lgkmcnt(0)
	v_mul_f32_e32 v112, s13, v42
.LBB28_30:
	v_max_f32_e32 v42, v8, v8
	v_max_f32_e32 v43, v9, v9
	v_min_f32_e32 v8, v44, v42
	v_min_f32_e32 v9, v115, v43
	v_max_f32_e32 v10, v10, v10
	v_max_f32_e32 v11, v11, v11
	v_pk_add_f32 v[8:9], v[8:9], v[80:81]
	v_min_f32_e32 v80, v45, v10
	v_min_f32_e32 v81, v46, v11
	v_pk_add_f32 v[80:81], v[80:81], v[8:9]
	v_mad_i64_i32 v[8:9], s[8:9], v85, s10, 0
	v_lshl_add_u64 v[8:9], v[8:9], 2, s[2:3]
	v_add_f32_e32 v80, v80, v81
	v_add_f32_e32 v85, v80, v112
	v_lshl_add_u64 v[80:81], v[48:49], 2, v[8:9]
	s_and_b64 vcc, exec, s[0:1]
	global_store_dword v[80:81], v85, off
	s_cbranch_vccnz .LBB28_32
; %bb.31:
	v_lshl_add_u64 v[80:81], v[40:41], 2, v[12:13]
	flat_load_dword v80, v[80:81]
	s_waitcnt vmcnt(0) lgkmcnt(0)
	v_mul_f32_e32 v84, s13, v80
.LBB28_32:
	v_min_f32_e32 v80, v47, v42
	v_min_f32_e32 v81, v96, v43
	v_pk_add_f32 v[78:79], v[80:81], v[78:79]
	v_min_f32_e32 v80, v38, v10
	v_min_f32_e32 v81, v39, v11
	v_pk_add_f32 v[78:79], v[80:81], v[78:79]
	s_and_b64 vcc, exec, s[0:1]
	v_add_f32_e32 v78, v78, v79
	v_add_f32_e32 v80, v78, v84
	v_lshl_add_u64 v[78:79], v[40:41], 2, v[8:9]
	global_store_dword v[78:79], v80, off
	v_mov_b32_e32 v78, 0
	v_mov_b32_e32 v79, 0
	s_cbranch_vccnz .LBB28_34
; %bb.33:
	v_lshl_add_u64 v[80:81], v[36:37], 2, v[12:13]
	flat_load_dword v79, v[80:81]
	s_waitcnt vmcnt(0) lgkmcnt(0)
	v_mul_f32_e32 v79, s13, v79
.LBB28_34:
	v_min_f32_e32 v80, v92, v42
	v_min_f32_e32 v81, v93, v43
	v_pk_add_f32 v[80:81], v[80:81], v[82:83]
	v_min_f32_e32 v82, v34, v10
	v_min_f32_e32 v83, v35, v11
	v_pk_add_f32 v[80:81], v[82:83], v[80:81]
	s_and_b64 vcc, exec, s[0:1]
	v_add_f32_e32 v80, v80, v81
	v_add_f32_e32 v79, v80, v79
	v_lshl_add_u64 v[80:81], v[36:37], 2, v[8:9]
	global_store_dword v[80:81], v79, off
	s_cbranch_vccnz .LBB28_36
; %bb.35:
	v_lshl_add_u64 v[78:79], v[32:33], 2, v[12:13]
	flat_load_dword v78, v[78:79]
	s_waitcnt vmcnt(0) lgkmcnt(0)
	v_mul_f32_e32 v78, s13, v78
.LBB28_36:
	v_min_f32_e32 v80, v94, v42
	v_min_f32_e32 v81, v95, v43
	v_pk_add_f32 v[80:81], v[80:81], v[86:87]
	v_min_f32_e32 v82, v30, v10
	v_min_f32_e32 v83, v31, v11
	v_pk_add_f32 v[80:81], v[82:83], v[80:81]
	s_and_b64 vcc, exec, s[0:1]
	v_add_f32_e32 v79, v80, v81
	v_add_f32_e32 v80, v79, v78
	v_lshl_add_u64 v[78:79], v[32:33], 2, v[8:9]
	global_store_dword v[78:79], v80, off
	v_mov_b32_e32 v78, 0
	v_mov_b32_e32 v79, 0
	s_cbranch_vccnz .LBB28_38
; %bb.37:
	v_lshl_add_u64 v[80:81], v[28:29], 2, v[12:13]
	flat_load_dword v79, v[80:81]
	s_waitcnt vmcnt(0) lgkmcnt(0)
	v_mul_f32_e32 v79, s13, v79
.LBB28_38:
	v_min_f32_e32 v80, v97, v42
	v_min_f32_e32 v81, v98, v43
	v_pk_add_f32 v[80:81], v[80:81], v[88:89]
	v_min_f32_e32 v82, v26, v10
	v_min_f32_e32 v83, v27, v11
	v_pk_add_f32 v[80:81], v[82:83], v[80:81]
	s_and_b64 vcc, exec, s[0:1]
	v_add_f32_e32 v80, v80, v81
	v_add_f32_e32 v79, v80, v79
	v_lshl_add_u64 v[80:81], v[28:29], 2, v[8:9]
	;; [unrolled: 38-line block ×3, first 2 shown]
	global_store_dword v[80:81], v79, off
	s_cbranch_vccnz .LBB28_44
; %bb.43:
	v_lshl_add_u64 v[12:13], v[16:17], 2, v[12:13]
	flat_load_dword v12, v[12:13]
	s_waitcnt vmcnt(0) lgkmcnt(0)
	v_mul_f32_e32 v78, s13, v12
.LBB28_44:
	v_min_f32_e32 v13, v18, v43
	v_min_f32_e32 v12, v19, v42
	v_pk_add_f32 v[12:13], v[12:13], v[70:71]
	v_min_f32_e32 v11, v15, v11
	v_min_f32_e32 v10, v14, v10
	v_pk_add_f32 v[10:11], v[10:11], v[12:13]
	v_lshl_add_u64 v[8:9], v[16:17], 2, v[8:9]
	v_add_f32_e32 v10, v10, v11
	v_add_f32_e32 v10, v10, v78
	v_add_u32_e32 v13, 64, v114
	global_store_dword v[8:9], v10, off
	v_mad_i64_i32 v[8:9], s[8:9], v13, s12, 0
	v_lshl_add_u64 v[8:9], v[8:9], 2, s[6:7]
	s_and_b64 vcc, exec, s[0:1]
	v_mov_b32_e32 v12, 0
	v_mov_b32_e32 v42, 0
	s_cbranch_vccnz .LBB28_46
; %bb.45:
	v_lshl_add_u64 v[10:11], v[48:49], 2, v[8:9]
	flat_load_dword v10, v[10:11]
	s_waitcnt vmcnt(0) lgkmcnt(0)
	v_mul_f32_e32 v42, s13, v10
.LBB28_46:
	v_max_f32_e32 v10, v4, v4
	v_max_f32_e32 v11, v5, v5
	v_min_f32_e32 v4, v44, v10
	v_min_f32_e32 v5, v115, v11
	v_max_f32_e32 v6, v6, v6
	v_max_f32_e32 v7, v7, v7
	v_pk_add_f32 v[4:5], v[4:5], v[66:67]
	v_min_f32_e32 v66, v45, v6
	v_min_f32_e32 v67, v46, v7
	v_pk_add_f32 v[66:67], v[66:67], v[4:5]
	v_mad_i64_i32 v[4:5], s[8:9], v13, s10, 0
	v_lshl_add_u64 v[4:5], v[4:5], 2, s[2:3]
	v_add_f32_e32 v13, v66, v67
	v_add_f32_e32 v13, v13, v42
	v_lshl_add_u64 v[42:43], v[48:49], 2, v[4:5]
	s_and_b64 vcc, exec, s[0:1]
	global_store_dword v[42:43], v13, off
	s_cbranch_vccnz .LBB28_48
; %bb.47:
	v_lshl_add_u64 v[12:13], v[40:41], 2, v[8:9]
	flat_load_dword v12, v[12:13]
	s_waitcnt vmcnt(0) lgkmcnt(0)
	v_mul_f32_e32 v12, s13, v12
.LBB28_48:
	v_min_f32_e32 v42, v47, v10
	v_min_f32_e32 v43, v96, v11
	v_pk_add_f32 v[42:43], v[42:43], v[64:65]
	v_min_f32_e32 v64, v38, v6
	v_min_f32_e32 v65, v39, v7
	v_pk_add_f32 v[42:43], v[64:65], v[42:43]
	s_and_b64 vcc, exec, s[0:1]
	v_add_f32_e32 v13, v42, v43
	v_add_f32_e32 v42, v13, v12
	v_lshl_add_u64 v[12:13], v[40:41], 2, v[4:5]
	global_store_dword v[12:13], v42, off
	v_mov_b32_e32 v12, 0
	v_mov_b32_e32 v13, 0
	s_cbranch_vccnz .LBB28_50
; %bb.49:
	v_lshl_add_u64 v[42:43], v[36:37], 2, v[8:9]
	flat_load_dword v13, v[42:43]
	s_waitcnt vmcnt(0) lgkmcnt(0)
	v_mul_f32_e32 v13, s13, v13
.LBB28_50:
	v_min_f32_e32 v42, v92, v10
	v_min_f32_e32 v43, v93, v11
	v_pk_add_f32 v[42:43], v[42:43], v[68:69]
	v_min_f32_e32 v64, v34, v6
	v_min_f32_e32 v65, v35, v7
	v_pk_add_f32 v[42:43], v[64:65], v[42:43]
	s_and_b64 vcc, exec, s[0:1]
	v_add_f32_e32 v42, v42, v43
	v_add_f32_e32 v13, v42, v13
	v_lshl_add_u64 v[42:43], v[36:37], 2, v[4:5]
	global_store_dword v[42:43], v13, off
	s_cbranch_vccnz .LBB28_52
; %bb.51:
	v_lshl_add_u64 v[12:13], v[32:33], 2, v[8:9]
	flat_load_dword v12, v[12:13]
	s_waitcnt vmcnt(0) lgkmcnt(0)
	v_mul_f32_e32 v12, s13, v12
.LBB28_52:
	v_min_f32_e32 v42, v94, v10
	v_min_f32_e32 v43, v95, v11
	v_pk_add_f32 v[42:43], v[42:43], v[72:73]
	v_min_f32_e32 v64, v30, v6
	v_min_f32_e32 v65, v31, v7
	v_pk_add_f32 v[42:43], v[64:65], v[42:43]
	s_and_b64 vcc, exec, s[0:1]
	v_add_f32_e32 v13, v42, v43
	v_add_f32_e32 v42, v13, v12
	v_lshl_add_u64 v[12:13], v[32:33], 2, v[4:5]
	global_store_dword v[12:13], v42, off
	v_mov_b32_e32 v12, 0
	v_mov_b32_e32 v13, 0
	s_cbranch_vccnz .LBB28_54
; %bb.53:
	v_lshl_add_u64 v[42:43], v[28:29], 2, v[8:9]
	flat_load_dword v13, v[42:43]
	s_waitcnt vmcnt(0) lgkmcnt(0)
	v_mul_f32_e32 v13, s13, v13
.LBB28_54:
	v_min_f32_e32 v42, v97, v10
	v_min_f32_e32 v43, v98, v11
	v_pk_add_f32 v[42:43], v[42:43], v[74:75]
	v_min_f32_e32 v64, v26, v6
	v_min_f32_e32 v65, v27, v7
	v_pk_add_f32 v[42:43], v[64:65], v[42:43]
	s_and_b64 vcc, exec, s[0:1]
	v_add_f32_e32 v42, v42, v43
	v_add_f32_e32 v13, v42, v13
	v_lshl_add_u64 v[42:43], v[28:29], 2, v[4:5]
	;; [unrolled: 38-line block ×3, first 2 shown]
	global_store_dword v[42:43], v13, off
	s_cbranch_vccnz .LBB28_60
; %bb.59:
	v_lshl_add_u64 v[8:9], v[16:17], 2, v[8:9]
	flat_load_dword v8, v[8:9]
	s_waitcnt vmcnt(0) lgkmcnt(0)
	v_mul_f32_e32 v12, s13, v8
.LBB28_60:
	v_min_f32_e32 v9, v18, v11
	v_min_f32_e32 v8, v19, v10
	v_pk_add_f32 v[8:9], v[8:9], v[54:55]
	v_min_f32_e32 v7, v15, v7
	v_min_f32_e32 v6, v14, v6
	v_pk_add_f32 v[6:7], v[6:7], v[8:9]
	v_lshl_add_u64 v[4:5], v[16:17], 2, v[4:5]
	v_add_f32_e32 v6, v6, v7
	v_add_f32_e32 v6, v6, v12
	v_add_u32_e32 v9, 0x60, v114
	global_store_dword v[4:5], v6, off
	v_mad_i64_i32 v[4:5], s[8:9], v9, s12, 0
	v_lshl_add_u64 v[4:5], v[4:5], 2, s[6:7]
	s_and_b64 vcc, exec, s[0:1]
	v_mov_b32_e32 v8, 0
	v_mov_b32_e32 v10, 0
	s_cbranch_vccnz .LBB28_62
; %bb.61:
	v_lshl_add_u64 v[6:7], v[48:49], 2, v[4:5]
	flat_load_dword v6, v[6:7]
	s_waitcnt vmcnt(0) lgkmcnt(0)
	v_mul_f32_e32 v10, s13, v6
.LBB28_62:
	v_max_f32_e32 v6, v1, v1
	v_max_f32_e32 v7, v0, v0
	v_min_f32_e32 v1, v115, v6
	v_min_f32_e32 v0, v44, v7
	v_max_f32_e32 v3, v3, v3
	v_max_f32_e32 v2, v2, v2
	v_pk_add_f32 v[0:1], v[0:1], v[58:59]
	v_min_f32_e32 v13, v46, v3
	v_min_f32_e32 v12, v45, v2
	v_pk_add_f32 v[12:13], v[12:13], v[0:1]
	v_mad_i64_i32 v[0:1], s[6:7], v9, s10, 0
	v_lshl_add_u64 v[0:1], v[0:1], 2, s[2:3]
	v_add_f32_e32 v9, v12, v13
	v_add_f32_e32 v9, v9, v10
	v_lshl_add_u64 v[10:11], v[48:49], 2, v[0:1]
	s_and_b64 vcc, exec, s[0:1]
	global_store_dword v[10:11], v9, off
	s_cbranch_vccnz .LBB28_64
; %bb.63:
	v_lshl_add_u64 v[8:9], v[40:41], 2, v[4:5]
	flat_load_dword v8, v[8:9]
	s_waitcnt vmcnt(0) lgkmcnt(0)
	v_mul_f32_e32 v8, s13, v8
.LBB28_64:
	v_min_f32_e32 v11, v96, v6
	v_min_f32_e32 v10, v47, v7
	v_pk_add_f32 v[10:11], v[10:11], v[50:51]
	v_min_f32_e32 v13, v39, v3
	v_min_f32_e32 v12, v38, v2
	v_pk_add_f32 v[10:11], v[12:13], v[10:11]
	s_and_b64 vcc, exec, s[0:1]
	v_add_f32_e32 v9, v10, v11
	v_add_f32_e32 v10, v9, v8
	v_lshl_add_u64 v[8:9], v[40:41], 2, v[0:1]
	global_store_dword v[8:9], v10, off
	v_mov_b32_e32 v8, 0
	v_mov_b32_e32 v9, 0
	s_cbranch_vccnz .LBB28_66
; %bb.65:
	v_lshl_add_u64 v[10:11], v[36:37], 2, v[4:5]
	flat_load_dword v9, v[10:11]
	s_waitcnt vmcnt(0) lgkmcnt(0)
	v_mul_f32_e32 v9, s13, v9
.LBB28_66:
	v_min_f32_e32 v11, v93, v6
	v_min_f32_e32 v10, v92, v7
	v_pk_add_f32 v[10:11], v[10:11], v[52:53]
	v_min_f32_e32 v13, v35, v3
	v_min_f32_e32 v12, v34, v2
	v_pk_add_f32 v[10:11], v[12:13], v[10:11]
	s_and_b64 vcc, exec, s[0:1]
	v_add_f32_e32 v10, v10, v11
	v_add_f32_e32 v9, v10, v9
	v_lshl_add_u64 v[10:11], v[36:37], 2, v[0:1]
	global_store_dword v[10:11], v9, off
	s_cbranch_vccnz .LBB28_68
; %bb.67:
	v_lshl_add_u64 v[8:9], v[32:33], 2, v[4:5]
	flat_load_dword v8, v[8:9]
	s_waitcnt vmcnt(0) lgkmcnt(0)
	v_mul_f32_e32 v8, s13, v8
.LBB28_68:
	v_min_f32_e32 v11, v95, v6
	v_min_f32_e32 v10, v94, v7
	v_pk_add_f32 v[10:11], v[10:11], v[56:57]
	v_min_f32_e32 v13, v31, v3
	v_min_f32_e32 v12, v30, v2
	v_pk_add_f32 v[10:11], v[12:13], v[10:11]
	s_and_b64 vcc, exec, s[0:1]
	v_add_f32_e32 v9, v10, v11
	v_add_f32_e32 v10, v9, v8
	v_lshl_add_u64 v[8:9], v[32:33], 2, v[0:1]
	global_store_dword v[8:9], v10, off
	v_mov_b32_e32 v8, 0
	v_mov_b32_e32 v9, 0
	s_cbranch_vccnz .LBB28_70
; %bb.69:
	v_lshl_add_u64 v[10:11], v[28:29], 2, v[4:5]
	flat_load_dword v9, v[10:11]
	s_waitcnt vmcnt(0) lgkmcnt(0)
	v_mul_f32_e32 v9, s13, v9
.LBB28_70:
	v_min_f32_e32 v11, v98, v6
	v_min_f32_e32 v10, v97, v7
	v_pk_add_f32 v[10:11], v[10:11], v[60:61]
	v_min_f32_e32 v13, v27, v3
	v_min_f32_e32 v12, v26, v2
	v_pk_add_f32 v[10:11], v[12:13], v[10:11]
	s_and_b64 vcc, exec, s[0:1]
	v_add_f32_e32 v10, v10, v11
	v_add_f32_e32 v9, v10, v9
	v_lshl_add_u64 v[10:11], v[28:29], 2, v[0:1]
	global_store_dword v[10:11], v9, off
	s_cbranch_vccnz .LBB28_72
; %bb.71:
	v_lshl_add_u64 v[8:9], v[24:25], 2, v[4:5]
	flat_load_dword v8, v[8:9]
	s_waitcnt vmcnt(0) lgkmcnt(0)
	v_mul_f32_e32 v8, s13, v8
.LBB28_72:
	v_min_f32_e32 v11, v100, v6
	v_min_f32_e32 v10, v99, v7
	v_pk_add_f32 v[10:11], v[10:11], v[62:63]
	v_min_f32_e32 v13, v23, v3
	v_min_f32_e32 v12, v22, v2
	v_pk_add_f32 v[10:11], v[12:13], v[10:11]
	v_min_f32_e32 v13, v116, v3
	v_add_f32_e32 v9, v10, v11
	v_min_f32_e32 v11, v103, v6
	v_min_f32_e32 v10, v101, v7
	v_pk_add_f32 v[10:11], v[10:11], v[106:107]
	v_min_f32_e32 v12, v102, v2
	v_pk_add_f32 v[10:11], v[12:13], v[10:11]
	v_add_f32_e32 v12, v9, v8
	v_lshl_add_u64 v[8:9], v[24:25], 2, v[0:1]
	global_store_dword v[8:9], v12, off
	v_add_f32_e32 v8, v10, v11
	s_mov_b64 vcc, s[4:5]
	s_cbranch_vccz .LBB28_75
; %bb.73:
	v_add_f32_e32 v9, 0, v8
	v_lshl_add_u64 v[10:11], v[20:21], 2, v[0:1]
	s_mov_b32 s2, 0
	global_store_dword v[10:11], v9, off
	s_cbranch_execz .LBB28_76
; %bb.74:
	v_mov_b32_e32 v4, s2
	s_branch .LBB28_77
.LBB28_75:
                                        ; implicit-def: $sgpr2
.LBB28_76:
	v_lshlrev_b64 v[10:11], 2, v[20:21]
	v_lshl_add_u64 v[12:13], v[4:5], 0, v[10:11]
	flat_load_dword v9, v[12:13]
	v_lshl_add_u64 v[10:11], v[0:1], 0, v[10:11]
	v_lshl_add_u64 v[4:5], v[16:17], 2, v[4:5]
	s_waitcnt vmcnt(0) lgkmcnt(0)
	v_fmac_f32_e32 v8, s13, v9
	global_store_dword v[10:11], v8, off
	flat_load_dword v4, v[4:5]
	s_waitcnt vmcnt(0) lgkmcnt(0)
	v_mul_f32_e32 v4, s13, v4
.LBB28_77:
	v_min_f32_e32 v9, v18, v6
	v_min_f32_e32 v8, v19, v7
	;; [unrolled: 1-line block ×4, first 2 shown]
	v_pk_add_f32 v[6:7], v[8:9], v[104:105]
	v_lshl_add_u64 v[0:1], v[16:17], 2, v[0:1]
	v_pk_add_f32 v[2:3], v[2:3], v[6:7]
	s_nop 0
	v_add_f32_e32 v2, v2, v3
	v_add_f32_e32 v2, v2, v4
	global_store_dword v[0:1], v2, off
	s_endpgm
	.section	.rodata,"a",@progbits
	.p2align	6, 0x0
	.amdhsa_kernel _ZN12_GLOBAL__N_120geam_min_plus_kernelIf15HIP_vector_typeIfLj2EES2_Li8ELi32ELi64ELi128ELi4ELi64ELi4ELi4ELi64ELc78ELc78ELb1ELb0ELb0EfKPKfKPfEEviiiT16_PT17_ilSA_ilS8_SA_ilPT18_ili26rocblas_geam_ex_operation_
		.amdhsa_group_segment_fixed_size 6144
		.amdhsa_private_segment_fixed_size 0
		.amdhsa_kernarg_size 128
		.amdhsa_user_sgpr_count 2
		.amdhsa_user_sgpr_dispatch_ptr 0
		.amdhsa_user_sgpr_queue_ptr 0
		.amdhsa_user_sgpr_kernarg_segment_ptr 1
		.amdhsa_user_sgpr_dispatch_id 0
		.amdhsa_user_sgpr_kernarg_preload_length 0
		.amdhsa_user_sgpr_kernarg_preload_offset 0
		.amdhsa_user_sgpr_private_segment_size 0
		.amdhsa_uses_dynamic_stack 0
		.amdhsa_enable_private_segment 0
		.amdhsa_system_sgpr_workgroup_id_x 1
		.amdhsa_system_sgpr_workgroup_id_y 0
		.amdhsa_system_sgpr_workgroup_id_z 1
		.amdhsa_system_sgpr_workgroup_info 0
		.amdhsa_system_vgpr_workitem_id 1
		.amdhsa_next_free_vgpr 156
		.amdhsa_next_free_sgpr 22
		.amdhsa_accum_offset 156
		.amdhsa_reserve_vcc 1
		.amdhsa_float_round_mode_32 0
		.amdhsa_float_round_mode_16_64 0
		.amdhsa_float_denorm_mode_32 3
		.amdhsa_float_denorm_mode_16_64 3
		.amdhsa_dx10_clamp 1
		.amdhsa_ieee_mode 1
		.amdhsa_fp16_overflow 0
		.amdhsa_tg_split 0
		.amdhsa_exception_fp_ieee_invalid_op 0
		.amdhsa_exception_fp_denorm_src 0
		.amdhsa_exception_fp_ieee_div_zero 0
		.amdhsa_exception_fp_ieee_overflow 0
		.amdhsa_exception_fp_ieee_underflow 0
		.amdhsa_exception_fp_ieee_inexact 0
		.amdhsa_exception_int_div_zero 0
	.end_amdhsa_kernel
	.section	.text._ZN12_GLOBAL__N_120geam_min_plus_kernelIf15HIP_vector_typeIfLj2EES2_Li8ELi32ELi64ELi128ELi4ELi64ELi4ELi4ELi64ELc78ELc78ELb1ELb0ELb0EfKPKfKPfEEviiiT16_PT17_ilSA_ilS8_SA_ilPT18_ili26rocblas_geam_ex_operation_,"axG",@progbits,_ZN12_GLOBAL__N_120geam_min_plus_kernelIf15HIP_vector_typeIfLj2EES2_Li8ELi32ELi64ELi128ELi4ELi64ELi4ELi4ELi64ELc78ELc78ELb1ELb0ELb0EfKPKfKPfEEviiiT16_PT17_ilSA_ilS8_SA_ilPT18_ili26rocblas_geam_ex_operation_,comdat
.Lfunc_end28:
	.size	_ZN12_GLOBAL__N_120geam_min_plus_kernelIf15HIP_vector_typeIfLj2EES2_Li8ELi32ELi64ELi128ELi4ELi64ELi4ELi4ELi64ELc78ELc78ELb1ELb0ELb0EfKPKfKPfEEviiiT16_PT17_ilSA_ilS8_SA_ilPT18_ili26rocblas_geam_ex_operation_, .Lfunc_end28-_ZN12_GLOBAL__N_120geam_min_plus_kernelIf15HIP_vector_typeIfLj2EES2_Li8ELi32ELi64ELi128ELi4ELi64ELi4ELi4ELi64ELc78ELc78ELb1ELb0ELb0EfKPKfKPfEEviiiT16_PT17_ilSA_ilS8_SA_ilPT18_ili26rocblas_geam_ex_operation_
                                        ; -- End function
	.section	.AMDGPU.csdata,"",@progbits
; Kernel info:
; codeLenInByte = 8632
; NumSgprs: 28
; NumVgprs: 156
; NumAgprs: 0
; TotalNumVgprs: 156
; ScratchSize: 0
; MemoryBound: 0
; FloatMode: 240
; IeeeMode: 1
; LDSByteSize: 6144 bytes/workgroup (compile time only)
; SGPRBlocks: 3
; VGPRBlocks: 19
; NumSGPRsForWavesPerEU: 28
; NumVGPRsForWavesPerEU: 156
; AccumOffset: 156
; Occupancy: 3
; WaveLimiterHint : 1
; COMPUTE_PGM_RSRC2:SCRATCH_EN: 0
; COMPUTE_PGM_RSRC2:USER_SGPR: 2
; COMPUTE_PGM_RSRC2:TRAP_HANDLER: 0
; COMPUTE_PGM_RSRC2:TGID_X_EN: 1
; COMPUTE_PGM_RSRC2:TGID_Y_EN: 0
; COMPUTE_PGM_RSRC2:TGID_Z_EN: 1
; COMPUTE_PGM_RSRC2:TIDIG_COMP_CNT: 1
; COMPUTE_PGM_RSRC3_GFX90A:ACCUM_OFFSET: 38
; COMPUTE_PGM_RSRC3_GFX90A:TG_SPLIT: 0
	.section	.text._ZN12_GLOBAL__N_120geam_min_plus_kernelIf15HIP_vector_typeIfLj2EES2_Li8ELi32ELi64ELi128ELi4ELi64ELi4ELi4ELi64ELc78ELc78ELb0ELb0ELb0EfKPKfKPfEEviiiT16_PT17_ilSA_ilS8_SA_ilPT18_ili26rocblas_geam_ex_operation_,"axG",@progbits,_ZN12_GLOBAL__N_120geam_min_plus_kernelIf15HIP_vector_typeIfLj2EES2_Li8ELi32ELi64ELi128ELi4ELi64ELi4ELi4ELi64ELc78ELc78ELb0ELb0ELb0EfKPKfKPfEEviiiT16_PT17_ilSA_ilS8_SA_ilPT18_ili26rocblas_geam_ex_operation_,comdat
	.globl	_ZN12_GLOBAL__N_120geam_min_plus_kernelIf15HIP_vector_typeIfLj2EES2_Li8ELi32ELi64ELi128ELi4ELi64ELi4ELi4ELi64ELc78ELc78ELb0ELb0ELb0EfKPKfKPfEEviiiT16_PT17_ilSA_ilS8_SA_ilPT18_ili26rocblas_geam_ex_operation_ ; -- Begin function _ZN12_GLOBAL__N_120geam_min_plus_kernelIf15HIP_vector_typeIfLj2EES2_Li8ELi32ELi64ELi128ELi4ELi64ELi4ELi4ELi64ELc78ELc78ELb0ELb0ELb0EfKPKfKPfEEviiiT16_PT17_ilSA_ilS8_SA_ilPT18_ili26rocblas_geam_ex_operation_
	.p2align	8
	.type	_ZN12_GLOBAL__N_120geam_min_plus_kernelIf15HIP_vector_typeIfLj2EES2_Li8ELi32ELi64ELi128ELi4ELi64ELi4ELi4ELi64ELc78ELc78ELb0ELb0ELb0EfKPKfKPfEEviiiT16_PT17_ilSA_ilS8_SA_ilPT18_ili26rocblas_geam_ex_operation_,@function
_ZN12_GLOBAL__N_120geam_min_plus_kernelIf15HIP_vector_typeIfLj2EES2_Li8ELi32ELi64ELi128ELi4ELi64ELi4ELi4ELi64ELc78ELc78ELb0ELb0ELb0EfKPKfKPfEEviiiT16_PT17_ilSA_ilS8_SA_ilPT18_ili26rocblas_geam_ex_operation_: ; @_ZN12_GLOBAL__N_120geam_min_plus_kernelIf15HIP_vector_typeIfLj2EES2_Li8ELi32ELi64ELi128ELi4ELi64ELi4ELi4ELi64ELc78ELc78ELb0ELb0ELb0EfKPKfKPfEEviiiT16_PT17_ilSA_ilS8_SA_ilPT18_ili26rocblas_geam_ex_operation_
; %bb.0:
	s_load_dwordx2 s[12:13], s[0:1], 0x8
	s_load_dwordx4 s[4:7], s[0:1], 0x20
	s_mov_b32 s20, s3
	s_mov_b32 s21, 0
	s_waitcnt lgkmcnt(0)
	v_cmp_eq_f32_e64 s[8:9], s13, 0
	s_and_b64 vcc, exec, s[8:9]
	s_cbranch_vccnz .LBB29_3
; %bb.1:
	s_load_dwordx2 s[10:11], s[0:1], 0x10
	s_lshl_b64 s[14:15], s[20:21], 3
	s_waitcnt lgkmcnt(0)
	s_add_u32 s10, s10, s14
	s_addc_u32 s11, s11, s15
	s_load_dwordx2 s[10:11], s[10:11], 0x0
	s_lshl_b64 s[4:5], s[4:5], 2
	s_waitcnt lgkmcnt(0)
	s_add_u32 s14, s10, s4
	s_addc_u32 s15, s11, s5
	s_andn2_b64 vcc, exec, s[8:9]
	s_cbranch_vccnz .LBB29_4
.LBB29_2:
	s_mov_b64 s[16:17], 0
	s_cbranch_execz .LBB29_5
	s_branch .LBB29_6
.LBB29_3:
	s_mov_b64 s[14:15], 0
	s_andn2_b64 vcc, exec, s[8:9]
	s_cbranch_vccz .LBB29_2
.LBB29_4:
                                        ; implicit-def: $sgpr16_sgpr17
.LBB29_5:
	s_lshl_b64 s[8:9], s[20:21], 3
	s_add_u32 s6, s6, s8
	s_load_dwordx2 s[4:5], s[0:1], 0x38
	s_addc_u32 s7, s7, s9
	s_load_dwordx2 s[6:7], s[6:7], 0x0
	s_waitcnt lgkmcnt(0)
	s_lshl_b64 s[4:5], s[4:5], 2
	s_add_u32 s16, s6, s4
	s_addc_u32 s17, s7, s5
.LBB29_6:
	s_load_dword s24, s[0:1], 0x40
	s_load_dwordx4 s[8:11], s[0:1], 0x58
	v_cmp_neq_f32_e64 s[22:23], s13, 0
	s_waitcnt lgkmcnt(0)
	v_cmp_eq_f32_e64 s[4:5], s24, 0
	s_and_b64 s[6:7], exec, s[4:5]
	s_mov_b64 vcc, s[6:7]
	s_cbranch_vccnz .LBB29_8
; %bb.7:
	s_load_dwordx2 s[4:5], s[0:1], 0x48
	s_lshl_b64 s[18:19], s[20:21], 3
	s_waitcnt lgkmcnt(0)
	s_add_u32 s4, s4, s18
	s_addc_u32 s5, s5, s19
	s_load_dwordx2 s[4:5], s[4:5], 0x0
	s_lshl_b64 s[8:9], s[8:9], 2
	s_waitcnt lgkmcnt(0)
	s_add_u32 s8, s4, s8
	s_addc_u32 s9, s5, s9
	s_branch .LBB29_9
.LBB29_8:
	s_mov_b64 s[8:9], 0
.LBB29_9:
	s_load_dword s18, s[0:1], 0x18
	s_load_dword s3, s[0:1], 0x0
	s_lshl_b64 s[4:5], s[20:21], 3
	v_and_b32_e32 v210, 0x3ff, v0
	v_bfe_u32 v211, v0, 10, 10
	s_waitcnt lgkmcnt(0)
	s_ashr_i32 s19, s18, 31
	s_add_u32 s10, s10, s4
	s_addc_u32 s11, s11, s5
	s_add_i32 s3, s3, -1
	s_ashr_i32 s4, s3, 31
	s_lshr_b32 s4, s4, 26
	s_add_i32 s3, s3, s4
	s_ashr_i32 s3, s3, 6
	s_add_i32 s20, s3, 1
	v_cvt_f32_u32_e32 v1, s20
	s_not_b32 s3, s3
	v_lshl_add_u32 v2, v211, 3, v210
	v_and_b32_e32 v5, 63, v2
	v_rcp_iflag_f32_e32 v0, v1
	v_cndmask_b32_e64 v1, 0, 1, s[22:23]
	v_cmp_ne_u32_e64 s[4:5], 1, v1
	v_lshrrev_b32_e32 v4, 6, v2
	v_mul_f32_e32 v0, 0x4f7ffffe, v0
	v_cvt_u32_f32_e32 v0, v0
	s_nop 0
	v_readfirstlane_b32 s21, v0
	s_mul_i32 s3, s3, s21
	s_mul_hi_u32 s3, s21, s3
	s_add_i32 s21, s21, s3
	s_mul_hi_u32 s3, s2, s21
	s_mul_i32 s21, s3, s20
	s_sub_i32 s21, s2, s21
	s_add_i32 s25, s3, 1
	s_sub_i32 s26, s21, s20
	s_cmp_ge_u32 s21, s20
	s_cselect_b32 s3, s25, s3
	s_cselect_b32 s21, s26, s21
	s_add_i32 s25, s3, 1
	s_cmp_ge_u32 s21, s20
	s_cselect_b32 s21, s25, s3
	s_mul_i32 s3, s21, s20
	s_sub_i32 s20, s2, s3
	s_lshl_b32 s20, s20, 6
	v_or_b32_e32 v0, s20, v5
	s_andn2_b64 vcc, exec, s[22:23]
	v_ashrrev_i32_e32 v1, 31, v0
	s_cbranch_vccnz .LBB29_11
; %bb.10:
	v_mad_i64_i32 v[6:7], s[22:23], s18, v4, 0
	v_lshl_add_u64 v[6:7], v[6:7], 2, s[14:15]
	v_lshl_add_u64 v[6:7], v[0:1], 2, v[6:7]
	flat_load_dword v3, v[6:7]
	s_waitcnt vmcnt(0) lgkmcnt(0)
	v_mul_f32_e32 v10, s13, v3
	s_branch .LBB29_12
.LBB29_11:
	v_mov_b32_e32 v10, 0
.LBB29_12:
	s_load_dword s23, s[0:1], 0x30
	v_lshrrev_b32_e32 v11, 2, v2
	s_lshl_b32 s21, s21, 7
	v_and_b32_e32 v3, 3, v210
	v_add_u32_e32 v6, s21, v11
	s_and_b64 vcc, exec, s[4:5]
	v_lshlrev_b32_e32 v48, 2, v3
	v_add_u32_e32 v7, 64, v6
	s_cbranch_vccnz .LBB29_16
; %bb.13:
	v_mov_b32_e32 v49, 0
	v_lshl_add_u64 v[2:3], s[16:17], 0, v[48:49]
	s_waitcnt lgkmcnt(0)
	v_mad_i64_i32 v[8:9], s[26:27], v6, s23, 0
	v_lshl_add_u64 v[8:9], v[8:9], 2, v[2:3]
	v_mad_i64_i32 v[12:13], s[26:27], v7, s23, 0
	v_lshl_add_u64 v[2:3], v[12:13], 2, v[2:3]
	flat_load_dword v12, v[8:9]
	flat_load_dword v13, v[2:3]
	s_mov_b32 s22, s13
	s_waitcnt vmcnt(0) lgkmcnt(0)
	v_pk_mul_f32 v[2:3], v[12:13], s[22:23] op_sel_hi:[1,0]
	s_and_b64 vcc, exec, s[4:5]
	s_cbranch_vccnz .LBB29_17
.LBB29_14:
	v_add_u32_e32 v8, 4, v4
	v_mad_i64_i32 v[8:9], s[26:27], s18, v8, 0
	v_lshl_add_u64 v[8:9], v[8:9], 2, s[14:15]
	v_lshl_add_u64 v[0:1], v[0:1], 2, v[8:9]
	flat_load_dword v0, v[0:1]
	s_waitcnt vmcnt(0) lgkmcnt(0)
	v_mul_f32_e32 v8, s13, v0
	s_and_b64 vcc, exec, s[4:5]
	s_cbranch_vccnz .LBB29_18
.LBB29_15:
	v_mov_b32_e32 v49, 0
	v_lshl_add_u64 v[0:1], s[16:17], 0, v[48:49]
	s_waitcnt lgkmcnt(0)
	v_mad_i64_i32 v[12:13], s[26:27], v6, s23, 0
	v_lshl_add_u64 v[12:13], v[12:13], 2, v[0:1]
	v_mad_i64_i32 v[14:15], s[26:27], v7, s23, 0
	v_lshl_add_u64 v[0:1], v[14:15], 2, v[0:1]
	flat_load_dword v14, v[12:13] offset:16
	flat_load_dword v15, v[0:1] offset:16
	s_mov_b32 s22, s13
	s_waitcnt vmcnt(0) lgkmcnt(0)
	v_pk_mul_f32 v[0:1], v[14:15], s[22:23] op_sel_hi:[1,0]
	s_branch .LBB29_19
.LBB29_16:
	v_mov_b32_e32 v2, 0
	v_mov_b32_e32 v3, 0
	s_and_b64 vcc, exec, s[4:5]
	s_cbranch_vccz .LBB29_14
.LBB29_17:
	v_mov_b32_e32 v8, 0
	s_and_b64 vcc, exec, s[4:5]
	s_cbranch_vccz .LBB29_15
.LBB29_18:
	v_mov_b32_e32 v0, 0
	v_mov_b32_e32 v1, 0
.LBB29_19:
	v_lshlrev_b32_e32 v9, 4, v5
	v_lshl_add_u32 v9, v4, 2, v9
	v_lshl_or_b32 v214, v11, 4, v48
	v_lshlrev_b32_e32 v213, 4, v211
	s_load_dwordx2 s[10:11], s[10:11], 0x0
	ds_write_b32 v9, v10 offset:4096
	ds_write2st64_b32 v214, v2, v3 offset1:4
	s_waitcnt lgkmcnt(0)
	s_barrier
	ds_read_b128 v[10:13], v213
	v_lshlrev_b32_e32 v212, 4, v210
	ds_read_b128 v[14:17], v212 offset:4992
	ds_read_b128 v[18:21], v213 offset:512
	;; [unrolled: 1-line block ×5, first 2 shown]
	s_waitcnt lgkmcnt(5)
	v_max_f32_e32 v49, v11, v11
	s_waitcnt lgkmcnt(4)
	v_max_f32_e32 v58, v15, v15
	v_max_f32_e32 v54, v10, v10
	;; [unrolled: 1-line block ×3, first 2 shown]
	ds_read_b128 v[34:37], v212 offset:4096
	ds_read_b128 v[38:41], v212 offset:4224
	v_max_f32_e32 v108, v13, v13
	v_max_f32_e32 v109, v12, v12
	;; [unrolled: 1-line block ×4, first 2 shown]
	ds_read_b128 v[10:13], v212 offset:4352
	ds_read_b128 v[14:17], v212 offset:4480
	s_waitcnt lgkmcnt(4)
	v_max_f32_e32 v60, v31, v31
	v_max_f32_e32 v61, v30, v30
	;; [unrolled: 1-line block ×4, first 2 shown]
	s_waitcnt lgkmcnt(2)
	v_max_f32_e32 v26, v38, v38
	v_max_f32_e32 v27, v39, v39
	s_waitcnt lgkmcnt(1)
	v_max_f32_e32 v30, v10, v10
	v_max_f32_e32 v31, v11, v11
	;; [unrolled: 3-line block ×3, first 2 shown]
	v_max_f32_e32 v75, v13, v13
	ds_read_b128 v[10:13], v212 offset:4608
	v_max_f32_e32 v39, v15, v15
	v_max_f32_e32 v78, v16, v16
	;; [unrolled: 1-line block ×3, first 2 shown]
	ds_read_b128 v[14:17], v212 offset:4736
	v_max_f32_e32 v56, v19, v19
	v_max_f32_e32 v57, v18, v18
	;; [unrolled: 1-line block ×4, first 2 shown]
	s_waitcnt lgkmcnt(0)
	v_max_f32_e32 v52, v14, v14
	v_max_f32_e32 v53, v15, v15
	;; [unrolled: 1-line block ×6, first 2 shown]
	v_min_f32_e32 v50, v52, v54
	v_min_f32_e32 v51, v53, v49
	;; [unrolled: 1-line block ×10, first 2 shown]
	v_max_f32_e32 v126, v21, v21
	v_max_f32_e32 v127, v20, v20
	;; [unrolled: 1-line block ×9, first 2 shown]
	v_min_f32_e32 v2, v18, v54
	v_min_f32_e32 v3, v19, v49
	;; [unrolled: 1-line block ×34, first 2 shown]
	v_pk_add_f32 v[52:53], v[52:53], 0 op_sel_hi:[1,0]
	v_min_f32_e32 v59, v124, v108
	v_min_f32_e32 v58, v125, v109
	v_max_f32_e32 v128, v33, v33
	v_pk_add_f32 v[90:91], v[58:59], v[52:53]
	v_pk_add_f32 v[52:53], v[54:55], 0 op_sel_hi:[1,0]
	v_min_f32_e32 v55, v124, v126
	v_min_f32_e32 v54, v125, v127
	v_max_f32_e32 v68, v36, v36
	v_max_f32_e32 v69, v37, v37
	v_pk_add_f32 v[76:77], v[54:55], v[52:53]
	v_pk_add_f32 v[52:53], v[56:57], 0 op_sel_hi:[1,0]
	v_min_f32_e32 v55, v124, v128
	v_min_f32_e32 v54, v125, v129
	v_max_f32_e32 v130, v29, v29
	v_max_f32_e32 v131, v28, v28
	;; [unrolled: 1-line block ×4, first 2 shown]
	v_min_f32_e32 v25, v31, v49
	v_min_f32_e32 v28, v30, v61
	v_min_f32_e32 v29, v31, v60
	v_min_f32_e32 v31, v31, v62
	v_min_f32_e32 v30, v30, v63
	v_min_f32_e32 v33, v39, v49
	v_min_f32_e32 v36, v38, v61
	v_min_f32_e32 v37, v39, v60
	v_min_f32_e32 v39, v39, v62
	v_min_f32_e32 v38, v38, v63
	v_min_f32_e32 v41, v47, v49
	v_min_f32_e32 v44, v46, v61
	v_min_f32_e32 v45, v47, v60
	v_min_f32_e32 v47, v47, v62
	v_min_f32_e32 v46, v46, v63
	v_min_f32_e32 v105, v73, v62
	v_min_f32_e32 v104, v72, v63
	v_pk_add_f32 v[62:63], v[54:55], v[52:53]
	v_pk_add_f32 v[2:3], v[2:3], 0 op_sel_hi:[1,0]
	v_min_f32_e32 v52, v68, v109
	v_min_f32_e32 v53, v69, v108
	v_pk_add_f32 v[122:123], v[52:53], v[2:3]
	v_pk_add_f32 v[2:3], v[10:11], 0 op_sel_hi:[1,0]
	v_min_f32_e32 v10, v68, v127
	v_min_f32_e32 v11, v69, v126
	;; [unrolled: 4-line block ×3, first 2 shown]
	v_min_f32_e32 v99, v73, v49
	v_min_f32_e32 v102, v72, v61
	;; [unrolled: 1-line block ×3, first 2 shown]
	v_pk_add_f32 v[72:73], v[10:11], v[2:3]
	v_min_f32_e32 v3, v69, v130
	v_min_f32_e32 v2, v68, v131
	v_pk_add_f32 v[10:11], v[14:15], 0 op_sel_hi:[1,0]
	s_cmp_lt_i32 s12, 9
	v_pk_add_f32 v[58:59], v[2:3], v[10:11]
	v_pk_add_f32 v[2:3], v[16:17], 0 op_sel_hi:[1,0]
	v_min_f32_e32 v10, v70, v109
	v_min_f32_e32 v11, v71, v108
	v_pk_add_f32 v[120:121], v[10:11], v[2:3]
	v_pk_add_f32 v[2:3], v[18:19], 0 op_sel_hi:[1,0]
	v_min_f32_e32 v10, v70, v127
	v_min_f32_e32 v11, v71, v126
	;; [unrolled: 4-line block ×3, first 2 shown]
	v_pk_add_f32 v[68:69], v[10:11], v[2:3]
	v_min_f32_e32 v3, v71, v130
	v_min_f32_e32 v2, v70, v131
	v_pk_add_f32 v[10:11], v[22:23], 0 op_sel_hi:[1,0]
	ds_write2st64_b32 v214, v0, v1 offset0:8 offset1:12
	ds_write_b32 v9, v8 offset:5120
	v_pk_add_f32 v[52:53], v[2:3], v[10:11]
	v_pk_add_f32 v[2:3], v[24:25], 0 op_sel_hi:[1,0]
	v_min_f32_e32 v10, v74, v109
	v_min_f32_e32 v11, v75, v108
	v_pk_add_f32 v[118:119], v[10:11], v[2:3]
	v_pk_add_f32 v[2:3], v[26:27], 0 op_sel_hi:[1,0]
	v_min_f32_e32 v10, v74, v127
	v_min_f32_e32 v11, v75, v126
	;; [unrolled: 4-line block ×3, first 2 shown]
	v_pk_add_f32 v[70:71], v[10:11], v[2:3]
	v_min_f32_e32 v3, v75, v130
	v_min_f32_e32 v2, v74, v131
	v_pk_add_f32 v[10:11], v[30:31], 0 op_sel_hi:[1,0]
	s_waitcnt lgkmcnt(0)
	v_pk_add_f32 v[54:55], v[2:3], v[10:11]
	v_pk_add_f32 v[2:3], v[32:33], 0 op_sel_hi:[1,0]
	v_min_f32_e32 v10, v78, v109
	v_min_f32_e32 v11, v79, v108
	v_pk_add_f32 v[116:117], v[10:11], v[2:3]
	v_pk_add_f32 v[2:3], v[34:35], 0 op_sel_hi:[1,0]
	v_min_f32_e32 v10, v78, v127
	v_min_f32_e32 v11, v79, v126
	;; [unrolled: 4-line block ×3, first 2 shown]
	v_pk_add_f32 v[74:75], v[10:11], v[2:3]
	v_min_f32_e32 v3, v79, v130
	v_min_f32_e32 v2, v78, v131
	v_pk_add_f32 v[10:11], v[38:39], 0 op_sel_hi:[1,0]
	s_barrier
	v_pk_add_f32 v[56:57], v[2:3], v[10:11]
	v_pk_add_f32 v[2:3], v[40:41], 0 op_sel_hi:[1,0]
	v_min_f32_e32 v10, v80, v109
	v_min_f32_e32 v11, v81, v108
	v_pk_add_f32 v[114:115], v[10:11], v[2:3]
	v_pk_add_f32 v[2:3], v[42:43], 0 op_sel_hi:[1,0]
	v_min_f32_e32 v10, v80, v127
	v_min_f32_e32 v11, v81, v126
	;; [unrolled: 4-line block ×3, first 2 shown]
	v_pk_add_f32 v[78:79], v[10:11], v[2:3]
	v_min_f32_e32 v3, v81, v130
	v_min_f32_e32 v2, v80, v131
	v_pk_add_f32 v[10:11], v[46:47], 0 op_sel_hi:[1,0]
	s_nop 0
	v_pk_add_f32 v[60:61], v[2:3], v[10:11]
	v_pk_add_f32 v[2:3], v[50:51], 0 op_sel_hi:[1,0]
	v_min_f32_e32 v10, v110, v109
	v_min_f32_e32 v11, v111, v108
	v_pk_add_f32 v[112:113], v[10:11], v[2:3]
	v_pk_add_f32 v[2:3], v[64:65], 0 op_sel_hi:[1,0]
	v_min_f32_e32 v10, v110, v127
	v_min_f32_e32 v11, v111, v126
	;; [unrolled: 4-line block ×3, first 2 shown]
	v_pk_add_f32 v[80:81], v[10:11], v[2:3]
	v_min_f32_e32 v3, v111, v130
	v_min_f32_e32 v2, v110, v131
	v_pk_add_f32 v[10:11], v[82:83], 0 op_sel_hi:[1,0]
	s_nop 0
	v_pk_add_f32 v[64:65], v[2:3], v[10:11]
	v_min_f32_e32 v2, v132, v109
	v_min_f32_e32 v3, v133, v108
	v_pk_add_f32 v[10:11], v[98:99], 0 op_sel_hi:[1,0]
	s_nop 0
	;; [unrolled: 5-line block ×6, first 2 shown]
	v_pk_add_f32 v[50:51], v[2:3], v[10:11]
	s_cbranch_scc1 .LBB29_33
; %bb.20:
	v_mov_b32_e32 v0, 0x1400
	v_lshl_add_u32 v219, v210, 4, v0
	v_mov_b32_e32 v0, 0x800
	v_lshl_add_u32 v220, v211, 4, v0
	v_mad_i64_i32 v[0:1], s[26:27], s23, v7, 0
	v_lshl_add_u64 v[100:101], v[0:1], 2, s[16:17]
	v_mad_i64_i32 v[0:1], s[26:27], s23, v6, 0
	v_lshl_add_u64 v[102:103], v[0:1], 2, s[16:17]
	v_add_u32_e32 v0, 8, v4
	v_mad_i64_i32 v[0:1], s[16:17], v0, s18, 0
	v_lshlrev_b64 v[104:105], 2, v[0:1]
	v_lshl_or_b32 v0, s2, 6, v5
	s_lshl_b32 s2, s3, 6
	v_subrev_u32_e32 v0, s2, v0
	v_ashrrev_i32_e32 v1, 31, v0
	v_lshl_add_u64 v[106:107], v[0:1], 2, s[14:15]
	v_add_u32_e32 v0, 12, v4
	v_mad_i64_i32 v[0:1], s[14:15], v0, s18, 0
	v_or_b32_e32 v215, 0x1000, v9
	v_add_u32_e32 v216, 0x1000, v212
	v_add_u32_e32 v217, 0x1400, v9
	;; [unrolled: 1-line block ×3, first 2 shown]
	s_add_i32 s22, s12, -8
	s_mov_b32 s12, s13
	v_mov_b32_e32 v49, 0
	s_lshl_b64 s[2:3], s[18:19], 5
	v_lshlrev_b64 v[108:109], 2, v[0:1]
	s_mov_b32 s14, 0
	s_branch .LBB29_23
.LBB29_21:                              ;   in Loop: Header=BB29_23 Depth=1
	flat_load_dword v16, v[124:125] offset:48
	flat_load_dword v17, v[126:127] offset:48
	s_waitcnt vmcnt(0) lgkmcnt(0)
	v_pk_mul_f32 v[16:17], v[16:17], s[12:13]
.LBB29_22:                              ;   in Loop: Header=BB29_23 Depth=1
	v_pk_add_f32 v[40:41], v[40:41], v[90:91]
	v_pk_add_f32 v[32:33], v[32:33], v[62:63]
	;; [unrolled: 1-line block ×32, first 2 shown]
	ds_read_b128 v[0:3], v213
	ds_read_b128 v[8:11], v213 offset:512
	v_pk_add_f32 v[22:23], v[6:7], v[82:83]
	ds_read_b128 v[4:7], v216 offset:896
	ds_read_b128 v[12:15], v216 offset:768
	;; [unrolled: 1-line block ×4, first 2 shown]
	v_pk_add_f32 v[90:91], v[136:137], v[70:71]
	v_pk_add_f32 v[92:93], v[144:145], v[92:93]
	;; [unrolled: 1-line block ×6, first 2 shown]
	ds_read_b128 v[90:93], v216
	v_pk_add_f32 v[36:37], v[36:37], v[76:77]
	v_pk_add_f32 v[116:117], v[146:147], v[116:117]
	;; [unrolled: 1-line block ×9, first 2 shown]
	s_waitcnt lgkmcnt(4)
	v_max_f32_e32 v117, v5, v5
	v_max_f32_e32 v119, v4, v4
	;; [unrolled: 1-line block ×4, first 2 shown]
	s_waitcnt lgkmcnt(1)
	v_max_f32_e32 v122, v87, v87
	v_max_f32_e32 v123, v86, v86
	v_min_f32_e32 v5, v117, v120
	v_min_f32_e32 v4, v119, v121
	;; [unrolled: 1-line block ×4, first 2 shown]
	v_max_f32_e32 v116, v1, v1
	v_max_f32_e32 v118, v0, v0
	v_pk_add_f32 v[4:5], v[4:5], v[80:81]
	v_pk_add_f32 v[8:9], v[8:9], v[78:79]
	ds_read_b128 v[78:81], v216 offset:128
	s_waitcnt lgkmcnt(1)
	v_max_f32_e32 v90, v90, v90
	v_max_f32_e32 v91, v91, v91
	v_min_f32_e32 v86, v90, v118
	v_min_f32_e32 v87, v91, v116
	v_pk_add_f32 v[94:95], v[150:151], v[94:95]
	v_pk_add_f32 v[86:87], v[86:87], v[72:73]
	v_min_f32_e32 v72, v90, v121
	v_min_f32_e32 v73, v91, v120
	v_pk_add_f32 v[96:97], v[156:157], v[96:97]
	v_pk_add_f32 v[40:41], v[190:191], v[94:95]
	;; [unrolled: 1-line block ×3, first 2 shown]
	v_min_f32_e32 v72, v90, v123
	v_min_f32_e32 v73, v91, v122
	v_pk_add_f32 v[32:33], v[200:201], v[96:97]
	v_pk_add_f32 v[96:97], v[72:73], v[76:77]
	v_max_f32_e32 v76, v83, v83
	v_max_f32_e32 v77, v82, v82
	v_pk_add_f32 v[70:71], v[26:27], v[24:25]
	v_min_f32_e32 v73, v91, v76
	v_min_f32_e32 v72, v90, v77
	s_waitcnt lgkmcnt(0)
	v_max_f32_e32 v74, v78, v78
	v_max_f32_e32 v75, v79, v79
	v_pk_add_f32 v[70:71], v[72:73], v[70:71]
	v_min_f32_e32 v72, v74, v118
	v_min_f32_e32 v73, v75, v116
	v_pk_add_f32 v[78:79], v[72:73], v[64:65]
	v_min_f32_e32 v64, v74, v121
	v_min_f32_e32 v65, v75, v120
	;; [unrolled: 3-line block ×3, first 2 shown]
	v_pk_add_f32 v[68:69], v[64:65], v[68:69]
	ds_read_b128 v[64:67], v216 offset:256
	v_pk_add_f32 v[98:99], v[162:163], v[98:99]
	v_min_f32_e32 v73, v75, v76
	v_min_f32_e32 v72, v74, v77
	v_pk_add_f32 v[24:25], v[206:207], v[98:99]
	v_pk_add_f32 v[98:99], v[72:73], v[62:63]
	ds_read_b128 v[72:75], v216 offset:384
	s_waitcnt lgkmcnt(1)
	v_max_f32_e32 v90, v64, v64
	v_max_f32_e32 v91, v65, v65
	v_min_f32_e32 v62, v90, v118
	v_min_f32_e32 v63, v91, v116
	v_pk_add_f32 v[56:57], v[62:63], v[56:57]
	v_min_f32_e32 v62, v90, v121
	v_min_f32_e32 v63, v91, v120
	v_pk_add_f32 v[54:55], v[142:143], v[54:55]
	v_pk_add_f32 v[110:111], v[164:165], v[110:111]
	;; [unrolled: 1-line block ×3, first 2 shown]
	v_min_f32_e32 v58, v90, v123
	v_min_f32_e32 v59, v91, v122
	v_pk_add_f32 v[54:55], v[182:183], v[54:55]
	v_pk_add_f32 v[26:27], v[208:209], v[110:111]
	;; [unrolled: 1-line block ×3, first 2 shown]
	v_min_f32_e32 v59, v91, v76
	v_min_f32_e32 v58, v90, v77
	s_waitcnt lgkmcnt(0)
	v_max_f32_e32 v62, v72, v72
	v_max_f32_e32 v63, v73, v73
	v_pk_add_f32 v[112:113], v[158:159], v[112:113]
	v_pk_add_f32 v[54:55], v[58:59], v[54:55]
	v_min_f32_e32 v58, v62, v118
	v_min_f32_e32 v59, v63, v116
	v_pk_add_f32 v[30:31], v[202:203], v[112:113]
	v_pk_add_f32 v[112:113], v[58:59], v[46:47]
	ds_read_b128 v[58:61], v216 offset:512
	v_min_f32_e32 v46, v62, v121
	v_min_f32_e32 v47, v63, v120
	v_pk_add_f32 v[114:115], v[152:153], v[114:115]
	v_pk_add_f32 v[50:51], v[46:47], v[50:51]
	v_min_f32_e32 v46, v62, v123
	v_min_f32_e32 v47, v63, v122
	v_pk_add_f32 v[38:39], v[192:193], v[114:115]
	v_pk_add_f32 v[114:115], v[46:47], v[52:53]
	;; [unrolled: 4-line block ×3, first 2 shown]
	ds_read_b128 v[44:47], v216 offset:640
	s_waitcnt lgkmcnt(1)
	v_max_f32_e32 v58, v58, v58
	v_max_f32_e32 v59, v59, v59
	v_min_f32_e32 v52, v58, v118
	v_min_f32_e32 v53, v59, v116
	v_pk_add_f32 v[38:39], v[52:53], v[38:39]
	v_min_f32_e32 v52, v58, v121
	v_min_f32_e32 v53, v59, v120
	v_pk_add_f32 v[40:41], v[52:53], v[40:41]
	;; [unrolled: 3-line block ×4, first 2 shown]
	s_waitcnt lgkmcnt(0)
	v_max_f32_e32 v52, v44, v44
	v_max_f32_e32 v53, v45, v45
	v_min_f32_e32 v44, v52, v118
	v_min_f32_e32 v45, v53, v116
	v_pk_add_f32 v[30:31], v[44:45], v[30:31]
	v_min_f32_e32 v44, v52, v121
	v_min_f32_e32 v45, v53, v120
	v_pk_add_f32 v[32:33], v[44:45], v[32:33]
	;; [unrolled: 3-line block ×4, first 2 shown]
	v_max_f32_e32 v44, v12, v12
	v_max_f32_e32 v45, v13, v13
	v_min_f32_e32 v12, v44, v118
	v_min_f32_e32 v13, v45, v116
	v_pk_add_f32 v[12:13], v[12:13], v[26:27]
	v_min_f32_e32 v26, v44, v121
	v_min_f32_e32 v27, v45, v120
	v_pk_add_f32 v[24:25], v[26:27], v[24:25]
	;; [unrolled: 3-line block ×4, first 2 shown]
	v_min_f32_e32 v27, v117, v76
	v_min_f32_e32 v26, v119, v77
	;; [unrolled: 1-line block ×4, first 2 shown]
	v_pk_add_f32 v[18:19], v[26:27], v[18:19]
	v_max_f32_e32 v26, v3, v3
	v_max_f32_e32 v7, v7, v7
	;; [unrolled: 1-line block ×4, first 2 shown]
	v_pk_add_f32 v[0:1], v[0:1], v[126:127]
	v_min_f32_e32 v3, v7, v26
	v_min_f32_e32 v2, v6, v27
	v_pk_add_f32 v[90:91], v[2:3], v[0:1]
	v_max_f32_e32 v2, v11, v11
	v_max_f32_e32 v3, v10, v10
	v_min_f32_e32 v1, v7, v2
	v_min_f32_e32 v0, v6, v3
	v_pk_add_f32 v[76:77], v[0:1], v[4:5]
	v_max_f32_e32 v4, v89, v89
	v_max_f32_e32 v5, v88, v88
	;; [unrolled: 5-line block ×3, first 2 shown]
	v_min_f32_e32 v0, v8, v27
	v_min_f32_e32 v1, v9, v26
	v_pk_add_f32 v[122:123], v[0:1], v[86:87]
	v_min_f32_e32 v0, v8, v3
	v_min_f32_e32 v1, v9, v2
	v_pk_add_f32 v[88:89], v[0:1], v[94:95]
	v_min_f32_e32 v0, v8, v5
	v_min_f32_e32 v1, v9, v4
	v_max_f32_e32 v10, v85, v85
	v_pk_add_f32 v[72:73], v[0:1], v[96:97]
	v_min_f32_e32 v1, v9, v10
	v_max_f32_e32 v9, v84, v84
	v_min_f32_e32 v0, v8, v9
	v_max_f32_e32 v8, v80, v80
	v_max_f32_e32 v11, v81, v81
	v_pk_add_f32 v[58:59], v[0:1], v[70:71]
	v_min_f32_e32 v0, v8, v27
	v_min_f32_e32 v1, v11, v26
	v_pk_add_f32 v[120:121], v[0:1], v[78:79]
	v_min_f32_e32 v0, v8, v3
	v_min_f32_e32 v1, v11, v2
	v_pk_add_f32 v[84:85], v[0:1], v[82:83]
	v_min_f32_e32 v0, v8, v5
	v_min_f32_e32 v1, v11, v4
	v_pk_add_f32 v[68:69], v[0:1], v[68:69]
	v_min_f32_e32 v1, v11, v10
	v_min_f32_e32 v0, v8, v9
	v_max_f32_e32 v8, v66, v66
	v_max_f32_e32 v11, v67, v67
	v_pk_add_f32 v[52:53], v[0:1], v[98:99]
	v_min_f32_e32 v0, v8, v27
	v_min_f32_e32 v1, v11, v26
	v_pk_add_f32 v[118:119], v[0:1], v[56:57]
	v_min_f32_e32 v0, v8, v3
	v_min_f32_e32 v1, v11, v2
	v_pk_add_f32 v[86:87], v[0:1], v[64:65]
	v_min_f32_e32 v0, v8, v5
	v_min_f32_e32 v1, v11, v4
	v_pk_add_f32 v[70:71], v[0:1], v[110:111]
	v_min_f32_e32 v1, v11, v10
	;; [unrolled: 14-line block ×6, first 2 shown]
	v_min_f32_e32 v0, v8, v9
	v_pk_add_f32 v[66:67], v[0:1], v[22:23]
	v_min_f32_e32 v1, v7, v10
	v_min_f32_e32 v0, v6, v9
	s_add_i32 s14, s14, 8
	v_pk_add_f32 v[50:51], v[0:1], v[18:19]
	v_lshl_add_u64 v[100:101], v[100:101], 0, 32
	v_lshl_add_u64 v[102:103], v[102:103], 0, 32
	s_cmp_ge_i32 s14, s22
	v_lshl_add_u64 v[106:107], v[106:107], 0, s[2:3]
	ds_write_b32 v217, v221
	ds_write2st64_b32 v218, v16, v17 offset1:4
	s_waitcnt lgkmcnt(0)
	s_barrier
	s_cbranch_scc1 .LBB29_33
.LBB29_23:                              ; =>This Inner Loop Header: Depth=1
	s_and_b64 vcc, exec, s[4:5]
	v_mov_b32_e32 v130, 0
	s_cbranch_vccnz .LBB29_25
; %bb.24:                               ;   in Loop: Header=BB29_23 Depth=1
	v_lshl_add_u64 v[0:1], v[106:107], 0, v[104:105]
	flat_load_dword v0, v[0:1]
	s_waitcnt vmcnt(0) lgkmcnt(0)
	v_mul_f32_e32 v130, s13, v0
.LBB29_25:                              ;   in Loop: Header=BB29_23 Depth=1
	s_and_b64 vcc, exec, s[4:5]
	v_lshl_add_u64 v[124:125], v[102:103], 0, v[48:49]
	v_lshl_add_u64 v[126:127], v[100:101], 0, v[48:49]
	s_cbranch_vccnz .LBB29_27
; %bb.26:                               ;   in Loop: Header=BB29_23 Depth=1
	flat_load_dword v0, v[124:125] offset:32
	flat_load_dword v1, v[126:127] offset:32
	s_waitcnt vmcnt(0) lgkmcnt(0)
	v_pk_mul_f32 v[128:129], v[0:1], s[12:13]
	s_branch .LBB29_28
.LBB29_27:                              ;   in Loop: Header=BB29_23 Depth=1
	v_mov_b32_e32 v128, 0
	v_mov_b32_e32 v129, 0
.LBB29_28:                              ;   in Loop: Header=BB29_23 Depth=1
	ds_read_b128 v[40:43], v220
	ds_read_b128 v[36:39], v220 offset:512
	ds_read_b128 v[24:27], v220 offset:1536
	;; [unrolled: 1-line block ×3, first 2 shown]
	ds_read_b128 v[28:31], v219
	ds_read_b128 v[20:23], v219 offset:128
	ds_read_b128 v[16:19], v219 offset:256
	;; [unrolled: 1-line block ×7, first 2 shown]
	s_and_b64 vcc, exec, s[4:5]
	ds_write_b32 v215, v130
	ds_write2st64_b32 v214, v128, v129 offset1:4
	s_waitcnt lgkmcnt(0)
	s_barrier
	s_cbranch_vccnz .LBB29_30
; %bb.29:                               ;   in Loop: Header=BB29_23 Depth=1
	v_lshl_add_u64 v[128:129], v[106:107], 0, v[108:109]
	flat_load_dword v128, v[128:129]
	s_waitcnt vmcnt(0) lgkmcnt(0)
	v_mul_f32_e32 v221, s13, v128
	s_branch .LBB29_31
.LBB29_30:                              ;   in Loop: Header=BB29_23 Depth=1
	v_mov_b32_e32 v221, 0
.LBB29_31:                              ;   in Loop: Header=BB29_23 Depth=1
	v_max_f32_e32 v162, v41, v41
	v_max_f32_e32 v163, v40, v40
	;; [unrolled: 1-line block ×10, first 2 shown]
	v_min_f32_e32 v140, v16, v163
	v_min_f32_e32 v141, v17, v162
	v_min_f32_e32 v138, v16, v167
	v_min_f32_e32 v139, v17, v166
	v_min_f32_e32 v136, v16, v171
	v_min_f32_e32 v137, v17, v169
	v_min_f32_e32 v143, v17, v172
	v_min_f32_e32 v142, v16, v173
	v_max_f32_e32 v16, v12, v12
	v_max_f32_e32 v17, v13, v13
	v_min_f32_e32 v146, v16, v163
	v_min_f32_e32 v147, v17, v162
	v_min_f32_e32 v144, v16, v167
	v_min_f32_e32 v145, v17, v166
	v_min_f32_e32 v12, v16, v171
	v_min_f32_e32 v13, v17, v169
	v_min_f32_e32 v149, v17, v172
	v_min_f32_e32 v148, v16, v173
	v_max_f32_e32 v16, v8, v8
	v_max_f32_e32 v17, v9, v9
	;; [unrolled: 10-line block ×3, first 2 shown]
	v_max_f32_e32 v168, v45, v45
	v_max_f32_e32 v170, v44, v44
	;; [unrolled: 1-line block ×6, first 2 shown]
	v_min_f32_e32 v158, v16, v163
	v_min_f32_e32 v159, v17, v162
	;; [unrolled: 1-line block ×8, first 2 shown]
	v_max_f32_e32 v16, v0, v0
	v_max_f32_e32 v17, v1, v1
	v_min_f32_e32 v41, v168, v162
	v_min_f32_e32 v40, v170, v163
	v_min_f32_e32 v37, v168, v166
	v_min_f32_e32 v128, v130, v163
	v_min_f32_e32 v129, v131, v162
	v_min_f32_e32 v45, v131, v166
	v_min_f32_e32 v29, v131, v169
	v_min_f32_e32 v25, v131, v172
	v_min_f32_e32 v132, v134, v163
	v_min_f32_e32 v133, v135, v162
	v_min_f32_e32 v131, v135, v166
	v_min_f32_e32 v164, v16, v163
	v_min_f32_e32 v165, v17, v162
	v_min_f32_e32 v162, v16, v167
	v_min_f32_e32 v163, v17, v166
	v_min_f32_e32 v0, v16, v171
	v_min_f32_e32 v166, v16, v173
	v_max_f32_e32 v16, v43, v43
	v_max_f32_e32 v198, v42, v42
	;; [unrolled: 1-line block ×10, first 2 shown]
	v_min_f32_e32 v36, v170, v167
	v_min_f32_e32 v33, v168, v169
	;; [unrolled: 1-line block ×14, first 2 shown]
	v_max_f32_e32 v17, v47, v47
	v_max_f32_e32 v222, v46, v46
	;; [unrolled: 1-line block ×12, first 2 shown]
	v_min_f32_e32 v202, v6, v198
	v_min_f32_e32 v203, v7, v16
	;; [unrolled: 1-line block ×8, first 2 shown]
	v_max_f32_e32 v6, v2, v2
	v_max_f32_e32 v7, v3, v3
	v_min_f32_e32 v32, v170, v171
	v_min_f32_e32 v43, v17, v16
	;; [unrolled: 1-line block ×56, first 2 shown]
	s_and_b64 vcc, exec, s[4:5]
	v_min_f32_e32 v198, v222, v226
	s_cbranch_vccz .LBB29_21
; %bb.32:                               ;   in Loop: Header=BB29_23 Depth=1
	v_mov_b32_e32 v16, 0
	v_mov_b32_e32 v17, 0
	s_branch .LBB29_22
.LBB29_33:
	s_load_dword s12, s[0:1], 0x50
	ds_read_b128 v[40:43], v213 offset:2048
	ds_read_b128 v[44:47], v212 offset:5120
	v_add_u32_e32 v102, s21, v211
	v_cmp_neq_f32_e64 s[4:5], s24, 0
	v_add_u32_e32 v48, s20, v210
	s_waitcnt lgkmcnt(0)
	v_mad_i64_i32 v[0:1], s[2:3], v102, s12, 0
	v_ashrrev_i32_e32 v49, 31, v48
	v_lshl_add_u64 v[100:101], v[0:1], 2, s[8:9]
	s_and_b64 vcc, exec, s[4:5]
	v_mov_b32_e32 v105, 0
	v_mov_b32_e32 v104, 0
	s_cbranch_vccz .LBB29_35
; %bb.34:
	v_lshl_add_u64 v[0:1], v[48:49], 2, v[100:101]
	flat_load_dword v0, v[0:1]
	s_waitcnt vmcnt(0) lgkmcnt(0)
	v_mul_f32_e32 v104, s24, v0
.LBB29_35:
	ds_read_b128 v[12:15], v212 offset:6016
	ds_read_b128 v[0:3], v213 offset:3584
	;; [unrolled: 1-line block ×6, first 2 shown]
	s_load_dword s13, s[0:1], 0x68
	s_load_dwordx2 s[2:3], s[0:1], 0x70
	v_max_f32_e32 v124, v40, v40
	v_max_f32_e32 v44, v44, v44
	v_max_f32_e32 v125, v41, v41
	v_max_f32_e32 v103, v45, v45
	ds_read_b128 v[28:31], v212 offset:5504
	ds_read_b128 v[24:27], v212 offset:5632
	;; [unrolled: 1-line block ×4, first 2 shown]
	v_min_f32_e32 v40, v44, v124
	v_min_f32_e32 v41, v103, v125
	v_pk_add_f32 v[40:41], v[40:41], v[122:123]
	v_max_f32_e32 v122, v42, v42
	v_max_f32_e32 v45, v46, v46
	;; [unrolled: 1-line block ×4, first 2 shown]
	s_waitcnt lgkmcnt(0)
	s_lshl_b64 s[0:1], s[2:3], 2
	v_min_f32_e32 v42, v45, v122
	v_min_f32_e32 v43, v46, v123
	s_add_u32 s2, s10, s0
	v_pk_add_f32 v[106:107], v[42:43], v[40:41]
	s_addc_u32 s3, s11, s1
	v_mad_i64_i32 v[42:43], s[0:1], v102, s13, 0
	v_add_f32_e32 v47, v106, v107
	v_add_u32_e32 v40, 8, v48
	v_lshl_add_u64 v[42:43], v[42:43], 2, s[2:3]
	v_add_f32_e32 v47, v47, v104
	v_cndmask_b32_e64 v104, 0, 1, s[4:5]
	v_ashrrev_i32_e32 v41, 31, v40
	v_lshl_add_u64 v[106:107], v[48:49], 2, v[42:43]
	v_cmp_ne_u32_e64 s[0:1], 1, v104
	s_andn2_b64 vcc, exec, s[4:5]
	global_store_dword v[106:107], v47, off
	s_cbranch_vccnz .LBB29_37
; %bb.36:
	v_lshl_add_u64 v[104:105], v[40:41], 2, v[100:101]
	flat_load_dword v47, v[104:105]
	s_waitcnt vmcnt(0) lgkmcnt(0)
	v_mul_f32_e32 v105, s24, v47
.LBB29_37:
	v_max_f32_e32 v47, v36, v36
	v_max_f32_e32 v104, v37, v37
	v_min_f32_e32 v36, v47, v124
	v_min_f32_e32 v37, v104, v125
	v_max_f32_e32 v38, v38, v38
	v_max_f32_e32 v39, v39, v39
	v_pk_add_f32 v[36:37], v[36:37], v[120:121]
	v_min_f32_e32 v106, v38, v122
	v_min_f32_e32 v107, v39, v123
	v_pk_add_f32 v[36:37], v[106:107], v[36:37]
	s_and_b64 vcc, exec, s[0:1]
	v_add_f32_e32 v106, v36, v37
	v_add_u32_e32 v36, 16, v48
	v_add_f32_e32 v105, v106, v105
	v_lshl_add_u64 v[106:107], v[40:41], 2, v[42:43]
	v_ashrrev_i32_e32 v37, 31, v36
	global_store_dword v[106:107], v105, off
	v_mov_b32_e32 v109, 0
	v_mov_b32_e32 v107, 0
	s_cbranch_vccnz .LBB29_39
; %bb.38:
	v_lshl_add_u64 v[106:107], v[36:37], 2, v[100:101]
	flat_load_dword v105, v[106:107]
	s_waitcnt vmcnt(0) lgkmcnt(0)
	v_mul_f32_e32 v107, s24, v105
.LBB29_39:
	v_max_f32_e32 v105, v32, v32
	v_max_f32_e32 v106, v33, v33
	v_min_f32_e32 v32, v105, v124
	v_min_f32_e32 v33, v106, v125
	v_max_f32_e32 v34, v34, v34
	v_max_f32_e32 v35, v35, v35
	v_pk_add_f32 v[32:33], v[32:33], v[118:119]
	v_min_f32_e32 v118, v34, v122
	v_min_f32_e32 v119, v35, v123
	v_pk_add_f32 v[32:33], v[118:119], v[32:33]
	v_lshl_add_u64 v[118:119], v[36:37], 2, v[42:43]
	v_add_f32_e32 v108, v32, v33
	v_add_u32_e32 v32, 24, v48
	v_ashrrev_i32_e32 v33, 31, v32
	v_add_f32_e32 v107, v108, v107
	s_and_b64 vcc, exec, s[0:1]
	global_store_dword v[118:119], v107, off
	s_cbranch_vccnz .LBB29_41
; %bb.40:
	v_lshl_add_u64 v[108:109], v[32:33], 2, v[100:101]
	flat_load_dword v107, v[108:109]
	s_waitcnt vmcnt(0) lgkmcnt(0)
	v_mul_f32_e32 v109, s24, v107
.LBB29_41:
	v_max_f32_e32 v107, v28, v28
	v_max_f32_e32 v108, v29, v29
	v_min_f32_e32 v28, v107, v124
	v_min_f32_e32 v29, v108, v125
	v_max_f32_e32 v30, v30, v30
	v_max_f32_e32 v31, v31, v31
	v_pk_add_f32 v[28:29], v[28:29], v[116:117]
	v_min_f32_e32 v116, v30, v122
	v_min_f32_e32 v117, v31, v123
	v_pk_add_f32 v[28:29], v[116:117], v[28:29]
	s_and_b64 vcc, exec, s[0:1]
	v_add_f32_e32 v116, v28, v29
	v_add_u32_e32 v28, 32, v48
	v_add_f32_e32 v109, v116, v109
	v_lshl_add_u64 v[116:117], v[32:33], 2, v[42:43]
	v_ashrrev_i32_e32 v29, 31, v28
	global_store_dword v[116:117], v109, off
	v_mov_b32_e32 v117, 0
	v_mov_b32_e32 v118, 0
	s_cbranch_vccnz .LBB29_43
; %bb.42:
	v_lshl_add_u64 v[118:119], v[28:29], 2, v[100:101]
	flat_load_dword v109, v[118:119]
	s_waitcnt vmcnt(0) lgkmcnt(0)
	v_mul_f32_e32 v118, s24, v109
.LBB29_43:
	v_max_f32_e32 v109, v24, v24
	v_max_f32_e32 v116, v25, v25
	v_min_f32_e32 v24, v109, v124
	v_min_f32_e32 v25, v116, v125
	v_max_f32_e32 v26, v26, v26
	v_max_f32_e32 v27, v27, v27
	v_pk_add_f32 v[24:25], v[24:25], v[114:115]
	v_min_f32_e32 v114, v26, v122
	v_min_f32_e32 v115, v27, v123
	v_pk_add_f32 v[24:25], v[114:115], v[24:25]
	s_and_b64 vcc, exec, s[0:1]
	v_add_f32_e32 v114, v24, v25
	v_add_u32_e32 v24, 40, v48
	v_ashrrev_i32_e32 v25, 31, v24
	v_add_f32_e32 v118, v114, v118
	v_lshl_add_u64 v[114:115], v[28:29], 2, v[42:43]
	global_store_dword v[114:115], v118, off
	s_cbranch_vccnz .LBB29_45
; %bb.44:
	v_lshl_add_u64 v[114:115], v[24:25], 2, v[100:101]
	flat_load_dword v114, v[114:115]
	s_waitcnt vmcnt(0) lgkmcnt(0)
	v_mul_f32_e32 v117, s24, v114
.LBB29_45:
	v_max_f32_e32 v114, v20, v20
	v_max_f32_e32 v115, v21, v21
	v_min_f32_e32 v20, v114, v124
	v_min_f32_e32 v21, v115, v125
	v_max_f32_e32 v22, v22, v22
	v_max_f32_e32 v23, v23, v23
	v_pk_add_f32 v[20:21], v[20:21], v[112:113]
	v_min_f32_e32 v112, v22, v122
	v_min_f32_e32 v113, v23, v123
	v_pk_add_f32 v[20:21], v[112:113], v[20:21]
	s_and_b64 vcc, exec, s[0:1]
	v_add_f32_e32 v112, v20, v21
	v_add_u32_e32 v20, 48, v48
	v_add_f32_e32 v117, v112, v117
	v_lshl_add_u64 v[112:113], v[24:25], 2, v[42:43]
	v_ashrrev_i32_e32 v21, 31, v20
	global_store_dword v[112:113], v117, off
	v_mov_b32_e32 v117, 0
	v_mov_b32_e32 v118, 0
	s_cbranch_vccnz .LBB29_47
; %bb.46:
	v_lshl_add_u64 v[112:113], v[20:21], 2, v[100:101]
	flat_load_dword v112, v[112:113]
	s_waitcnt vmcnt(0) lgkmcnt(0)
	v_mul_f32_e32 v118, s24, v112
.LBB29_47:
	v_max_f32_e32 v112, v16, v16
	v_max_f32_e32 v113, v17, v17
	v_min_f32_e32 v16, v112, v124
	v_min_f32_e32 v17, v113, v125
	v_pk_add_f32 v[16:17], v[16:17], v[110:111]
	v_max_f32_e32 v110, v18, v18
	v_max_f32_e32 v111, v19, v19
	v_min_f32_e32 v18, v110, v122
	v_min_f32_e32 v19, v111, v123
	v_pk_add_f32 v[16:17], v[18:19], v[16:17]
	s_and_b64 vcc, exec, s[0:1]
	v_add_f32_e32 v18, v16, v17
	v_add_u32_e32 v16, 56, v48
	v_ashrrev_i32_e32 v17, 31, v16
	v_add_f32_e32 v118, v18, v118
	v_lshl_add_u64 v[18:19], v[20:21], 2, v[42:43]
	global_store_dword v[18:19], v118, off
	s_cbranch_vccnz .LBB29_49
; %bb.48:
	v_lshl_add_u64 v[18:19], v[16:17], 2, v[100:101]
	flat_load_dword v18, v[18:19]
	s_waitcnt vmcnt(0) lgkmcnt(0)
	v_mul_f32_e32 v117, s24, v18
.LBB29_49:
	v_max_f32_e32 v18, v13, v13
	v_max_f32_e32 v19, v12, v12
	v_min_f32_e32 v13, v18, v125
	v_min_f32_e32 v12, v19, v124
	v_max_f32_e32 v15, v15, v15
	v_max_f32_e32 v14, v14, v14
	v_pk_add_f32 v[12:13], v[12:13], v[90:91]
	v_min_f32_e32 v91, v15, v123
	v_min_f32_e32 v90, v14, v122
	v_pk_add_f32 v[12:13], v[90:91], v[12:13]
	v_add_u32_e32 v91, 32, v102
	v_add_f32_e32 v12, v12, v13
	v_add_f32_e32 v90, v12, v117
	v_lshl_add_u64 v[12:13], v[16:17], 2, v[42:43]
	global_store_dword v[12:13], v90, off
	v_mad_i64_i32 v[12:13], s[4:5], v91, s12, 0
	v_lshl_add_u64 v[12:13], v[12:13], 2, s[8:9]
	s_and_b64 vcc, exec, s[0:1]
	v_mov_b32_e32 v90, 0
	v_mov_b32_e32 v100, 0
	s_cbranch_vccnz .LBB29_51
; %bb.50:
	v_lshl_add_u64 v[42:43], v[48:49], 2, v[12:13]
	flat_load_dword v42, v[42:43]
	s_waitcnt vmcnt(0) lgkmcnt(0)
	v_mul_f32_e32 v100, s24, v42
.LBB29_51:
	v_max_f32_e32 v42, v8, v8
	v_max_f32_e32 v43, v9, v9
	v_min_f32_e32 v8, v44, v42
	v_min_f32_e32 v9, v103, v43
	v_max_f32_e32 v10, v10, v10
	v_max_f32_e32 v11, v11, v11
	v_pk_add_f32 v[8:9], v[8:9], v[88:89]
	v_min_f32_e32 v88, v45, v10
	v_min_f32_e32 v89, v46, v11
	v_pk_add_f32 v[88:89], v[88:89], v[8:9]
	v_mad_i64_i32 v[8:9], s[4:5], v91, s13, 0
	v_lshl_add_u64 v[8:9], v[8:9], 2, s[2:3]
	v_add_f32_e32 v88, v88, v89
	v_add_f32_e32 v91, v88, v100
	v_lshl_add_u64 v[88:89], v[48:49], 2, v[8:9]
	s_and_b64 vcc, exec, s[0:1]
	global_store_dword v[88:89], v91, off
	s_cbranch_vccnz .LBB29_53
; %bb.52:
	v_lshl_add_u64 v[88:89], v[40:41], 2, v[12:13]
	flat_load_dword v88, v[88:89]
	s_waitcnt vmcnt(0) lgkmcnt(0)
	v_mul_f32_e32 v90, s24, v88
.LBB29_53:
	v_min_f32_e32 v88, v47, v42
	v_min_f32_e32 v89, v104, v43
	v_pk_add_f32 v[84:85], v[88:89], v[84:85]
	v_min_f32_e32 v88, v38, v10
	v_min_f32_e32 v89, v39, v11
	v_pk_add_f32 v[84:85], v[88:89], v[84:85]
	s_and_b64 vcc, exec, s[0:1]
	v_add_f32_e32 v84, v84, v85
	v_add_f32_e32 v88, v84, v90
	v_lshl_add_u64 v[84:85], v[40:41], 2, v[8:9]
	global_store_dword v[84:85], v88, off
	v_mov_b32_e32 v84, 0
	v_mov_b32_e32 v85, 0
	s_cbranch_vccnz .LBB29_55
; %bb.54:
	v_lshl_add_u64 v[88:89], v[36:37], 2, v[12:13]
	flat_load_dword v85, v[88:89]
	s_waitcnt vmcnt(0) lgkmcnt(0)
	v_mul_f32_e32 v85, s24, v85
.LBB29_55:
	v_min_f32_e32 v88, v105, v42
	v_min_f32_e32 v89, v106, v43
	v_pk_add_f32 v[86:87], v[88:89], v[86:87]
	v_min_f32_e32 v88, v34, v10
	v_min_f32_e32 v89, v35, v11
	v_pk_add_f32 v[86:87], v[88:89], v[86:87]
	s_and_b64 vcc, exec, s[0:1]
	v_add_f32_e32 v86, v86, v87
	v_add_f32_e32 v85, v86, v85
	v_lshl_add_u64 v[86:87], v[36:37], 2, v[8:9]
	global_store_dword v[86:87], v85, off
	s_cbranch_vccnz .LBB29_57
; %bb.56:
	v_lshl_add_u64 v[84:85], v[32:33], 2, v[12:13]
	flat_load_dword v84, v[84:85]
	s_waitcnt vmcnt(0) lgkmcnt(0)
	v_mul_f32_e32 v84, s24, v84
.LBB29_57:
	v_min_f32_e32 v86, v107, v42
	v_min_f32_e32 v87, v108, v43
	v_pk_add_f32 v[86:87], v[86:87], v[92:93]
	v_min_f32_e32 v88, v30, v10
	v_min_f32_e32 v89, v31, v11
	v_pk_add_f32 v[86:87], v[88:89], v[86:87]
	s_and_b64 vcc, exec, s[0:1]
	v_add_f32_e32 v85, v86, v87
	v_add_f32_e32 v86, v85, v84
	v_lshl_add_u64 v[84:85], v[32:33], 2, v[8:9]
	global_store_dword v[84:85], v86, off
	v_mov_b32_e32 v84, 0
	v_mov_b32_e32 v85, 0
	s_cbranch_vccnz .LBB29_59
; %bb.58:
	v_lshl_add_u64 v[86:87], v[28:29], 2, v[12:13]
	flat_load_dword v85, v[86:87]
	s_waitcnt vmcnt(0) lgkmcnt(0)
	v_mul_f32_e32 v85, s24, v85
.LBB29_59:
	v_min_f32_e32 v86, v109, v42
	v_min_f32_e32 v87, v116, v43
	v_pk_add_f32 v[86:87], v[86:87], v[94:95]
	v_min_f32_e32 v88, v26, v10
	v_min_f32_e32 v89, v27, v11
	v_pk_add_f32 v[86:87], v[88:89], v[86:87]
	s_and_b64 vcc, exec, s[0:1]
	v_add_f32_e32 v86, v86, v87
	v_add_f32_e32 v85, v86, v85
	v_lshl_add_u64 v[86:87], v[28:29], 2, v[8:9]
	;; [unrolled: 38-line block ×3, first 2 shown]
	global_store_dword v[86:87], v85, off
	s_cbranch_vccnz .LBB29_65
; %bb.64:
	v_lshl_add_u64 v[12:13], v[16:17], 2, v[12:13]
	flat_load_dword v12, v[12:13]
	s_waitcnt vmcnt(0) lgkmcnt(0)
	v_mul_f32_e32 v84, s24, v12
.LBB29_65:
	v_min_f32_e32 v13, v18, v43
	v_min_f32_e32 v12, v19, v42
	v_pk_add_f32 v[12:13], v[12:13], v[76:77]
	v_min_f32_e32 v11, v15, v11
	v_min_f32_e32 v10, v14, v10
	v_pk_add_f32 v[10:11], v[10:11], v[12:13]
	v_lshl_add_u64 v[8:9], v[16:17], 2, v[8:9]
	v_add_f32_e32 v10, v10, v11
	v_add_f32_e32 v10, v10, v84
	v_add_u32_e32 v13, 64, v102
	global_store_dword v[8:9], v10, off
	v_mad_i64_i32 v[8:9], s[4:5], v13, s12, 0
	v_lshl_add_u64 v[8:9], v[8:9], 2, s[8:9]
	s_and_b64 vcc, exec, s[0:1]
	v_mov_b32_e32 v12, 0
	v_mov_b32_e32 v42, 0
	s_cbranch_vccnz .LBB29_67
; %bb.66:
	v_lshl_add_u64 v[10:11], v[48:49], 2, v[8:9]
	flat_load_dword v10, v[10:11]
	s_waitcnt vmcnt(0) lgkmcnt(0)
	v_mul_f32_e32 v42, s24, v10
.LBB29_67:
	v_max_f32_e32 v10, v4, v4
	v_max_f32_e32 v11, v5, v5
	v_min_f32_e32 v4, v44, v10
	v_min_f32_e32 v5, v103, v11
	v_max_f32_e32 v6, v6, v6
	v_max_f32_e32 v7, v7, v7
	v_pk_add_f32 v[4:5], v[4:5], v[72:73]
	v_min_f32_e32 v72, v45, v6
	v_min_f32_e32 v73, v46, v7
	v_pk_add_f32 v[72:73], v[72:73], v[4:5]
	v_mad_i64_i32 v[4:5], s[4:5], v13, s13, 0
	v_lshl_add_u64 v[4:5], v[4:5], 2, s[2:3]
	v_add_f32_e32 v13, v72, v73
	v_add_f32_e32 v13, v13, v42
	v_lshl_add_u64 v[42:43], v[48:49], 2, v[4:5]
	s_and_b64 vcc, exec, s[0:1]
	global_store_dword v[42:43], v13, off
	s_cbranch_vccnz .LBB29_69
; %bb.68:
	v_lshl_add_u64 v[12:13], v[40:41], 2, v[8:9]
	flat_load_dword v12, v[12:13]
	s_waitcnt vmcnt(0) lgkmcnt(0)
	v_mul_f32_e32 v12, s24, v12
.LBB29_69:
	v_min_f32_e32 v42, v47, v10
	v_min_f32_e32 v43, v104, v11
	v_pk_add_f32 v[42:43], v[42:43], v[68:69]
	v_min_f32_e32 v68, v38, v6
	v_min_f32_e32 v69, v39, v7
	v_pk_add_f32 v[42:43], v[68:69], v[42:43]
	s_and_b64 vcc, exec, s[0:1]
	v_add_f32_e32 v13, v42, v43
	v_add_f32_e32 v42, v13, v12
	v_lshl_add_u64 v[12:13], v[40:41], 2, v[4:5]
	global_store_dword v[12:13], v42, off
	v_mov_b32_e32 v12, 0
	v_mov_b32_e32 v13, 0
	s_cbranch_vccnz .LBB29_71
; %bb.70:
	v_lshl_add_u64 v[42:43], v[36:37], 2, v[8:9]
	flat_load_dword v13, v[42:43]
	s_waitcnt vmcnt(0) lgkmcnt(0)
	v_mul_f32_e32 v13, s24, v13
.LBB29_71:
	v_min_f32_e32 v42, v105, v10
	v_min_f32_e32 v43, v106, v11
	v_pk_add_f32 v[42:43], v[42:43], v[70:71]
	v_min_f32_e32 v68, v34, v6
	v_min_f32_e32 v69, v35, v7
	v_pk_add_f32 v[42:43], v[68:69], v[42:43]
	s_and_b64 vcc, exec, s[0:1]
	v_add_f32_e32 v42, v42, v43
	v_add_f32_e32 v13, v42, v13
	v_lshl_add_u64 v[42:43], v[36:37], 2, v[4:5]
	global_store_dword v[42:43], v13, off
	s_cbranch_vccnz .LBB29_73
; %bb.72:
	v_lshl_add_u64 v[12:13], v[32:33], 2, v[8:9]
	flat_load_dword v12, v[12:13]
	s_waitcnt vmcnt(0) lgkmcnt(0)
	v_mul_f32_e32 v12, s24, v12
.LBB29_73:
	v_min_f32_e32 v42, v107, v10
	v_min_f32_e32 v43, v108, v11
	v_pk_add_f32 v[42:43], v[42:43], v[74:75]
	v_min_f32_e32 v68, v30, v6
	v_min_f32_e32 v69, v31, v7
	v_pk_add_f32 v[42:43], v[68:69], v[42:43]
	s_and_b64 vcc, exec, s[0:1]
	v_add_f32_e32 v13, v42, v43
	v_add_f32_e32 v42, v13, v12
	v_lshl_add_u64 v[12:13], v[32:33], 2, v[4:5]
	global_store_dword v[12:13], v42, off
	v_mov_b32_e32 v12, 0
	v_mov_b32_e32 v13, 0
	s_cbranch_vccnz .LBB29_75
; %bb.74:
	v_lshl_add_u64 v[42:43], v[28:29], 2, v[8:9]
	flat_load_dword v13, v[42:43]
	s_waitcnt vmcnt(0) lgkmcnt(0)
	v_mul_f32_e32 v13, s24, v13
.LBB29_75:
	v_min_f32_e32 v42, v109, v10
	v_min_f32_e32 v43, v116, v11
	v_pk_add_f32 v[42:43], v[42:43], v[78:79]
	v_min_f32_e32 v68, v26, v6
	v_min_f32_e32 v69, v27, v7
	v_pk_add_f32 v[42:43], v[68:69], v[42:43]
	s_and_b64 vcc, exec, s[0:1]
	v_add_f32_e32 v42, v42, v43
	v_add_f32_e32 v13, v42, v13
	v_lshl_add_u64 v[42:43], v[28:29], 2, v[4:5]
	;; [unrolled: 38-line block ×3, first 2 shown]
	global_store_dword v[42:43], v13, off
	s_cbranch_vccnz .LBB29_81
; %bb.80:
	v_lshl_add_u64 v[8:9], v[16:17], 2, v[8:9]
	flat_load_dword v8, v[8:9]
	s_waitcnt vmcnt(0) lgkmcnt(0)
	v_mul_f32_e32 v12, s24, v8
.LBB29_81:
	v_min_f32_e32 v9, v18, v11
	v_min_f32_e32 v8, v19, v10
	v_pk_add_f32 v[8:9], v[8:9], v[62:63]
	v_min_f32_e32 v7, v15, v7
	v_min_f32_e32 v6, v14, v6
	v_pk_add_f32 v[6:7], v[6:7], v[8:9]
	v_lshl_add_u64 v[4:5], v[16:17], 2, v[4:5]
	v_add_f32_e32 v6, v6, v7
	v_add_f32_e32 v6, v6, v12
	v_add_u32_e32 v9, 0x60, v102
	global_store_dword v[4:5], v6, off
	v_mad_i64_i32 v[4:5], s[4:5], v9, s12, 0
	v_lshl_add_u64 v[4:5], v[4:5], 2, s[8:9]
	s_and_b64 vcc, exec, s[0:1]
	v_mov_b32_e32 v8, 0
	v_mov_b32_e32 v10, 0
	s_cbranch_vccnz .LBB29_83
; %bb.82:
	v_lshl_add_u64 v[6:7], v[48:49], 2, v[4:5]
	flat_load_dword v6, v[6:7]
	s_waitcnt vmcnt(0) lgkmcnt(0)
	v_mul_f32_e32 v10, s24, v6
.LBB29_83:
	v_max_f32_e32 v6, v1, v1
	v_max_f32_e32 v7, v0, v0
	v_min_f32_e32 v1, v103, v6
	v_min_f32_e32 v0, v44, v7
	v_max_f32_e32 v3, v3, v3
	v_max_f32_e32 v2, v2, v2
	v_pk_add_f32 v[0:1], v[0:1], v[58:59]
	v_min_f32_e32 v13, v46, v3
	v_min_f32_e32 v12, v45, v2
	v_pk_add_f32 v[12:13], v[12:13], v[0:1]
	v_mad_i64_i32 v[0:1], s[4:5], v9, s13, 0
	v_lshl_add_u64 v[0:1], v[0:1], 2, s[2:3]
	v_add_f32_e32 v9, v12, v13
	v_add_f32_e32 v9, v9, v10
	v_lshl_add_u64 v[10:11], v[48:49], 2, v[0:1]
	s_and_b64 vcc, exec, s[0:1]
	global_store_dword v[10:11], v9, off
	s_cbranch_vccnz .LBB29_85
; %bb.84:
	v_lshl_add_u64 v[8:9], v[40:41], 2, v[4:5]
	flat_load_dword v8, v[8:9]
	s_waitcnt vmcnt(0) lgkmcnt(0)
	v_mul_f32_e32 v8, s24, v8
.LBB29_85:
	v_min_f32_e32 v11, v104, v6
	v_min_f32_e32 v10, v47, v7
	v_pk_add_f32 v[10:11], v[10:11], v[52:53]
	v_min_f32_e32 v13, v39, v3
	v_min_f32_e32 v12, v38, v2
	v_pk_add_f32 v[10:11], v[12:13], v[10:11]
	s_and_b64 vcc, exec, s[0:1]
	v_add_f32_e32 v9, v10, v11
	v_add_f32_e32 v10, v9, v8
	v_lshl_add_u64 v[8:9], v[40:41], 2, v[0:1]
	global_store_dword v[8:9], v10, off
	v_mov_b32_e32 v8, 0
	v_mov_b32_e32 v9, 0
	s_cbranch_vccnz .LBB29_87
; %bb.86:
	v_lshl_add_u64 v[10:11], v[36:37], 2, v[4:5]
	flat_load_dword v9, v[10:11]
	s_waitcnt vmcnt(0) lgkmcnt(0)
	v_mul_f32_e32 v9, s24, v9
.LBB29_87:
	v_min_f32_e32 v11, v106, v6
	v_min_f32_e32 v10, v105, v7
	v_pk_add_f32 v[10:11], v[10:11], v[54:55]
	v_min_f32_e32 v13, v35, v3
	v_min_f32_e32 v12, v34, v2
	v_pk_add_f32 v[10:11], v[12:13], v[10:11]
	s_and_b64 vcc, exec, s[0:1]
	v_add_f32_e32 v10, v10, v11
	v_add_f32_e32 v9, v10, v9
	v_lshl_add_u64 v[10:11], v[36:37], 2, v[0:1]
	global_store_dword v[10:11], v9, off
	s_cbranch_vccnz .LBB29_89
; %bb.88:
	v_lshl_add_u64 v[8:9], v[32:33], 2, v[4:5]
	flat_load_dword v8, v[8:9]
	s_waitcnt vmcnt(0) lgkmcnt(0)
	v_mul_f32_e32 v8, s24, v8
.LBB29_89:
	v_min_f32_e32 v11, v108, v6
	v_min_f32_e32 v10, v107, v7
	v_pk_add_f32 v[10:11], v[10:11], v[56:57]
	v_min_f32_e32 v13, v31, v3
	v_min_f32_e32 v12, v30, v2
	v_pk_add_f32 v[10:11], v[12:13], v[10:11]
	s_and_b64 vcc, exec, s[0:1]
	v_add_f32_e32 v9, v10, v11
	v_add_f32_e32 v10, v9, v8
	v_lshl_add_u64 v[8:9], v[32:33], 2, v[0:1]
	global_store_dword v[8:9], v10, off
	v_mov_b32_e32 v8, 0
	v_mov_b32_e32 v9, 0
	s_cbranch_vccnz .LBB29_91
; %bb.90:
	v_lshl_add_u64 v[10:11], v[28:29], 2, v[4:5]
	flat_load_dword v9, v[10:11]
	s_waitcnt vmcnt(0) lgkmcnt(0)
	v_mul_f32_e32 v9, s24, v9
.LBB29_91:
	v_min_f32_e32 v11, v116, v6
	v_min_f32_e32 v10, v109, v7
	v_pk_add_f32 v[10:11], v[10:11], v[60:61]
	v_min_f32_e32 v13, v27, v3
	v_min_f32_e32 v12, v26, v2
	v_pk_add_f32 v[10:11], v[12:13], v[10:11]
	s_and_b64 vcc, exec, s[0:1]
	v_add_f32_e32 v10, v10, v11
	v_add_f32_e32 v9, v10, v9
	v_lshl_add_u64 v[10:11], v[28:29], 2, v[0:1]
	global_store_dword v[10:11], v9, off
	s_cbranch_vccnz .LBB29_93
; %bb.92:
	v_lshl_add_u64 v[8:9], v[24:25], 2, v[4:5]
	flat_load_dword v8, v[8:9]
	s_waitcnt vmcnt(0) lgkmcnt(0)
	v_mul_f32_e32 v8, s24, v8
.LBB29_93:
	v_min_f32_e32 v11, v115, v6
	v_min_f32_e32 v10, v114, v7
	v_pk_add_f32 v[10:11], v[10:11], v[64:65]
	v_min_f32_e32 v13, v23, v3
	v_min_f32_e32 v12, v22, v2
	v_pk_add_f32 v[10:11], v[12:13], v[10:11]
	v_min_f32_e32 v13, v111, v3
	v_add_f32_e32 v9, v10, v11
	v_min_f32_e32 v11, v113, v6
	v_min_f32_e32 v10, v112, v7
	v_pk_add_f32 v[10:11], v[10:11], v[66:67]
	v_min_f32_e32 v12, v110, v2
	v_pk_add_f32 v[10:11], v[12:13], v[10:11]
	v_add_f32_e32 v12, v9, v8
	v_lshl_add_u64 v[8:9], v[24:25], 2, v[0:1]
	global_store_dword v[8:9], v12, off
	v_add_f32_e32 v8, v10, v11
	s_mov_b64 vcc, s[6:7]
	s_cbranch_vccz .LBB29_96
; %bb.94:
	v_add_f32_e32 v9, 0, v8
	v_lshl_add_u64 v[10:11], v[20:21], 2, v[0:1]
	s_mov_b32 s2, 0
	global_store_dword v[10:11], v9, off
	s_cbranch_execz .LBB29_97
; %bb.95:
	v_mov_b32_e32 v4, s2
	s_branch .LBB29_98
.LBB29_96:
                                        ; implicit-def: $sgpr2
.LBB29_97:
	v_lshlrev_b64 v[10:11], 2, v[20:21]
	v_lshl_add_u64 v[12:13], v[4:5], 0, v[10:11]
	flat_load_dword v9, v[12:13]
	v_lshl_add_u64 v[10:11], v[0:1], 0, v[10:11]
	v_lshl_add_u64 v[4:5], v[16:17], 2, v[4:5]
	s_waitcnt vmcnt(0) lgkmcnt(0)
	v_fmac_f32_e32 v8, s24, v9
	global_store_dword v[10:11], v8, off
	flat_load_dword v4, v[4:5]
	s_waitcnt vmcnt(0) lgkmcnt(0)
	v_mul_f32_e32 v4, s24, v4
.LBB29_98:
	v_min_f32_e32 v9, v18, v6
	v_min_f32_e32 v8, v19, v7
	;; [unrolled: 1-line block ×4, first 2 shown]
	v_pk_add_f32 v[6:7], v[8:9], v[50:51]
	v_lshl_add_u64 v[0:1], v[16:17], 2, v[0:1]
	v_pk_add_f32 v[2:3], v[2:3], v[6:7]
	s_nop 0
	v_add_f32_e32 v2, v2, v3
	v_add_f32_e32 v2, v2, v4
	global_store_dword v[0:1], v2, off
	s_endpgm
	.section	.rodata,"a",@progbits
	.p2align	6, 0x0
	.amdhsa_kernel _ZN12_GLOBAL__N_120geam_min_plus_kernelIf15HIP_vector_typeIfLj2EES2_Li8ELi32ELi64ELi128ELi4ELi64ELi4ELi4ELi64ELc78ELc78ELb0ELb0ELb0EfKPKfKPfEEviiiT16_PT17_ilSA_ilS8_SA_ilPT18_ili26rocblas_geam_ex_operation_
		.amdhsa_group_segment_fixed_size 6144
		.amdhsa_private_segment_fixed_size 0
		.amdhsa_kernarg_size 128
		.amdhsa_user_sgpr_count 2
		.amdhsa_user_sgpr_dispatch_ptr 0
		.amdhsa_user_sgpr_queue_ptr 0
		.amdhsa_user_sgpr_kernarg_segment_ptr 1
		.amdhsa_user_sgpr_dispatch_id 0
		.amdhsa_user_sgpr_kernarg_preload_length 0
		.amdhsa_user_sgpr_kernarg_preload_offset 0
		.amdhsa_user_sgpr_private_segment_size 0
		.amdhsa_uses_dynamic_stack 0
		.amdhsa_enable_private_segment 0
		.amdhsa_system_sgpr_workgroup_id_x 1
		.amdhsa_system_sgpr_workgroup_id_y 0
		.amdhsa_system_sgpr_workgroup_id_z 1
		.amdhsa_system_sgpr_workgroup_info 0
		.amdhsa_system_vgpr_workitem_id 1
		.amdhsa_next_free_vgpr 227
		.amdhsa_next_free_sgpr 28
		.amdhsa_accum_offset 228
		.amdhsa_reserve_vcc 1
		.amdhsa_float_round_mode_32 0
		.amdhsa_float_round_mode_16_64 0
		.amdhsa_float_denorm_mode_32 3
		.amdhsa_float_denorm_mode_16_64 3
		.amdhsa_dx10_clamp 1
		.amdhsa_ieee_mode 1
		.amdhsa_fp16_overflow 0
		.amdhsa_tg_split 0
		.amdhsa_exception_fp_ieee_invalid_op 0
		.amdhsa_exception_fp_denorm_src 0
		.amdhsa_exception_fp_ieee_div_zero 0
		.amdhsa_exception_fp_ieee_overflow 0
		.amdhsa_exception_fp_ieee_underflow 0
		.amdhsa_exception_fp_ieee_inexact 0
		.amdhsa_exception_int_div_zero 0
	.end_amdhsa_kernel
	.section	.text._ZN12_GLOBAL__N_120geam_min_plus_kernelIf15HIP_vector_typeIfLj2EES2_Li8ELi32ELi64ELi128ELi4ELi64ELi4ELi4ELi64ELc78ELc78ELb0ELb0ELb0EfKPKfKPfEEviiiT16_PT17_ilSA_ilS8_SA_ilPT18_ili26rocblas_geam_ex_operation_,"axG",@progbits,_ZN12_GLOBAL__N_120geam_min_plus_kernelIf15HIP_vector_typeIfLj2EES2_Li8ELi32ELi64ELi128ELi4ELi64ELi4ELi4ELi64ELc78ELc78ELb0ELb0ELb0EfKPKfKPfEEviiiT16_PT17_ilSA_ilS8_SA_ilPT18_ili26rocblas_geam_ex_operation_,comdat
.Lfunc_end29:
	.size	_ZN12_GLOBAL__N_120geam_min_plus_kernelIf15HIP_vector_typeIfLj2EES2_Li8ELi32ELi64ELi128ELi4ELi64ELi4ELi4ELi64ELc78ELc78ELb0ELb0ELb0EfKPKfKPfEEviiiT16_PT17_ilSA_ilS8_SA_ilPT18_ili26rocblas_geam_ex_operation_, .Lfunc_end29-_ZN12_GLOBAL__N_120geam_min_plus_kernelIf15HIP_vector_typeIfLj2EES2_Li8ELi32ELi64ELi128ELi4ELi64ELi4ELi4ELi64ELc78ELc78ELb0ELb0ELb0EfKPKfKPfEEviiiT16_PT17_ilSA_ilS8_SA_ilPT18_ili26rocblas_geam_ex_operation_
                                        ; -- End function
	.section	.AMDGPU.csdata,"",@progbits
; Kernel info:
; codeLenInByte = 8964
; NumSgprs: 34
; NumVgprs: 227
; NumAgprs: 0
; TotalNumVgprs: 227
; ScratchSize: 0
; MemoryBound: 0
; FloatMode: 240
; IeeeMode: 1
; LDSByteSize: 6144 bytes/workgroup (compile time only)
; SGPRBlocks: 4
; VGPRBlocks: 28
; NumSGPRsForWavesPerEU: 34
; NumVGPRsForWavesPerEU: 227
; AccumOffset: 228
; Occupancy: 2
; WaveLimiterHint : 1
; COMPUTE_PGM_RSRC2:SCRATCH_EN: 0
; COMPUTE_PGM_RSRC2:USER_SGPR: 2
; COMPUTE_PGM_RSRC2:TRAP_HANDLER: 0
; COMPUTE_PGM_RSRC2:TGID_X_EN: 1
; COMPUTE_PGM_RSRC2:TGID_Y_EN: 0
; COMPUTE_PGM_RSRC2:TGID_Z_EN: 1
; COMPUTE_PGM_RSRC2:TIDIG_COMP_CNT: 1
; COMPUTE_PGM_RSRC3_GFX90A:ACCUM_OFFSET: 56
; COMPUTE_PGM_RSRC3_GFX90A:TG_SPLIT: 0
	.section	.text._ZN12_GLOBAL__N_120geam_min_plus_kernelIf15HIP_vector_typeIfLj2EES2_Li8ELi32ELi64ELi128ELi4ELi64ELi4ELi4ELi64ELc78ELc78ELb0ELb1ELb0EPKfKS4_KPfEEviiiT16_PT17_ilSA_ilS8_SA_ilPT18_ili26rocblas_geam_ex_operation_,"axG",@progbits,_ZN12_GLOBAL__N_120geam_min_plus_kernelIf15HIP_vector_typeIfLj2EES2_Li8ELi32ELi64ELi128ELi4ELi64ELi4ELi4ELi64ELc78ELc78ELb0ELb1ELb0EPKfKS4_KPfEEviiiT16_PT17_ilSA_ilS8_SA_ilPT18_ili26rocblas_geam_ex_operation_,comdat
	.globl	_ZN12_GLOBAL__N_120geam_min_plus_kernelIf15HIP_vector_typeIfLj2EES2_Li8ELi32ELi64ELi128ELi4ELi64ELi4ELi4ELi64ELc78ELc78ELb0ELb1ELb0EPKfKS4_KPfEEviiiT16_PT17_ilSA_ilS8_SA_ilPT18_ili26rocblas_geam_ex_operation_ ; -- Begin function _ZN12_GLOBAL__N_120geam_min_plus_kernelIf15HIP_vector_typeIfLj2EES2_Li8ELi32ELi64ELi128ELi4ELi64ELi4ELi4ELi64ELc78ELc78ELb0ELb1ELb0EPKfKS4_KPfEEviiiT16_PT17_ilSA_ilS8_SA_ilPT18_ili26rocblas_geam_ex_operation_
	.p2align	8
	.type	_ZN12_GLOBAL__N_120geam_min_plus_kernelIf15HIP_vector_typeIfLj2EES2_Li8ELi32ELi64ELi128ELi4ELi64ELi4ELi4ELi64ELc78ELc78ELb0ELb1ELb0EPKfKS4_KPfEEviiiT16_PT17_ilSA_ilS8_SA_ilPT18_ili26rocblas_geam_ex_operation_,@function
_ZN12_GLOBAL__N_120geam_min_plus_kernelIf15HIP_vector_typeIfLj2EES2_Li8ELi32ELi64ELi128ELi4ELi64ELi4ELi4ELi64ELc78ELc78ELb0ELb1ELb0EPKfKS4_KPfEEviiiT16_PT17_ilSA_ilS8_SA_ilPT18_ili26rocblas_geam_ex_operation_: ; @_ZN12_GLOBAL__N_120geam_min_plus_kernelIf15HIP_vector_typeIfLj2EES2_Li8ELi32ELi64ELi128ELi4ELi64ELi4ELi4ELi64ELc78ELc78ELb0ELb1ELb0EPKfKS4_KPfEEviiiT16_PT17_ilSA_ilS8_SA_ilPT18_ili26rocblas_geam_ex_operation_
; %bb.0:
	s_load_dwordx4 s[12:15], s[0:1], 0x10
	s_load_dwordx4 s[4:7], s[0:1], 0x28
	s_mov_b32 s26, s3
	s_mov_b32 s27, 0
	s_lshl_b64 s[16:17], s[26:27], 2
	s_waitcnt lgkmcnt(0)
	s_add_u32 s12, s12, s16
	s_load_dwordx4 s[8:11], s[0:1], 0x40
	s_addc_u32 s13, s13, s17
	s_load_dword s29, s[12:13], 0x0
	s_load_dwordx2 s[18:19], s[0:1], 0x50
	s_mov_b64 s[12:13], 0
	s_waitcnt lgkmcnt(0)
	s_add_u32 s20, s10, s16
	s_addc_u32 s21, s11, s17
	v_cmp_eq_f32_e64 s[16:17], s29, 0
	v_cmp_neq_f32_e64 s[10:11], s29, 0
	s_and_b64 vcc, exec, s[16:17]
	s_mov_b64 s[16:17], 0
	s_cbranch_vccnz .LBB30_2
; %bb.1:
	s_lshl_b64 s[16:17], s[26:27], 3
	s_add_u32 s14, s14, s16
	s_addc_u32 s15, s15, s17
	s_load_dwordx2 s[14:15], s[14:15], 0x0
	s_lshl_b64 s[4:5], s[4:5], 2
	s_waitcnt lgkmcnt(0)
	s_add_u32 s16, s14, s4
	s_addc_u32 s17, s15, s5
.LBB30_2:
	s_load_dword s28, s[20:21], 0x0
	s_andn2_b64 vcc, exec, s[10:11]
	s_cbranch_vccnz .LBB30_4
; %bb.3:
	s_lshl_b64 s[4:5], s[26:27], 3
	s_add_u32 s4, s6, s4
	s_addc_u32 s5, s7, s5
	s_load_dwordx2 s[4:5], s[4:5], 0x0
	s_lshl_b64 s[6:7], s[8:9], 2
	s_waitcnt lgkmcnt(0)
	s_add_u32 s12, s4, s6
	s_addc_u32 s13, s5, s7
.LBB30_4:
	s_load_dwordx4 s[4:7], s[0:1], 0x60
	s_waitcnt lgkmcnt(0)
	v_cmp_eq_f32_e64 s[14:15], s28, 0
	v_cmp_neq_f32_e64 s[8:9], s28, 0
	s_and_b64 vcc, exec, s[14:15]
	s_cbranch_vccnz .LBB30_6
; %bb.5:
	s_lshl_b64 s[14:15], s[26:27], 3
	s_add_u32 s14, s18, s14
	s_addc_u32 s15, s19, s15
	s_load_dwordx2 s[14:15], s[14:15], 0x0
	s_lshl_b64 s[4:5], s[4:5], 2
	s_waitcnt lgkmcnt(0)
	s_add_u32 s24, s14, s4
	s_addc_u32 s25, s15, s5
	s_branch .LBB30_7
.LBB30_6:
	s_mov_b64 s[24:25], 0
.LBB30_7:
	s_load_dword s18, s[0:1], 0x20
	s_load_dwordx4 s[20:23], s[0:1], 0x0
	s_lshl_b64 s[4:5], s[26:27], 3
	v_and_b32_e32 v204, 0x3ff, v0
	v_bfe_u32 v205, v0, 10, 10
	s_waitcnt lgkmcnt(0)
	s_ashr_i32 s19, s18, 31
	s_add_u32 s6, s6, s4
	s_addc_u32 s7, s7, s5
	s_add_i32 s3, s20, -1
	s_ashr_i32 s4, s3, 31
	s_lshr_b32 s4, s4, 26
	s_add_i32 s3, s3, s4
	s_ashr_i32 s3, s3, 6
	s_add_i32 s15, s3, 1
	v_cvt_f32_u32_e32 v1, s15
	s_not_b32 s3, s3
	v_lshl_add_u32 v2, v205, 3, v204
	v_and_b32_e32 v9, 63, v2
	v_rcp_iflag_f32_e32 v0, v1
	s_load_dwordx2 s[6:7], s[6:7], 0x0
	v_lshrrev_b32_e32 v206, 6, v2
	v_cmp_gt_i32_e64 s[4:5], s22, v206
	v_mul_f32_e32 v0, 0x4f7ffffe, v0
	v_cvt_u32_f32_e32 v0, v0
	v_mov_b32_e32 v10, 0
	v_mov_b32_e32 v11, 0
	v_readfirstlane_b32 s14, v0
	s_mul_i32 s3, s3, s14
	s_mul_hi_u32 s3, s14, s3
	s_add_i32 s14, s14, s3
	s_mul_hi_u32 s3, s2, s14
	s_mul_i32 s14, s3, s15
	s_sub_i32 s14, s2, s14
	s_add_i32 s23, s3, 1
	s_sub_i32 s26, s14, s15
	s_cmp_ge_u32 s14, s15
	s_cselect_b32 s3, s23, s3
	s_cselect_b32 s14, s26, s14
	s_add_i32 s23, s3, 1
	s_cmp_ge_u32 s14, s15
	s_cselect_b32 s14, s23, s3
	s_mul_i32 s3, s14, s15
	s_sub_i32 s2, s2, s3
	s_lshl_b32 s30, s2, 6
	v_or_b32_e32 v0, s30, v9
	v_cmp_gt_i32_e32 vcc, s20, v0
	s_and_b64 s[2:3], s[4:5], vcc
	s_and_b64 s[4:5], s[10:11], s[2:3]
	v_ashrrev_i32_e32 v1, 31, v0
	s_and_saveexec_b64 s[2:3], s[4:5]
	s_cbranch_execz .LBB30_9
; %bb.8:
	v_mad_i64_i32 v[4:5], s[4:5], s18, v206, 0
	v_lshl_add_u64 v[4:5], v[4:5], 2, s[16:17]
	v_lshl_add_u64 v[4:5], v[0:1], 2, v[4:5]
	flat_load_dword v3, v[4:5]
	s_waitcnt vmcnt(0) lgkmcnt(0)
	v_mul_f32_e32 v11, s29, v3
.LBB30_9:
	s_or_b64 exec, exec, s[2:3]
	v_lshrrev_b32_e32 v12, 2, v2
	s_lshl_b32 s31, s14, 7
	s_load_dword s33, s[0:1], 0x38
	v_add_u32_e32 v4, s31, v12
	v_and_b32_e32 v207, 3, v204
	s_add_i32 s23, s22, -1
	v_cmp_le_i32_e64 s[4:5], s21, v4
	s_xor_b64 s[26:27], s[10:11], -1
	v_cmp_le_i32_e64 s[2:3], s22, v207
	v_min_i32_e32 v2, s23, v207
	s_or_b64 s[14:15], s[4:5], s[26:27]
	v_ashrrev_i32_e32 v3, 31, v2
	s_or_b64 s[4:5], s[2:3], s[14:15]
	v_lshl_add_u64 v[2:3], v[2:3], 2, s[12:13]
	s_xor_b64 s[34:35], s[4:5], -1
	s_and_saveexec_b64 s[4:5], s[34:35]
	s_cbranch_execz .LBB30_11
; %bb.10:
	s_waitcnt lgkmcnt(0)
	v_mad_i64_i32 v[6:7], s[34:35], v4, s33, 0
	v_lshl_add_u64 v[6:7], v[6:7], 2, v[2:3]
	flat_load_dword v5, v[6:7]
	s_waitcnt vmcnt(0) lgkmcnt(0)
	v_mul_f32_e32 v10, s29, v5
.LBB30_11:
	s_or_b64 exec, exec, s[4:5]
	v_add_u32_e32 v5, 64, v4
	v_cmp_le_i32_e64 s[4:5], s21, v5
	s_or_b64 s[4:5], s[4:5], s[26:27]
	s_or_b64 s[2:3], s[2:3], s[4:5]
	s_xor_b64 s[26:27], s[2:3], -1
	v_mov_b32_e32 v6, 0
	v_mov_b32_e32 v13, 0
	s_and_saveexec_b64 s[2:3], s[26:27]
	s_cbranch_execz .LBB30_13
; %bb.12:
	s_waitcnt lgkmcnt(0)
	v_mad_i64_i32 v[14:15], s[26:27], v5, s33, 0
	v_lshl_add_u64 v[2:3], v[14:15], 2, v[2:3]
	flat_load_dword v2, v[2:3]
	s_waitcnt vmcnt(0) lgkmcnt(0)
	v_mul_f32_e32 v13, s29, v2
.LBB30_13:
	s_or_b64 exec, exec, s[2:3]
	v_add_u32_e32 v2, 4, v206
	v_cmp_gt_i32_e64 s[2:3], s22, v2
	s_and_b64 s[2:3], vcc, s[2:3]
	s_and_b64 s[26:27], s[10:11], s[2:3]
	s_and_saveexec_b64 s[2:3], s[26:27]
	s_cbranch_execz .LBB30_15
; %bb.14:
	v_mad_u64_u32 v[6:7], s[26:27], s18, v2, 0
	v_mov_b32_e32 v8, v7
	v_mad_u64_u32 v[2:3], s[26:27], s19, v2, v[8:9]
	v_mov_b32_e32 v7, v2
	v_lshl_add_u64 v[2:3], v[6:7], 2, s[16:17]
	v_lshl_add_u64 v[2:3], v[0:1], 2, v[2:3]
	flat_load_dword v2, v[2:3]
	s_waitcnt vmcnt(0) lgkmcnt(0)
	v_mul_f32_e32 v6, s29, v2
.LBB30_15:
	s_or_b64 exec, exec, s[2:3]
	v_or_b32_e32 v2, 4, v207
	v_cmp_le_i32_e64 s[2:3], s22, v2
	v_min_i32_e32 v2, s23, v2
	v_ashrrev_i32_e32 v3, 31, v2
	s_or_b64 s[26:27], s[2:3], s[14:15]
	v_lshl_add_u64 v[2:3], v[2:3], 2, s[12:13]
	s_xor_b64 s[34:35], s[26:27], -1
	v_mov_b32_e32 v7, 0
	v_mov_b32_e32 v8, 0
	s_and_saveexec_b64 s[26:27], s[34:35]
	s_cbranch_execz .LBB30_17
; %bb.16:
	s_waitcnt lgkmcnt(0)
	v_mad_i64_i32 v[14:15], s[34:35], v4, s33, 0
	v_lshl_add_u64 v[14:15], v[14:15], 2, v[2:3]
	flat_load_dword v8, v[14:15]
	s_waitcnt vmcnt(0) lgkmcnt(0)
	v_mul_f32_e32 v8, s29, v8
.LBB30_17:
	s_or_b64 exec, exec, s[26:27]
	s_or_b64 s[2:3], s[2:3], s[4:5]
	s_xor_b64 s[26:27], s[2:3], -1
	s_and_saveexec_b64 s[2:3], s[26:27]
	s_cbranch_execz .LBB30_19
; %bb.18:
	s_waitcnt lgkmcnt(0)
	v_mad_i64_i32 v[14:15], s[26:27], v5, s33, 0
	v_lshl_add_u64 v[2:3], v[14:15], 2, v[2:3]
	flat_load_dword v2, v[2:3]
	s_waitcnt vmcnt(0) lgkmcnt(0)
	v_mul_f32_e32 v7, s29, v2
.LBB30_19:
	s_or_b64 exec, exec, s[2:3]
	v_lshlrev_b32_e32 v2, 4, v9
	v_lshlrev_b32_e32 v3, 2, v207
	v_lshl_add_u32 v2, v206, 2, v2
	v_lshl_or_b32 v210, v12, 4, v3
	v_lshlrev_b32_e32 v209, 4, v205
	ds_write_b32 v2, v11 offset:4096
	ds_write2st64_b32 v210, v10, v13 offset1:4
	s_waitcnt lgkmcnt(0)
	s_barrier
	ds_read_b128 v[10:13], v209
	v_lshlrev_b32_e32 v208, 4, v204
	ds_read_b128 v[14:17], v208 offset:4992
	ds_read_b128 v[18:21], v209 offset:512
	;; [unrolled: 1-line block ×5, first 2 shown]
	s_waitcnt lgkmcnt(5)
	v_max_f32_e32 v3, v11, v11
	v_max_f32_e32 v56, v10, v10
	;; [unrolled: 1-line block ×4, first 2 shown]
	ds_read_b128 v[10:13], v208 offset:4352
	s_waitcnt lgkmcnt(5)
	v_max_f32_e32 v9, v15, v15
	v_max_f32_e32 v60, v14, v14
	s_waitcnt lgkmcnt(4)
	v_max_f32_e32 v58, v19, v19
	v_max_f32_e32 v59, v18, v18
	;; [unrolled: 1-line block ×4, first 2 shown]
	ds_read_b128 v[14:17], v208 offset:4480
	v_max_f32_e32 v124, v21, v21
	v_max_f32_e32 v125, v20, v20
	s_waitcnt lgkmcnt(2)
	v_max_f32_e32 v126, v33, v33
	v_max_f32_e32 v127, v32, v32
	s_waitcnt lgkmcnt(1)
	v_max_f32_e32 v32, v10, v10
	v_max_f32_e32 v33, v11, v11
	;; [unrolled: 1-line block ×3, first 2 shown]
	ds_read_b128 v[18:21], v208 offset:4608
	v_max_f32_e32 v73, v13, v13
	ds_read_b128 v[10:13], v208 offset:4736
	ds_read_b128 v[34:37], v208 offset:4096
	;; [unrolled: 1-line block ×3, first 2 shown]
	v_max_f32_e32 v61, v31, v31
	v_max_f32_e32 v62, v30, v30
	;; [unrolled: 1-line block ×4, first 2 shown]
	s_waitcnt lgkmcnt(2)
	v_max_f32_e32 v54, v10, v10
	v_max_f32_e32 v55, v11, v11
	s_waitcnt lgkmcnt(1)
	v_max_f32_e32 v30, v34, v34
	v_max_f32_e32 v31, v35, v35
	;; [unrolled: 3-line block ×3, first 2 shown]
	v_max_f32_e32 v42, v14, v14
	v_max_f32_e32 v43, v15, v15
	;; [unrolled: 1-line block ×6, first 2 shown]
	v_min_f32_e32 v50, v54, v56
	v_min_f32_e32 v51, v55, v3
	;; [unrolled: 1-line block ×10, first 2 shown]
	v_max_f32_e32 v68, v36, v36
	v_max_f32_e32 v69, v37, v37
	v_max_f32_e32 v128, v29, v29
	v_max_f32_e32 v129, v28, v28
	v_max_f32_e32 v70, v40, v40
	v_max_f32_e32 v85, v17, v17
	v_max_f32_e32 v110, v20, v20
	v_max_f32_e32 v111, v21, v21
	v_max_f32_e32 v130, v12, v12
	v_max_f32_e32 v131, v13, v13
	v_max_f32_e32 v132, v24, v24
	v_min_f32_e32 v10, v30, v56
	v_min_f32_e32 v11, v31, v3
	;; [unrolled: 1-line block ×35, first 2 shown]
	v_pk_add_f32 v[54:55], v[54:55], 0 op_sel_hi:[1,0]
	v_min_f32_e32 v61, v122, v112
	v_min_f32_e32 v60, v123, v113
	v_pk_add_f32 v[96:97], v[54:55], v[60:61]
	v_pk_add_f32 v[54:55], v[56:57], 0 op_sel_hi:[1,0]
	v_min_f32_e32 v57, v122, v124
	v_min_f32_e32 v56, v123, v125
	v_pk_add_f32 v[80:81], v[54:55], v[56:57]
	v_pk_add_f32 v[54:55], v[58:59], 0 op_sel_hi:[1,0]
	v_min_f32_e32 v57, v122, v126
	v_min_f32_e32 v56, v123, v127
	v_max_f32_e32 v84, v16, v16
	v_min_f32_e32 v14, v30, v62
	v_min_f32_e32 v16, v30, v64
	;; [unrolled: 1-line block ×8, first 2 shown]
	v_pk_add_f32 v[64:65], v[54:55], v[56:57]
	v_pk_add_f32 v[10:11], v[10:11], 0 op_sel_hi:[1,0]
	v_min_f32_e32 v54, v68, v113
	v_min_f32_e32 v55, v69, v112
	v_pk_add_f32 v[120:121], v[10:11], v[54:55]
	v_pk_add_f32 v[10:11], v[12:13], 0 op_sel_hi:[1,0]
	v_min_f32_e32 v12, v68, v125
	v_min_f32_e32 v13, v69, v124
	v_pk_add_f32 v[94:95], v[10:11], v[12:13]
	v_pk_add_f32 v[10:11], v[14:15], 0 op_sel_hi:[1,0]
	v_min_f32_e32 v12, v68, v127
	v_min_f32_e32 v13, v69, v126
	v_max_f32_e32 v71, v41, v41
	v_min_f32_e32 v19, v27, v3
	v_pk_add_f32 v[78:79], v[10:11], v[12:13]
	v_min_f32_e32 v11, v69, v128
	v_min_f32_e32 v10, v68, v129
	v_pk_add_f32 v[12:13], v[16:17], 0 op_sel_hi:[1,0]
	v_max_f32_e32 v133, v25, v25
	v_min_f32_e32 v25, v27, v63
	v_min_f32_e32 v27, v33, v3
	;; [unrolled: 1-line block ×9, first 2 shown]
	v_pk_add_f32 v[62:63], v[12:13], v[10:11]
	v_pk_add_f32 v[10:11], v[18:19], 0 op_sel_hi:[1,0]
	v_min_f32_e32 v12, v70, v113
	v_min_f32_e32 v13, v71, v112
	v_pk_add_f32 v[118:119], v[10:11], v[12:13]
	v_pk_add_f32 v[10:11], v[20:21], 0 op_sel_hi:[1,0]
	v_min_f32_e32 v12, v70, v125
	v_min_f32_e32 v13, v71, v124
	;; [unrolled: 4-line block ×3, first 2 shown]
	v_pk_add_f32 v[76:77], v[10:11], v[12:13]
	v_min_f32_e32 v11, v71, v128
	v_min_f32_e32 v10, v70, v129
	v_pk_add_f32 v[12:13], v[24:25], 0 op_sel_hi:[1,0]
	v_min_f32_e32 v99, v74, v3
	v_pk_add_f32 v[60:61], v[12:13], v[10:11]
	v_pk_add_f32 v[10:11], v[26:27], 0 op_sel_hi:[1,0]
	v_min_f32_e32 v12, v72, v113
	v_min_f32_e32 v13, v73, v112
	v_pk_add_f32 v[116:117], v[10:11], v[12:13]
	v_pk_add_f32 v[10:11], v[28:29], 0 op_sel_hi:[1,0]
	v_min_f32_e32 v12, v72, v125
	;; [unrolled: 4-line block ×3, first 2 shown]
	v_min_f32_e32 v13, v73, v126
	v_pk_add_f32 v[74:75], v[10:11], v[12:13]
	v_min_f32_e32 v11, v73, v128
	v_min_f32_e32 v10, v72, v129
	v_pk_add_f32 v[12:13], v[32:33], 0 op_sel_hi:[1,0]
	s_cmp_lt_i32 s22, 9
	v_pk_add_f32 v[58:59], v[12:13], v[10:11]
	v_pk_add_f32 v[10:11], v[34:35], 0 op_sel_hi:[1,0]
	v_min_f32_e32 v12, v84, v113
	v_min_f32_e32 v13, v85, v112
	v_pk_add_f32 v[114:115], v[10:11], v[12:13]
	v_pk_add_f32 v[10:11], v[36:37], 0 op_sel_hi:[1,0]
	v_min_f32_e32 v12, v84, v125
	v_min_f32_e32 v13, v85, v124
	;; [unrolled: 4-line block ×3, first 2 shown]
	v_pk_add_f32 v[72:73], v[10:11], v[12:13]
	v_min_f32_e32 v11, v85, v128
	v_min_f32_e32 v10, v84, v129
	v_pk_add_f32 v[12:13], v[40:41], 0 op_sel_hi:[1,0]
	ds_write2st64_b32 v210, v8, v7 offset0:8 offset1:12
	ds_write_b32 v2, v6 offset:5120
	v_pk_add_f32 v[56:57], v[12:13], v[10:11]
	v_pk_add_f32 v[10:11], v[42:43], 0 op_sel_hi:[1,0]
	v_min_f32_e32 v12, v110, v113
	v_min_f32_e32 v13, v111, v112
	v_pk_add_f32 v[108:109], v[10:11], v[12:13]
	v_pk_add_f32 v[10:11], v[44:45], 0 op_sel_hi:[1,0]
	v_min_f32_e32 v12, v110, v125
	v_min_f32_e32 v13, v111, v124
	;; [unrolled: 4-line block ×3, first 2 shown]
	v_pk_add_f32 v[70:71], v[10:11], v[12:13]
	v_min_f32_e32 v11, v111, v128
	v_min_f32_e32 v10, v110, v129
	v_pk_add_f32 v[12:13], v[48:49], 0 op_sel_hi:[1,0]
	s_waitcnt lgkmcnt(0)
	v_pk_add_f32 v[54:55], v[12:13], v[10:11]
	v_pk_add_f32 v[10:11], v[50:51], 0 op_sel_hi:[1,0]
	v_min_f32_e32 v12, v130, v113
	v_min_f32_e32 v13, v131, v112
	v_pk_add_f32 v[110:111], v[10:11], v[12:13]
	v_pk_add_f32 v[10:11], v[52:53], 0 op_sel_hi:[1,0]
	v_min_f32_e32 v12, v130, v125
	v_min_f32_e32 v13, v131, v124
	;; [unrolled: 4-line block ×3, first 2 shown]
	v_pk_add_f32 v[68:69], v[10:11], v[12:13]
	v_min_f32_e32 v11, v131, v128
	v_min_f32_e32 v10, v130, v129
	v_pk_add_f32 v[12:13], v[82:83], 0 op_sel_hi:[1,0]
	s_barrier
	v_pk_add_f32 v[52:53], v[12:13], v[10:11]
	v_min_f32_e32 v10, v132, v113
	v_min_f32_e32 v11, v133, v112
	v_pk_add_f32 v[12:13], v[98:99], 0 op_sel_hi:[1,0]
	s_nop 0
	v_pk_add_f32 v[112:113], v[12:13], v[10:11]
	v_min_f32_e32 v10, v132, v125
	v_min_f32_e32 v11, v133, v124
	v_pk_add_f32 v[12:13], v[100:101], 0 op_sel_hi:[1,0]
	s_nop 0
	;; [unrolled: 5-line block ×5, first 2 shown]
	v_pk_add_f32 v[48:49], v[12:13], v[10:11]
	s_cbranch_scc1 .LBB30_34
; %bb.20:
	v_lshl_add_u64 v[98:99], v[0:1], 2, s[16:17]
	v_mov_b32_e32 v0, 0x1400
	v_lshl_add_u32 v215, v204, 4, v0
	v_mov_b32_e32 v0, 0x800
	v_lshl_add_u32 v216, v205, 4, v0
	v_add_u32_e32 v0, 12, v206
	v_mad_i64_i32 v[0:1], s[2:3], v0, s18, 0
	v_lshlrev_b64 v[104:105], 2, v[0:1]
	v_add_u32_e32 v0, 8, v206
	v_mad_i64_i32 v[0:1], s[2:3], v0, s18, 0
	v_or_b32_e32 v211, 0x1000, v2
	v_add_u32_e32 v212, 0x1000, v208
	v_add_u32_e32 v213, 0x1400, v2
	v_add_u32_e32 v214, 0x800, v210
	s_add_i32 s26, s22, -8
	v_mad_i64_i32 v[100:101], s[2:3], v4, s33, 0
	v_mad_i64_i32 v[102:103], s[2:3], v5, s33, 0
	s_lshl_b64 s[16:17], s[18:19], 5
	v_lshlrev_b64 v[106:107], 2, v[0:1]
	s_mov_b32 s27, 0
	s_branch .LBB30_22
.LBB30_21:                              ;   in Loop: Header=BB30_22 Depth=1
	s_or_b64 exec, exec, s[2:3]
	v_pk_add_f32 v[40:41], v[96:97], v[40:41]
	v_pk_add_f32 v[32:33], v[64:65], v[32:33]
	v_pk_add_f32 v[64:65], v[120:121], v[124:125]
	v_pk_add_f32 v[20:21], v[76:77], v[20:21]
	v_pk_add_f32 v[16:17], v[74:75], v[16:17]
	v_pk_add_f32 v[8:9], v[70:71], v[8:9]
	v_pk_add_f32 v[4:5], v[68:69], v[4:5]
	v_pk_add_f32 v[0:1], v[66:67], v[0:1]
	v_pk_add_f32 v[120:121], v[50:51], v[160:161]
	v_pk_add_f32 v[96:97], v[114:115], v[140:141]
	v_pk_add_f32 v[114:115], v[56:57], v[142:143]
	v_pk_add_f32 v[124:125], v[40:41], v[42:43]
	v_pk_add_f32 v[74:75], v[32:33], v[34:35]
	v_pk_add_f32 v[68:69], v[64:65], v[164:165]
	v_pk_add_f32 v[64:65], v[20:21], v[22:23]
	v_pk_add_f32 v[56:57], v[16:17], v[18:19]
	v_pk_add_f32 v[40:41], v[8:9], v[10:11]
	v_pk_add_f32 v[32:33], v[4:5], v[190:191]
	v_pk_add_f32 v[18:19], v[0:1], v[2:3]
	ds_read_b128 v[0:3], v209
	ds_read_b128 v[8:11], v209 offset:512
	v_pk_add_f32 v[20:21], v[120:121], v[6:7]
	ds_read_b128 v[4:7], v212 offset:896
	v_pk_add_f32 v[44:45], v[94:95], v[44:45]
	v_pk_add_f32 v[28:29], v[78:79], v[28:29]
	;; [unrolled: 1-line block ×20, first 2 shown]
	ds_read_b128 v[12:15], v212 offset:768
	s_waitcnt lgkmcnt(1)
	v_max_f32_e32 v93, v5, v5
	v_max_f32_e32 v95, v4, v4
	;; [unrolled: 1-line block ×4, first 2 shown]
	v_pk_add_f32 v[76:77], v[36:37], v[38:39]
	v_pk_add_f32 v[72:73], v[28:29], v[30:31]
	;; [unrolled: 1-line block ×6, first 2 shown]
	ds_read_b128 v[80:83], v209 offset:1536
	ds_read_b128 v[84:87], v209 offset:1024
	v_min_f32_e32 v5, v93, v96
	v_min_f32_e32 v4, v95, v97
	v_pk_add_f32 v[60:61], v[62:63], v[168:169]
	v_pk_add_f32 v[62:63], v[78:79], v[166:167]
	;; [unrolled: 1-line block ×3, first 2 shown]
	ds_read_b128 v[76:79], v212
	v_pk_add_f32 v[90:91], v[90:91], v[132:133]
	v_pk_add_f32 v[88:89], v[88:89], v[138:139]
	;; [unrolled: 1-line block ×3, first 2 shown]
	s_waitcnt lgkmcnt(1)
	v_max_f32_e32 v114, v85, v85
	v_max_f32_e32 v115, v84, v84
	v_pk_add_f32 v[116:117], v[54:55], v[148:149]
	v_pk_add_f32 v[54:55], v[90:91], v[172:173]
	;; [unrolled: 1-line block ×3, first 2 shown]
	ds_read_b128 v[88:91], v212 offset:128
	v_max_f32_e32 v92, v1, v1
	v_max_f32_e32 v94, v0, v0
	v_min_f32_e32 v9, v93, v114
	v_min_f32_e32 v8, v95, v115
	s_waitcnt lgkmcnt(1)
	v_max_f32_e32 v84, v76, v76
	v_max_f32_e32 v85, v77, v77
	v_pk_add_f32 v[8:9], v[74:75], v[8:9]
	v_min_f32_e32 v74, v84, v94
	v_min_f32_e32 v75, v85, v92
	v_pk_add_f32 v[74:75], v[68:69], v[74:75]
	v_min_f32_e32 v68, v84, v97
	v_min_f32_e32 v69, v85, v96
	;; [unrolled: 3-line block ×3, first 2 shown]
	v_max_f32_e32 v81, v81, v81
	v_max_f32_e32 v80, v80, v80
	v_pk_add_f32 v[66:67], v[24:25], v[26:27]
	v_pk_add_f32 v[72:73], v[72:73], v[68:69]
	v_min_f32_e32 v69, v85, v81
	v_min_f32_e32 v68, v84, v80
	v_pk_add_f32 v[84:85], v[66:67], v[68:69]
	s_waitcnt lgkmcnt(0)
	v_max_f32_e32 v68, v88, v88
	v_max_f32_e32 v69, v89, v89
	v_min_f32_e32 v66, v68, v94
	v_min_f32_e32 v67, v69, v92
	v_pk_add_f32 v[60:61], v[60:61], v[66:67]
	v_min_f32_e32 v66, v68, v97
	v_min_f32_e32 v67, v69, v96
	v_pk_add_f32 v[108:109], v[108:109], v[146:147]
	v_pk_add_f32 v[88:89], v[62:63], v[66:67]
	v_min_f32_e32 v62, v68, v115
	v_min_f32_e32 v63, v69, v114
	v_pk_add_f32 v[36:37], v[108:109], v[186:187]
	v_pk_add_f32 v[108:109], v[64:65], v[62:63]
	ds_read_b128 v[64:67], v212 offset:256
	v_min_f32_e32 v63, v69, v81
	v_min_f32_e32 v62, v68, v80
	ds_read_b128 v[68:71], v212 offset:384
	v_pk_add_f32 v[58:59], v[58:59], v[62:63]
	s_waitcnt lgkmcnt(1)
	v_max_f32_e32 v64, v64, v64
	v_max_f32_e32 v65, v65, v65
	v_min_f32_e32 v62, v64, v94
	v_min_f32_e32 v63, v65, v92
	v_pk_add_f32 v[52:53], v[52:53], v[62:63]
	v_min_f32_e32 v62, v64, v97
	v_min_f32_e32 v63, v65, v96
	v_pk_add_f32 v[54:55], v[54:55], v[62:63]
	;; [unrolled: 3-line block ×3, first 2 shown]
	v_pk_add_f32 v[56:57], v[56:57], v[62:63]
	v_min_f32_e32 v63, v65, v81
	v_min_f32_e32 v62, v64, v80
	v_pk_add_f32 v[28:29], v[110:111], v[196:197]
	v_pk_add_f32 v[110:111], v[50:51], v[62:63]
	s_waitcnt lgkmcnt(0)
	v_max_f32_e32 v62, v68, v68
	v_max_f32_e32 v63, v69, v69
	v_min_f32_e32 v50, v62, v94
	v_min_f32_e32 v51, v63, v92
	v_pk_add_f32 v[112:113], v[112:113], v[158:159]
	v_pk_add_f32 v[68:69], v[44:45], v[50:51]
	v_min_f32_e32 v44, v62, v97
	v_min_f32_e32 v45, v63, v96
	v_pk_add_f32 v[24:25], v[112:113], v[202:203]
	v_pk_add_f32 v[112:113], v[46:47], v[44:45]
	v_min_f32_e32 v44, v62, v115
	v_min_f32_e32 v45, v63, v114
	v_pk_add_f32 v[16:17], v[122:123], v[192:193]
	v_pk_add_f32 v[122:123], v[48:49], v[44:45]
	ds_read_b128 v[44:47], v212 offset:512
	v_min_f32_e32 v49, v63, v81
	v_min_f32_e32 v48, v62, v80
	v_pk_add_f32 v[42:43], v[42:43], v[48:49]
	ds_read_b128 v[48:51], v212 offset:640
	s_waitcnt lgkmcnt(1)
	v_max_f32_e32 v62, v44, v44
	v_max_f32_e32 v63, v45, v45
	v_min_f32_e32 v44, v62, v94
	v_min_f32_e32 v45, v63, v92
	v_pk_add_f32 v[36:37], v[36:37], v[44:45]
	v_min_f32_e32 v44, v62, v97
	v_min_f32_e32 v45, v63, v96
	v_pk_add_f32 v[38:39], v[38:39], v[44:45]
	;; [unrolled: 3-line block ×3, first 2 shown]
	v_pk_add_f32 v[40:41], v[40:41], v[44:45]
	v_min_f32_e32 v45, v63, v81
	v_min_f32_e32 v44, v62, v80
	s_waitcnt lgkmcnt(0)
	v_max_f32_e32 v48, v48, v48
	v_max_f32_e32 v49, v49, v49
	v_pk_add_f32 v[34:35], v[34:35], v[44:45]
	v_min_f32_e32 v44, v48, v94
	v_min_f32_e32 v45, v49, v92
	v_pk_add_f32 v[28:29], v[28:29], v[44:45]
	v_min_f32_e32 v44, v48, v97
	v_min_f32_e32 v45, v49, v96
	;; [unrolled: 3-line block ×3, first 2 shown]
	v_pk_add_f32 v[26:27], v[118:119], v[198:199]
	v_pk_add_f32 v[32:33], v[32:33], v[44:45]
	v_min_f32_e32 v45, v49, v81
	v_min_f32_e32 v44, v48, v80
	v_pk_add_f32 v[26:27], v[26:27], v[44:45]
	v_max_f32_e32 v44, v12, v12
	v_max_f32_e32 v45, v13, v13
	v_min_f32_e32 v12, v44, v94
	v_min_f32_e32 v13, v45, v92
	v_pk_add_f32 v[12:13], v[24:25], v[12:13]
	v_min_f32_e32 v24, v44, v97
	v_min_f32_e32 v25, v45, v96
	v_pk_add_f32 v[22:23], v[22:23], v[24:25]
	v_min_f32_e32 v24, v44, v115
	v_min_f32_e32 v25, v45, v114
	v_pk_add_f32 v[18:19], v[18:19], v[24:25]
	v_min_f32_e32 v25, v45, v81
	v_min_f32_e32 v24, v44, v80
	v_pk_add_f32 v[20:21], v[20:21], v[24:25]
	v_min_f32_e32 v25, v93, v81
	v_min_f32_e32 v24, v95, v80
	v_min_f32_e32 v1, v93, v92
	v_min_f32_e32 v0, v95, v94
	v_pk_add_f32 v[16:17], v[16:17], v[24:25]
	v_max_f32_e32 v24, v3, v3
	v_max_f32_e32 v7, v7, v7
	;; [unrolled: 1-line block ×4, first 2 shown]
	v_pk_add_f32 v[0:1], v[124:125], v[0:1]
	v_min_f32_e32 v3, v7, v24
	v_min_f32_e32 v2, v6, v25
	v_pk_add_f32 v[96:97], v[0:1], v[2:3]
	v_max_f32_e32 v2, v11, v11
	v_max_f32_e32 v3, v10, v10
	v_min_f32_e32 v1, v7, v2
	v_min_f32_e32 v0, v6, v3
	v_pk_add_f32 v[80:81], v[4:5], v[0:1]
	v_max_f32_e32 v4, v87, v87
	v_max_f32_e32 v5, v86, v86
	;; [unrolled: 5-line block ×3, first 2 shown]
	v_min_f32_e32 v0, v8, v25
	v_min_f32_e32 v1, v9, v24
	v_pk_add_f32 v[120:121], v[74:75], v[0:1]
	v_min_f32_e32 v0, v8, v3
	v_min_f32_e32 v1, v9, v2
	v_pk_add_f32 v[94:95], v[76:77], v[0:1]
	v_min_f32_e32 v0, v8, v5
	v_min_f32_e32 v1, v9, v4
	v_max_f32_e32 v10, v83, v83
	v_pk_add_f32 v[78:79], v[72:73], v[0:1]
	v_min_f32_e32 v1, v9, v10
	v_max_f32_e32 v9, v82, v82
	v_min_f32_e32 v0, v8, v9
	v_max_f32_e32 v8, v90, v90
	v_max_f32_e32 v11, v91, v91
	v_pk_add_f32 v[62:63], v[84:85], v[0:1]
	v_min_f32_e32 v0, v8, v25
	v_min_f32_e32 v1, v11, v24
	v_pk_add_f32 v[118:119], v[60:61], v[0:1]
	v_min_f32_e32 v0, v8, v3
	v_min_f32_e32 v1, v11, v2
	v_pk_add_f32 v[92:93], v[88:89], v[0:1]
	v_min_f32_e32 v0, v8, v5
	v_min_f32_e32 v1, v11, v4
	v_pk_add_f32 v[76:77], v[108:109], v[0:1]
	v_min_f32_e32 v1, v11, v10
	v_min_f32_e32 v0, v8, v9
	v_max_f32_e32 v8, v66, v66
	v_max_f32_e32 v11, v67, v67
	v_pk_add_f32 v[60:61], v[58:59], v[0:1]
	v_min_f32_e32 v0, v8, v25
	v_min_f32_e32 v1, v11, v24
	v_pk_add_f32 v[116:117], v[52:53], v[0:1]
	v_min_f32_e32 v0, v8, v3
	v_min_f32_e32 v1, v11, v2
	v_pk_add_f32 v[90:91], v[54:55], v[0:1]
	v_min_f32_e32 v0, v8, v5
	v_min_f32_e32 v1, v11, v4
	v_pk_add_f32 v[74:75], v[56:57], v[0:1]
	v_min_f32_e32 v1, v11, v10
	;; [unrolled: 14-line block ×6, first 2 shown]
	v_min_f32_e32 v0, v8, v9
	v_pk_add_f32 v[50:51], v[20:21], v[0:1]
	v_min_f32_e32 v1, v7, v10
	v_min_f32_e32 v0, v6, v9
	s_add_i32 s27, s27, 8
	v_pk_add_f32 v[48:49], v[16:17], v[0:1]
	s_cmp_ge_i32 s27, s26
	v_lshl_add_u64 v[98:99], v[98:99], 0, s[16:17]
	ds_write_b32 v213, v217
	ds_write2st64_b32 v214, v219, v218 offset1:4
	s_waitcnt lgkmcnt(0)
	s_barrier
	s_cbranch_scc1 .LBB30_34
.LBB30_22:                              ; =>This Inner Loop Header: Depth=1
	v_add_u32_e32 v122, s27, v206
	v_add_u32_e32 v0, 8, v122
	v_cmp_gt_i32_e64 s[2:3], s22, v0
	s_and_b64 s[2:3], vcc, s[2:3]
	s_and_b64 s[18:19], s[10:11], s[2:3]
	v_mov_b32_e32 v124, 0
	v_mov_b32_e32 v125, 0
	s_and_saveexec_b64 s[2:3], s[18:19]
	s_cbranch_execz .LBB30_24
; %bb.23:                               ;   in Loop: Header=BB30_22 Depth=1
	v_lshl_add_u64 v[0:1], v[98:99], 0, v[106:107]
	flat_load_dword v0, v[0:1]
	s_waitcnt vmcnt(0) lgkmcnt(0)
	v_mul_f32_e32 v125, s29, v0
.LBB30_24:                              ;   in Loop: Header=BB30_22 Depth=1
	s_or_b64 exec, exec, s[2:3]
	v_add_u32_e32 v123, s27, v207
	v_add_u32_e32 v0, 8, v123
	v_cmp_le_i32_e64 s[2:3], s22, v0
	v_min_i32_e32 v0, s23, v0
	v_ashrrev_i32_e32 v1, 31, v0
	s_or_b64 s[18:19], s[14:15], s[2:3]
	v_lshl_add_u64 v[0:1], v[0:1], 2, s[12:13]
	s_xor_b64 s[34:35], s[18:19], -1
	s_and_saveexec_b64 s[18:19], s[34:35]
	s_cbranch_execz .LBB30_26
; %bb.25:                               ;   in Loop: Header=BB30_22 Depth=1
	v_lshl_add_u64 v[2:3], v[100:101], 2, v[0:1]
	flat_load_dword v2, v[2:3]
	s_waitcnt vmcnt(0) lgkmcnt(0)
	v_mul_f32_e32 v124, s29, v2
.LBB30_26:                              ;   in Loop: Header=BB30_22 Depth=1
	s_or_b64 exec, exec, s[18:19]
	s_or_b64 s[2:3], s[4:5], s[2:3]
	s_xor_b64 s[18:19], s[2:3], -1
	v_mov_b32_e32 v217, 0
	v_mov_b32_e32 v126, 0
	s_and_saveexec_b64 s[2:3], s[18:19]
	s_cbranch_execz .LBB30_28
; %bb.27:                               ;   in Loop: Header=BB30_22 Depth=1
	v_lshl_add_u64 v[0:1], v[102:103], 2, v[0:1]
	flat_load_dword v0, v[0:1]
	s_waitcnt vmcnt(0) lgkmcnt(0)
	v_mul_f32_e32 v126, s29, v0
.LBB30_28:                              ;   in Loop: Header=BB30_22 Depth=1
	s_or_b64 exec, exec, s[2:3]
	ds_read_b128 v[40:43], v216
	ds_read_b128 v[36:39], v216 offset:512
	ds_read_b128 v[24:27], v216 offset:1536
	;; [unrolled: 1-line block ×3, first 2 shown]
	ds_read_b128 v[28:31], v215
	ds_read_b128 v[20:23], v215 offset:128
	ds_read_b128 v[16:19], v215 offset:256
	;; [unrolled: 1-line block ×7, first 2 shown]
	v_add_u32_e32 v122, 12, v122
	v_cmp_gt_i32_e64 s[2:3], s22, v122
	s_and_b64 s[2:3], vcc, s[2:3]
	s_and_b64 s[18:19], s[10:11], s[2:3]
	ds_write_b32 v211, v125
	ds_write2st64_b32 v210, v124, v126 offset1:4
	s_waitcnt lgkmcnt(0)
	s_barrier
	s_and_saveexec_b64 s[2:3], s[18:19]
	s_cbranch_execz .LBB30_30
; %bb.29:                               ;   in Loop: Header=BB30_22 Depth=1
	v_lshl_add_u64 v[124:125], v[98:99], 0, v[104:105]
	flat_load_dword v122, v[124:125]
	s_waitcnt vmcnt(0) lgkmcnt(0)
	v_mul_f32_e32 v217, s29, v122
.LBB30_30:                              ;   in Loop: Header=BB30_22 Depth=1
	s_or_b64 exec, exec, s[2:3]
	v_add_u32_e32 v122, 12, v123
	v_cmp_le_i32_e64 s[2:3], s22, v122
	v_min_i32_e32 v122, s23, v122
	v_ashrrev_i32_e32 v123, 31, v122
	s_or_b64 s[18:19], s[14:15], s[2:3]
	v_lshl_add_u64 v[122:123], v[122:123], 2, s[12:13]
	s_xor_b64 s[34:35], s[18:19], -1
	v_mov_b32_e32 v218, 0
	v_mov_b32_e32 v219, 0
	s_and_saveexec_b64 s[18:19], s[34:35]
	s_cbranch_execz .LBB30_32
; %bb.31:                               ;   in Loop: Header=BB30_22 Depth=1
	v_lshl_add_u64 v[124:125], v[100:101], 2, v[122:123]
	flat_load_dword v124, v[124:125]
	s_waitcnt vmcnt(0) lgkmcnt(0)
	v_mul_f32_e32 v219, s29, v124
.LBB30_32:                              ;   in Loop: Header=BB30_22 Depth=1
	s_or_b64 exec, exec, s[18:19]
	v_max_f32_e32 v156, v41, v41
	v_max_f32_e32 v162, v45, v45
	v_max_f32_e32 v157, v40, v40
	v_max_f32_e32 v164, v44, v44
	v_max_f32_e32 v160, v37, v37
	v_max_f32_e32 v161, v36, v36
	v_max_f32_e32 v163, v33, v33
	v_max_f32_e32 v165, v32, v32
	v_max_f32_e32 v126, v28, v28
	v_max_f32_e32 v127, v29, v29
	v_max_f32_e32 v166, v25, v25
	v_max_f32_e32 v167, v24, v24
	v_max_f32_e32 v130, v20, v20
	v_max_f32_e32 v131, v21, v21
	v_max_f32_e32 v136, v16, v16
	v_max_f32_e32 v137, v17, v17
	v_max_f32_e32 v142, v12, v12
	v_max_f32_e32 v143, v13, v13
	v_max_f32_e32 v148, v8, v8
	v_max_f32_e32 v149, v9, v9
	v_max_f32_e32 v154, v4, v4
	v_max_f32_e32 v155, v5, v5
	v_max_f32_e32 v168, v0, v0
	v_max_f32_e32 v169, v1, v1
	v_max_f32_e32 v192, v43, v43
	v_max_f32_e32 v200, v42, v42
	v_max_f32_e32 v201, v39, v39
	v_max_f32_e32 v221, v38, v38
	v_max_f32_e32 v222, v35, v35
	v_max_f32_e32 v223, v34, v34
	v_max_f32_e32 v224, v27, v27
	v_max_f32_e32 v225, v26, v26
	v_max_f32_e32 v6, v6, v6
	v_max_f32_e32 v7, v7, v7
	v_min_f32_e32 v41, v162, v156
	v_min_f32_e32 v40, v164, v157
	;; [unrolled: 1-line block ×62, first 2 shown]
	v_max_f32_e32 v193, v47, v47
	v_max_f32_e32 v220, v46, v46
	;; [unrolled: 1-line block ×12, first 2 shown]
	v_min_f32_e32 v196, v6, v200
	v_min_f32_e32 v197, v7, v192
	;; [unrolled: 1-line block ×8, first 2 shown]
	v_max_f32_e32 v6, v2, v2
	v_max_f32_e32 v7, v3, v3
	s_or_b64 s[2:3], s[4:5], s[2:3]
	v_min_f32_e32 v32, v164, v165
	v_min_f32_e32 v0, v168, v165
	;; [unrolled: 1-line block ×58, first 2 shown]
	s_xor_b64 s[18:19], s[2:3], -1
	s_and_saveexec_b64 s[2:3], s[18:19]
	s_cbranch_execz .LBB30_21
; %bb.33:                               ;   in Loop: Header=BB30_22 Depth=1
	v_lshl_add_u64 v[122:123], v[102:103], 2, v[122:123]
	flat_load_dword v122, v[122:123]
	s_waitcnt vmcnt(0) lgkmcnt(0)
	v_mul_f32_e32 v218, s29, v122
	s_branch .LBB30_21
.LBB30_34:
	s_load_dwordx2 s[2:3], s[0:1], 0x78
	s_load_dword s33, s[0:1], 0x58
	s_load_dword s29, s[0:1], 0x70
	ds_read_b128 v[44:47], v209 offset:2048
	ds_read_b128 v[40:43], v209 offset:2560
	ds_read_b128 v[0:3], v209 offset:3584
	ds_read_b128 v[36:39], v209 offset:3072
	ds_read_b128 v[32:35], v208 offset:5120
	ds_read_b128 v[28:31], v208 offset:5248
	ds_read_b128 v[24:27], v208 offset:5376
	ds_read_b128 v[20:23], v208 offset:5504
	ds_read_b128 v[16:19], v208 offset:5632
	ds_read_b128 v[12:15], v208 offset:5760
	ds_read_b128 v[4:7], v208 offset:6016
	ds_read_b128 v[8:11], v208 offset:5888
	s_waitcnt lgkmcnt(0)
	s_lshl_b64 s[0:1], s[2:3], 2
	s_add_u32 s22, s6, s0
	v_add_u32_e32 v126, s31, v205
	s_addc_u32 s23, s7, s1
	v_mad_i64_i32 v[100:101], s[0:1], v126, s33, 0
	v_add_u32_e32 v98, s30, v204
	v_lshl_add_u64 v[124:125], v[100:101], 2, s[24:25]
	v_mad_i64_i32 v[100:101], s[0:1], v126, s29, 0
	v_cmp_gt_i32_e64 s[18:19], s21, v126
	v_lshl_add_u64 v[122:123], v[100:101], 2, s[22:23]
	v_cmp_gt_i32_e64 s[2:3], s20, v98
	v_cndmask_b32_e64 v100, 0, 1, s[8:9]
	s_and_b64 s[6:7], s[2:3], s[18:19]
	v_ashrrev_i32_e32 v99, 31, v98
	v_cmp_ne_u32_e64 s[0:1], 1, v100
	s_and_saveexec_b64 s[4:5], s[6:7]
	s_cbranch_execz .LBB30_39
; %bb.35:
	s_and_b64 vcc, exec, s[0:1]
	s_cbranch_vccnz .LBB30_37
; %bb.36:
	v_lshl_add_u64 v[100:101], v[98:99], 2, v[124:125]
	flat_load_dword v100, v[100:101]
	s_waitcnt vmcnt(0) lgkmcnt(0)
	v_mul_f32_e32 v100, s28, v100
	s_branch .LBB30_38
.LBB30_37:
	v_mov_b32_e32 v100, 0
.LBB30_38:
	v_max_f32_e32 v101, v44, v44
	v_max_f32_e32 v102, v32, v32
	v_min_f32_e32 v102, v102, v101
	v_max_f32_e32 v101, v45, v45
	v_max_f32_e32 v103, v33, v33
	v_min_f32_e32 v103, v103, v101
	;; [unrolled: 3-line block ×3, first 2 shown]
	v_max_f32_e32 v101, v47, v47
	v_max_f32_e32 v105, v35, v35
	v_pk_add_f32 v[102:103], v[120:121], v[102:103]
	v_min_f32_e32 v105, v105, v101
	v_pk_add_f32 v[102:103], v[102:103], v[104:105]
	s_nop 0
	v_add_f32_e32 v101, v102, v103
	v_add_f32_e32 v102, v101, v100
	v_lshl_add_u64 v[100:101], v[98:99], 2, v[122:123]
	global_store_dword v[100:101], v102, off
.LBB30_39:
	s_or_b64 exec, exec, s[4:5]
	v_add_u32_e32 v100, 8, v98
	v_cmp_gt_i32_e64 s[4:5], s20, v100
	s_and_b64 s[8:9], s[4:5], s[18:19]
	v_ashrrev_i32_e32 v101, 31, v100
	s_and_saveexec_b64 s[6:7], s[8:9]
	s_cbranch_execz .LBB30_44
; %bb.40:
	s_and_b64 vcc, exec, s[0:1]
	s_cbranch_vccnz .LBB30_42
; %bb.41:
	v_lshl_add_u64 v[102:103], v[100:101], 2, v[124:125]
	flat_load_dword v102, v[102:103]
	s_waitcnt vmcnt(0) lgkmcnt(0)
	v_mul_f32_e32 v102, s28, v102
	s_branch .LBB30_43
.LBB30_42:
	v_mov_b32_e32 v102, 0
.LBB30_43:
	v_max_f32_e32 v103, v44, v44
	v_max_f32_e32 v104, v28, v28
	v_min_f32_e32 v104, v104, v103
	v_max_f32_e32 v103, v45, v45
	v_max_f32_e32 v105, v29, v29
	v_min_f32_e32 v105, v105, v103
	;; [unrolled: 3-line block ×3, first 2 shown]
	v_max_f32_e32 v103, v47, v47
	v_max_f32_e32 v107, v31, v31
	v_pk_add_f32 v[104:105], v[118:119], v[104:105]
	v_min_f32_e32 v107, v107, v103
	v_pk_add_f32 v[104:105], v[104:105], v[106:107]
	s_nop 0
	v_add_f32_e32 v103, v104, v105
	v_add_f32_e32 v104, v103, v102
	v_lshl_add_u64 v[102:103], v[100:101], 2, v[122:123]
	global_store_dword v[102:103], v104, off
.LBB30_44:
	s_or_b64 exec, exec, s[6:7]
	v_add_u32_e32 v102, 16, v98
	v_cmp_gt_i32_e64 s[6:7], s20, v102
	s_and_b64 s[10:11], s[6:7], s[18:19]
	v_ashrrev_i32_e32 v103, 31, v102
	s_and_saveexec_b64 s[8:9], s[10:11]
	s_cbranch_execz .LBB30_49
; %bb.45:
	s_and_b64 vcc, exec, s[0:1]
	s_cbranch_vccnz .LBB30_47
; %bb.46:
	v_lshl_add_u64 v[104:105], v[102:103], 2, v[124:125]
	flat_load_dword v104, v[104:105]
	s_waitcnt vmcnt(0) lgkmcnt(0)
	v_mul_f32_e32 v104, s28, v104
	s_branch .LBB30_48
.LBB30_47:
	v_mov_b32_e32 v104, 0
.LBB30_48:
	v_max_f32_e32 v105, v44, v44
	v_max_f32_e32 v106, v24, v24
	v_min_f32_e32 v106, v106, v105
	v_max_f32_e32 v105, v45, v45
	v_max_f32_e32 v107, v25, v25
	v_min_f32_e32 v107, v107, v105
	v_pk_add_f32 v[106:107], v[116:117], v[106:107]
	v_max_f32_e32 v105, v46, v46
	v_max_f32_e32 v116, v26, v26
	v_min_f32_e32 v116, v116, v105
	v_max_f32_e32 v105, v47, v47
	v_max_f32_e32 v117, v27, v27
	v_min_f32_e32 v117, v117, v105
	v_pk_add_f32 v[106:107], v[106:107], v[116:117]
	s_nop 0
	v_add_f32_e32 v105, v106, v107
	v_add_f32_e32 v106, v105, v104
	v_lshl_add_u64 v[104:105], v[102:103], 2, v[122:123]
	global_store_dword v[104:105], v106, off
.LBB30_49:
	s_or_b64 exec, exec, s[8:9]
	v_add_u32_e32 v104, 24, v98
	v_cmp_gt_i32_e64 s[8:9], s20, v104
	s_and_b64 s[12:13], s[8:9], s[18:19]
	v_ashrrev_i32_e32 v105, 31, v104
	s_and_saveexec_b64 s[10:11], s[12:13]
	s_cbranch_execz .LBB30_54
; %bb.50:
	s_and_b64 vcc, exec, s[0:1]
	s_cbranch_vccnz .LBB30_52
; %bb.51:
	v_lshl_add_u64 v[106:107], v[104:105], 2, v[124:125]
	flat_load_dword v106, v[106:107]
	s_waitcnt vmcnt(0) lgkmcnt(0)
	v_mul_f32_e32 v106, s28, v106
	s_branch .LBB30_53
.LBB30_52:
	v_mov_b32_e32 v106, 0
.LBB30_53:
	v_max_f32_e32 v107, v44, v44
	v_max_f32_e32 v116, v20, v20
	v_min_f32_e32 v116, v116, v107
	v_max_f32_e32 v107, v45, v45
	v_max_f32_e32 v117, v21, v21
	v_min_f32_e32 v117, v117, v107
	v_pk_add_f32 v[114:115], v[114:115], v[116:117]
	v_max_f32_e32 v107, v46, v46
	v_max_f32_e32 v116, v22, v22
	v_min_f32_e32 v116, v116, v107
	v_max_f32_e32 v107, v47, v47
	v_max_f32_e32 v117, v23, v23
	v_min_f32_e32 v117, v117, v107
	v_pk_add_f32 v[114:115], v[114:115], v[116:117]
	s_nop 0
	v_add_f32_e32 v107, v114, v115
	v_add_f32_e32 v114, v107, v106
	v_lshl_add_u64 v[106:107], v[104:105], 2, v[122:123]
	global_store_dword v[106:107], v114, off
.LBB30_54:
	;; [unrolled: 39-line block ×6, first 2 shown]
	s_or_b64 exec, exec, s[18:19]
	v_add_u32_e32 v96, 32, v126
	v_mad_i64_i32 v[44:45], s[26:27], v96, s33, 0
	v_cmp_gt_i32_e64 s[18:19], s21, v96
	v_lshl_add_u64 v[46:47], v[44:45], 2, s[24:25]
	v_mad_i64_i32 v[44:45], s[26:27], v96, s29, 0
	v_lshl_add_u64 v[44:45], v[44:45], 2, s[22:23]
	s_and_b64 s[30:31], s[2:3], s[18:19]
	s_and_saveexec_b64 s[26:27], s[30:31]
	s_cbranch_execnz .LBB30_82
; %bb.75:
	s_or_b64 exec, exec, s[26:27]
	s_and_b64 s[30:31], s[4:5], s[18:19]
	s_and_saveexec_b64 s[26:27], s[30:31]
	s_cbranch_execnz .LBB30_86
.LBB30_76:
	s_or_b64 exec, exec, s[26:27]
	s_and_b64 s[30:31], s[6:7], s[18:19]
	s_and_saveexec_b64 s[26:27], s[30:31]
	s_cbranch_execnz .LBB30_90
.LBB30_77:
	s_or_b64 exec, exec, s[26:27]
	s_and_b64 s[30:31], s[8:9], s[18:19]
	s_and_saveexec_b64 s[26:27], s[30:31]
	s_cbranch_execnz .LBB30_94
.LBB30_78:
	s_or_b64 exec, exec, s[26:27]
	s_and_b64 s[30:31], s[10:11], s[18:19]
	s_and_saveexec_b64 s[26:27], s[30:31]
	s_cbranch_execnz .LBB30_98
.LBB30_79:
	s_or_b64 exec, exec, s[26:27]
	s_and_b64 s[30:31], s[12:13], s[18:19]
	s_and_saveexec_b64 s[26:27], s[30:31]
	s_cbranch_execnz .LBB30_102
.LBB30_80:
	s_or_b64 exec, exec, s[26:27]
	s_and_b64 s[30:31], s[14:15], s[18:19]
	s_and_saveexec_b64 s[26:27], s[30:31]
	s_cbranch_execnz .LBB30_106
.LBB30_81:
	s_or_b64 exec, exec, s[26:27]
	s_and_b64 s[26:27], s[16:17], s[18:19]
	s_and_saveexec_b64 s[18:19], s[26:27]
	s_cbranch_execnz .LBB30_110
	s_branch .LBB30_114
.LBB30_82:
	s_and_b64 vcc, exec, s[0:1]
	s_cbranch_vccnz .LBB30_84
; %bb.83:
	v_lshl_add_u64 v[96:97], v[98:99], 2, v[46:47]
	flat_load_dword v96, v[96:97]
	s_waitcnt vmcnt(0) lgkmcnt(0)
	v_mul_f32_e32 v96, s28, v96
	s_branch .LBB30_85
.LBB30_84:
	v_mov_b32_e32 v96, 0
.LBB30_85:
	v_max_f32_e32 v97, v40, v40
	v_max_f32_e32 v114, v32, v32
	v_min_f32_e32 v114, v114, v97
	v_max_f32_e32 v97, v41, v41
	v_max_f32_e32 v115, v33, v33
	v_min_f32_e32 v115, v115, v97
	v_pk_add_f32 v[94:95], v[94:95], v[114:115]
	v_max_f32_e32 v97, v42, v42
	v_max_f32_e32 v114, v34, v34
	v_min_f32_e32 v114, v114, v97
	v_max_f32_e32 v97, v43, v43
	v_max_f32_e32 v115, v35, v35
	v_min_f32_e32 v115, v115, v97
	v_pk_add_f32 v[94:95], v[94:95], v[114:115]
	s_nop 0
	v_add_f32_e32 v94, v94, v95
	v_add_f32_e32 v96, v94, v96
	v_lshl_add_u64 v[94:95], v[98:99], 2, v[44:45]
	global_store_dword v[94:95], v96, off
	s_or_b64 exec, exec, s[26:27]
	s_and_b64 s[30:31], s[4:5], s[18:19]
	s_and_saveexec_b64 s[26:27], s[30:31]
	s_cbranch_execz .LBB30_76
.LBB30_86:
	s_and_b64 vcc, exec, s[0:1]
	s_cbranch_vccnz .LBB30_88
; %bb.87:
	v_lshl_add_u64 v[94:95], v[100:101], 2, v[46:47]
	flat_load_dword v94, v[94:95]
	s_waitcnt vmcnt(0) lgkmcnt(0)
	v_mul_f32_e32 v94, s28, v94
	s_branch .LBB30_89
.LBB30_88:
	v_mov_b32_e32 v94, 0
.LBB30_89:
	v_max_f32_e32 v95, v40, v40
	v_max_f32_e32 v96, v28, v28
	v_min_f32_e32 v96, v96, v95
	v_max_f32_e32 v95, v41, v41
	v_max_f32_e32 v97, v29, v29
	v_min_f32_e32 v97, v97, v95
	v_pk_add_f32 v[92:93], v[92:93], v[96:97]
	v_max_f32_e32 v95, v42, v42
	v_max_f32_e32 v96, v30, v30
	v_min_f32_e32 v96, v96, v95
	v_max_f32_e32 v95, v43, v43
	v_max_f32_e32 v97, v31, v31
	v_min_f32_e32 v97, v97, v95
	v_pk_add_f32 v[92:93], v[92:93], v[96:97]
	s_nop 0
	v_add_f32_e32 v92, v92, v93
	v_add_f32_e32 v94, v92, v94
	v_lshl_add_u64 v[92:93], v[100:101], 2, v[44:45]
	global_store_dword v[92:93], v94, off
	s_or_b64 exec, exec, s[26:27]
	s_and_b64 s[30:31], s[6:7], s[18:19]
	s_and_saveexec_b64 s[26:27], s[30:31]
	s_cbranch_execz .LBB30_77
.LBB30_90:
	s_and_b64 vcc, exec, s[0:1]
	s_cbranch_vccnz .LBB30_92
; %bb.91:
	v_lshl_add_u64 v[92:93], v[102:103], 2, v[46:47]
	flat_load_dword v92, v[92:93]
	s_waitcnt vmcnt(0) lgkmcnt(0)
	v_mul_f32_e32 v92, s28, v92
	s_branch .LBB30_93
.LBB30_92:
	v_mov_b32_e32 v92, 0
.LBB30_93:
	v_max_f32_e32 v93, v40, v40
	v_max_f32_e32 v94, v24, v24
	v_min_f32_e32 v94, v94, v93
	v_max_f32_e32 v93, v41, v41
	v_max_f32_e32 v95, v25, v25
	v_min_f32_e32 v95, v95, v93
	v_pk_add_f32 v[90:91], v[90:91], v[94:95]
	v_max_f32_e32 v93, v42, v42
	v_max_f32_e32 v94, v26, v26
	v_min_f32_e32 v94, v94, v93
	v_max_f32_e32 v93, v43, v43
	v_max_f32_e32 v95, v27, v27
	v_min_f32_e32 v95, v95, v93
	v_pk_add_f32 v[90:91], v[90:91], v[94:95]
	s_nop 0
	v_add_f32_e32 v90, v90, v91
	v_add_f32_e32 v92, v90, v92
	v_lshl_add_u64 v[90:91], v[102:103], 2, v[44:45]
	global_store_dword v[90:91], v92, off
	s_or_b64 exec, exec, s[26:27]
	s_and_b64 s[30:31], s[8:9], s[18:19]
	s_and_saveexec_b64 s[26:27], s[30:31]
	s_cbranch_execz .LBB30_78
.LBB30_94:
	s_and_b64 vcc, exec, s[0:1]
	s_cbranch_vccnz .LBB30_96
; %bb.95:
	v_lshl_add_u64 v[90:91], v[104:105], 2, v[46:47]
	flat_load_dword v90, v[90:91]
	s_waitcnt vmcnt(0) lgkmcnt(0)
	v_mul_f32_e32 v90, s28, v90
	s_branch .LBB30_97
.LBB30_96:
	v_mov_b32_e32 v90, 0
.LBB30_97:
	v_max_f32_e32 v91, v40, v40
	v_max_f32_e32 v92, v20, v20
	v_min_f32_e32 v92, v92, v91
	v_max_f32_e32 v91, v41, v41
	v_max_f32_e32 v93, v21, v21
	v_min_f32_e32 v93, v93, v91
	v_pk_add_f32 v[88:89], v[88:89], v[92:93]
	v_max_f32_e32 v91, v42, v42
	v_max_f32_e32 v92, v22, v22
	v_min_f32_e32 v92, v92, v91
	v_max_f32_e32 v91, v43, v43
	v_max_f32_e32 v93, v23, v23
	v_min_f32_e32 v93, v93, v91
	v_pk_add_f32 v[88:89], v[88:89], v[92:93]
	s_nop 0
	v_add_f32_e32 v88, v88, v89
	v_add_f32_e32 v90, v88, v90
	v_lshl_add_u64 v[88:89], v[104:105], 2, v[44:45]
	global_store_dword v[88:89], v90, off
	s_or_b64 exec, exec, s[26:27]
	s_and_b64 s[30:31], s[10:11], s[18:19]
	s_and_saveexec_b64 s[26:27], s[30:31]
	s_cbranch_execz .LBB30_79
.LBB30_98:
	s_and_b64 vcc, exec, s[0:1]
	s_cbranch_vccnz .LBB30_100
; %bb.99:
	v_lshl_add_u64 v[88:89], v[106:107], 2, v[46:47]
	flat_load_dword v88, v[88:89]
	s_waitcnt vmcnt(0) lgkmcnt(0)
	v_mul_f32_e32 v88, s28, v88
	s_branch .LBB30_101
.LBB30_100:
	v_mov_b32_e32 v88, 0
.LBB30_101:
	v_max_f32_e32 v89, v40, v40
	v_max_f32_e32 v90, v16, v16
	v_min_f32_e32 v90, v90, v89
	v_max_f32_e32 v89, v41, v41
	v_max_f32_e32 v91, v17, v17
	v_min_f32_e32 v91, v91, v89
	v_pk_add_f32 v[86:87], v[86:87], v[90:91]
	v_max_f32_e32 v89, v42, v42
	v_max_f32_e32 v90, v18, v18
	v_min_f32_e32 v90, v90, v89
	v_max_f32_e32 v89, v43, v43
	v_max_f32_e32 v91, v19, v19
	v_min_f32_e32 v91, v91, v89
	v_pk_add_f32 v[86:87], v[86:87], v[90:91]
	s_nop 0
	v_add_f32_e32 v86, v86, v87
	v_add_f32_e32 v88, v86, v88
	v_lshl_add_u64 v[86:87], v[106:107], 2, v[44:45]
	global_store_dword v[86:87], v88, off
	s_or_b64 exec, exec, s[26:27]
	s_and_b64 s[30:31], s[12:13], s[18:19]
	s_and_saveexec_b64 s[26:27], s[30:31]
	s_cbranch_execz .LBB30_80
.LBB30_102:
	s_and_b64 vcc, exec, s[0:1]
	s_cbranch_vccnz .LBB30_104
; %bb.103:
	v_lshl_add_u64 v[86:87], v[108:109], 2, v[46:47]
	flat_load_dword v86, v[86:87]
	s_waitcnt vmcnt(0) lgkmcnt(0)
	v_mul_f32_e32 v86, s28, v86
	s_branch .LBB30_105
.LBB30_104:
	v_mov_b32_e32 v86, 0
.LBB30_105:
	v_max_f32_e32 v87, v40, v40
	v_max_f32_e32 v88, v12, v12
	v_min_f32_e32 v88, v88, v87
	v_max_f32_e32 v87, v41, v41
	v_max_f32_e32 v89, v13, v13
	v_min_f32_e32 v89, v89, v87
	v_pk_add_f32 v[84:85], v[84:85], v[88:89]
	v_max_f32_e32 v87, v42, v42
	v_max_f32_e32 v88, v14, v14
	v_min_f32_e32 v88, v88, v87
	v_max_f32_e32 v87, v43, v43
	v_max_f32_e32 v89, v15, v15
	v_min_f32_e32 v89, v89, v87
	v_pk_add_f32 v[84:85], v[84:85], v[88:89]
	s_nop 0
	v_add_f32_e32 v84, v84, v85
	v_add_f32_e32 v86, v84, v86
	v_lshl_add_u64 v[84:85], v[108:109], 2, v[44:45]
	global_store_dword v[84:85], v86, off
	s_or_b64 exec, exec, s[26:27]
	s_and_b64 s[30:31], s[14:15], s[18:19]
	s_and_saveexec_b64 s[26:27], s[30:31]
	s_cbranch_execz .LBB30_81
.LBB30_106:
	s_and_b64 vcc, exec, s[0:1]
	s_cbranch_vccnz .LBB30_108
; %bb.107:
	v_lshl_add_u64 v[84:85], v[110:111], 2, v[46:47]
	flat_load_dword v84, v[84:85]
	s_waitcnt vmcnt(0) lgkmcnt(0)
	v_mul_f32_e32 v84, s28, v84
	s_branch .LBB30_109
.LBB30_108:
	v_mov_b32_e32 v84, 0
.LBB30_109:
	v_max_f32_e32 v85, v40, v40
	v_max_f32_e32 v86, v8, v8
	v_min_f32_e32 v86, v86, v85
	v_max_f32_e32 v85, v41, v41
	v_max_f32_e32 v87, v9, v9
	v_min_f32_e32 v87, v87, v85
	v_pk_add_f32 v[82:83], v[82:83], v[86:87]
	v_max_f32_e32 v85, v42, v42
	v_max_f32_e32 v86, v10, v10
	v_min_f32_e32 v86, v86, v85
	v_max_f32_e32 v85, v43, v43
	v_max_f32_e32 v87, v11, v11
	v_min_f32_e32 v87, v87, v85
	v_pk_add_f32 v[82:83], v[82:83], v[86:87]
	s_nop 0
	v_add_f32_e32 v82, v82, v83
	v_add_f32_e32 v84, v82, v84
	v_lshl_add_u64 v[82:83], v[110:111], 2, v[44:45]
	global_store_dword v[82:83], v84, off
	s_or_b64 exec, exec, s[26:27]
	s_and_b64 s[26:27], s[16:17], s[18:19]
	s_and_saveexec_b64 s[18:19], s[26:27]
	s_cbranch_execz .LBB30_114
.LBB30_110:
	s_and_b64 vcc, exec, s[0:1]
	s_cbranch_vccnz .LBB30_112
; %bb.111:
	v_lshl_add_u64 v[46:47], v[112:113], 2, v[46:47]
	flat_load_dword v46, v[46:47]
	s_waitcnt vmcnt(0) lgkmcnt(0)
	v_mul_f32_e32 v46, s28, v46
	s_branch .LBB30_113
.LBB30_112:
	v_mov_b32_e32 v46, 0
.LBB30_113:
	v_max_f32_e32 v41, v41, v41
	v_max_f32_e32 v47, v5, v5
	v_min_f32_e32 v41, v47, v41
	v_max_f32_e32 v40, v40, v40
	v_max_f32_e32 v47, v4, v4
	v_min_f32_e32 v40, v47, v40
	;; [unrolled: 3-line block ×3, first 2 shown]
	v_max_f32_e32 v42, v42, v42
	v_max_f32_e32 v47, v6, v6
	v_pk_add_f32 v[40:41], v[80:81], v[40:41]
	v_min_f32_e32 v42, v47, v42
	v_pk_add_f32 v[40:41], v[40:41], v[42:43]
	s_nop 0
	v_add_f32_e32 v40, v40, v41
	v_add_f32_e32 v42, v40, v46
	v_lshl_add_u64 v[40:41], v[112:113], 2, v[44:45]
	global_store_dword v[40:41], v42, off
.LBB30_114:
	s_or_b64 exec, exec, s[18:19]
	v_add_u32_e32 v44, 64, v126
	v_mad_i64_i32 v[40:41], s[26:27], v44, s33, 0
	v_cmp_gt_i32_e64 s[18:19], s21, v44
	v_lshl_add_u64 v[42:43], v[40:41], 2, s[24:25]
	v_mad_i64_i32 v[40:41], s[26:27], v44, s29, 0
	v_lshl_add_u64 v[40:41], v[40:41], 2, s[22:23]
	s_and_b64 s[30:31], s[2:3], s[18:19]
	s_and_saveexec_b64 s[26:27], s[30:31]
	s_cbranch_execnz .LBB30_122
; %bb.115:
	s_or_b64 exec, exec, s[26:27]
	s_and_b64 s[30:31], s[4:5], s[18:19]
	s_and_saveexec_b64 s[26:27], s[30:31]
	s_cbranch_execnz .LBB30_126
.LBB30_116:
	s_or_b64 exec, exec, s[26:27]
	s_and_b64 s[30:31], s[6:7], s[18:19]
	s_and_saveexec_b64 s[26:27], s[30:31]
	s_cbranch_execnz .LBB30_130
.LBB30_117:
	s_or_b64 exec, exec, s[26:27]
	s_and_b64 s[30:31], s[8:9], s[18:19]
	s_and_saveexec_b64 s[26:27], s[30:31]
	s_cbranch_execnz .LBB30_134
.LBB30_118:
	s_or_b64 exec, exec, s[26:27]
	s_and_b64 s[30:31], s[10:11], s[18:19]
	s_and_saveexec_b64 s[26:27], s[30:31]
	s_cbranch_execnz .LBB30_138
.LBB30_119:
	s_or_b64 exec, exec, s[26:27]
	s_and_b64 s[30:31], s[12:13], s[18:19]
	s_and_saveexec_b64 s[26:27], s[30:31]
	s_cbranch_execnz .LBB30_142
.LBB30_120:
	s_or_b64 exec, exec, s[26:27]
	s_and_b64 s[30:31], s[14:15], s[18:19]
	s_and_saveexec_b64 s[26:27], s[30:31]
	s_cbranch_execnz .LBB30_146
.LBB30_121:
	s_or_b64 exec, exec, s[26:27]
	s_and_b64 s[26:27], s[16:17], s[18:19]
	s_and_saveexec_b64 s[18:19], s[26:27]
	s_cbranch_execnz .LBB30_150
	s_branch .LBB30_154
.LBB30_122:
	s_and_b64 vcc, exec, s[0:1]
	s_cbranch_vccnz .LBB30_124
; %bb.123:
	v_lshl_add_u64 v[44:45], v[98:99], 2, v[42:43]
	flat_load_dword v44, v[44:45]
	s_waitcnt vmcnt(0) lgkmcnt(0)
	v_mul_f32_e32 v44, s28, v44
	s_branch .LBB30_125
.LBB30_124:
	v_mov_b32_e32 v44, 0
.LBB30_125:
	v_max_f32_e32 v45, v36, v36
	v_max_f32_e32 v46, v32, v32
	v_min_f32_e32 v46, v46, v45
	v_max_f32_e32 v45, v37, v37
	v_max_f32_e32 v47, v33, v33
	v_min_f32_e32 v47, v47, v45
	v_pk_add_f32 v[46:47], v[78:79], v[46:47]
	v_max_f32_e32 v45, v38, v38
	v_max_f32_e32 v78, v34, v34
	v_min_f32_e32 v78, v78, v45
	v_max_f32_e32 v45, v39, v39
	v_max_f32_e32 v79, v35, v35
	v_min_f32_e32 v79, v79, v45
	v_pk_add_f32 v[46:47], v[46:47], v[78:79]
	s_nop 0
	v_add_f32_e32 v45, v46, v47
	v_add_f32_e32 v46, v45, v44
	v_lshl_add_u64 v[44:45], v[98:99], 2, v[40:41]
	global_store_dword v[44:45], v46, off
	s_or_b64 exec, exec, s[26:27]
	s_and_b64 s[30:31], s[4:5], s[18:19]
	s_and_saveexec_b64 s[26:27], s[30:31]
	s_cbranch_execz .LBB30_116
.LBB30_126:
	s_and_b64 vcc, exec, s[0:1]
	s_cbranch_vccnz .LBB30_128
; %bb.127:
	v_lshl_add_u64 v[44:45], v[100:101], 2, v[42:43]
	flat_load_dword v44, v[44:45]
	s_waitcnt vmcnt(0) lgkmcnt(0)
	v_mul_f32_e32 v44, s28, v44
	s_branch .LBB30_129
.LBB30_128:
	v_mov_b32_e32 v44, 0
.LBB30_129:
	v_max_f32_e32 v45, v36, v36
	v_max_f32_e32 v46, v28, v28
	v_min_f32_e32 v46, v46, v45
	v_max_f32_e32 v45, v37, v37
	v_max_f32_e32 v47, v29, v29
	v_min_f32_e32 v47, v47, v45
	v_pk_add_f32 v[46:47], v[76:77], v[46:47]
	v_max_f32_e32 v45, v38, v38
	v_max_f32_e32 v76, v30, v30
	v_min_f32_e32 v76, v76, v45
	v_max_f32_e32 v45, v39, v39
	v_max_f32_e32 v77, v31, v31
	v_min_f32_e32 v77, v77, v45
	v_pk_add_f32 v[46:47], v[46:47], v[76:77]
	s_nop 0
	v_add_f32_e32 v45, v46, v47
	v_add_f32_e32 v46, v45, v44
	v_lshl_add_u64 v[44:45], v[100:101], 2, v[40:41]
	global_store_dword v[44:45], v46, off
	s_or_b64 exec, exec, s[26:27]
	s_and_b64 s[30:31], s[6:7], s[18:19]
	s_and_saveexec_b64 s[26:27], s[30:31]
	s_cbranch_execz .LBB30_117
.LBB30_130:
	s_and_b64 vcc, exec, s[0:1]
	s_cbranch_vccnz .LBB30_132
; %bb.131:
	v_lshl_add_u64 v[44:45], v[102:103], 2, v[42:43]
	flat_load_dword v44, v[44:45]
	s_waitcnt vmcnt(0) lgkmcnt(0)
	v_mul_f32_e32 v44, s28, v44
	s_branch .LBB30_133
.LBB30_132:
	v_mov_b32_e32 v44, 0
.LBB30_133:
	v_max_f32_e32 v45, v36, v36
	v_max_f32_e32 v46, v24, v24
	v_min_f32_e32 v46, v46, v45
	v_max_f32_e32 v45, v37, v37
	v_max_f32_e32 v47, v25, v25
	v_min_f32_e32 v47, v47, v45
	v_pk_add_f32 v[46:47], v[74:75], v[46:47]
	v_max_f32_e32 v45, v38, v38
	v_max_f32_e32 v74, v26, v26
	v_min_f32_e32 v74, v74, v45
	v_max_f32_e32 v45, v39, v39
	v_max_f32_e32 v75, v27, v27
	v_min_f32_e32 v75, v75, v45
	v_pk_add_f32 v[46:47], v[46:47], v[74:75]
	s_nop 0
	v_add_f32_e32 v45, v46, v47
	v_add_f32_e32 v46, v45, v44
	v_lshl_add_u64 v[44:45], v[102:103], 2, v[40:41]
	global_store_dword v[44:45], v46, off
	s_or_b64 exec, exec, s[26:27]
	s_and_b64 s[30:31], s[8:9], s[18:19]
	s_and_saveexec_b64 s[26:27], s[30:31]
	s_cbranch_execz .LBB30_118
.LBB30_134:
	s_and_b64 vcc, exec, s[0:1]
	s_cbranch_vccnz .LBB30_136
; %bb.135:
	v_lshl_add_u64 v[44:45], v[104:105], 2, v[42:43]
	flat_load_dword v44, v[44:45]
	s_waitcnt vmcnt(0) lgkmcnt(0)
	v_mul_f32_e32 v44, s28, v44
	s_branch .LBB30_137
.LBB30_136:
	v_mov_b32_e32 v44, 0
.LBB30_137:
	v_max_f32_e32 v45, v36, v36
	v_max_f32_e32 v46, v20, v20
	v_min_f32_e32 v46, v46, v45
	v_max_f32_e32 v45, v37, v37
	v_max_f32_e32 v47, v21, v21
	v_min_f32_e32 v47, v47, v45
	v_pk_add_f32 v[46:47], v[72:73], v[46:47]
	v_max_f32_e32 v45, v38, v38
	v_max_f32_e32 v72, v22, v22
	v_min_f32_e32 v72, v72, v45
	v_max_f32_e32 v45, v39, v39
	v_max_f32_e32 v73, v23, v23
	v_min_f32_e32 v73, v73, v45
	v_pk_add_f32 v[46:47], v[46:47], v[72:73]
	s_nop 0
	v_add_f32_e32 v45, v46, v47
	v_add_f32_e32 v46, v45, v44
	v_lshl_add_u64 v[44:45], v[104:105], 2, v[40:41]
	global_store_dword v[44:45], v46, off
	s_or_b64 exec, exec, s[26:27]
	s_and_b64 s[30:31], s[10:11], s[18:19]
	s_and_saveexec_b64 s[26:27], s[30:31]
	s_cbranch_execz .LBB30_119
.LBB30_138:
	s_and_b64 vcc, exec, s[0:1]
	s_cbranch_vccnz .LBB30_140
; %bb.139:
	v_lshl_add_u64 v[44:45], v[106:107], 2, v[42:43]
	flat_load_dword v44, v[44:45]
	s_waitcnt vmcnt(0) lgkmcnt(0)
	v_mul_f32_e32 v44, s28, v44
	s_branch .LBB30_141
.LBB30_140:
	v_mov_b32_e32 v44, 0
.LBB30_141:
	v_max_f32_e32 v45, v36, v36
	v_max_f32_e32 v46, v16, v16
	v_min_f32_e32 v46, v46, v45
	v_max_f32_e32 v45, v37, v37
	v_max_f32_e32 v47, v17, v17
	v_min_f32_e32 v47, v47, v45
	v_pk_add_f32 v[46:47], v[70:71], v[46:47]
	v_max_f32_e32 v45, v38, v38
	v_max_f32_e32 v70, v18, v18
	v_min_f32_e32 v70, v70, v45
	v_max_f32_e32 v45, v39, v39
	v_max_f32_e32 v71, v19, v19
	v_min_f32_e32 v71, v71, v45
	v_pk_add_f32 v[46:47], v[46:47], v[70:71]
	s_nop 0
	v_add_f32_e32 v45, v46, v47
	v_add_f32_e32 v46, v45, v44
	v_lshl_add_u64 v[44:45], v[106:107], 2, v[40:41]
	global_store_dword v[44:45], v46, off
	s_or_b64 exec, exec, s[26:27]
	s_and_b64 s[30:31], s[12:13], s[18:19]
	s_and_saveexec_b64 s[26:27], s[30:31]
	s_cbranch_execz .LBB30_120
.LBB30_142:
	s_and_b64 vcc, exec, s[0:1]
	s_cbranch_vccnz .LBB30_144
; %bb.143:
	v_lshl_add_u64 v[44:45], v[108:109], 2, v[42:43]
	flat_load_dword v44, v[44:45]
	s_waitcnt vmcnt(0) lgkmcnt(0)
	v_mul_f32_e32 v44, s28, v44
	s_branch .LBB30_145
.LBB30_144:
	v_mov_b32_e32 v44, 0
.LBB30_145:
	v_max_f32_e32 v45, v36, v36
	v_max_f32_e32 v46, v12, v12
	v_min_f32_e32 v46, v46, v45
	v_max_f32_e32 v45, v37, v37
	v_max_f32_e32 v47, v13, v13
	v_min_f32_e32 v47, v47, v45
	v_pk_add_f32 v[46:47], v[68:69], v[46:47]
	v_max_f32_e32 v45, v38, v38
	v_max_f32_e32 v68, v14, v14
	v_min_f32_e32 v68, v68, v45
	v_max_f32_e32 v45, v39, v39
	v_max_f32_e32 v69, v15, v15
	v_min_f32_e32 v69, v69, v45
	v_pk_add_f32 v[46:47], v[46:47], v[68:69]
	s_nop 0
	v_add_f32_e32 v45, v46, v47
	v_add_f32_e32 v46, v45, v44
	v_lshl_add_u64 v[44:45], v[108:109], 2, v[40:41]
	global_store_dword v[44:45], v46, off
	s_or_b64 exec, exec, s[26:27]
	s_and_b64 s[30:31], s[14:15], s[18:19]
	s_and_saveexec_b64 s[26:27], s[30:31]
	s_cbranch_execz .LBB30_121
.LBB30_146:
	s_and_b64 vcc, exec, s[0:1]
	s_cbranch_vccnz .LBB30_148
; %bb.147:
	v_lshl_add_u64 v[44:45], v[110:111], 2, v[42:43]
	flat_load_dword v44, v[44:45]
	s_waitcnt vmcnt(0) lgkmcnt(0)
	v_mul_f32_e32 v44, s28, v44
	s_branch .LBB30_149
.LBB30_148:
	v_mov_b32_e32 v44, 0
.LBB30_149:
	v_max_f32_e32 v45, v36, v36
	v_max_f32_e32 v46, v8, v8
	v_min_f32_e32 v46, v46, v45
	v_max_f32_e32 v45, v37, v37
	v_max_f32_e32 v47, v9, v9
	v_min_f32_e32 v47, v47, v45
	v_pk_add_f32 v[46:47], v[66:67], v[46:47]
	v_max_f32_e32 v45, v38, v38
	v_max_f32_e32 v66, v10, v10
	v_min_f32_e32 v66, v66, v45
	v_max_f32_e32 v45, v39, v39
	v_max_f32_e32 v67, v11, v11
	v_min_f32_e32 v67, v67, v45
	v_pk_add_f32 v[46:47], v[46:47], v[66:67]
	s_nop 0
	v_add_f32_e32 v45, v46, v47
	v_add_f32_e32 v46, v45, v44
	v_lshl_add_u64 v[44:45], v[110:111], 2, v[40:41]
	global_store_dword v[44:45], v46, off
	s_or_b64 exec, exec, s[26:27]
	s_and_b64 s[26:27], s[16:17], s[18:19]
	s_and_saveexec_b64 s[18:19], s[26:27]
	s_cbranch_execz .LBB30_154
.LBB30_150:
	s_and_b64 vcc, exec, s[0:1]
	s_cbranch_vccnz .LBB30_152
; %bb.151:
	v_lshl_add_u64 v[42:43], v[112:113], 2, v[42:43]
	flat_load_dword v42, v[42:43]
	s_waitcnt vmcnt(0) lgkmcnt(0)
	v_mul_f32_e32 v42, s28, v42
	s_branch .LBB30_153
.LBB30_152:
	v_mov_b32_e32 v42, 0
.LBB30_153:
	v_max_f32_e32 v37, v37, v37
	v_max_f32_e32 v43, v5, v5
	v_min_f32_e32 v37, v43, v37
	v_max_f32_e32 v36, v36, v36
	v_max_f32_e32 v43, v4, v4
	v_min_f32_e32 v36, v43, v36
	;; [unrolled: 3-line block ×3, first 2 shown]
	v_max_f32_e32 v38, v38, v38
	v_max_f32_e32 v43, v6, v6
	v_pk_add_f32 v[36:37], v[64:65], v[36:37]
	v_min_f32_e32 v38, v43, v38
	v_pk_add_f32 v[36:37], v[36:37], v[38:39]
	s_nop 0
	v_add_f32_e32 v36, v36, v37
	v_add_f32_e32 v38, v36, v42
	v_lshl_add_u64 v[36:37], v[112:113], 2, v[40:41]
	global_store_dword v[36:37], v38, off
.LBB30_154:
	s_or_b64 exec, exec, s[18:19]
	v_add_u32_e32 v40, 0x60, v126
	v_cmp_gt_i32_e64 s[18:19], s21, v40
	v_mad_i64_i32 v[36:37], s[20:21], v40, s33, 0
	v_lshl_add_u64 v[38:39], v[36:37], 2, s[24:25]
	v_mad_i64_i32 v[36:37], s[20:21], v40, s29, 0
	v_lshl_add_u64 v[36:37], v[36:37], 2, s[22:23]
	s_and_b64 s[20:21], s[2:3], s[18:19]
	s_and_saveexec_b64 s[2:3], s[20:21]
	s_cbranch_execnz .LBB30_163
; %bb.155:
	s_or_b64 exec, exec, s[2:3]
	s_and_b64 s[4:5], s[4:5], s[18:19]
	s_and_saveexec_b64 s[2:3], s[4:5]
	s_cbranch_execnz .LBB30_167
.LBB30_156:
	s_or_b64 exec, exec, s[2:3]
	s_and_b64 s[4:5], s[6:7], s[18:19]
	s_and_saveexec_b64 s[2:3], s[4:5]
	s_cbranch_execnz .LBB30_171
.LBB30_157:
	s_or_b64 exec, exec, s[2:3]
	s_and_b64 s[4:5], s[8:9], s[18:19]
	s_and_saveexec_b64 s[2:3], s[4:5]
	s_cbranch_execnz .LBB30_175
.LBB30_158:
	s_or_b64 exec, exec, s[2:3]
	s_and_b64 s[4:5], s[10:11], s[18:19]
	s_and_saveexec_b64 s[2:3], s[4:5]
	s_cbranch_execnz .LBB30_179
.LBB30_159:
	s_or_b64 exec, exec, s[2:3]
	s_and_b64 s[4:5], s[12:13], s[18:19]
	s_and_saveexec_b64 s[2:3], s[4:5]
	s_cbranch_execnz .LBB30_183
.LBB30_160:
	s_or_b64 exec, exec, s[2:3]
	s_and_b64 s[4:5], s[14:15], s[18:19]
	s_and_saveexec_b64 s[2:3], s[4:5]
	s_cbranch_execnz .LBB30_187
.LBB30_161:
	s_or_b64 exec, exec, s[2:3]
	s_and_b64 s[2:3], s[16:17], s[18:19]
	s_and_saveexec_b64 s[4:5], s[2:3]
	s_cbranch_execnz .LBB30_191
.LBB30_162:
	s_endpgm
.LBB30_163:
	s_and_b64 vcc, exec, s[0:1]
	s_cbranch_vccnz .LBB30_165
; %bb.164:
	v_lshl_add_u64 v[40:41], v[98:99], 2, v[38:39]
	flat_load_dword v40, v[40:41]
	s_waitcnt vmcnt(0) lgkmcnt(0)
	v_mul_f32_e32 v40, s28, v40
	s_branch .LBB30_166
.LBB30_165:
	v_mov_b32_e32 v40, 0
.LBB30_166:
	v_max_f32_e32 v41, v1, v1
	v_max_f32_e32 v33, v33, v33
	v_min_f32_e32 v33, v33, v41
	v_max_f32_e32 v41, v0, v0
	v_max_f32_e32 v32, v32, v32
	v_min_f32_e32 v32, v32, v41
	;; [unrolled: 3-line block ×3, first 2 shown]
	v_max_f32_e32 v41, v2, v2
	v_max_f32_e32 v34, v34, v34
	v_pk_add_f32 v[32:33], v[62:63], v[32:33]
	v_min_f32_e32 v34, v34, v41
	v_pk_add_f32 v[32:33], v[32:33], v[34:35]
	s_nop 0
	v_add_f32_e32 v32, v32, v33
	v_add_f32_e32 v34, v32, v40
	v_lshl_add_u64 v[32:33], v[98:99], 2, v[36:37]
	global_store_dword v[32:33], v34, off
	s_or_b64 exec, exec, s[2:3]
	s_and_b64 s[4:5], s[4:5], s[18:19]
	s_and_saveexec_b64 s[2:3], s[4:5]
	s_cbranch_execz .LBB30_156
.LBB30_167:
	s_and_b64 vcc, exec, s[0:1]
	s_cbranch_vccnz .LBB30_169
; %bb.168:
	v_lshl_add_u64 v[32:33], v[100:101], 2, v[38:39]
	flat_load_dword v32, v[32:33]
	s_waitcnt vmcnt(0) lgkmcnt(0)
	v_mul_f32_e32 v32, s28, v32
	s_branch .LBB30_170
.LBB30_169:
	v_mov_b32_e32 v32, 0
.LBB30_170:
	v_max_f32_e32 v33, v1, v1
	v_max_f32_e32 v29, v29, v29
	v_min_f32_e32 v29, v29, v33
	v_max_f32_e32 v33, v0, v0
	v_max_f32_e32 v28, v28, v28
	v_min_f32_e32 v28, v28, v33
	;; [unrolled: 3-line block ×3, first 2 shown]
	v_max_f32_e32 v33, v2, v2
	v_max_f32_e32 v30, v30, v30
	v_pk_add_f32 v[28:29], v[60:61], v[28:29]
	v_min_f32_e32 v30, v30, v33
	v_pk_add_f32 v[28:29], v[28:29], v[30:31]
	s_nop 0
	v_add_f32_e32 v28, v28, v29
	v_add_f32_e32 v30, v28, v32
	v_lshl_add_u64 v[28:29], v[100:101], 2, v[36:37]
	global_store_dword v[28:29], v30, off
	s_or_b64 exec, exec, s[2:3]
	s_and_b64 s[4:5], s[6:7], s[18:19]
	s_and_saveexec_b64 s[2:3], s[4:5]
	s_cbranch_execz .LBB30_157
.LBB30_171:
	s_and_b64 vcc, exec, s[0:1]
	s_cbranch_vccnz .LBB30_173
; %bb.172:
	v_lshl_add_u64 v[28:29], v[102:103], 2, v[38:39]
	flat_load_dword v28, v[28:29]
	s_waitcnt vmcnt(0) lgkmcnt(0)
	v_mul_f32_e32 v28, s28, v28
	s_branch .LBB30_174
.LBB30_173:
	v_mov_b32_e32 v28, 0
.LBB30_174:
	v_max_f32_e32 v29, v1, v1
	v_max_f32_e32 v25, v25, v25
	v_min_f32_e32 v25, v25, v29
	v_max_f32_e32 v29, v0, v0
	v_max_f32_e32 v24, v24, v24
	v_min_f32_e32 v24, v24, v29
	;; [unrolled: 3-line block ×3, first 2 shown]
	v_max_f32_e32 v29, v2, v2
	v_max_f32_e32 v26, v26, v26
	v_pk_add_f32 v[24:25], v[58:59], v[24:25]
	v_min_f32_e32 v26, v26, v29
	v_pk_add_f32 v[24:25], v[24:25], v[26:27]
	s_nop 0
	v_add_f32_e32 v24, v24, v25
	v_add_f32_e32 v26, v24, v28
	v_lshl_add_u64 v[24:25], v[102:103], 2, v[36:37]
	global_store_dword v[24:25], v26, off
	s_or_b64 exec, exec, s[2:3]
	s_and_b64 s[4:5], s[8:9], s[18:19]
	s_and_saveexec_b64 s[2:3], s[4:5]
	s_cbranch_execz .LBB30_158
.LBB30_175:
	s_and_b64 vcc, exec, s[0:1]
	s_cbranch_vccnz .LBB30_177
; %bb.176:
	v_lshl_add_u64 v[24:25], v[104:105], 2, v[38:39]
	flat_load_dword v24, v[24:25]
	s_waitcnt vmcnt(0) lgkmcnt(0)
	v_mul_f32_e32 v24, s28, v24
	s_branch .LBB30_178
.LBB30_177:
	v_mov_b32_e32 v24, 0
.LBB30_178:
	v_max_f32_e32 v25, v1, v1
	v_max_f32_e32 v21, v21, v21
	v_min_f32_e32 v21, v21, v25
	v_max_f32_e32 v25, v0, v0
	v_max_f32_e32 v20, v20, v20
	v_min_f32_e32 v20, v20, v25
	;; [unrolled: 3-line block ×3, first 2 shown]
	v_max_f32_e32 v25, v2, v2
	v_max_f32_e32 v22, v22, v22
	v_pk_add_f32 v[20:21], v[56:57], v[20:21]
	v_min_f32_e32 v22, v22, v25
	v_pk_add_f32 v[20:21], v[20:21], v[22:23]
	s_nop 0
	v_add_f32_e32 v20, v20, v21
	v_add_f32_e32 v22, v20, v24
	v_lshl_add_u64 v[20:21], v[104:105], 2, v[36:37]
	global_store_dword v[20:21], v22, off
	s_or_b64 exec, exec, s[2:3]
	s_and_b64 s[4:5], s[10:11], s[18:19]
	s_and_saveexec_b64 s[2:3], s[4:5]
	s_cbranch_execz .LBB30_159
.LBB30_179:
	s_and_b64 vcc, exec, s[0:1]
	s_cbranch_vccnz .LBB30_181
; %bb.180:
	v_lshl_add_u64 v[20:21], v[106:107], 2, v[38:39]
	flat_load_dword v20, v[20:21]
	s_waitcnt vmcnt(0) lgkmcnt(0)
	v_mul_f32_e32 v20, s28, v20
	s_branch .LBB30_182
.LBB30_181:
	v_mov_b32_e32 v20, 0
.LBB30_182:
	v_max_f32_e32 v21, v1, v1
	v_max_f32_e32 v17, v17, v17
	v_min_f32_e32 v17, v17, v21
	v_max_f32_e32 v21, v0, v0
	v_max_f32_e32 v16, v16, v16
	v_min_f32_e32 v16, v16, v21
	;; [unrolled: 3-line block ×3, first 2 shown]
	v_max_f32_e32 v21, v2, v2
	v_max_f32_e32 v18, v18, v18
	v_pk_add_f32 v[16:17], v[54:55], v[16:17]
	v_min_f32_e32 v18, v18, v21
	v_pk_add_f32 v[16:17], v[16:17], v[18:19]
	s_nop 0
	v_add_f32_e32 v16, v16, v17
	v_add_f32_e32 v18, v16, v20
	v_lshl_add_u64 v[16:17], v[106:107], 2, v[36:37]
	global_store_dword v[16:17], v18, off
	s_or_b64 exec, exec, s[2:3]
	s_and_b64 s[4:5], s[12:13], s[18:19]
	s_and_saveexec_b64 s[2:3], s[4:5]
	s_cbranch_execz .LBB30_160
.LBB30_183:
	s_and_b64 vcc, exec, s[0:1]
	s_cbranch_vccnz .LBB30_185
; %bb.184:
	v_lshl_add_u64 v[16:17], v[108:109], 2, v[38:39]
	flat_load_dword v16, v[16:17]
	s_waitcnt vmcnt(0) lgkmcnt(0)
	v_mul_f32_e32 v16, s28, v16
	s_branch .LBB30_186
.LBB30_185:
	v_mov_b32_e32 v16, 0
.LBB30_186:
	v_max_f32_e32 v17, v1, v1
	v_max_f32_e32 v13, v13, v13
	v_min_f32_e32 v13, v13, v17
	v_max_f32_e32 v17, v0, v0
	v_max_f32_e32 v12, v12, v12
	v_min_f32_e32 v12, v12, v17
	;; [unrolled: 3-line block ×3, first 2 shown]
	v_max_f32_e32 v17, v2, v2
	v_max_f32_e32 v14, v14, v14
	v_pk_add_f32 v[12:13], v[52:53], v[12:13]
	v_min_f32_e32 v14, v14, v17
	v_pk_add_f32 v[12:13], v[12:13], v[14:15]
	s_nop 0
	v_add_f32_e32 v12, v12, v13
	v_add_f32_e32 v14, v12, v16
	v_lshl_add_u64 v[12:13], v[108:109], 2, v[36:37]
	global_store_dword v[12:13], v14, off
	s_or_b64 exec, exec, s[2:3]
	s_and_b64 s[4:5], s[14:15], s[18:19]
	s_and_saveexec_b64 s[2:3], s[4:5]
	s_cbranch_execz .LBB30_161
.LBB30_187:
	s_and_b64 vcc, exec, s[0:1]
	s_cbranch_vccnz .LBB30_189
; %bb.188:
	v_lshl_add_u64 v[12:13], v[110:111], 2, v[38:39]
	flat_load_dword v12, v[12:13]
	s_waitcnt vmcnt(0) lgkmcnt(0)
	v_mul_f32_e32 v12, s28, v12
	s_branch .LBB30_190
.LBB30_189:
	v_mov_b32_e32 v12, 0
.LBB30_190:
	v_max_f32_e32 v13, v1, v1
	v_max_f32_e32 v9, v9, v9
	v_min_f32_e32 v9, v9, v13
	v_max_f32_e32 v13, v0, v0
	v_max_f32_e32 v8, v8, v8
	v_min_f32_e32 v8, v8, v13
	;; [unrolled: 3-line block ×3, first 2 shown]
	v_max_f32_e32 v13, v2, v2
	v_max_f32_e32 v10, v10, v10
	v_pk_add_f32 v[8:9], v[50:51], v[8:9]
	v_min_f32_e32 v10, v10, v13
	v_pk_add_f32 v[8:9], v[8:9], v[10:11]
	s_nop 0
	v_add_f32_e32 v8, v8, v9
	v_add_f32_e32 v10, v8, v12
	v_lshl_add_u64 v[8:9], v[110:111], 2, v[36:37]
	global_store_dword v[8:9], v10, off
	s_or_b64 exec, exec, s[2:3]
	s_and_b64 s[2:3], s[16:17], s[18:19]
	s_and_saveexec_b64 s[4:5], s[2:3]
	s_cbranch_execz .LBB30_162
.LBB30_191:
	s_and_b64 vcc, exec, s[0:1]
	s_cbranch_vccnz .LBB30_193
; %bb.192:
	v_lshl_add_u64 v[8:9], v[112:113], 2, v[38:39]
	flat_load_dword v8, v[8:9]
	s_waitcnt vmcnt(0) lgkmcnt(0)
	v_mul_f32_e32 v8, s28, v8
	s_branch .LBB30_194
.LBB30_193:
	v_mov_b32_e32 v8, 0
.LBB30_194:
	v_max_f32_e32 v0, v0, v0
	v_max_f32_e32 v4, v4, v4
	;; [unrolled: 1-line block ×4, first 2 shown]
	v_min_f32_e32 v0, v4, v0
	v_max_f32_e32 v3, v3, v3
	v_max_f32_e32 v4, v7, v7
	v_min_f32_e32 v1, v5, v1
	v_min_f32_e32 v3, v4, v3
	v_max_f32_e32 v2, v2, v2
	v_max_f32_e32 v4, v6, v6
	v_pk_add_f32 v[0:1], v[48:49], v[0:1]
	v_min_f32_e32 v2, v4, v2
	v_pk_add_f32 v[0:1], v[0:1], v[2:3]
	s_nop 0
	v_add_f32_e32 v0, v0, v1
	v_add_f32_e32 v2, v0, v8
	v_lshl_add_u64 v[0:1], v[112:113], 2, v[36:37]
	global_store_dword v[0:1], v2, off
	s_endpgm
	.section	.rodata,"a",@progbits
	.p2align	6, 0x0
	.amdhsa_kernel _ZN12_GLOBAL__N_120geam_min_plus_kernelIf15HIP_vector_typeIfLj2EES2_Li8ELi32ELi64ELi128ELi4ELi64ELi4ELi4ELi64ELc78ELc78ELb0ELb1ELb0EPKfKS4_KPfEEviiiT16_PT17_ilSA_ilS8_SA_ilPT18_ili26rocblas_geam_ex_operation_
		.amdhsa_group_segment_fixed_size 6144
		.amdhsa_private_segment_fixed_size 0
		.amdhsa_kernarg_size 136
		.amdhsa_user_sgpr_count 2
		.amdhsa_user_sgpr_dispatch_ptr 0
		.amdhsa_user_sgpr_queue_ptr 0
		.amdhsa_user_sgpr_kernarg_segment_ptr 1
		.amdhsa_user_sgpr_dispatch_id 0
		.amdhsa_user_sgpr_kernarg_preload_length 0
		.amdhsa_user_sgpr_kernarg_preload_offset 0
		.amdhsa_user_sgpr_private_segment_size 0
		.amdhsa_uses_dynamic_stack 0
		.amdhsa_enable_private_segment 0
		.amdhsa_system_sgpr_workgroup_id_x 1
		.amdhsa_system_sgpr_workgroup_id_y 0
		.amdhsa_system_sgpr_workgroup_id_z 1
		.amdhsa_system_sgpr_workgroup_info 0
		.amdhsa_system_vgpr_workitem_id 1
		.amdhsa_next_free_vgpr 226
		.amdhsa_next_free_sgpr 36
		.amdhsa_accum_offset 228
		.amdhsa_reserve_vcc 1
		.amdhsa_float_round_mode_32 0
		.amdhsa_float_round_mode_16_64 0
		.amdhsa_float_denorm_mode_32 3
		.amdhsa_float_denorm_mode_16_64 3
		.amdhsa_dx10_clamp 1
		.amdhsa_ieee_mode 1
		.amdhsa_fp16_overflow 0
		.amdhsa_tg_split 0
		.amdhsa_exception_fp_ieee_invalid_op 0
		.amdhsa_exception_fp_denorm_src 0
		.amdhsa_exception_fp_ieee_div_zero 0
		.amdhsa_exception_fp_ieee_overflow 0
		.amdhsa_exception_fp_ieee_underflow 0
		.amdhsa_exception_fp_ieee_inexact 0
		.amdhsa_exception_int_div_zero 0
	.end_amdhsa_kernel
	.section	.text._ZN12_GLOBAL__N_120geam_min_plus_kernelIf15HIP_vector_typeIfLj2EES2_Li8ELi32ELi64ELi128ELi4ELi64ELi4ELi4ELi64ELc78ELc78ELb0ELb1ELb0EPKfKS4_KPfEEviiiT16_PT17_ilSA_ilS8_SA_ilPT18_ili26rocblas_geam_ex_operation_,"axG",@progbits,_ZN12_GLOBAL__N_120geam_min_plus_kernelIf15HIP_vector_typeIfLj2EES2_Li8ELi32ELi64ELi128ELi4ELi64ELi4ELi4ELi64ELc78ELc78ELb0ELb1ELb0EPKfKS4_KPfEEviiiT16_PT17_ilSA_ilS8_SA_ilPT18_ili26rocblas_geam_ex_operation_,comdat
.Lfunc_end30:
	.size	_ZN12_GLOBAL__N_120geam_min_plus_kernelIf15HIP_vector_typeIfLj2EES2_Li8ELi32ELi64ELi128ELi4ELi64ELi4ELi4ELi64ELc78ELc78ELb0ELb1ELb0EPKfKS4_KPfEEviiiT16_PT17_ilSA_ilS8_SA_ilPT18_ili26rocblas_geam_ex_operation_, .Lfunc_end30-_ZN12_GLOBAL__N_120geam_min_plus_kernelIf15HIP_vector_typeIfLj2EES2_Li8ELi32ELi64ELi128ELi4ELi64ELi4ELi4ELi64ELc78ELc78ELb0ELb1ELb0EPKfKS4_KPfEEviiiT16_PT17_ilSA_ilS8_SA_ilPT18_ili26rocblas_geam_ex_operation_
                                        ; -- End function
	.section	.AMDGPU.csdata,"",@progbits
; Kernel info:
; codeLenInByte = 11244
; NumSgprs: 42
; NumVgprs: 226
; NumAgprs: 0
; TotalNumVgprs: 226
; ScratchSize: 0
; MemoryBound: 0
; FloatMode: 240
; IeeeMode: 1
; LDSByteSize: 6144 bytes/workgroup (compile time only)
; SGPRBlocks: 5
; VGPRBlocks: 28
; NumSGPRsForWavesPerEU: 42
; NumVGPRsForWavesPerEU: 226
; AccumOffset: 228
; Occupancy: 2
; WaveLimiterHint : 1
; COMPUTE_PGM_RSRC2:SCRATCH_EN: 0
; COMPUTE_PGM_RSRC2:USER_SGPR: 2
; COMPUTE_PGM_RSRC2:TRAP_HANDLER: 0
; COMPUTE_PGM_RSRC2:TGID_X_EN: 1
; COMPUTE_PGM_RSRC2:TGID_Y_EN: 0
; COMPUTE_PGM_RSRC2:TGID_Z_EN: 1
; COMPUTE_PGM_RSRC2:TIDIG_COMP_CNT: 1
; COMPUTE_PGM_RSRC3_GFX90A:ACCUM_OFFSET: 56
; COMPUTE_PGM_RSRC3_GFX90A:TG_SPLIT: 0
	.section	.text._ZN12_GLOBAL__N_120geam_min_plus_kernelIf15HIP_vector_typeIfLj2EES2_Li8ELi32ELi64ELi128ELi4ELi64ELi4ELi4ELi64ELc78ELc78ELb1ELb1ELb0EfKPKfKPfEEviiiT16_PT17_ilSA_ilS8_SA_ilPT18_ili26rocblas_geam_ex_operation_,"axG",@progbits,_ZN12_GLOBAL__N_120geam_min_plus_kernelIf15HIP_vector_typeIfLj2EES2_Li8ELi32ELi64ELi128ELi4ELi64ELi4ELi4ELi64ELc78ELc78ELb1ELb1ELb0EfKPKfKPfEEviiiT16_PT17_ilSA_ilS8_SA_ilPT18_ili26rocblas_geam_ex_operation_,comdat
	.globl	_ZN12_GLOBAL__N_120geam_min_plus_kernelIf15HIP_vector_typeIfLj2EES2_Li8ELi32ELi64ELi128ELi4ELi64ELi4ELi4ELi64ELc78ELc78ELb1ELb1ELb0EfKPKfKPfEEviiiT16_PT17_ilSA_ilS8_SA_ilPT18_ili26rocblas_geam_ex_operation_ ; -- Begin function _ZN12_GLOBAL__N_120geam_min_plus_kernelIf15HIP_vector_typeIfLj2EES2_Li8ELi32ELi64ELi128ELi4ELi64ELi4ELi4ELi64ELc78ELc78ELb1ELb1ELb0EfKPKfKPfEEviiiT16_PT17_ilSA_ilS8_SA_ilPT18_ili26rocblas_geam_ex_operation_
	.p2align	8
	.type	_ZN12_GLOBAL__N_120geam_min_plus_kernelIf15HIP_vector_typeIfLj2EES2_Li8ELi32ELi64ELi128ELi4ELi64ELi4ELi4ELi64ELc78ELc78ELb1ELb1ELb0EfKPKfKPfEEviiiT16_PT17_ilSA_ilS8_SA_ilPT18_ili26rocblas_geam_ex_operation_,@function
_ZN12_GLOBAL__N_120geam_min_plus_kernelIf15HIP_vector_typeIfLj2EES2_Li8ELi32ELi64ELi128ELi4ELi64ELi4ELi4ELi64ELc78ELc78ELb1ELb1ELb0EfKPKfKPfEEviiiT16_PT17_ilSA_ilS8_SA_ilPT18_ili26rocblas_geam_ex_operation_: ; @_ZN12_GLOBAL__N_120geam_min_plus_kernelIf15HIP_vector_typeIfLj2EES2_Li8ELi32ELi64ELi128ELi4ELi64ELi4ELi4ELi64ELc78ELc78ELb1ELb1ELb0EfKPKfKPfEEviiiT16_PT17_ilSA_ilS8_SA_ilPT18_ili26rocblas_geam_ex_operation_
; %bb.0:
	s_load_dwordx4 s[20:23], s[0:1], 0x0
	s_load_dwordx4 s[4:7], s[0:1], 0x20
	s_mov_b32 s10, s3
	s_mov_b32 s11, 0
	s_waitcnt lgkmcnt(0)
	v_cmp_eq_f32_e64 s[8:9], s23, 0
	s_and_b64 vcc, exec, s[8:9]
	s_cbranch_vccnz .LBB31_3
; %bb.1:
	s_load_dwordx2 s[12:13], s[0:1], 0x10
	s_lshl_b64 s[14:15], s[10:11], 3
	s_waitcnt lgkmcnt(0)
	s_add_u32 s12, s12, s14
	s_addc_u32 s13, s13, s15
	s_load_dwordx2 s[12:13], s[12:13], 0x0
	s_lshl_b64 s[4:5], s[4:5], 2
	s_waitcnt lgkmcnt(0)
	s_add_u32 s14, s12, s4
	s_addc_u32 s15, s13, s5
	s_andn2_b64 vcc, exec, s[8:9]
	s_cbranch_vccnz .LBB31_4
.LBB31_2:
	s_mov_b64 s[16:17], 0
	s_cbranch_execz .LBB31_5
	s_branch .LBB31_6
.LBB31_3:
	s_mov_b64 s[14:15], 0
	s_andn2_b64 vcc, exec, s[8:9]
	s_cbranch_vccz .LBB31_2
.LBB31_4:
                                        ; implicit-def: $sgpr16_sgpr17
.LBB31_5:
	s_lshl_b64 s[8:9], s[10:11], 3
	s_add_u32 s6, s6, s8
	s_load_dwordx2 s[4:5], s[0:1], 0x38
	s_addc_u32 s7, s7, s9
	s_load_dwordx2 s[6:7], s[6:7], 0x0
	s_waitcnt lgkmcnt(0)
	s_lshl_b64 s[4:5], s[4:5], 2
	s_add_u32 s16, s6, s4
	s_addc_u32 s17, s7, s5
.LBB31_6:
	s_load_dword s28, s[0:1], 0x40
	s_load_dwordx4 s[4:7], s[0:1], 0x58
	s_waitcnt lgkmcnt(0)
	v_cmp_eq_f32_e64 s[12:13], s28, 0
	v_cmp_neq_f32_e64 s[8:9], s28, 0
	s_and_b64 vcc, exec, s[12:13]
	s_cbranch_vccnz .LBB31_8
; %bb.7:
	s_load_dwordx2 s[12:13], s[0:1], 0x48
	s_lshl_b64 s[18:19], s[10:11], 3
	s_waitcnt lgkmcnt(0)
	s_add_u32 s12, s12, s18
	s_addc_u32 s13, s13, s19
	s_load_dwordx2 s[12:13], s[12:13], 0x0
	s_lshl_b64 s[4:5], s[4:5], 2
	s_waitcnt lgkmcnt(0)
	s_add_u32 s24, s12, s4
	s_addc_u32 s25, s13, s5
	s_branch .LBB31_9
.LBB31_8:
	s_mov_b64 s[24:25], 0
.LBB31_9:
	s_load_dword s18, s[0:1], 0x18
	s_lshl_b64 s[4:5], s[10:11], 3
	v_and_b32_e32 v206, 0x3ff, v0
	v_bfe_u32 v207, v0, 10, 10
	v_lshl_add_u32 v2, v207, 3, v206
	s_waitcnt lgkmcnt(0)
	s_ashr_i32 s19, s18, 31
	s_add_u32 s4, s6, s4
	s_addc_u32 s5, s7, s5
	s_add_i32 s3, s20, -1
	s_ashr_i32 s6, s3, 31
	s_lshr_b32 s6, s6, 26
	s_add_i32 s3, s3, s6
	s_ashr_i32 s3, s3, 6
	s_add_i32 s7, s3, 1
	v_cvt_f32_u32_e32 v1, s7
	s_load_dwordx2 s[10:11], s[4:5], 0x0
	s_not_b32 s3, s3
	v_and_b32_e32 v9, 63, v2
	v_rcp_iflag_f32_e32 v0, v1
	v_lshrrev_b32_e32 v208, 6, v2
	v_cmp_gt_i32_e32 vcc, s22, v208
	v_mov_b32_e32 v71, 0
	v_mul_f32_e32 v0, 0x4f7ffffe, v0
	v_cvt_u32_f32_e32 v0, v0
	v_mov_b32_e32 v10, 0
	v_readfirstlane_b32 s4, v0
	s_mul_i32 s3, s3, s4
	s_mul_hi_u32 s3, s4, s3
	s_add_i32 s4, s4, s3
	s_mul_hi_u32 s3, s2, s4
	s_mul_i32 s4, s3, s7
	s_sub_i32 s4, s2, s4
	s_add_i32 s5, s3, 1
	s_sub_i32 s6, s4, s7
	s_cmp_ge_u32 s4, s7
	s_cselect_b32 s3, s5, s3
	s_cselect_b32 s4, s6, s4
	s_add_i32 s5, s3, 1
	s_cmp_ge_u32 s4, s7
	s_cselect_b32 s6, s5, s3
	s_mul_i32 s3, s6, s7
	s_sub_i32 s2, s2, s3
	s_lshl_b32 s26, s2, 6
	v_or_b32_e32 v0, s26, v9
	v_cmp_gt_i32_e64 s[2:3], s20, v0
	v_cmp_le_i32_e64 s[4:5], s20, v0
	s_and_b64 s[12:13], vcc, s[2:3]
	v_ashrrev_i32_e32 v1, 31, v0
	s_and_saveexec_b64 s[2:3], s[12:13]
	s_cbranch_execz .LBB31_11
; %bb.10:
	v_mad_i64_i32 v[4:5], s[12:13], s18, v208, 0
	v_lshl_add_u64 v[4:5], v[4:5], 2, s[14:15]
	v_lshl_add_u64 v[4:5], v[0:1], 2, v[4:5]
	flat_load_dword v10, v[4:5]
.LBB31_11:
	s_or_b64 exec, exec, s[2:3]
	s_load_dword s29, s[0:1], 0x30
	v_lshrrev_b32_e32 v11, 2, v2
	s_lshl_b32 s27, s6, 7
	v_and_b32_e32 v211, 3, v206
	v_add_u32_e32 v4, s27, v11
	v_cmp_le_i32_e64 s[6:7], s22, v211
	v_cmp_le_i32_e32 vcc, s21, v4
	v_lshlrev_b32_e32 v70, 2, v211
	s_or_b64 s[2:3], s[6:7], vcc
	v_lshl_add_u64 v[2:3], s[16:17], 0, v[70:71]
	s_xor_b64 s[12:13], s[2:3], -1
	s_and_saveexec_b64 s[2:3], s[12:13]
	s_cbranch_execz .LBB31_13
; %bb.12:
	s_waitcnt lgkmcnt(0)
	v_mad_i64_i32 v[6:7], s[12:13], v4, s29, 0
	v_lshl_add_u64 v[6:7], v[6:7], 2, v[2:3]
	flat_load_dword v71, v[6:7]
.LBB31_13:
	s_or_b64 exec, exec, s[2:3]
	v_add_u32_e32 v5, 64, v4
	v_cmp_le_i32_e64 s[2:3], s21, v5
	s_or_b64 s[6:7], s[6:7], s[2:3]
	s_xor_b64 s[12:13], s[6:7], -1
	v_mov_b32_e32 v6, 0
	v_mov_b32_e32 v12, 0
	s_and_saveexec_b64 s[6:7], s[12:13]
	s_cbranch_execz .LBB31_15
; %bb.14:
	s_waitcnt lgkmcnt(0)
	v_mad_i64_i32 v[12:13], s[12:13], v5, s29, 0
	v_lshl_add_u64 v[12:13], v[12:13], 2, v[2:3]
	flat_load_dword v12, v[12:13]
.LBB31_15:
	s_or_b64 exec, exec, s[6:7]
	v_add_u32_e32 v7, 4, v208
	v_cmp_gt_i32_e64 s[6:7], s22, v7
	s_xor_b64 s[12:13], s[4:5], -1
	s_and_b64 s[6:7], s[12:13], s[6:7]
	s_and_saveexec_b64 s[4:5], s[6:7]
	s_cbranch_execz .LBB31_17
; %bb.16:
	v_mad_u64_u32 v[14:15], s[6:7], s18, v7, 0
	v_mov_b32_e32 v6, v15
	v_mad_u64_u32 v[6:7], s[6:7], s19, v7, v[6:7]
	v_mov_b32_e32 v15, v6
	v_lshl_add_u64 v[6:7], v[14:15], 2, s[14:15]
	v_lshl_add_u64 v[6:7], v[0:1], 2, v[6:7]
	flat_load_dword v6, v[6:7]
.LBB31_17:
	s_or_b64 exec, exec, s[4:5]
	v_or_b32_e32 v7, 4, v211
	v_cmp_le_i32_e64 s[4:5], s22, v7
	s_or_b64 s[6:7], s[4:5], vcc
	s_xor_b64 s[30:31], s[6:7], -1
	v_mov_b32_e32 v7, 0
	v_mov_b32_e32 v8, 0
	s_and_saveexec_b64 s[6:7], s[30:31]
	s_cbranch_execz .LBB31_19
; %bb.18:
	s_waitcnt lgkmcnt(0)
	v_mad_i64_i32 v[14:15], s[30:31], v4, s29, 0
	v_lshl_add_u64 v[14:15], v[14:15], 2, v[2:3]
	flat_load_dword v8, v[14:15] offset:16
.LBB31_19:
	s_or_b64 exec, exec, s[6:7]
	s_or_b64 s[4:5], s[4:5], s[2:3]
	s_xor_b64 s[6:7], s[4:5], -1
	s_and_saveexec_b64 s[4:5], s[6:7]
	s_cbranch_execz .LBB31_21
; %bb.20:
	s_waitcnt lgkmcnt(0)
	v_mad_i64_i32 v[14:15], s[6:7], v5, s29, 0
	v_lshl_add_u64 v[2:3], v[14:15], 2, v[2:3]
	flat_load_dword v7, v[2:3] offset:16
.LBB31_21:
	s_or_b64 exec, exec, s[4:5]
	v_lshlrev_b32_e32 v2, 4, v9
	v_lshl_add_u32 v2, v208, 2, v2
	v_lshl_or_b32 v212, v11, 4, v70
	v_lshlrev_b32_e32 v210, 4, v207
	s_waitcnt vmcnt(0) lgkmcnt(0)
	ds_write_b32 v2, v10 offset:4096
	ds_write2st64_b32 v212, v71, v12 offset1:4
	s_waitcnt lgkmcnt(0)
	s_barrier
	ds_read_b128 v[10:13], v210
	v_lshlrev_b32_e32 v209, 4, v206
	ds_read_b128 v[14:17], v209 offset:4992
	ds_read_b128 v[18:21], v210 offset:512
	;; [unrolled: 1-line block ×5, first 2 shown]
	s_waitcnt lgkmcnt(5)
	v_max_f32_e32 v3, v11, v11
	s_waitcnt lgkmcnt(4)
	v_max_f32_e32 v9, v15, v15
	v_max_f32_e32 v56, v10, v10
	;; [unrolled: 1-line block ×3, first 2 shown]
	ds_read_b128 v[34:37], v209 offset:4096
	ds_read_b128 v[38:41], v209 offset:4224
	v_max_f32_e32 v71, v13, v13
	v_max_f32_e32 v124, v17, v17
	;; [unrolled: 1-line block ×4, first 2 shown]
	ds_read_b128 v[10:13], v209 offset:4352
	ds_read_b128 v[14:17], v209 offset:4480
	s_waitcnt lgkmcnt(4)
	v_max_f32_e32 v128, v33, v33
	v_max_f32_e32 v129, v32, v32
	s_waitcnt lgkmcnt(2)
	v_max_f32_e32 v72, v40, v40
	s_waitcnt lgkmcnt(1)
	v_max_f32_e32 v32, v10, v10
	v_max_f32_e32 v33, v11, v11
	s_waitcnt lgkmcnt(0)
	v_max_f32_e32 v42, v14, v14
	v_max_f32_e32 v74, v12, v12
	;; [unrolled: 1-line block ×3, first 2 shown]
	ds_read_b128 v[10:13], v209 offset:4608
	v_max_f32_e32 v40, v15, v15
	v_max_f32_e32 v86, v16, v16
	;; [unrolled: 1-line block ×3, first 2 shown]
	ds_read_b128 v[14:17], v209 offset:4736
	v_max_f32_e32 v58, v19, v19
	v_max_f32_e32 v59, v18, v18
	;; [unrolled: 1-line block ×6, first 2 shown]
	s_waitcnt lgkmcnt(0)
	v_max_f32_e32 v54, v14, v14
	v_max_f32_e32 v55, v15, v15
	;; [unrolled: 1-line block ×10, first 2 shown]
	v_min_f32_e32 v50, v54, v56
	v_min_f32_e32 v51, v55, v3
	;; [unrolled: 1-line block ×10, first 2 shown]
	v_max_f32_e32 v126, v21, v21
	v_max_f32_e32 v127, v20, v20
	;; [unrolled: 1-line block ×11, first 2 shown]
	v_min_f32_e32 v10, v18, v56
	v_min_f32_e32 v12, v18, v59
	;; [unrolled: 1-line block ×37, first 2 shown]
	v_pk_add_f32 v[54:55], v[54:55], 0 op_sel_hi:[1,0]
	v_min_f32_e32 v61, v124, v71
	v_min_f32_e32 v60, v125, v112
	v_pk_add_f32 v[98:99], v[54:55], v[60:61]
	v_pk_add_f32 v[54:55], v[56:57], 0 op_sel_hi:[1,0]
	v_min_f32_e32 v57, v124, v126
	v_min_f32_e32 v56, v125, v127
	;; [unrolled: 1-line block ×3, first 2 shown]
	v_pk_add_f32 v[82:83], v[54:55], v[56:57]
	v_pk_add_f32 v[54:55], v[58:59], 0 op_sel_hi:[1,0]
	v_min_f32_e32 v57, v124, v128
	v_min_f32_e32 v56, v125, v129
	;; [unrolled: 1-line block ×8, first 2 shown]
	v_pk_add_f32 v[64:65], v[54:55], v[56:57]
	v_pk_add_f32 v[10:11], v[10:11], 0 op_sel_hi:[1,0]
	v_min_f32_e32 v54, v68, v112
	v_min_f32_e32 v55, v69, v71
	v_pk_add_f32 v[122:123], v[10:11], v[54:55]
	v_pk_add_f32 v[10:11], v[12:13], 0 op_sel_hi:[1,0]
	v_min_f32_e32 v12, v68, v127
	v_min_f32_e32 v13, v69, v126
	v_max_f32_e32 v132, v17, v17
	v_min_f32_e32 v17, v19, v63
	v_pk_add_f32 v[96:97], v[10:11], v[12:13]
	v_pk_add_f32 v[10:11], v[14:15], 0 op_sel_hi:[1,0]
	v_min_f32_e32 v12, v68, v129
	v_min_f32_e32 v13, v69, v128
	;; [unrolled: 1-line block ×3, first 2 shown]
	v_pk_add_f32 v[80:81], v[10:11], v[12:13]
	v_min_f32_e32 v11, v69, v130
	v_min_f32_e32 v10, v68, v131
	v_pk_add_f32 v[12:13], v[16:17], 0 op_sel_hi:[1,0]
	v_max_f32_e32 v134, v25, v25
	v_min_f32_e32 v25, v27, v63
	v_min_f32_e32 v27, v33, v3
	;; [unrolled: 1-line block ×7, first 2 shown]
	v_pk_add_f32 v[62:63], v[12:13], v[10:11]
	v_pk_add_f32 v[10:11], v[18:19], 0 op_sel_hi:[1,0]
	v_min_f32_e32 v12, v72, v112
	v_min_f32_e32 v13, v73, v71
	v_pk_add_f32 v[120:121], v[10:11], v[12:13]
	v_pk_add_f32 v[10:11], v[20:21], 0 op_sel_hi:[1,0]
	v_min_f32_e32 v12, v72, v127
	v_min_f32_e32 v13, v73, v126
	;; [unrolled: 4-line block ×3, first 2 shown]
	v_pk_add_f32 v[78:79], v[10:11], v[12:13]
	v_min_f32_e32 v11, v73, v130
	v_min_f32_e32 v10, v72, v131
	v_pk_add_f32 v[12:13], v[24:25], 0 op_sel_hi:[1,0]
	v_min_f32_e32 v101, v76, v3
	v_pk_add_f32 v[60:61], v[12:13], v[10:11]
	v_pk_add_f32 v[10:11], v[26:27], 0 op_sel_hi:[1,0]
	v_min_f32_e32 v12, v74, v112
	v_min_f32_e32 v13, v75, v71
	v_pk_add_f32 v[118:119], v[10:11], v[12:13]
	v_pk_add_f32 v[10:11], v[28:29], 0 op_sel_hi:[1,0]
	v_min_f32_e32 v12, v74, v127
	;; [unrolled: 4-line block ×3, first 2 shown]
	v_min_f32_e32 v13, v75, v128
	v_pk_add_f32 v[76:77], v[10:11], v[12:13]
	v_min_f32_e32 v11, v75, v130
	v_min_f32_e32 v10, v74, v131
	v_pk_add_f32 v[12:13], v[32:33], 0 op_sel_hi:[1,0]
	s_cmp_lt_i32 s22, 9
	v_pk_add_f32 v[58:59], v[12:13], v[10:11]
	v_pk_add_f32 v[10:11], v[34:35], 0 op_sel_hi:[1,0]
	v_min_f32_e32 v12, v86, v112
	v_min_f32_e32 v13, v87, v71
	v_pk_add_f32 v[116:117], v[10:11], v[12:13]
	v_pk_add_f32 v[10:11], v[36:37], 0 op_sel_hi:[1,0]
	v_min_f32_e32 v12, v86, v127
	v_min_f32_e32 v13, v87, v126
	;; [unrolled: 4-line block ×3, first 2 shown]
	v_pk_add_f32 v[74:75], v[10:11], v[12:13]
	v_min_f32_e32 v11, v87, v130
	v_min_f32_e32 v10, v86, v131
	v_pk_add_f32 v[12:13], v[40:41], 0 op_sel_hi:[1,0]
	ds_write2st64_b32 v212, v8, v7 offset0:8 offset1:12
	ds_write_b32 v2, v6 offset:5120
	v_pk_add_f32 v[56:57], v[12:13], v[10:11]
	v_pk_add_f32 v[10:11], v[42:43], 0 op_sel_hi:[1,0]
	v_min_f32_e32 v12, v110, v112
	v_min_f32_e32 v13, v111, v71
	v_pk_add_f32 v[114:115], v[10:11], v[12:13]
	v_pk_add_f32 v[10:11], v[44:45], 0 op_sel_hi:[1,0]
	v_min_f32_e32 v12, v110, v127
	v_min_f32_e32 v13, v111, v126
	;; [unrolled: 4-line block ×3, first 2 shown]
	v_pk_add_f32 v[72:73], v[10:11], v[12:13]
	v_min_f32_e32 v11, v111, v130
	v_min_f32_e32 v10, v110, v131
	v_pk_add_f32 v[12:13], v[48:49], 0 op_sel_hi:[1,0]
	s_waitcnt lgkmcnt(0)
	v_pk_add_f32 v[54:55], v[12:13], v[10:11]
	v_pk_add_f32 v[10:11], v[50:51], 0 op_sel_hi:[1,0]
	v_min_f32_e32 v12, v113, v112
	v_min_f32_e32 v13, v132, v71
	v_pk_add_f32 v[110:111], v[10:11], v[12:13]
	v_pk_add_f32 v[10:11], v[52:53], 0 op_sel_hi:[1,0]
	v_min_f32_e32 v12, v113, v127
	v_min_f32_e32 v13, v132, v126
	;; [unrolled: 4-line block ×3, first 2 shown]
	v_pk_add_f32 v[68:69], v[10:11], v[12:13]
	v_min_f32_e32 v11, v132, v130
	v_min_f32_e32 v10, v113, v131
	v_pk_add_f32 v[12:13], v[84:85], 0 op_sel_hi:[1,0]
	s_barrier
	v_pk_add_f32 v[52:53], v[12:13], v[10:11]
	v_min_f32_e32 v10, v133, v112
	v_min_f32_e32 v11, v134, v71
	v_pk_add_f32 v[12:13], v[100:101], 0 op_sel_hi:[1,0]
	s_nop 0
	v_pk_add_f32 v[112:113], v[12:13], v[10:11]
	v_min_f32_e32 v10, v133, v127
	v_min_f32_e32 v11, v134, v126
	v_pk_add_f32 v[12:13], v[102:103], 0 op_sel_hi:[1,0]
	s_nop 0
	;; [unrolled: 5-line block ×5, first 2 shown]
	v_pk_add_f32 v[48:49], v[12:13], v[10:11]
	s_cbranch_scc1 .LBB31_36
; %bb.22:
	v_lshl_add_u64 v[100:101], v[0:1], 2, s[14:15]
	v_mov_b32_e32 v0, 0x1400
	v_lshl_add_u32 v217, v206, 4, v0
	v_mov_b32_e32 v0, 0x800
	v_lshl_add_u32 v218, v207, 4, v0
	v_mad_i64_i32 v[0:1], s[4:5], s29, v4, 0
	v_lshl_add_u64 v[102:103], v[0:1], 2, s[16:17]
	v_mad_i64_i32 v[0:1], s[4:5], s29, v5, 0
	v_lshl_add_u64 v[104:105], v[0:1], 2, s[16:17]
	v_add_u32_e32 v0, 12, v208
	v_mad_i64_i32 v[0:1], s[4:5], v0, s18, 0
	v_lshlrev_b64 v[106:107], 2, v[0:1]
	v_add_u32_e32 v0, 8, v208
	v_mad_i64_i32 v[0:1], s[4:5], v0, s18, 0
	v_or_b32_e32 v213, 0x1000, v2
	v_add_u32_e32 v214, 0x1000, v209
	v_add_u32_e32 v215, 0x1400, v2
	;; [unrolled: 1-line block ×3, first 2 shown]
	s_add_i32 s23, s22, -8
	v_mov_b32_e32 v71, 0
	s_lshl_b64 s[6:7], s[18:19], 5
	v_lshlrev_b64 v[108:109], 2, v[0:1]
	s_mov_b32 s16, 0
	s_branch .LBB31_24
.LBB31_23:                              ;   in Loop: Header=BB31_24 Depth=1
	s_or_b64 exec, exec, s[4:5]
	v_pk_add_f32 v[40:41], v[98:99], v[40:41]
	v_pk_add_f32 v[32:33], v[64:65], v[32:33]
	;; [unrolled: 1-line block ×19, first 2 shown]
	ds_read_b128 v[0:3], v210
	ds_read_b128 v[8:11], v210 offset:512
	v_pk_add_f32 v[20:21], v[122:123], v[6:7]
	ds_read_b128 v[4:7], v214 offset:896
	v_pk_add_f32 v[44:45], v[96:97], v[44:45]
	v_pk_add_f32 v[28:29], v[80:81], v[28:29]
	;; [unrolled: 1-line block ×20, first 2 shown]
	ds_read_b128 v[12:15], v214 offset:768
	s_waitcnt lgkmcnt(0)
	v_max_f32_e32 v95, v5, v5
	v_max_f32_e32 v97, v4, v4
	;; [unrolled: 1-line block ×4, first 2 shown]
	v_pk_add_f32 v[78:79], v[36:37], v[38:39]
	v_pk_add_f32 v[74:75], v[28:29], v[30:31]
	;; [unrolled: 1-line block ×6, first 2 shown]
	ds_read_b128 v[82:85], v210 offset:1536
	ds_read_b128 v[86:89], v210 offset:1024
	v_min_f32_e32 v5, v95, v98
	v_min_f32_e32 v4, v97, v99
	v_pk_add_f32 v[60:61], v[62:63], v[170:171]
	v_pk_add_f32 v[62:63], v[80:81], v[168:169]
	;; [unrolled: 1-line block ×3, first 2 shown]
	ds_read_b128 v[78:81], v214
	v_pk_add_f32 v[92:93], v[92:93], v[134:135]
	v_pk_add_f32 v[90:91], v[90:91], v[140:141]
	;; [unrolled: 1-line block ×3, first 2 shown]
	s_waitcnt lgkmcnt(0)
	v_max_f32_e32 v116, v87, v87
	v_max_f32_e32 v117, v86, v86
	v_pk_add_f32 v[118:119], v[54:55], v[150:151]
	v_pk_add_f32 v[54:55], v[92:93], v[174:175]
	v_pk_add_f32 v[46:47], v[90:91], v[180:181]
	ds_read_b128 v[90:93], v214 offset:128
	v_max_f32_e32 v94, v1, v1
	v_max_f32_e32 v96, v0, v0
	v_min_f32_e32 v9, v95, v116
	v_min_f32_e32 v8, v97, v117
	v_max_f32_e32 v86, v78, v78
	v_max_f32_e32 v87, v79, v79
	v_pk_add_f32 v[8:9], v[76:77], v[8:9]
	v_min_f32_e32 v76, v86, v96
	v_min_f32_e32 v77, v87, v94
	v_pk_add_f32 v[68:69], v[68:69], v[76:77]
	v_min_f32_e32 v76, v86, v99
	v_min_f32_e32 v77, v87, v98
	;; [unrolled: 3-line block ×3, first 2 shown]
	v_max_f32_e32 v83, v83, v83
	v_max_f32_e32 v82, v82, v82
	v_pk_add_f32 v[66:67], v[24:25], v[26:27]
	v_pk_add_f32 v[78:79], v[74:75], v[72:73]
	v_min_f32_e32 v73, v87, v83
	v_min_f32_e32 v72, v86, v82
	v_pk_add_f32 v[86:87], v[66:67], v[72:73]
	s_waitcnt lgkmcnt(0)
	v_max_f32_e32 v72, v90, v90
	v_max_f32_e32 v73, v91, v91
	v_min_f32_e32 v66, v72, v96
	v_min_f32_e32 v67, v73, v94
	v_pk_add_f32 v[60:61], v[60:61], v[66:67]
	v_min_f32_e32 v66, v72, v99
	v_min_f32_e32 v67, v73, v98
	v_pk_add_f32 v[110:111], v[110:111], v[154:155]
	v_pk_add_f32 v[90:91], v[62:63], v[66:67]
	v_min_f32_e32 v62, v72, v117
	v_min_f32_e32 v63, v73, v116
	v_pk_add_f32 v[28:29], v[110:111], v[198:199]
	v_pk_add_f32 v[110:111], v[64:65], v[62:63]
	ds_read_b128 v[64:67], v214 offset:256
	v_min_f32_e32 v63, v73, v83
	v_min_f32_e32 v62, v72, v82
	ds_read_b128 v[72:75], v214 offset:384
	v_pk_add_f32 v[58:59], v[58:59], v[62:63]
	s_waitcnt lgkmcnt(0)
	v_max_f32_e32 v64, v64, v64
	v_max_f32_e32 v65, v65, v65
	v_min_f32_e32 v62, v64, v96
	v_min_f32_e32 v63, v65, v94
	v_pk_add_f32 v[52:53], v[52:53], v[62:63]
	v_min_f32_e32 v62, v64, v99
	v_min_f32_e32 v63, v65, v98
	v_pk_add_f32 v[54:55], v[54:55], v[62:63]
	;; [unrolled: 3-line block ×3, first 2 shown]
	v_pk_add_f32 v[56:57], v[56:57], v[62:63]
	v_min_f32_e32 v63, v65, v83
	v_min_f32_e32 v62, v64, v82
	v_pk_add_f32 v[24:25], v[112:113], v[204:205]
	v_pk_add_f32 v[112:113], v[50:51], v[62:63]
	v_max_f32_e32 v62, v72, v72
	v_max_f32_e32 v63, v73, v73
	v_min_f32_e32 v50, v62, v96
	v_min_f32_e32 v51, v63, v94
	v_pk_add_f32 v[114:115], v[114:115], v[148:149]
	v_pk_add_f32 v[72:73], v[44:45], v[50:51]
	v_min_f32_e32 v44, v62, v99
	v_min_f32_e32 v45, v63, v98
	v_pk_add_f32 v[36:37], v[114:115], v[188:189]
	v_pk_add_f32 v[114:115], v[46:47], v[44:45]
	;; [unrolled: 4-line block ×3, first 2 shown]
	ds_read_b128 v[44:47], v214 offset:512
	v_min_f32_e32 v49, v63, v83
	v_min_f32_e32 v48, v62, v82
	v_pk_add_f32 v[42:43], v[42:43], v[48:49]
	ds_read_b128 v[48:51], v214 offset:640
	s_waitcnt lgkmcnt(0)
	v_max_f32_e32 v62, v44, v44
	v_max_f32_e32 v63, v45, v45
	v_min_f32_e32 v44, v62, v96
	v_min_f32_e32 v45, v63, v94
	v_pk_add_f32 v[36:37], v[36:37], v[44:45]
	v_min_f32_e32 v44, v62, v99
	v_min_f32_e32 v45, v63, v98
	v_pk_add_f32 v[38:39], v[38:39], v[44:45]
	;; [unrolled: 3-line block ×3, first 2 shown]
	v_pk_add_f32 v[40:41], v[40:41], v[44:45]
	v_min_f32_e32 v45, v63, v83
	v_min_f32_e32 v44, v62, v82
	v_max_f32_e32 v48, v48, v48
	v_max_f32_e32 v49, v49, v49
	v_pk_add_f32 v[34:35], v[34:35], v[44:45]
	v_min_f32_e32 v44, v48, v96
	v_min_f32_e32 v45, v49, v94
	v_pk_add_f32 v[28:29], v[28:29], v[44:45]
	v_min_f32_e32 v44, v48, v99
	v_min_f32_e32 v45, v49, v98
	;; [unrolled: 3-line block ×3, first 2 shown]
	v_pk_add_f32 v[26:27], v[120:121], v[200:201]
	v_pk_add_f32 v[32:33], v[32:33], v[44:45]
	v_min_f32_e32 v45, v49, v83
	v_min_f32_e32 v44, v48, v82
	v_pk_add_f32 v[26:27], v[26:27], v[44:45]
	v_max_f32_e32 v44, v12, v12
	v_max_f32_e32 v45, v13, v13
	v_min_f32_e32 v12, v44, v96
	v_min_f32_e32 v13, v45, v94
	v_pk_add_f32 v[12:13], v[24:25], v[12:13]
	v_min_f32_e32 v24, v44, v99
	v_min_f32_e32 v25, v45, v98
	v_pk_add_f32 v[22:23], v[22:23], v[24:25]
	;; [unrolled: 3-line block ×4, first 2 shown]
	v_min_f32_e32 v25, v95, v83
	v_min_f32_e32 v24, v97, v82
	;; [unrolled: 1-line block ×4, first 2 shown]
	v_pk_add_f32 v[16:17], v[16:17], v[24:25]
	v_max_f32_e32 v24, v3, v3
	v_max_f32_e32 v7, v7, v7
	;; [unrolled: 1-line block ×4, first 2 shown]
	v_pk_add_f32 v[0:1], v[126:127], v[0:1]
	v_min_f32_e32 v3, v7, v24
	v_min_f32_e32 v2, v6, v25
	v_pk_add_f32 v[98:99], v[0:1], v[2:3]
	v_max_f32_e32 v2, v11, v11
	v_max_f32_e32 v3, v10, v10
	v_min_f32_e32 v1, v7, v2
	v_min_f32_e32 v0, v6, v3
	v_pk_add_f32 v[82:83], v[4:5], v[0:1]
	v_max_f32_e32 v4, v89, v89
	v_max_f32_e32 v5, v88, v88
	;; [unrolled: 5-line block ×3, first 2 shown]
	v_min_f32_e32 v0, v8, v25
	v_min_f32_e32 v1, v9, v24
	v_pk_add_f32 v[122:123], v[68:69], v[0:1]
	v_min_f32_e32 v0, v8, v3
	v_min_f32_e32 v1, v9, v2
	v_pk_add_f32 v[96:97], v[76:77], v[0:1]
	v_min_f32_e32 v0, v8, v5
	v_min_f32_e32 v1, v9, v4
	v_max_f32_e32 v10, v85, v85
	v_pk_add_f32 v[80:81], v[78:79], v[0:1]
	v_min_f32_e32 v1, v9, v10
	v_max_f32_e32 v9, v84, v84
	v_min_f32_e32 v0, v8, v9
	v_max_f32_e32 v8, v92, v92
	v_max_f32_e32 v11, v93, v93
	v_pk_add_f32 v[62:63], v[86:87], v[0:1]
	v_min_f32_e32 v0, v8, v25
	v_min_f32_e32 v1, v11, v24
	v_pk_add_f32 v[120:121], v[60:61], v[0:1]
	v_min_f32_e32 v0, v8, v3
	v_min_f32_e32 v1, v11, v2
	v_pk_add_f32 v[94:95], v[90:91], v[0:1]
	v_min_f32_e32 v0, v8, v5
	v_min_f32_e32 v1, v11, v4
	v_pk_add_f32 v[78:79], v[110:111], v[0:1]
	v_min_f32_e32 v1, v11, v10
	v_min_f32_e32 v0, v8, v9
	v_max_f32_e32 v8, v66, v66
	v_max_f32_e32 v11, v67, v67
	v_pk_add_f32 v[60:61], v[58:59], v[0:1]
	v_min_f32_e32 v0, v8, v25
	v_min_f32_e32 v1, v11, v24
	v_pk_add_f32 v[118:119], v[52:53], v[0:1]
	v_min_f32_e32 v0, v8, v3
	v_min_f32_e32 v1, v11, v2
	v_pk_add_f32 v[92:93], v[54:55], v[0:1]
	v_min_f32_e32 v0, v8, v5
	v_min_f32_e32 v1, v11, v4
	v_pk_add_f32 v[76:77], v[56:57], v[0:1]
	v_min_f32_e32 v1, v11, v10
	;; [unrolled: 14-line block ×6, first 2 shown]
	v_min_f32_e32 v0, v8, v9
	v_pk_add_f32 v[50:51], v[20:21], v[0:1]
	v_min_f32_e32 v1, v7, v10
	v_min_f32_e32 v0, v6, v9
	s_add_i32 s16, s16, 8
	v_pk_add_f32 v[48:49], v[16:17], v[0:1]
	v_lshl_add_u64 v[102:103], v[102:103], 0, 32
	v_lshl_add_u64 v[104:105], v[104:105], 0, 32
	s_cmp_ge_i32 s16, s23
	v_lshl_add_u64 v[100:101], v[100:101], 0, s[6:7]
	s_waitcnt vmcnt(0)
	ds_write_b32 v215, v220
	ds_write2st64_b32 v216, v219, v221 offset1:4
	s_waitcnt lgkmcnt(0)
	s_barrier
	s_cbranch_scc1 .LBB31_36
.LBB31_24:                              ; =>This Inner Loop Header: Depth=1
	v_add_u32_e32 v128, s16, v208
	v_add_u32_e32 v0, 8, v128
	v_cmp_gt_i32_e64 s[4:5], s22, v0
	s_and_b64 s[14:15], s[12:13], s[4:5]
	v_mov_b32_e32 v130, 0
	s_and_saveexec_b64 s[4:5], s[14:15]
	s_cbranch_execz .LBB31_26
; %bb.25:                               ;   in Loop: Header=BB31_24 Depth=1
	v_lshl_add_u64 v[0:1], v[100:101], 0, v[108:109]
	flat_load_dword v130, v[0:1]
.LBB31_26:                              ;   in Loop: Header=BB31_24 Depth=1
	s_or_b64 exec, exec, s[4:5]
	v_add_u32_e32 v129, s16, v211
	v_add_u32_e32 v0, 8, v129
	v_cmp_le_i32_e64 s[4:5], s22, v0
	s_or_b64 s[14:15], vcc, s[4:5]
	s_xor_b64 s[18:19], s[14:15], -1
	v_mov_b32_e32 v131, 0
	v_lshl_add_u64 v[126:127], v[102:103], 0, v[70:71]
	v_mov_b32_e32 v132, 0
	s_and_saveexec_b64 s[14:15], s[18:19]
	s_cbranch_execz .LBB31_28
; %bb.27:                               ;   in Loop: Header=BB31_24 Depth=1
	flat_load_dword v132, v[126:127] offset:32
.LBB31_28:                              ;   in Loop: Header=BB31_24 Depth=1
	s_or_b64 exec, exec, s[14:15]
	s_or_b64 s[4:5], s[2:3], s[4:5]
	s_xor_b64 s[14:15], s[4:5], -1
	v_lshl_add_u64 v[124:125], v[104:105], 0, v[70:71]
	s_and_saveexec_b64 s[4:5], s[14:15]
	s_cbranch_execz .LBB31_30
; %bb.29:                               ;   in Loop: Header=BB31_24 Depth=1
	flat_load_dword v131, v[124:125] offset:32
.LBB31_30:                              ;   in Loop: Header=BB31_24 Depth=1
	s_or_b64 exec, exec, s[4:5]
	ds_read_b128 v[40:43], v218
	ds_read_b128 v[36:39], v218 offset:512
	ds_read_b128 v[24:27], v218 offset:1536
	;; [unrolled: 1-line block ×3, first 2 shown]
	ds_read_b128 v[28:31], v217
	ds_read_b128 v[20:23], v217 offset:128
	ds_read_b128 v[16:19], v217 offset:256
	;; [unrolled: 1-line block ×7, first 2 shown]
	v_add_u32_e32 v128, 12, v128
	v_cmp_gt_i32_e64 s[4:5], s22, v128
	s_and_b64 s[14:15], s[12:13], s[4:5]
	v_mov_b32_e32 v219, 0
	v_mov_b32_e32 v220, 0
	s_waitcnt vmcnt(0) lgkmcnt(0)
	ds_write_b32 v213, v130
	ds_write2st64_b32 v212, v132, v131 offset1:4
	s_waitcnt lgkmcnt(0)
	s_barrier
	s_and_saveexec_b64 s[4:5], s[14:15]
	s_cbranch_execz .LBB31_32
; %bb.31:                               ;   in Loop: Header=BB31_24 Depth=1
	v_lshl_add_u64 v[130:131], v[100:101], 0, v[106:107]
	flat_load_dword v220, v[130:131]
.LBB31_32:                              ;   in Loop: Header=BB31_24 Depth=1
	s_or_b64 exec, exec, s[4:5]
	v_add_u32_e32 v128, 12, v129
	v_cmp_le_i32_e64 s[4:5], s22, v128
	s_or_b64 s[14:15], vcc, s[4:5]
	s_xor_b64 s[18:19], s[14:15], -1
	s_and_saveexec_b64 s[14:15], s[18:19]
	s_cbranch_execz .LBB31_34
; %bb.33:                               ;   in Loop: Header=BB31_24 Depth=1
	flat_load_dword v219, v[126:127] offset:48
.LBB31_34:                              ;   in Loop: Header=BB31_24 Depth=1
	s_or_b64 exec, exec, s[14:15]
	v_max_f32_e32 v158, v41, v41
	v_max_f32_e32 v164, v45, v45
	v_max_f32_e32 v159, v40, v40
	v_max_f32_e32 v166, v44, v44
	v_max_f32_e32 v162, v37, v37
	v_max_f32_e32 v163, v36, v36
	v_max_f32_e32 v165, v33, v33
	v_max_f32_e32 v167, v32, v32
	v_max_f32_e32 v128, v28, v28
	v_max_f32_e32 v129, v29, v29
	v_max_f32_e32 v168, v25, v25
	v_max_f32_e32 v169, v24, v24
	v_max_f32_e32 v132, v20, v20
	v_max_f32_e32 v133, v21, v21
	v_max_f32_e32 v138, v16, v16
	v_max_f32_e32 v139, v17, v17
	v_max_f32_e32 v144, v12, v12
	v_max_f32_e32 v145, v13, v13
	v_max_f32_e32 v150, v8, v8
	v_max_f32_e32 v151, v9, v9
	v_max_f32_e32 v156, v4, v4
	v_max_f32_e32 v157, v5, v5
	v_max_f32_e32 v170, v0, v0
	v_max_f32_e32 v171, v1, v1
	v_max_f32_e32 v194, v43, v43
	v_max_f32_e32 v202, v42, v42
	v_max_f32_e32 v203, v39, v39
	v_max_f32_e32 v222, v38, v38
	v_max_f32_e32 v223, v35, v35
	v_max_f32_e32 v224, v34, v34
	v_max_f32_e32 v225, v27, v27
	v_max_f32_e32 v226, v26, v26
	v_max_f32_e32 v6, v6, v6
	v_max_f32_e32 v7, v7, v7
	v_min_f32_e32 v41, v164, v158
	v_min_f32_e32 v40, v166, v159
	;; [unrolled: 1-line block ×62, first 2 shown]
	v_max_f32_e32 v195, v47, v47
	v_max_f32_e32 v221, v46, v46
	v_max_f32_e32 v168, v30, v30
	v_max_f32_e32 v169, v31, v31
	v_max_f32_e32 v172, v22, v22
	v_max_f32_e32 v173, v23, v23
	v_max_f32_e32 v178, v18, v18
	v_max_f32_e32 v179, v19, v19
	v_max_f32_e32 v184, v14, v14
	v_max_f32_e32 v185, v15, v15
	v_max_f32_e32 v190, v10, v10
	v_max_f32_e32 v191, v11, v11
	v_min_f32_e32 v198, v6, v202
	v_min_f32_e32 v199, v7, v194
	;; [unrolled: 1-line block ×8, first 2 shown]
	v_max_f32_e32 v6, v2, v2
	v_max_f32_e32 v7, v3, v3
	s_or_b64 s[4:5], s[2:3], s[4:5]
	v_min_f32_e32 v32, v166, v167
	v_min_f32_e32 v0, v170, v167
	;; [unrolled: 1-line block ×58, first 2 shown]
	s_xor_b64 s[14:15], s[4:5], -1
	v_mov_b32_e32 v221, 0
	s_and_saveexec_b64 s[4:5], s[14:15]
	s_cbranch_execz .LBB31_23
; %bb.35:                               ;   in Loop: Header=BB31_24 Depth=1
	flat_load_dword v221, v[124:125] offset:48
	s_branch .LBB31_23
.LBB31_36:
	s_load_dwordx2 s[2:3], s[0:1], 0x70
	s_load_dword s30, s[0:1], 0x50
	s_load_dword s29, s[0:1], 0x68
	ds_read_b128 v[44:47], v210 offset:2048
	ds_read_b128 v[40:43], v210 offset:2560
	;; [unrolled: 1-line block ×12, first 2 shown]
	s_waitcnt lgkmcnt(0)
	s_lshl_b64 s[0:1], s[2:3], 2
	s_add_u32 s22, s10, s0
	v_add_u32_e32 v128, s27, v207
	s_addc_u32 s23, s11, s1
	v_mad_i64_i32 v[100:101], s[0:1], v128, s30, 0
	v_add_u32_e32 v70, s26, v206
	v_lshl_add_u64 v[126:127], v[100:101], 2, s[24:25]
	v_mad_i64_i32 v[100:101], s[0:1], v128, s29, 0
	v_cmp_gt_i32_e64 s[18:19], s21, v128
	v_lshl_add_u64 v[124:125], v[100:101], 2, s[22:23]
	v_cmp_gt_i32_e64 s[2:3], s20, v70
	v_cndmask_b32_e64 v100, 0, 1, s[8:9]
	s_and_b64 s[6:7], s[2:3], s[18:19]
	v_ashrrev_i32_e32 v71, 31, v70
	v_cmp_ne_u32_e64 s[0:1], 1, v100
	s_and_saveexec_b64 s[4:5], s[6:7]
	s_cbranch_execz .LBB31_41
; %bb.37:
	s_and_b64 vcc, exec, s[0:1]
	s_cbranch_vccnz .LBB31_39
; %bb.38:
	v_lshl_add_u64 v[100:101], v[70:71], 2, v[126:127]
	flat_load_dword v100, v[100:101]
	s_waitcnt vmcnt(0) lgkmcnt(0)
	v_mul_f32_e32 v100, s28, v100
	s_branch .LBB31_40
.LBB31_39:
	v_mov_b32_e32 v100, 0
.LBB31_40:
	v_max_f32_e32 v101, v44, v44
	v_max_f32_e32 v102, v32, v32
	v_min_f32_e32 v102, v102, v101
	v_max_f32_e32 v101, v45, v45
	v_max_f32_e32 v103, v33, v33
	v_min_f32_e32 v103, v103, v101
	v_max_f32_e32 v101, v46, v46
	v_max_f32_e32 v104, v34, v34
	v_min_f32_e32 v104, v104, v101
	v_max_f32_e32 v101, v47, v47
	v_max_f32_e32 v105, v35, v35
	v_pk_add_f32 v[102:103], v[122:123], v[102:103]
	v_min_f32_e32 v105, v105, v101
	v_pk_add_f32 v[102:103], v[102:103], v[104:105]
	s_nop 0
	v_add_f32_e32 v101, v102, v103
	v_add_f32_e32 v102, v101, v100
	v_lshl_add_u64 v[100:101], v[70:71], 2, v[124:125]
	global_store_dword v[100:101], v102, off
.LBB31_41:
	s_or_b64 exec, exec, s[4:5]
	v_add_u32_e32 v100, 8, v70
	v_cmp_gt_i32_e64 s[4:5], s20, v100
	s_and_b64 s[8:9], s[4:5], s[18:19]
	v_ashrrev_i32_e32 v101, 31, v100
	s_and_saveexec_b64 s[6:7], s[8:9]
	s_cbranch_execz .LBB31_46
; %bb.42:
	s_and_b64 vcc, exec, s[0:1]
	s_cbranch_vccnz .LBB31_44
; %bb.43:
	v_lshl_add_u64 v[102:103], v[100:101], 2, v[126:127]
	flat_load_dword v102, v[102:103]
	s_waitcnt vmcnt(0) lgkmcnt(0)
	v_mul_f32_e32 v102, s28, v102
	s_branch .LBB31_45
.LBB31_44:
	v_mov_b32_e32 v102, 0
.LBB31_45:
	v_max_f32_e32 v103, v44, v44
	v_max_f32_e32 v104, v28, v28
	v_min_f32_e32 v104, v104, v103
	v_max_f32_e32 v103, v45, v45
	v_max_f32_e32 v105, v29, v29
	v_min_f32_e32 v105, v105, v103
	v_max_f32_e32 v103, v46, v46
	v_max_f32_e32 v106, v30, v30
	v_min_f32_e32 v106, v106, v103
	v_max_f32_e32 v103, v47, v47
	v_max_f32_e32 v107, v31, v31
	v_pk_add_f32 v[104:105], v[120:121], v[104:105]
	v_min_f32_e32 v107, v107, v103
	v_pk_add_f32 v[104:105], v[104:105], v[106:107]
	s_nop 0
	v_add_f32_e32 v103, v104, v105
	v_add_f32_e32 v104, v103, v102
	v_lshl_add_u64 v[102:103], v[100:101], 2, v[124:125]
	global_store_dword v[102:103], v104, off
.LBB31_46:
	s_or_b64 exec, exec, s[6:7]
	v_add_u32_e32 v102, 16, v70
	v_cmp_gt_i32_e64 s[6:7], s20, v102
	s_and_b64 s[10:11], s[6:7], s[18:19]
	v_ashrrev_i32_e32 v103, 31, v102
	;; [unrolled: 39-line block ×3, first 2 shown]
	s_and_saveexec_b64 s[10:11], s[12:13]
	s_cbranch_execz .LBB31_56
; %bb.52:
	s_and_b64 vcc, exec, s[0:1]
	s_cbranch_vccnz .LBB31_54
; %bb.53:
	v_lshl_add_u64 v[106:107], v[104:105], 2, v[126:127]
	flat_load_dword v106, v[106:107]
	s_waitcnt vmcnt(0) lgkmcnt(0)
	v_mul_f32_e32 v106, s28, v106
	s_branch .LBB31_55
.LBB31_54:
	v_mov_b32_e32 v106, 0
.LBB31_55:
	v_max_f32_e32 v107, v44, v44
	v_max_f32_e32 v108, v20, v20
	v_min_f32_e32 v108, v108, v107
	v_max_f32_e32 v107, v45, v45
	v_max_f32_e32 v109, v21, v21
	v_min_f32_e32 v109, v109, v107
	v_pk_add_f32 v[108:109], v[116:117], v[108:109]
	v_max_f32_e32 v107, v46, v46
	v_max_f32_e32 v116, v22, v22
	v_min_f32_e32 v116, v116, v107
	v_max_f32_e32 v107, v47, v47
	v_max_f32_e32 v117, v23, v23
	v_min_f32_e32 v117, v117, v107
	v_pk_add_f32 v[108:109], v[108:109], v[116:117]
	s_nop 0
	v_add_f32_e32 v107, v108, v109
	v_add_f32_e32 v108, v107, v106
	v_lshl_add_u64 v[106:107], v[104:105], 2, v[124:125]
	global_store_dword v[106:107], v108, off
.LBB31_56:
	s_or_b64 exec, exec, s[10:11]
	v_add_u32_e32 v106, 32, v70
	v_cmp_gt_i32_e64 s[10:11], s20, v106
	s_and_b64 s[14:15], s[10:11], s[18:19]
	v_ashrrev_i32_e32 v107, 31, v106
	s_and_saveexec_b64 s[12:13], s[14:15]
	s_cbranch_execz .LBB31_61
; %bb.57:
	s_and_b64 vcc, exec, s[0:1]
	s_cbranch_vccnz .LBB31_59
; %bb.58:
	v_lshl_add_u64 v[108:109], v[106:107], 2, v[126:127]
	flat_load_dword v108, v[108:109]
	s_waitcnt vmcnt(0) lgkmcnt(0)
	v_mul_f32_e32 v108, s28, v108
	s_branch .LBB31_60
.LBB31_59:
	v_mov_b32_e32 v108, 0
.LBB31_60:
	v_max_f32_e32 v109, v44, v44
	v_max_f32_e32 v116, v16, v16
	v_min_f32_e32 v116, v116, v109
	v_max_f32_e32 v109, v45, v45
	v_max_f32_e32 v117, v17, v17
	v_min_f32_e32 v117, v117, v109
	v_pk_add_f32 v[114:115], v[114:115], v[116:117]
	v_max_f32_e32 v109, v46, v46
	v_max_f32_e32 v116, v18, v18
	v_min_f32_e32 v116, v116, v109
	v_max_f32_e32 v109, v47, v47
	v_max_f32_e32 v117, v19, v19
	v_min_f32_e32 v117, v117, v109
	v_pk_add_f32 v[114:115], v[114:115], v[116:117]
	s_nop 0
	v_add_f32_e32 v109, v114, v115
	v_add_f32_e32 v114, v109, v108
	v_lshl_add_u64 v[108:109], v[106:107], 2, v[124:125]
	global_store_dword v[108:109], v114, off
.LBB31_61:
	s_or_b64 exec, exec, s[12:13]
	v_add_u32_e32 v108, 40, v70
	v_cmp_gt_i32_e64 s[12:13], s20, v108
	s_and_b64 s[16:17], s[12:13], s[18:19]
	v_ashrrev_i32_e32 v109, 31, v108
	;; [unrolled: 39-line block ×4, first 2 shown]
	s_and_saveexec_b64 s[18:19], s[26:27]
	s_cbranch_execz .LBB31_76
; %bb.72:
	s_and_b64 vcc, exec, s[0:1]
	s_cbranch_vccnz .LBB31_74
; %bb.73:
	v_lshl_add_u64 v[114:115], v[112:113], 2, v[126:127]
	flat_load_dword v114, v[114:115]
	s_waitcnt vmcnt(0) lgkmcnt(0)
	v_mul_f32_e32 v114, s28, v114
	s_branch .LBB31_75
.LBB31_74:
	v_mov_b32_e32 v114, 0
.LBB31_75:
	v_max_f32_e32 v45, v45, v45
	v_max_f32_e32 v115, v5, v5
	v_min_f32_e32 v45, v115, v45
	v_max_f32_e32 v44, v44, v44
	v_max_f32_e32 v115, v4, v4
	v_min_f32_e32 v44, v115, v44
	v_pk_add_f32 v[44:45], v[98:99], v[44:45]
	v_max_f32_e32 v47, v47, v47
	v_max_f32_e32 v98, v7, v7
	v_min_f32_e32 v47, v98, v47
	v_max_f32_e32 v46, v46, v46
	v_max_f32_e32 v98, v6, v6
	v_min_f32_e32 v46, v98, v46
	v_pk_add_f32 v[44:45], v[44:45], v[46:47]
	s_nop 0
	v_add_f32_e32 v44, v44, v45
	v_add_f32_e32 v46, v44, v114
	v_lshl_add_u64 v[44:45], v[112:113], 2, v[124:125]
	global_store_dword v[44:45], v46, off
.LBB31_76:
	s_or_b64 exec, exec, s[18:19]
	v_add_u32_e32 v98, 32, v128
	v_mad_i64_i32 v[44:45], s[26:27], v98, s30, 0
	v_cmp_gt_i32_e64 s[18:19], s21, v98
	v_lshl_add_u64 v[46:47], v[44:45], 2, s[24:25]
	v_mad_i64_i32 v[44:45], s[26:27], v98, s29, 0
	v_lshl_add_u64 v[44:45], v[44:45], 2, s[22:23]
	s_and_b64 s[34:35], s[2:3], s[18:19]
	s_and_saveexec_b64 s[26:27], s[34:35]
	s_cbranch_execnz .LBB31_84
; %bb.77:
	s_or_b64 exec, exec, s[26:27]
	s_and_b64 s[34:35], s[4:5], s[18:19]
	s_and_saveexec_b64 s[26:27], s[34:35]
	s_cbranch_execnz .LBB31_88
.LBB31_78:
	s_or_b64 exec, exec, s[26:27]
	s_and_b64 s[34:35], s[6:7], s[18:19]
	s_and_saveexec_b64 s[26:27], s[34:35]
	s_cbranch_execnz .LBB31_92
.LBB31_79:
	s_or_b64 exec, exec, s[26:27]
	s_and_b64 s[34:35], s[8:9], s[18:19]
	s_and_saveexec_b64 s[26:27], s[34:35]
	s_cbranch_execnz .LBB31_96
.LBB31_80:
	s_or_b64 exec, exec, s[26:27]
	s_and_b64 s[34:35], s[10:11], s[18:19]
	s_and_saveexec_b64 s[26:27], s[34:35]
	s_cbranch_execnz .LBB31_100
.LBB31_81:
	s_or_b64 exec, exec, s[26:27]
	s_and_b64 s[34:35], s[12:13], s[18:19]
	s_and_saveexec_b64 s[26:27], s[34:35]
	s_cbranch_execnz .LBB31_104
.LBB31_82:
	s_or_b64 exec, exec, s[26:27]
	s_and_b64 s[34:35], s[14:15], s[18:19]
	s_and_saveexec_b64 s[26:27], s[34:35]
	s_cbranch_execnz .LBB31_108
.LBB31_83:
	s_or_b64 exec, exec, s[26:27]
	s_and_b64 s[26:27], s[16:17], s[18:19]
	s_and_saveexec_b64 s[18:19], s[26:27]
	s_cbranch_execnz .LBB31_112
	s_branch .LBB31_116
.LBB31_84:
	s_and_b64 vcc, exec, s[0:1]
	s_cbranch_vccnz .LBB31_86
; %bb.85:
	v_lshl_add_u64 v[98:99], v[70:71], 2, v[46:47]
	flat_load_dword v98, v[98:99]
	s_waitcnt vmcnt(0) lgkmcnt(0)
	v_mul_f32_e32 v98, s28, v98
	s_branch .LBB31_87
.LBB31_86:
	v_mov_b32_e32 v98, 0
.LBB31_87:
	v_max_f32_e32 v99, v40, v40
	v_max_f32_e32 v114, v32, v32
	v_min_f32_e32 v114, v114, v99
	v_max_f32_e32 v99, v41, v41
	v_max_f32_e32 v115, v33, v33
	v_min_f32_e32 v115, v115, v99
	v_pk_add_f32 v[96:97], v[96:97], v[114:115]
	v_max_f32_e32 v99, v42, v42
	v_max_f32_e32 v114, v34, v34
	v_min_f32_e32 v114, v114, v99
	v_max_f32_e32 v99, v43, v43
	v_max_f32_e32 v115, v35, v35
	v_min_f32_e32 v115, v115, v99
	v_pk_add_f32 v[96:97], v[96:97], v[114:115]
	s_nop 0
	v_add_f32_e32 v96, v96, v97
	v_add_f32_e32 v98, v96, v98
	v_lshl_add_u64 v[96:97], v[70:71], 2, v[44:45]
	global_store_dword v[96:97], v98, off
	s_or_b64 exec, exec, s[26:27]
	s_and_b64 s[34:35], s[4:5], s[18:19]
	s_and_saveexec_b64 s[26:27], s[34:35]
	s_cbranch_execz .LBB31_78
.LBB31_88:
	s_and_b64 vcc, exec, s[0:1]
	s_cbranch_vccnz .LBB31_90
; %bb.89:
	v_lshl_add_u64 v[96:97], v[100:101], 2, v[46:47]
	flat_load_dword v96, v[96:97]
	s_waitcnt vmcnt(0) lgkmcnt(0)
	v_mul_f32_e32 v96, s28, v96
	s_branch .LBB31_91
.LBB31_90:
	v_mov_b32_e32 v96, 0
.LBB31_91:
	v_max_f32_e32 v97, v40, v40
	v_max_f32_e32 v98, v28, v28
	v_min_f32_e32 v98, v98, v97
	v_max_f32_e32 v97, v41, v41
	v_max_f32_e32 v99, v29, v29
	v_min_f32_e32 v99, v99, v97
	v_pk_add_f32 v[94:95], v[94:95], v[98:99]
	v_max_f32_e32 v97, v42, v42
	v_max_f32_e32 v98, v30, v30
	v_min_f32_e32 v98, v98, v97
	v_max_f32_e32 v97, v43, v43
	v_max_f32_e32 v99, v31, v31
	v_min_f32_e32 v99, v99, v97
	v_pk_add_f32 v[94:95], v[94:95], v[98:99]
	s_nop 0
	v_add_f32_e32 v94, v94, v95
	v_add_f32_e32 v96, v94, v96
	v_lshl_add_u64 v[94:95], v[100:101], 2, v[44:45]
	global_store_dword v[94:95], v96, off
	s_or_b64 exec, exec, s[26:27]
	s_and_b64 s[34:35], s[6:7], s[18:19]
	s_and_saveexec_b64 s[26:27], s[34:35]
	s_cbranch_execz .LBB31_79
.LBB31_92:
	s_and_b64 vcc, exec, s[0:1]
	s_cbranch_vccnz .LBB31_94
; %bb.93:
	v_lshl_add_u64 v[94:95], v[102:103], 2, v[46:47]
	flat_load_dword v94, v[94:95]
	s_waitcnt vmcnt(0) lgkmcnt(0)
	v_mul_f32_e32 v94, s28, v94
	s_branch .LBB31_95
.LBB31_94:
	v_mov_b32_e32 v94, 0
.LBB31_95:
	v_max_f32_e32 v95, v40, v40
	v_max_f32_e32 v96, v24, v24
	v_min_f32_e32 v96, v96, v95
	v_max_f32_e32 v95, v41, v41
	v_max_f32_e32 v97, v25, v25
	v_min_f32_e32 v97, v97, v95
	v_pk_add_f32 v[92:93], v[92:93], v[96:97]
	v_max_f32_e32 v95, v42, v42
	v_max_f32_e32 v96, v26, v26
	v_min_f32_e32 v96, v96, v95
	v_max_f32_e32 v95, v43, v43
	v_max_f32_e32 v97, v27, v27
	v_min_f32_e32 v97, v97, v95
	v_pk_add_f32 v[92:93], v[92:93], v[96:97]
	s_nop 0
	v_add_f32_e32 v92, v92, v93
	v_add_f32_e32 v94, v92, v94
	v_lshl_add_u64 v[92:93], v[102:103], 2, v[44:45]
	global_store_dword v[92:93], v94, off
	s_or_b64 exec, exec, s[26:27]
	s_and_b64 s[34:35], s[8:9], s[18:19]
	s_and_saveexec_b64 s[26:27], s[34:35]
	s_cbranch_execz .LBB31_80
.LBB31_96:
	s_and_b64 vcc, exec, s[0:1]
	s_cbranch_vccnz .LBB31_98
; %bb.97:
	v_lshl_add_u64 v[92:93], v[104:105], 2, v[46:47]
	flat_load_dword v92, v[92:93]
	s_waitcnt vmcnt(0) lgkmcnt(0)
	v_mul_f32_e32 v92, s28, v92
	s_branch .LBB31_99
.LBB31_98:
	v_mov_b32_e32 v92, 0
.LBB31_99:
	v_max_f32_e32 v93, v40, v40
	v_max_f32_e32 v94, v20, v20
	v_min_f32_e32 v94, v94, v93
	v_max_f32_e32 v93, v41, v41
	v_max_f32_e32 v95, v21, v21
	v_min_f32_e32 v95, v95, v93
	v_pk_add_f32 v[90:91], v[90:91], v[94:95]
	v_max_f32_e32 v93, v42, v42
	v_max_f32_e32 v94, v22, v22
	v_min_f32_e32 v94, v94, v93
	v_max_f32_e32 v93, v43, v43
	v_max_f32_e32 v95, v23, v23
	v_min_f32_e32 v95, v95, v93
	v_pk_add_f32 v[90:91], v[90:91], v[94:95]
	s_nop 0
	v_add_f32_e32 v90, v90, v91
	v_add_f32_e32 v92, v90, v92
	v_lshl_add_u64 v[90:91], v[104:105], 2, v[44:45]
	global_store_dword v[90:91], v92, off
	s_or_b64 exec, exec, s[26:27]
	s_and_b64 s[34:35], s[10:11], s[18:19]
	s_and_saveexec_b64 s[26:27], s[34:35]
	s_cbranch_execz .LBB31_81
.LBB31_100:
	s_and_b64 vcc, exec, s[0:1]
	s_cbranch_vccnz .LBB31_102
; %bb.101:
	v_lshl_add_u64 v[90:91], v[106:107], 2, v[46:47]
	flat_load_dword v90, v[90:91]
	s_waitcnt vmcnt(0) lgkmcnt(0)
	v_mul_f32_e32 v90, s28, v90
	s_branch .LBB31_103
.LBB31_102:
	v_mov_b32_e32 v90, 0
.LBB31_103:
	v_max_f32_e32 v91, v40, v40
	v_max_f32_e32 v92, v16, v16
	v_min_f32_e32 v92, v92, v91
	v_max_f32_e32 v91, v41, v41
	v_max_f32_e32 v93, v17, v17
	v_min_f32_e32 v93, v93, v91
	v_pk_add_f32 v[88:89], v[88:89], v[92:93]
	v_max_f32_e32 v91, v42, v42
	v_max_f32_e32 v92, v18, v18
	v_min_f32_e32 v92, v92, v91
	v_max_f32_e32 v91, v43, v43
	v_max_f32_e32 v93, v19, v19
	v_min_f32_e32 v93, v93, v91
	v_pk_add_f32 v[88:89], v[88:89], v[92:93]
	s_nop 0
	v_add_f32_e32 v88, v88, v89
	v_add_f32_e32 v90, v88, v90
	v_lshl_add_u64 v[88:89], v[106:107], 2, v[44:45]
	global_store_dword v[88:89], v90, off
	s_or_b64 exec, exec, s[26:27]
	s_and_b64 s[34:35], s[12:13], s[18:19]
	s_and_saveexec_b64 s[26:27], s[34:35]
	s_cbranch_execz .LBB31_82
.LBB31_104:
	s_and_b64 vcc, exec, s[0:1]
	s_cbranch_vccnz .LBB31_106
; %bb.105:
	v_lshl_add_u64 v[88:89], v[108:109], 2, v[46:47]
	flat_load_dword v88, v[88:89]
	s_waitcnt vmcnt(0) lgkmcnt(0)
	v_mul_f32_e32 v88, s28, v88
	s_branch .LBB31_107
.LBB31_106:
	v_mov_b32_e32 v88, 0
.LBB31_107:
	v_max_f32_e32 v89, v40, v40
	v_max_f32_e32 v90, v12, v12
	v_min_f32_e32 v90, v90, v89
	v_max_f32_e32 v89, v41, v41
	v_max_f32_e32 v91, v13, v13
	v_min_f32_e32 v91, v91, v89
	v_pk_add_f32 v[86:87], v[86:87], v[90:91]
	v_max_f32_e32 v89, v42, v42
	v_max_f32_e32 v90, v14, v14
	v_min_f32_e32 v90, v90, v89
	v_max_f32_e32 v89, v43, v43
	v_max_f32_e32 v91, v15, v15
	v_min_f32_e32 v91, v91, v89
	v_pk_add_f32 v[86:87], v[86:87], v[90:91]
	s_nop 0
	v_add_f32_e32 v86, v86, v87
	v_add_f32_e32 v88, v86, v88
	v_lshl_add_u64 v[86:87], v[108:109], 2, v[44:45]
	global_store_dword v[86:87], v88, off
	s_or_b64 exec, exec, s[26:27]
	s_and_b64 s[34:35], s[14:15], s[18:19]
	s_and_saveexec_b64 s[26:27], s[34:35]
	s_cbranch_execz .LBB31_83
.LBB31_108:
	s_and_b64 vcc, exec, s[0:1]
	s_cbranch_vccnz .LBB31_110
; %bb.109:
	v_lshl_add_u64 v[86:87], v[110:111], 2, v[46:47]
	flat_load_dword v86, v[86:87]
	s_waitcnt vmcnt(0) lgkmcnt(0)
	v_mul_f32_e32 v86, s28, v86
	s_branch .LBB31_111
.LBB31_110:
	v_mov_b32_e32 v86, 0
.LBB31_111:
	v_max_f32_e32 v87, v40, v40
	v_max_f32_e32 v88, v8, v8
	v_min_f32_e32 v88, v88, v87
	v_max_f32_e32 v87, v41, v41
	v_max_f32_e32 v89, v9, v9
	v_min_f32_e32 v89, v89, v87
	v_pk_add_f32 v[84:85], v[84:85], v[88:89]
	v_max_f32_e32 v87, v42, v42
	v_max_f32_e32 v88, v10, v10
	v_min_f32_e32 v88, v88, v87
	v_max_f32_e32 v87, v43, v43
	v_max_f32_e32 v89, v11, v11
	v_min_f32_e32 v89, v89, v87
	v_pk_add_f32 v[84:85], v[84:85], v[88:89]
	s_nop 0
	v_add_f32_e32 v84, v84, v85
	v_add_f32_e32 v86, v84, v86
	v_lshl_add_u64 v[84:85], v[110:111], 2, v[44:45]
	global_store_dword v[84:85], v86, off
	s_or_b64 exec, exec, s[26:27]
	s_and_b64 s[26:27], s[16:17], s[18:19]
	s_and_saveexec_b64 s[18:19], s[26:27]
	s_cbranch_execz .LBB31_116
.LBB31_112:
	s_and_b64 vcc, exec, s[0:1]
	s_cbranch_vccnz .LBB31_114
; %bb.113:
	v_lshl_add_u64 v[46:47], v[112:113], 2, v[46:47]
	flat_load_dword v46, v[46:47]
	s_waitcnt vmcnt(0) lgkmcnt(0)
	v_mul_f32_e32 v46, s28, v46
	s_branch .LBB31_115
.LBB31_114:
	v_mov_b32_e32 v46, 0
.LBB31_115:
	v_max_f32_e32 v41, v41, v41
	v_max_f32_e32 v47, v5, v5
	v_min_f32_e32 v41, v47, v41
	v_max_f32_e32 v40, v40, v40
	v_max_f32_e32 v47, v4, v4
	v_min_f32_e32 v40, v47, v40
	v_max_f32_e32 v43, v43, v43
	v_max_f32_e32 v47, v7, v7
	v_min_f32_e32 v43, v47, v43
	v_max_f32_e32 v42, v42, v42
	v_max_f32_e32 v47, v6, v6
	v_pk_add_f32 v[40:41], v[82:83], v[40:41]
	v_min_f32_e32 v42, v47, v42
	v_pk_add_f32 v[40:41], v[40:41], v[42:43]
	s_nop 0
	v_add_f32_e32 v40, v40, v41
	v_add_f32_e32 v42, v40, v46
	v_lshl_add_u64 v[40:41], v[112:113], 2, v[44:45]
	global_store_dword v[40:41], v42, off
.LBB31_116:
	s_or_b64 exec, exec, s[18:19]
	v_add_u32_e32 v44, 64, v128
	v_mad_i64_i32 v[40:41], s[26:27], v44, s30, 0
	v_cmp_gt_i32_e64 s[18:19], s21, v44
	v_lshl_add_u64 v[42:43], v[40:41], 2, s[24:25]
	v_mad_i64_i32 v[40:41], s[26:27], v44, s29, 0
	v_lshl_add_u64 v[40:41], v[40:41], 2, s[22:23]
	s_and_b64 s[34:35], s[2:3], s[18:19]
	s_and_saveexec_b64 s[26:27], s[34:35]
	s_cbranch_execnz .LBB31_124
; %bb.117:
	s_or_b64 exec, exec, s[26:27]
	s_and_b64 s[34:35], s[4:5], s[18:19]
	s_and_saveexec_b64 s[26:27], s[34:35]
	s_cbranch_execnz .LBB31_128
.LBB31_118:
	s_or_b64 exec, exec, s[26:27]
	s_and_b64 s[34:35], s[6:7], s[18:19]
	s_and_saveexec_b64 s[26:27], s[34:35]
	s_cbranch_execnz .LBB31_132
.LBB31_119:
	s_or_b64 exec, exec, s[26:27]
	s_and_b64 s[34:35], s[8:9], s[18:19]
	s_and_saveexec_b64 s[26:27], s[34:35]
	s_cbranch_execnz .LBB31_136
.LBB31_120:
	s_or_b64 exec, exec, s[26:27]
	s_and_b64 s[34:35], s[10:11], s[18:19]
	s_and_saveexec_b64 s[26:27], s[34:35]
	s_cbranch_execnz .LBB31_140
.LBB31_121:
	s_or_b64 exec, exec, s[26:27]
	s_and_b64 s[34:35], s[12:13], s[18:19]
	s_and_saveexec_b64 s[26:27], s[34:35]
	s_cbranch_execnz .LBB31_144
.LBB31_122:
	s_or_b64 exec, exec, s[26:27]
	s_and_b64 s[34:35], s[14:15], s[18:19]
	s_and_saveexec_b64 s[26:27], s[34:35]
	s_cbranch_execnz .LBB31_148
.LBB31_123:
	s_or_b64 exec, exec, s[26:27]
	s_and_b64 s[26:27], s[16:17], s[18:19]
	s_and_saveexec_b64 s[18:19], s[26:27]
	s_cbranch_execnz .LBB31_152
	s_branch .LBB31_156
.LBB31_124:
	s_and_b64 vcc, exec, s[0:1]
	s_cbranch_vccnz .LBB31_126
; %bb.125:
	v_lshl_add_u64 v[44:45], v[70:71], 2, v[42:43]
	flat_load_dword v44, v[44:45]
	s_waitcnt vmcnt(0) lgkmcnt(0)
	v_mul_f32_e32 v44, s28, v44
	s_branch .LBB31_127
.LBB31_126:
	v_mov_b32_e32 v44, 0
.LBB31_127:
	v_max_f32_e32 v45, v36, v36
	v_max_f32_e32 v46, v32, v32
	v_min_f32_e32 v46, v46, v45
	v_max_f32_e32 v45, v37, v37
	v_max_f32_e32 v47, v33, v33
	v_min_f32_e32 v47, v47, v45
	v_pk_add_f32 v[46:47], v[80:81], v[46:47]
	v_max_f32_e32 v45, v38, v38
	v_max_f32_e32 v80, v34, v34
	v_min_f32_e32 v80, v80, v45
	v_max_f32_e32 v45, v39, v39
	v_max_f32_e32 v81, v35, v35
	v_min_f32_e32 v81, v81, v45
	v_pk_add_f32 v[46:47], v[46:47], v[80:81]
	s_nop 0
	v_add_f32_e32 v45, v46, v47
	v_add_f32_e32 v46, v45, v44
	v_lshl_add_u64 v[44:45], v[70:71], 2, v[40:41]
	global_store_dword v[44:45], v46, off
	s_or_b64 exec, exec, s[26:27]
	s_and_b64 s[34:35], s[4:5], s[18:19]
	s_and_saveexec_b64 s[26:27], s[34:35]
	s_cbranch_execz .LBB31_118
.LBB31_128:
	s_and_b64 vcc, exec, s[0:1]
	s_cbranch_vccnz .LBB31_130
; %bb.129:
	v_lshl_add_u64 v[44:45], v[100:101], 2, v[42:43]
	flat_load_dword v44, v[44:45]
	s_waitcnt vmcnt(0) lgkmcnt(0)
	v_mul_f32_e32 v44, s28, v44
	s_branch .LBB31_131
.LBB31_130:
	v_mov_b32_e32 v44, 0
.LBB31_131:
	v_max_f32_e32 v45, v36, v36
	v_max_f32_e32 v46, v28, v28
	v_min_f32_e32 v46, v46, v45
	v_max_f32_e32 v45, v37, v37
	v_max_f32_e32 v47, v29, v29
	v_min_f32_e32 v47, v47, v45
	v_pk_add_f32 v[46:47], v[78:79], v[46:47]
	v_max_f32_e32 v45, v38, v38
	v_max_f32_e32 v78, v30, v30
	v_min_f32_e32 v78, v78, v45
	v_max_f32_e32 v45, v39, v39
	v_max_f32_e32 v79, v31, v31
	v_min_f32_e32 v79, v79, v45
	v_pk_add_f32 v[46:47], v[46:47], v[78:79]
	s_nop 0
	v_add_f32_e32 v45, v46, v47
	v_add_f32_e32 v46, v45, v44
	v_lshl_add_u64 v[44:45], v[100:101], 2, v[40:41]
	global_store_dword v[44:45], v46, off
	s_or_b64 exec, exec, s[26:27]
	s_and_b64 s[34:35], s[6:7], s[18:19]
	s_and_saveexec_b64 s[26:27], s[34:35]
	s_cbranch_execz .LBB31_119
.LBB31_132:
	s_and_b64 vcc, exec, s[0:1]
	s_cbranch_vccnz .LBB31_134
; %bb.133:
	v_lshl_add_u64 v[44:45], v[102:103], 2, v[42:43]
	flat_load_dword v44, v[44:45]
	s_waitcnt vmcnt(0) lgkmcnt(0)
	v_mul_f32_e32 v44, s28, v44
	s_branch .LBB31_135
.LBB31_134:
	v_mov_b32_e32 v44, 0
.LBB31_135:
	v_max_f32_e32 v45, v36, v36
	v_max_f32_e32 v46, v24, v24
	v_min_f32_e32 v46, v46, v45
	v_max_f32_e32 v45, v37, v37
	v_max_f32_e32 v47, v25, v25
	v_min_f32_e32 v47, v47, v45
	v_pk_add_f32 v[46:47], v[76:77], v[46:47]
	v_max_f32_e32 v45, v38, v38
	v_max_f32_e32 v76, v26, v26
	v_min_f32_e32 v76, v76, v45
	v_max_f32_e32 v45, v39, v39
	v_max_f32_e32 v77, v27, v27
	v_min_f32_e32 v77, v77, v45
	v_pk_add_f32 v[46:47], v[46:47], v[76:77]
	s_nop 0
	v_add_f32_e32 v45, v46, v47
	v_add_f32_e32 v46, v45, v44
	v_lshl_add_u64 v[44:45], v[102:103], 2, v[40:41]
	global_store_dword v[44:45], v46, off
	s_or_b64 exec, exec, s[26:27]
	s_and_b64 s[34:35], s[8:9], s[18:19]
	s_and_saveexec_b64 s[26:27], s[34:35]
	s_cbranch_execz .LBB31_120
.LBB31_136:
	s_and_b64 vcc, exec, s[0:1]
	s_cbranch_vccnz .LBB31_138
; %bb.137:
	v_lshl_add_u64 v[44:45], v[104:105], 2, v[42:43]
	flat_load_dword v44, v[44:45]
	s_waitcnt vmcnt(0) lgkmcnt(0)
	v_mul_f32_e32 v44, s28, v44
	s_branch .LBB31_139
.LBB31_138:
	v_mov_b32_e32 v44, 0
.LBB31_139:
	v_max_f32_e32 v45, v36, v36
	v_max_f32_e32 v46, v20, v20
	v_min_f32_e32 v46, v46, v45
	v_max_f32_e32 v45, v37, v37
	v_max_f32_e32 v47, v21, v21
	v_min_f32_e32 v47, v47, v45
	v_pk_add_f32 v[46:47], v[74:75], v[46:47]
	v_max_f32_e32 v45, v38, v38
	v_max_f32_e32 v74, v22, v22
	v_min_f32_e32 v74, v74, v45
	v_max_f32_e32 v45, v39, v39
	v_max_f32_e32 v75, v23, v23
	v_min_f32_e32 v75, v75, v45
	v_pk_add_f32 v[46:47], v[46:47], v[74:75]
	s_nop 0
	v_add_f32_e32 v45, v46, v47
	v_add_f32_e32 v46, v45, v44
	v_lshl_add_u64 v[44:45], v[104:105], 2, v[40:41]
	global_store_dword v[44:45], v46, off
	s_or_b64 exec, exec, s[26:27]
	s_and_b64 s[34:35], s[10:11], s[18:19]
	s_and_saveexec_b64 s[26:27], s[34:35]
	s_cbranch_execz .LBB31_121
.LBB31_140:
	s_and_b64 vcc, exec, s[0:1]
	s_cbranch_vccnz .LBB31_142
; %bb.141:
	v_lshl_add_u64 v[44:45], v[106:107], 2, v[42:43]
	flat_load_dword v44, v[44:45]
	s_waitcnt vmcnt(0) lgkmcnt(0)
	v_mul_f32_e32 v44, s28, v44
	s_branch .LBB31_143
.LBB31_142:
	v_mov_b32_e32 v44, 0
.LBB31_143:
	v_max_f32_e32 v45, v36, v36
	v_max_f32_e32 v46, v16, v16
	v_min_f32_e32 v46, v46, v45
	v_max_f32_e32 v45, v37, v37
	v_max_f32_e32 v47, v17, v17
	v_min_f32_e32 v47, v47, v45
	v_pk_add_f32 v[46:47], v[72:73], v[46:47]
	v_max_f32_e32 v45, v38, v38
	v_max_f32_e32 v72, v18, v18
	v_min_f32_e32 v72, v72, v45
	v_max_f32_e32 v45, v39, v39
	v_max_f32_e32 v73, v19, v19
	v_min_f32_e32 v73, v73, v45
	v_pk_add_f32 v[46:47], v[46:47], v[72:73]
	s_nop 0
	v_add_f32_e32 v45, v46, v47
	v_add_f32_e32 v46, v45, v44
	v_lshl_add_u64 v[44:45], v[106:107], 2, v[40:41]
	global_store_dword v[44:45], v46, off
	s_or_b64 exec, exec, s[26:27]
	s_and_b64 s[34:35], s[12:13], s[18:19]
	s_and_saveexec_b64 s[26:27], s[34:35]
	s_cbranch_execz .LBB31_122
.LBB31_144:
	s_and_b64 vcc, exec, s[0:1]
	s_cbranch_vccnz .LBB31_146
; %bb.145:
	v_lshl_add_u64 v[44:45], v[108:109], 2, v[42:43]
	flat_load_dword v44, v[44:45]
	s_waitcnt vmcnt(0) lgkmcnt(0)
	v_mul_f32_e32 v44, s28, v44
	s_branch .LBB31_147
.LBB31_146:
	v_mov_b32_e32 v44, 0
.LBB31_147:
	v_max_f32_e32 v45, v36, v36
	v_max_f32_e32 v46, v12, v12
	v_min_f32_e32 v46, v46, v45
	v_max_f32_e32 v45, v37, v37
	v_max_f32_e32 v47, v13, v13
	v_min_f32_e32 v47, v47, v45
	v_pk_add_f32 v[46:47], v[68:69], v[46:47]
	v_max_f32_e32 v45, v38, v38
	v_max_f32_e32 v68, v14, v14
	v_min_f32_e32 v68, v68, v45
	v_max_f32_e32 v45, v39, v39
	v_max_f32_e32 v69, v15, v15
	v_min_f32_e32 v69, v69, v45
	v_pk_add_f32 v[46:47], v[46:47], v[68:69]
	s_nop 0
	v_add_f32_e32 v45, v46, v47
	v_add_f32_e32 v46, v45, v44
	v_lshl_add_u64 v[44:45], v[108:109], 2, v[40:41]
	global_store_dword v[44:45], v46, off
	s_or_b64 exec, exec, s[26:27]
	s_and_b64 s[34:35], s[14:15], s[18:19]
	s_and_saveexec_b64 s[26:27], s[34:35]
	s_cbranch_execz .LBB31_123
.LBB31_148:
	s_and_b64 vcc, exec, s[0:1]
	s_cbranch_vccnz .LBB31_150
; %bb.149:
	v_lshl_add_u64 v[44:45], v[110:111], 2, v[42:43]
	flat_load_dword v44, v[44:45]
	s_waitcnt vmcnt(0) lgkmcnt(0)
	v_mul_f32_e32 v44, s28, v44
	s_branch .LBB31_151
.LBB31_150:
	v_mov_b32_e32 v44, 0
.LBB31_151:
	v_max_f32_e32 v45, v36, v36
	v_max_f32_e32 v46, v8, v8
	v_min_f32_e32 v46, v46, v45
	v_max_f32_e32 v45, v37, v37
	v_max_f32_e32 v47, v9, v9
	v_min_f32_e32 v47, v47, v45
	v_pk_add_f32 v[46:47], v[66:67], v[46:47]
	v_max_f32_e32 v45, v38, v38
	v_max_f32_e32 v66, v10, v10
	v_min_f32_e32 v66, v66, v45
	v_max_f32_e32 v45, v39, v39
	v_max_f32_e32 v67, v11, v11
	v_min_f32_e32 v67, v67, v45
	v_pk_add_f32 v[46:47], v[46:47], v[66:67]
	s_nop 0
	v_add_f32_e32 v45, v46, v47
	v_add_f32_e32 v46, v45, v44
	v_lshl_add_u64 v[44:45], v[110:111], 2, v[40:41]
	global_store_dword v[44:45], v46, off
	s_or_b64 exec, exec, s[26:27]
	s_and_b64 s[26:27], s[16:17], s[18:19]
	s_and_saveexec_b64 s[18:19], s[26:27]
	s_cbranch_execz .LBB31_156
.LBB31_152:
	s_and_b64 vcc, exec, s[0:1]
	s_cbranch_vccnz .LBB31_154
; %bb.153:
	v_lshl_add_u64 v[42:43], v[112:113], 2, v[42:43]
	flat_load_dword v42, v[42:43]
	s_waitcnt vmcnt(0) lgkmcnt(0)
	v_mul_f32_e32 v42, s28, v42
	s_branch .LBB31_155
.LBB31_154:
	v_mov_b32_e32 v42, 0
.LBB31_155:
	v_max_f32_e32 v37, v37, v37
	v_max_f32_e32 v43, v5, v5
	v_min_f32_e32 v37, v43, v37
	v_max_f32_e32 v36, v36, v36
	v_max_f32_e32 v43, v4, v4
	v_min_f32_e32 v36, v43, v36
	;; [unrolled: 3-line block ×3, first 2 shown]
	v_max_f32_e32 v38, v38, v38
	v_max_f32_e32 v43, v6, v6
	v_pk_add_f32 v[36:37], v[64:65], v[36:37]
	v_min_f32_e32 v38, v43, v38
	v_pk_add_f32 v[36:37], v[36:37], v[38:39]
	s_nop 0
	v_add_f32_e32 v36, v36, v37
	v_add_f32_e32 v38, v36, v42
	v_lshl_add_u64 v[36:37], v[112:113], 2, v[40:41]
	global_store_dword v[36:37], v38, off
.LBB31_156:
	s_or_b64 exec, exec, s[18:19]
	v_add_u32_e32 v40, 0x60, v128
	v_cmp_gt_i32_e64 s[18:19], s21, v40
	v_mad_i64_i32 v[36:37], s[20:21], v40, s30, 0
	v_lshl_add_u64 v[38:39], v[36:37], 2, s[24:25]
	v_mad_i64_i32 v[36:37], s[20:21], v40, s29, 0
	v_lshl_add_u64 v[36:37], v[36:37], 2, s[22:23]
	s_and_b64 s[20:21], s[2:3], s[18:19]
	s_and_saveexec_b64 s[2:3], s[20:21]
	s_cbranch_execnz .LBB31_165
; %bb.157:
	s_or_b64 exec, exec, s[2:3]
	s_and_b64 s[4:5], s[4:5], s[18:19]
	s_and_saveexec_b64 s[2:3], s[4:5]
	s_cbranch_execnz .LBB31_169
.LBB31_158:
	s_or_b64 exec, exec, s[2:3]
	s_and_b64 s[4:5], s[6:7], s[18:19]
	s_and_saveexec_b64 s[2:3], s[4:5]
	s_cbranch_execnz .LBB31_173
.LBB31_159:
	s_or_b64 exec, exec, s[2:3]
	s_and_b64 s[4:5], s[8:9], s[18:19]
	s_and_saveexec_b64 s[2:3], s[4:5]
	s_cbranch_execnz .LBB31_177
.LBB31_160:
	s_or_b64 exec, exec, s[2:3]
	s_and_b64 s[4:5], s[10:11], s[18:19]
	s_and_saveexec_b64 s[2:3], s[4:5]
	s_cbranch_execnz .LBB31_181
.LBB31_161:
	s_or_b64 exec, exec, s[2:3]
	s_and_b64 s[4:5], s[12:13], s[18:19]
	s_and_saveexec_b64 s[2:3], s[4:5]
	s_cbranch_execnz .LBB31_185
.LBB31_162:
	s_or_b64 exec, exec, s[2:3]
	s_and_b64 s[4:5], s[14:15], s[18:19]
	s_and_saveexec_b64 s[2:3], s[4:5]
	s_cbranch_execnz .LBB31_189
.LBB31_163:
	s_or_b64 exec, exec, s[2:3]
	s_and_b64 s[2:3], s[16:17], s[18:19]
	s_and_saveexec_b64 s[4:5], s[2:3]
	s_cbranch_execnz .LBB31_193
.LBB31_164:
	s_endpgm
.LBB31_165:
	s_and_b64 vcc, exec, s[0:1]
	s_cbranch_vccnz .LBB31_167
; %bb.166:
	v_lshl_add_u64 v[40:41], v[70:71], 2, v[38:39]
	flat_load_dword v40, v[40:41]
	s_waitcnt vmcnt(0) lgkmcnt(0)
	v_mul_f32_e32 v40, s28, v40
	s_branch .LBB31_168
.LBB31_167:
	v_mov_b32_e32 v40, 0
.LBB31_168:
	v_max_f32_e32 v41, v1, v1
	v_max_f32_e32 v33, v33, v33
	v_min_f32_e32 v33, v33, v41
	v_max_f32_e32 v41, v0, v0
	v_max_f32_e32 v32, v32, v32
	v_min_f32_e32 v32, v32, v41
	v_max_f32_e32 v41, v3, v3
	v_max_f32_e32 v35, v35, v35
	v_min_f32_e32 v35, v35, v41
	v_max_f32_e32 v41, v2, v2
	v_max_f32_e32 v34, v34, v34
	v_pk_add_f32 v[32:33], v[62:63], v[32:33]
	v_min_f32_e32 v34, v34, v41
	v_pk_add_f32 v[32:33], v[32:33], v[34:35]
	s_nop 0
	v_add_f32_e32 v32, v32, v33
	v_add_f32_e32 v34, v32, v40
	v_lshl_add_u64 v[32:33], v[70:71], 2, v[36:37]
	global_store_dword v[32:33], v34, off
	s_or_b64 exec, exec, s[2:3]
	s_and_b64 s[4:5], s[4:5], s[18:19]
	s_and_saveexec_b64 s[2:3], s[4:5]
	s_cbranch_execz .LBB31_158
.LBB31_169:
	s_and_b64 vcc, exec, s[0:1]
	s_cbranch_vccnz .LBB31_171
; %bb.170:
	v_lshl_add_u64 v[32:33], v[100:101], 2, v[38:39]
	flat_load_dword v32, v[32:33]
	s_waitcnt vmcnt(0) lgkmcnt(0)
	v_mul_f32_e32 v32, s28, v32
	s_branch .LBB31_172
.LBB31_171:
	v_mov_b32_e32 v32, 0
.LBB31_172:
	v_max_f32_e32 v33, v1, v1
	v_max_f32_e32 v29, v29, v29
	v_min_f32_e32 v29, v29, v33
	v_max_f32_e32 v33, v0, v0
	v_max_f32_e32 v28, v28, v28
	v_min_f32_e32 v28, v28, v33
	;; [unrolled: 3-line block ×3, first 2 shown]
	v_max_f32_e32 v33, v2, v2
	v_max_f32_e32 v30, v30, v30
	v_pk_add_f32 v[28:29], v[60:61], v[28:29]
	v_min_f32_e32 v30, v30, v33
	v_pk_add_f32 v[28:29], v[28:29], v[30:31]
	s_nop 0
	v_add_f32_e32 v28, v28, v29
	v_add_f32_e32 v30, v28, v32
	v_lshl_add_u64 v[28:29], v[100:101], 2, v[36:37]
	global_store_dword v[28:29], v30, off
	s_or_b64 exec, exec, s[2:3]
	s_and_b64 s[4:5], s[6:7], s[18:19]
	s_and_saveexec_b64 s[2:3], s[4:5]
	s_cbranch_execz .LBB31_159
.LBB31_173:
	s_and_b64 vcc, exec, s[0:1]
	s_cbranch_vccnz .LBB31_175
; %bb.174:
	v_lshl_add_u64 v[28:29], v[102:103], 2, v[38:39]
	flat_load_dword v28, v[28:29]
	s_waitcnt vmcnt(0) lgkmcnt(0)
	v_mul_f32_e32 v28, s28, v28
	s_branch .LBB31_176
.LBB31_175:
	v_mov_b32_e32 v28, 0
.LBB31_176:
	v_max_f32_e32 v29, v1, v1
	v_max_f32_e32 v25, v25, v25
	v_min_f32_e32 v25, v25, v29
	v_max_f32_e32 v29, v0, v0
	v_max_f32_e32 v24, v24, v24
	v_min_f32_e32 v24, v24, v29
	;; [unrolled: 3-line block ×3, first 2 shown]
	v_max_f32_e32 v29, v2, v2
	v_max_f32_e32 v26, v26, v26
	v_pk_add_f32 v[24:25], v[58:59], v[24:25]
	v_min_f32_e32 v26, v26, v29
	v_pk_add_f32 v[24:25], v[24:25], v[26:27]
	s_nop 0
	v_add_f32_e32 v24, v24, v25
	v_add_f32_e32 v26, v24, v28
	v_lshl_add_u64 v[24:25], v[102:103], 2, v[36:37]
	global_store_dword v[24:25], v26, off
	s_or_b64 exec, exec, s[2:3]
	s_and_b64 s[4:5], s[8:9], s[18:19]
	s_and_saveexec_b64 s[2:3], s[4:5]
	s_cbranch_execz .LBB31_160
.LBB31_177:
	s_and_b64 vcc, exec, s[0:1]
	s_cbranch_vccnz .LBB31_179
; %bb.178:
	v_lshl_add_u64 v[24:25], v[104:105], 2, v[38:39]
	flat_load_dword v24, v[24:25]
	s_waitcnt vmcnt(0) lgkmcnt(0)
	v_mul_f32_e32 v24, s28, v24
	s_branch .LBB31_180
.LBB31_179:
	v_mov_b32_e32 v24, 0
.LBB31_180:
	v_max_f32_e32 v25, v1, v1
	v_max_f32_e32 v21, v21, v21
	v_min_f32_e32 v21, v21, v25
	v_max_f32_e32 v25, v0, v0
	v_max_f32_e32 v20, v20, v20
	v_min_f32_e32 v20, v20, v25
	v_max_f32_e32 v25, v3, v3
	v_max_f32_e32 v23, v23, v23
	v_min_f32_e32 v23, v23, v25
	v_max_f32_e32 v25, v2, v2
	v_max_f32_e32 v22, v22, v22
	v_pk_add_f32 v[20:21], v[56:57], v[20:21]
	v_min_f32_e32 v22, v22, v25
	v_pk_add_f32 v[20:21], v[20:21], v[22:23]
	s_nop 0
	v_add_f32_e32 v20, v20, v21
	v_add_f32_e32 v22, v20, v24
	v_lshl_add_u64 v[20:21], v[104:105], 2, v[36:37]
	global_store_dword v[20:21], v22, off
	s_or_b64 exec, exec, s[2:3]
	s_and_b64 s[4:5], s[10:11], s[18:19]
	s_and_saveexec_b64 s[2:3], s[4:5]
	s_cbranch_execz .LBB31_161
.LBB31_181:
	s_and_b64 vcc, exec, s[0:1]
	s_cbranch_vccnz .LBB31_183
; %bb.182:
	v_lshl_add_u64 v[20:21], v[106:107], 2, v[38:39]
	flat_load_dword v20, v[20:21]
	s_waitcnt vmcnt(0) lgkmcnt(0)
	v_mul_f32_e32 v20, s28, v20
	s_branch .LBB31_184
.LBB31_183:
	v_mov_b32_e32 v20, 0
.LBB31_184:
	v_max_f32_e32 v21, v1, v1
	v_max_f32_e32 v17, v17, v17
	v_min_f32_e32 v17, v17, v21
	v_max_f32_e32 v21, v0, v0
	v_max_f32_e32 v16, v16, v16
	v_min_f32_e32 v16, v16, v21
	;; [unrolled: 3-line block ×3, first 2 shown]
	v_max_f32_e32 v21, v2, v2
	v_max_f32_e32 v18, v18, v18
	v_pk_add_f32 v[16:17], v[54:55], v[16:17]
	v_min_f32_e32 v18, v18, v21
	v_pk_add_f32 v[16:17], v[16:17], v[18:19]
	s_nop 0
	v_add_f32_e32 v16, v16, v17
	v_add_f32_e32 v18, v16, v20
	v_lshl_add_u64 v[16:17], v[106:107], 2, v[36:37]
	global_store_dword v[16:17], v18, off
	s_or_b64 exec, exec, s[2:3]
	s_and_b64 s[4:5], s[12:13], s[18:19]
	s_and_saveexec_b64 s[2:3], s[4:5]
	s_cbranch_execz .LBB31_162
.LBB31_185:
	s_and_b64 vcc, exec, s[0:1]
	s_cbranch_vccnz .LBB31_187
; %bb.186:
	v_lshl_add_u64 v[16:17], v[108:109], 2, v[38:39]
	flat_load_dword v16, v[16:17]
	s_waitcnt vmcnt(0) lgkmcnt(0)
	v_mul_f32_e32 v16, s28, v16
	s_branch .LBB31_188
.LBB31_187:
	v_mov_b32_e32 v16, 0
.LBB31_188:
	v_max_f32_e32 v17, v1, v1
	v_max_f32_e32 v13, v13, v13
	v_min_f32_e32 v13, v13, v17
	v_max_f32_e32 v17, v0, v0
	v_max_f32_e32 v12, v12, v12
	v_min_f32_e32 v12, v12, v17
	;; [unrolled: 3-line block ×3, first 2 shown]
	v_max_f32_e32 v17, v2, v2
	v_max_f32_e32 v14, v14, v14
	v_pk_add_f32 v[12:13], v[52:53], v[12:13]
	v_min_f32_e32 v14, v14, v17
	v_pk_add_f32 v[12:13], v[12:13], v[14:15]
	s_nop 0
	v_add_f32_e32 v12, v12, v13
	v_add_f32_e32 v14, v12, v16
	v_lshl_add_u64 v[12:13], v[108:109], 2, v[36:37]
	global_store_dword v[12:13], v14, off
	s_or_b64 exec, exec, s[2:3]
	s_and_b64 s[4:5], s[14:15], s[18:19]
	s_and_saveexec_b64 s[2:3], s[4:5]
	s_cbranch_execz .LBB31_163
.LBB31_189:
	s_and_b64 vcc, exec, s[0:1]
	s_cbranch_vccnz .LBB31_191
; %bb.190:
	v_lshl_add_u64 v[12:13], v[110:111], 2, v[38:39]
	flat_load_dword v12, v[12:13]
	s_waitcnt vmcnt(0) lgkmcnt(0)
	v_mul_f32_e32 v12, s28, v12
	s_branch .LBB31_192
.LBB31_191:
	v_mov_b32_e32 v12, 0
.LBB31_192:
	v_max_f32_e32 v13, v1, v1
	v_max_f32_e32 v9, v9, v9
	v_min_f32_e32 v9, v9, v13
	v_max_f32_e32 v13, v0, v0
	v_max_f32_e32 v8, v8, v8
	v_min_f32_e32 v8, v8, v13
	;; [unrolled: 3-line block ×3, first 2 shown]
	v_max_f32_e32 v13, v2, v2
	v_max_f32_e32 v10, v10, v10
	v_pk_add_f32 v[8:9], v[50:51], v[8:9]
	v_min_f32_e32 v10, v10, v13
	v_pk_add_f32 v[8:9], v[8:9], v[10:11]
	s_nop 0
	v_add_f32_e32 v8, v8, v9
	v_add_f32_e32 v10, v8, v12
	v_lshl_add_u64 v[8:9], v[110:111], 2, v[36:37]
	global_store_dword v[8:9], v10, off
	s_or_b64 exec, exec, s[2:3]
	s_and_b64 s[2:3], s[16:17], s[18:19]
	s_and_saveexec_b64 s[4:5], s[2:3]
	s_cbranch_execz .LBB31_164
.LBB31_193:
	s_and_b64 vcc, exec, s[0:1]
	s_cbranch_vccnz .LBB31_195
; %bb.194:
	v_lshl_add_u64 v[8:9], v[112:113], 2, v[38:39]
	flat_load_dword v8, v[8:9]
	s_waitcnt vmcnt(0) lgkmcnt(0)
	v_mul_f32_e32 v8, s28, v8
	s_branch .LBB31_196
.LBB31_195:
	v_mov_b32_e32 v8, 0
.LBB31_196:
	v_max_f32_e32 v0, v0, v0
	v_max_f32_e32 v4, v4, v4
	;; [unrolled: 1-line block ×4, first 2 shown]
	v_min_f32_e32 v0, v4, v0
	v_max_f32_e32 v3, v3, v3
	v_max_f32_e32 v4, v7, v7
	v_min_f32_e32 v1, v5, v1
	v_min_f32_e32 v3, v4, v3
	v_max_f32_e32 v2, v2, v2
	v_max_f32_e32 v4, v6, v6
	v_pk_add_f32 v[0:1], v[48:49], v[0:1]
	v_min_f32_e32 v2, v4, v2
	v_pk_add_f32 v[0:1], v[0:1], v[2:3]
	s_nop 0
	v_add_f32_e32 v0, v0, v1
	v_add_f32_e32 v2, v0, v8
	v_lshl_add_u64 v[0:1], v[112:113], 2, v[36:37]
	global_store_dword v[0:1], v2, off
	s_endpgm
	.section	.rodata,"a",@progbits
	.p2align	6, 0x0
	.amdhsa_kernel _ZN12_GLOBAL__N_120geam_min_plus_kernelIf15HIP_vector_typeIfLj2EES2_Li8ELi32ELi64ELi128ELi4ELi64ELi4ELi4ELi64ELc78ELc78ELb1ELb1ELb0EfKPKfKPfEEviiiT16_PT17_ilSA_ilS8_SA_ilPT18_ili26rocblas_geam_ex_operation_
		.amdhsa_group_segment_fixed_size 6144
		.amdhsa_private_segment_fixed_size 0
		.amdhsa_kernarg_size 128
		.amdhsa_user_sgpr_count 2
		.amdhsa_user_sgpr_dispatch_ptr 0
		.amdhsa_user_sgpr_queue_ptr 0
		.amdhsa_user_sgpr_kernarg_segment_ptr 1
		.amdhsa_user_sgpr_dispatch_id 0
		.amdhsa_user_sgpr_kernarg_preload_length 0
		.amdhsa_user_sgpr_kernarg_preload_offset 0
		.amdhsa_user_sgpr_private_segment_size 0
		.amdhsa_uses_dynamic_stack 0
		.amdhsa_enable_private_segment 0
		.amdhsa_system_sgpr_workgroup_id_x 1
		.amdhsa_system_sgpr_workgroup_id_y 0
		.amdhsa_system_sgpr_workgroup_id_z 1
		.amdhsa_system_sgpr_workgroup_info 0
		.amdhsa_system_vgpr_workitem_id 1
		.amdhsa_next_free_vgpr 227
		.amdhsa_next_free_sgpr 36
		.amdhsa_accum_offset 228
		.amdhsa_reserve_vcc 1
		.amdhsa_float_round_mode_32 0
		.amdhsa_float_round_mode_16_64 0
		.amdhsa_float_denorm_mode_32 3
		.amdhsa_float_denorm_mode_16_64 3
		.amdhsa_dx10_clamp 1
		.amdhsa_ieee_mode 1
		.amdhsa_fp16_overflow 0
		.amdhsa_tg_split 0
		.amdhsa_exception_fp_ieee_invalid_op 0
		.amdhsa_exception_fp_denorm_src 0
		.amdhsa_exception_fp_ieee_div_zero 0
		.amdhsa_exception_fp_ieee_overflow 0
		.amdhsa_exception_fp_ieee_underflow 0
		.amdhsa_exception_fp_ieee_inexact 0
		.amdhsa_exception_int_div_zero 0
	.end_amdhsa_kernel
	.section	.text._ZN12_GLOBAL__N_120geam_min_plus_kernelIf15HIP_vector_typeIfLj2EES2_Li8ELi32ELi64ELi128ELi4ELi64ELi4ELi4ELi64ELc78ELc78ELb1ELb1ELb0EfKPKfKPfEEviiiT16_PT17_ilSA_ilS8_SA_ilPT18_ili26rocblas_geam_ex_operation_,"axG",@progbits,_ZN12_GLOBAL__N_120geam_min_plus_kernelIf15HIP_vector_typeIfLj2EES2_Li8ELi32ELi64ELi128ELi4ELi64ELi4ELi4ELi64ELc78ELc78ELb1ELb1ELb0EfKPKfKPfEEviiiT16_PT17_ilSA_ilS8_SA_ilPT18_ili26rocblas_geam_ex_operation_,comdat
.Lfunc_end31:
	.size	_ZN12_GLOBAL__N_120geam_min_plus_kernelIf15HIP_vector_typeIfLj2EES2_Li8ELi32ELi64ELi128ELi4ELi64ELi4ELi4ELi64ELc78ELc78ELb1ELb1ELb0EfKPKfKPfEEviiiT16_PT17_ilSA_ilS8_SA_ilPT18_ili26rocblas_geam_ex_operation_, .Lfunc_end31-_ZN12_GLOBAL__N_120geam_min_plus_kernelIf15HIP_vector_typeIfLj2EES2_Li8ELi32ELi64ELi128ELi4ELi64ELi4ELi4ELi64ELc78ELc78ELb1ELb1ELb0EfKPKfKPfEEviiiT16_PT17_ilSA_ilS8_SA_ilPT18_ili26rocblas_geam_ex_operation_
                                        ; -- End function
	.section	.AMDGPU.csdata,"",@progbits
; Kernel info:
; codeLenInByte = 11068
; NumSgprs: 42
; NumVgprs: 227
; NumAgprs: 0
; TotalNumVgprs: 227
; ScratchSize: 0
; MemoryBound: 0
; FloatMode: 240
; IeeeMode: 1
; LDSByteSize: 6144 bytes/workgroup (compile time only)
; SGPRBlocks: 5
; VGPRBlocks: 28
; NumSGPRsForWavesPerEU: 42
; NumVGPRsForWavesPerEU: 227
; AccumOffset: 228
; Occupancy: 2
; WaveLimiterHint : 1
; COMPUTE_PGM_RSRC2:SCRATCH_EN: 0
; COMPUTE_PGM_RSRC2:USER_SGPR: 2
; COMPUTE_PGM_RSRC2:TRAP_HANDLER: 0
; COMPUTE_PGM_RSRC2:TGID_X_EN: 1
; COMPUTE_PGM_RSRC2:TGID_Y_EN: 0
; COMPUTE_PGM_RSRC2:TGID_Z_EN: 1
; COMPUTE_PGM_RSRC2:TIDIG_COMP_CNT: 1
; COMPUTE_PGM_RSRC3_GFX90A:ACCUM_OFFSET: 56
; COMPUTE_PGM_RSRC3_GFX90A:TG_SPLIT: 0
	.section	.text._ZN12_GLOBAL__N_120geam_min_plus_kernelIf15HIP_vector_typeIfLj2EES2_Li8ELi32ELi64ELi128ELi4ELi64ELi4ELi4ELi64ELc78ELc78ELb0ELb1ELb0EfKPKfKPfEEviiiT16_PT17_ilSA_ilS8_SA_ilPT18_ili26rocblas_geam_ex_operation_,"axG",@progbits,_ZN12_GLOBAL__N_120geam_min_plus_kernelIf15HIP_vector_typeIfLj2EES2_Li8ELi32ELi64ELi128ELi4ELi64ELi4ELi4ELi64ELc78ELc78ELb0ELb1ELb0EfKPKfKPfEEviiiT16_PT17_ilSA_ilS8_SA_ilPT18_ili26rocblas_geam_ex_operation_,comdat
	.globl	_ZN12_GLOBAL__N_120geam_min_plus_kernelIf15HIP_vector_typeIfLj2EES2_Li8ELi32ELi64ELi128ELi4ELi64ELi4ELi4ELi64ELc78ELc78ELb0ELb1ELb0EfKPKfKPfEEviiiT16_PT17_ilSA_ilS8_SA_ilPT18_ili26rocblas_geam_ex_operation_ ; -- Begin function _ZN12_GLOBAL__N_120geam_min_plus_kernelIf15HIP_vector_typeIfLj2EES2_Li8ELi32ELi64ELi128ELi4ELi64ELi4ELi4ELi64ELc78ELc78ELb0ELb1ELb0EfKPKfKPfEEviiiT16_PT17_ilSA_ilS8_SA_ilPT18_ili26rocblas_geam_ex_operation_
	.p2align	8
	.type	_ZN12_GLOBAL__N_120geam_min_plus_kernelIf15HIP_vector_typeIfLj2EES2_Li8ELi32ELi64ELi128ELi4ELi64ELi4ELi4ELi64ELc78ELc78ELb0ELb1ELb0EfKPKfKPfEEviiiT16_PT17_ilSA_ilS8_SA_ilPT18_ili26rocblas_geam_ex_operation_,@function
_ZN12_GLOBAL__N_120geam_min_plus_kernelIf15HIP_vector_typeIfLj2EES2_Li8ELi32ELi64ELi128ELi4ELi64ELi4ELi4ELi64ELc78ELc78ELb0ELb1ELb0EfKPKfKPfEEviiiT16_PT17_ilSA_ilS8_SA_ilPT18_ili26rocblas_geam_ex_operation_: ; @_ZN12_GLOBAL__N_120geam_min_plus_kernelIf15HIP_vector_typeIfLj2EES2_Li8ELi32ELi64ELi128ELi4ELi64ELi4ELi4ELi64ELc78ELc78ELb0ELb1ELb0EfKPKfKPfEEviiiT16_PT17_ilSA_ilS8_SA_ilPT18_ili26rocblas_geam_ex_operation_
; %bb.0:
	s_load_dwordx4 s[20:23], s[0:1], 0x0
	s_load_dwordx4 s[4:7], s[0:1], 0x20
	s_mov_b32 s14, s3
	s_mov_b32 s15, 0
	s_waitcnt lgkmcnt(0)
	v_cmp_eq_f32_e64 s[8:9], s23, 0
	v_cmp_neq_f32_e64 s[10:11], s23, 0
	s_and_b64 vcc, exec, s[8:9]
	s_cbranch_vccnz .LBB32_3
; %bb.1:
	s_load_dwordx2 s[12:13], s[0:1], 0x10
	s_lshl_b64 s[16:17], s[14:15], 3
	s_waitcnt lgkmcnt(0)
	s_add_u32 s12, s12, s16
	s_addc_u32 s13, s13, s17
	s_load_dwordx2 s[12:13], s[12:13], 0x0
	s_lshl_b64 s[4:5], s[4:5], 2
	s_waitcnt lgkmcnt(0)
	s_add_u32 s16, s12, s4
	s_addc_u32 s17, s13, s5
	s_andn2_b64 vcc, exec, s[8:9]
	s_cbranch_vccnz .LBB32_4
.LBB32_2:
	s_mov_b64 s[12:13], 0
	s_cbranch_execz .LBB32_5
	s_branch .LBB32_6
.LBB32_3:
	s_mov_b64 s[16:17], 0
	s_andn2_b64 vcc, exec, s[8:9]
	s_cbranch_vccz .LBB32_2
.LBB32_4:
                                        ; implicit-def: $sgpr12_sgpr13
.LBB32_5:
	s_lshl_b64 s[8:9], s[14:15], 3
	s_add_u32 s6, s6, s8
	s_load_dwordx2 s[4:5], s[0:1], 0x38
	s_addc_u32 s7, s7, s9
	s_load_dwordx2 s[6:7], s[6:7], 0x0
	s_waitcnt lgkmcnt(0)
	s_lshl_b64 s[4:5], s[4:5], 2
	s_add_u32 s12, s6, s4
	s_addc_u32 s13, s7, s5
.LBB32_6:
	s_load_dword s28, s[0:1], 0x40
	s_load_dwordx4 s[4:7], s[0:1], 0x58
	s_waitcnt lgkmcnt(0)
	v_cmp_eq_f32_e64 s[18:19], s28, 0
	v_cmp_neq_f32_e64 s[8:9], s28, 0
	s_and_b64 vcc, exec, s[18:19]
	s_cbranch_vccnz .LBB32_8
; %bb.7:
	s_load_dwordx2 s[18:19], s[0:1], 0x48
	s_lshl_b64 s[24:25], s[14:15], 3
	s_waitcnt lgkmcnt(0)
	s_add_u32 s18, s18, s24
	s_addc_u32 s19, s19, s25
	s_load_dwordx2 s[18:19], s[18:19], 0x0
	s_lshl_b64 s[4:5], s[4:5], 2
	s_waitcnt lgkmcnt(0)
	s_add_u32 s24, s18, s4
	s_addc_u32 s25, s19, s5
	s_branch .LBB32_9
.LBB32_8:
	s_mov_b64 s[24:25], 0
.LBB32_9:
	s_load_dword s18, s[0:1], 0x18
	s_lshl_b64 s[4:5], s[14:15], 3
	v_and_b32_e32 v204, 0x3ff, v0
	v_bfe_u32 v205, v0, 10, 10
	v_lshl_add_u32 v2, v205, 3, v204
	s_waitcnt lgkmcnt(0)
	s_ashr_i32 s19, s18, 31
	s_add_u32 s6, s6, s4
	s_addc_u32 s7, s7, s5
	s_add_i32 s3, s20, -1
	s_ashr_i32 s4, s3, 31
	s_lshr_b32 s4, s4, 26
	s_add_i32 s3, s3, s4
	s_ashr_i32 s3, s3, 6
	s_add_i32 s15, s3, 1
	v_cvt_f32_u32_e32 v1, s15
	s_not_b32 s3, s3
	v_and_b32_e32 v10, 63, v2
	s_load_dwordx2 s[6:7], s[6:7], 0x0
	v_rcp_iflag_f32_e32 v0, v1
	v_lshrrev_b32_e32 v206, 6, v2
	v_cmp_gt_i32_e64 s[4:5], s22, v206
	v_mov_b32_e32 v9, 0
	v_mul_f32_e32 v0, 0x4f7ffffe, v0
	v_cvt_u32_f32_e32 v0, v0
	v_mov_b32_e32 v11, 0
	v_readfirstlane_b32 s14, v0
	s_mul_i32 s3, s3, s14
	s_mul_hi_u32 s3, s14, s3
	s_add_i32 s14, s14, s3
	s_mul_hi_u32 s3, s2, s14
	s_mul_i32 s14, s3, s15
	s_sub_i32 s14, s2, s14
	s_add_i32 s26, s3, 1
	s_sub_i32 s27, s14, s15
	s_cmp_ge_u32 s14, s15
	s_cselect_b32 s3, s26, s3
	s_cselect_b32 s14, s27, s14
	s_add_i32 s26, s3, 1
	s_cmp_ge_u32 s14, s15
	s_cselect_b32 s14, s26, s3
	s_mul_i32 s3, s14, s15
	s_sub_i32 s2, s2, s3
	s_lshl_b32 s29, s2, 6
	v_or_b32_e32 v0, s29, v10
	v_cmp_gt_i32_e32 vcc, s20, v0
	s_and_b64 s[2:3], s[4:5], vcc
	s_and_b64 s[4:5], s[10:11], s[2:3]
	v_ashrrev_i32_e32 v1, 31, v0
	s_and_saveexec_b64 s[2:3], s[4:5]
	s_cbranch_execz .LBB32_11
; %bb.10:
	v_mad_i64_i32 v[4:5], s[4:5], s18, v206, 0
	v_lshl_add_u64 v[4:5], v[4:5], 2, s[16:17]
	v_lshl_add_u64 v[4:5], v[0:1], 2, v[4:5]
	flat_load_dword v3, v[4:5]
	s_waitcnt vmcnt(0) lgkmcnt(0)
	v_mul_f32_e32 v11, s23, v3
.LBB32_11:
	s_or_b64 exec, exec, s[2:3]
	v_lshrrev_b32_e32 v12, 2, v2
	s_lshl_b32 s30, s14, 7
	s_load_dword s33, s[0:1], 0x30
	v_add_u32_e32 v4, s30, v12
	v_and_b32_e32 v207, 3, v204
	s_add_i32 s31, s22, -1
	v_cmp_le_i32_e64 s[4:5], s21, v4
	s_xor_b64 s[26:27], s[10:11], -1
	v_cmp_le_i32_e64 s[2:3], s22, v207
	v_min_i32_e32 v2, s31, v207
	s_or_b64 s[14:15], s[4:5], s[26:27]
	v_ashrrev_i32_e32 v3, 31, v2
	s_or_b64 s[4:5], s[2:3], s[14:15]
	v_lshl_add_u64 v[2:3], v[2:3], 2, s[12:13]
	s_xor_b64 s[34:35], s[4:5], -1
	s_and_saveexec_b64 s[4:5], s[34:35]
	s_cbranch_execz .LBB32_13
; %bb.12:
	s_waitcnt lgkmcnt(0)
	v_mad_i64_i32 v[6:7], s[34:35], v4, s33, 0
	v_lshl_add_u64 v[6:7], v[6:7], 2, v[2:3]
	flat_load_dword v5, v[6:7]
	s_waitcnt vmcnt(0) lgkmcnt(0)
	v_mul_f32_e32 v9, s23, v5
.LBB32_13:
	s_or_b64 exec, exec, s[4:5]
	v_add_u32_e32 v5, 64, v4
	v_cmp_le_i32_e64 s[4:5], s21, v5
	s_or_b64 s[4:5], s[4:5], s[26:27]
	s_or_b64 s[2:3], s[2:3], s[4:5]
	s_xor_b64 s[26:27], s[2:3], -1
	v_mov_b32_e32 v6, 0
	v_mov_b32_e32 v13, 0
	s_and_saveexec_b64 s[2:3], s[26:27]
	s_cbranch_execz .LBB32_15
; %bb.14:
	s_waitcnt lgkmcnt(0)
	v_mad_i64_i32 v[14:15], s[26:27], v5, s33, 0
	v_lshl_add_u64 v[2:3], v[14:15], 2, v[2:3]
	flat_load_dword v2, v[2:3]
	s_waitcnt vmcnt(0) lgkmcnt(0)
	v_mul_f32_e32 v13, s23, v2
.LBB32_15:
	s_or_b64 exec, exec, s[2:3]
	v_add_u32_e32 v2, 4, v206
	v_cmp_gt_i32_e64 s[2:3], s22, v2
	s_and_b64 s[2:3], vcc, s[2:3]
	s_and_b64 s[26:27], s[10:11], s[2:3]
	s_and_saveexec_b64 s[2:3], s[26:27]
	s_cbranch_execz .LBB32_17
; %bb.16:
	v_mad_u64_u32 v[6:7], s[26:27], s18, v2, 0
	v_mov_b32_e32 v8, v7
	v_mad_u64_u32 v[2:3], s[26:27], s19, v2, v[8:9]
	v_mov_b32_e32 v7, v2
	v_lshl_add_u64 v[2:3], v[6:7], 2, s[16:17]
	v_lshl_add_u64 v[2:3], v[0:1], 2, v[2:3]
	flat_load_dword v2, v[2:3]
	s_waitcnt vmcnt(0) lgkmcnt(0)
	v_mul_f32_e32 v6, s23, v2
.LBB32_17:
	s_or_b64 exec, exec, s[2:3]
	v_or_b32_e32 v2, 4, v207
	v_cmp_le_i32_e64 s[2:3], s22, v2
	v_min_i32_e32 v2, s31, v2
	v_ashrrev_i32_e32 v3, 31, v2
	s_or_b64 s[26:27], s[2:3], s[14:15]
	v_lshl_add_u64 v[2:3], v[2:3], 2, s[12:13]
	s_xor_b64 s[34:35], s[26:27], -1
	v_mov_b32_e32 v7, 0
	v_mov_b32_e32 v8, 0
	s_and_saveexec_b64 s[26:27], s[34:35]
	s_cbranch_execz .LBB32_19
; %bb.18:
	s_waitcnt lgkmcnt(0)
	v_mad_i64_i32 v[14:15], s[34:35], v4, s33, 0
	v_lshl_add_u64 v[14:15], v[14:15], 2, v[2:3]
	flat_load_dword v8, v[14:15]
	s_waitcnt vmcnt(0) lgkmcnt(0)
	v_mul_f32_e32 v8, s23, v8
.LBB32_19:
	s_or_b64 exec, exec, s[26:27]
	s_or_b64 s[2:3], s[2:3], s[4:5]
	s_xor_b64 s[26:27], s[2:3], -1
	s_and_saveexec_b64 s[2:3], s[26:27]
	s_cbranch_execz .LBB32_21
; %bb.20:
	s_waitcnt lgkmcnt(0)
	v_mad_i64_i32 v[14:15], s[26:27], v5, s33, 0
	v_lshl_add_u64 v[2:3], v[14:15], 2, v[2:3]
	flat_load_dword v2, v[2:3]
	s_waitcnt vmcnt(0) lgkmcnt(0)
	v_mul_f32_e32 v7, s23, v2
.LBB32_21:
	s_or_b64 exec, exec, s[2:3]
	v_lshlrev_b32_e32 v2, 4, v10
	v_lshlrev_b32_e32 v3, 2, v207
	v_lshl_add_u32 v2, v206, 2, v2
	v_lshl_or_b32 v210, v12, 4, v3
	v_lshlrev_b32_e32 v209, 4, v205
	ds_write_b32 v2, v11 offset:4096
	ds_write2st64_b32 v210, v9, v13 offset1:4
	s_waitcnt lgkmcnt(0)
	s_barrier
	ds_read_b128 v[10:13], v209
	v_lshlrev_b32_e32 v208, 4, v204
	ds_read_b128 v[14:17], v208 offset:4992
	ds_read_b128 v[18:21], v209 offset:512
	;; [unrolled: 1-line block ×5, first 2 shown]
	s_waitcnt lgkmcnt(5)
	v_max_f32_e32 v3, v11, v11
	v_max_f32_e32 v56, v10, v10
	;; [unrolled: 1-line block ×4, first 2 shown]
	ds_read_b128 v[10:13], v208 offset:4352
	s_waitcnt lgkmcnt(5)
	v_max_f32_e32 v9, v15, v15
	v_max_f32_e32 v60, v14, v14
	s_waitcnt lgkmcnt(4)
	v_max_f32_e32 v58, v19, v19
	v_max_f32_e32 v59, v18, v18
	;; [unrolled: 1-line block ×4, first 2 shown]
	ds_read_b128 v[14:17], v208 offset:4480
	v_max_f32_e32 v124, v21, v21
	v_max_f32_e32 v125, v20, v20
	s_waitcnt lgkmcnt(2)
	v_max_f32_e32 v126, v33, v33
	v_max_f32_e32 v127, v32, v32
	s_waitcnt lgkmcnt(1)
	v_max_f32_e32 v32, v10, v10
	v_max_f32_e32 v33, v11, v11
	;; [unrolled: 1-line block ×3, first 2 shown]
	ds_read_b128 v[18:21], v208 offset:4608
	v_max_f32_e32 v73, v13, v13
	ds_read_b128 v[10:13], v208 offset:4736
	ds_read_b128 v[34:37], v208 offset:4096
	;; [unrolled: 1-line block ×3, first 2 shown]
	v_max_f32_e32 v61, v31, v31
	v_max_f32_e32 v62, v30, v30
	;; [unrolled: 1-line block ×4, first 2 shown]
	s_waitcnt lgkmcnt(2)
	v_max_f32_e32 v54, v10, v10
	v_max_f32_e32 v55, v11, v11
	s_waitcnt lgkmcnt(1)
	v_max_f32_e32 v30, v34, v34
	v_max_f32_e32 v31, v35, v35
	;; [unrolled: 3-line block ×3, first 2 shown]
	v_max_f32_e32 v42, v14, v14
	v_max_f32_e32 v43, v15, v15
	;; [unrolled: 1-line block ×6, first 2 shown]
	v_min_f32_e32 v50, v54, v56
	v_min_f32_e32 v51, v55, v3
	;; [unrolled: 1-line block ×10, first 2 shown]
	v_max_f32_e32 v68, v36, v36
	v_max_f32_e32 v69, v37, v37
	;; [unrolled: 1-line block ×11, first 2 shown]
	v_min_f32_e32 v10, v30, v56
	v_min_f32_e32 v11, v31, v3
	;; [unrolled: 1-line block ×35, first 2 shown]
	v_pk_add_f32 v[54:55], v[54:55], 0 op_sel_hi:[1,0]
	v_min_f32_e32 v61, v122, v112
	v_min_f32_e32 v60, v123, v113
	v_pk_add_f32 v[96:97], v[54:55], v[60:61]
	v_pk_add_f32 v[54:55], v[56:57], 0 op_sel_hi:[1,0]
	v_min_f32_e32 v57, v122, v124
	v_min_f32_e32 v56, v123, v125
	v_pk_add_f32 v[80:81], v[54:55], v[56:57]
	v_pk_add_f32 v[54:55], v[58:59], 0 op_sel_hi:[1,0]
	v_min_f32_e32 v57, v122, v126
	v_min_f32_e32 v56, v123, v127
	v_max_f32_e32 v84, v16, v16
	v_min_f32_e32 v14, v30, v62
	v_min_f32_e32 v16, v30, v64
	v_min_f32_e32 v30, v32, v62
	v_min_f32_e32 v32, v32, v64
	v_min_f32_e32 v46, v48, v62
	v_min_f32_e32 v48, v48, v64
	v_min_f32_e32 v102, v65, v62
	v_min_f32_e32 v104, v65, v64
	v_pk_add_f32 v[64:65], v[54:55], v[56:57]
	v_pk_add_f32 v[10:11], v[10:11], 0 op_sel_hi:[1,0]
	v_min_f32_e32 v54, v68, v113
	v_min_f32_e32 v55, v69, v112
	v_pk_add_f32 v[120:121], v[10:11], v[54:55]
	v_pk_add_f32 v[10:11], v[12:13], 0 op_sel_hi:[1,0]
	v_min_f32_e32 v12, v68, v125
	v_min_f32_e32 v13, v69, v124
	;; [unrolled: 4-line block ×3, first 2 shown]
	v_max_f32_e32 v71, v41, v41
	v_min_f32_e32 v19, v27, v3
	v_pk_add_f32 v[78:79], v[10:11], v[12:13]
	v_min_f32_e32 v11, v69, v128
	v_min_f32_e32 v10, v68, v129
	v_pk_add_f32 v[12:13], v[16:17], 0 op_sel_hi:[1,0]
	v_max_f32_e32 v133, v25, v25
	v_min_f32_e32 v25, v27, v63
	v_min_f32_e32 v27, v33, v3
	;; [unrolled: 1-line block ×9, first 2 shown]
	v_pk_add_f32 v[62:63], v[12:13], v[10:11]
	v_pk_add_f32 v[10:11], v[18:19], 0 op_sel_hi:[1,0]
	v_min_f32_e32 v12, v70, v113
	v_min_f32_e32 v13, v71, v112
	v_pk_add_f32 v[118:119], v[10:11], v[12:13]
	v_pk_add_f32 v[10:11], v[20:21], 0 op_sel_hi:[1,0]
	v_min_f32_e32 v12, v70, v125
	v_min_f32_e32 v13, v71, v124
	;; [unrolled: 4-line block ×3, first 2 shown]
	v_pk_add_f32 v[76:77], v[10:11], v[12:13]
	v_min_f32_e32 v11, v71, v128
	v_min_f32_e32 v10, v70, v129
	v_pk_add_f32 v[12:13], v[24:25], 0 op_sel_hi:[1,0]
	v_min_f32_e32 v99, v74, v3
	v_pk_add_f32 v[60:61], v[12:13], v[10:11]
	v_pk_add_f32 v[10:11], v[26:27], 0 op_sel_hi:[1,0]
	v_min_f32_e32 v12, v72, v113
	v_min_f32_e32 v13, v73, v112
	v_pk_add_f32 v[116:117], v[10:11], v[12:13]
	v_pk_add_f32 v[10:11], v[28:29], 0 op_sel_hi:[1,0]
	v_min_f32_e32 v12, v72, v125
	;; [unrolled: 4-line block ×3, first 2 shown]
	v_min_f32_e32 v13, v73, v126
	v_pk_add_f32 v[74:75], v[10:11], v[12:13]
	v_min_f32_e32 v11, v73, v128
	v_min_f32_e32 v10, v72, v129
	v_pk_add_f32 v[12:13], v[32:33], 0 op_sel_hi:[1,0]
	s_cmp_lt_i32 s22, 9
	v_pk_add_f32 v[58:59], v[12:13], v[10:11]
	v_pk_add_f32 v[10:11], v[34:35], 0 op_sel_hi:[1,0]
	v_min_f32_e32 v12, v84, v113
	v_min_f32_e32 v13, v85, v112
	v_pk_add_f32 v[114:115], v[10:11], v[12:13]
	v_pk_add_f32 v[10:11], v[36:37], 0 op_sel_hi:[1,0]
	v_min_f32_e32 v12, v84, v125
	v_min_f32_e32 v13, v85, v124
	v_pk_add_f32 v[88:89], v[10:11], v[12:13]
	v_pk_add_f32 v[10:11], v[38:39], 0 op_sel_hi:[1,0]
	v_min_f32_e32 v12, v84, v127
	v_min_f32_e32 v13, v85, v126
	v_pk_add_f32 v[72:73], v[10:11], v[12:13]
	v_min_f32_e32 v11, v85, v128
	v_min_f32_e32 v10, v84, v129
	v_pk_add_f32 v[12:13], v[40:41], 0 op_sel_hi:[1,0]
	ds_write2st64_b32 v210, v8, v7 offset0:8 offset1:12
	ds_write_b32 v2, v6 offset:5120
	v_pk_add_f32 v[56:57], v[12:13], v[10:11]
	v_pk_add_f32 v[10:11], v[42:43], 0 op_sel_hi:[1,0]
	v_min_f32_e32 v12, v110, v113
	v_min_f32_e32 v13, v111, v112
	v_pk_add_f32 v[108:109], v[10:11], v[12:13]
	v_pk_add_f32 v[10:11], v[44:45], 0 op_sel_hi:[1,0]
	v_min_f32_e32 v12, v110, v125
	v_min_f32_e32 v13, v111, v124
	;; [unrolled: 4-line block ×3, first 2 shown]
	v_pk_add_f32 v[70:71], v[10:11], v[12:13]
	v_min_f32_e32 v11, v111, v128
	v_min_f32_e32 v10, v110, v129
	v_pk_add_f32 v[12:13], v[48:49], 0 op_sel_hi:[1,0]
	s_waitcnt lgkmcnt(0)
	v_pk_add_f32 v[54:55], v[12:13], v[10:11]
	v_pk_add_f32 v[10:11], v[50:51], 0 op_sel_hi:[1,0]
	v_min_f32_e32 v12, v130, v113
	v_min_f32_e32 v13, v131, v112
	v_pk_add_f32 v[110:111], v[10:11], v[12:13]
	v_pk_add_f32 v[10:11], v[52:53], 0 op_sel_hi:[1,0]
	v_min_f32_e32 v12, v130, v125
	v_min_f32_e32 v13, v131, v124
	;; [unrolled: 4-line block ×3, first 2 shown]
	v_pk_add_f32 v[68:69], v[10:11], v[12:13]
	v_min_f32_e32 v11, v131, v128
	v_min_f32_e32 v10, v130, v129
	v_pk_add_f32 v[12:13], v[82:83], 0 op_sel_hi:[1,0]
	s_barrier
	v_pk_add_f32 v[52:53], v[12:13], v[10:11]
	v_min_f32_e32 v10, v132, v113
	v_min_f32_e32 v11, v133, v112
	v_pk_add_f32 v[12:13], v[98:99], 0 op_sel_hi:[1,0]
	s_nop 0
	v_pk_add_f32 v[112:113], v[12:13], v[10:11]
	v_min_f32_e32 v10, v132, v125
	v_min_f32_e32 v11, v133, v124
	v_pk_add_f32 v[12:13], v[100:101], 0 op_sel_hi:[1,0]
	s_nop 0
	;; [unrolled: 5-line block ×5, first 2 shown]
	v_pk_add_f32 v[48:49], v[12:13], v[10:11]
	s_cbranch_scc1 .LBB32_36
; %bb.22:
	v_lshl_add_u64 v[98:99], v[0:1], 2, s[16:17]
	v_mov_b32_e32 v0, 0x1400
	v_lshl_add_u32 v215, v204, 4, v0
	v_mov_b32_e32 v0, 0x800
	v_lshl_add_u32 v216, v205, 4, v0
	v_add_u32_e32 v0, 12, v206
	v_mad_i64_i32 v[0:1], s[2:3], v0, s18, 0
	v_lshlrev_b64 v[104:105], 2, v[0:1]
	v_add_u32_e32 v0, 8, v206
	v_mad_i64_i32 v[0:1], s[2:3], v0, s18, 0
	v_or_b32_e32 v211, 0x1000, v2
	v_add_u32_e32 v212, 0x1000, v208
	v_add_u32_e32 v213, 0x1400, v2
	;; [unrolled: 1-line block ×3, first 2 shown]
	s_add_i32 s26, s22, -8
	v_mad_i64_i32 v[100:101], s[2:3], v4, s33, 0
	v_mad_i64_i32 v[102:103], s[2:3], v5, s33, 0
	s_lshl_b64 s[16:17], s[18:19], 5
	v_lshlrev_b64 v[106:107], 2, v[0:1]
	s_mov_b32 s27, 0
	s_branch .LBB32_24
.LBB32_23:                              ;   in Loop: Header=BB32_24 Depth=1
	s_or_b64 exec, exec, s[2:3]
	v_pk_add_f32 v[40:41], v[96:97], v[40:41]
	v_pk_add_f32 v[32:33], v[64:65], v[32:33]
	;; [unrolled: 1-line block ×19, first 2 shown]
	ds_read_b128 v[0:3], v209
	ds_read_b128 v[8:11], v209 offset:512
	v_pk_add_f32 v[20:21], v[120:121], v[6:7]
	ds_read_b128 v[4:7], v212 offset:896
	v_pk_add_f32 v[44:45], v[94:95], v[44:45]
	v_pk_add_f32 v[28:29], v[78:79], v[28:29]
	;; [unrolled: 1-line block ×20, first 2 shown]
	ds_read_b128 v[12:15], v212 offset:768
	s_waitcnt lgkmcnt(1)
	v_max_f32_e32 v93, v5, v5
	v_max_f32_e32 v95, v4, v4
	;; [unrolled: 1-line block ×4, first 2 shown]
	v_pk_add_f32 v[76:77], v[36:37], v[38:39]
	v_pk_add_f32 v[72:73], v[28:29], v[30:31]
	;; [unrolled: 1-line block ×6, first 2 shown]
	ds_read_b128 v[80:83], v209 offset:1536
	ds_read_b128 v[84:87], v209 offset:1024
	v_min_f32_e32 v5, v93, v96
	v_min_f32_e32 v4, v95, v97
	v_pk_add_f32 v[60:61], v[62:63], v[168:169]
	v_pk_add_f32 v[62:63], v[78:79], v[166:167]
	;; [unrolled: 1-line block ×3, first 2 shown]
	ds_read_b128 v[76:79], v212
	v_pk_add_f32 v[90:91], v[90:91], v[132:133]
	v_pk_add_f32 v[88:89], v[88:89], v[138:139]
	;; [unrolled: 1-line block ×3, first 2 shown]
	s_waitcnt lgkmcnt(1)
	v_max_f32_e32 v114, v85, v85
	v_max_f32_e32 v115, v84, v84
	v_pk_add_f32 v[116:117], v[54:55], v[148:149]
	v_pk_add_f32 v[54:55], v[90:91], v[172:173]
	;; [unrolled: 1-line block ×3, first 2 shown]
	ds_read_b128 v[88:91], v212 offset:128
	v_max_f32_e32 v92, v1, v1
	v_max_f32_e32 v94, v0, v0
	v_min_f32_e32 v9, v93, v114
	v_min_f32_e32 v8, v95, v115
	s_waitcnt lgkmcnt(1)
	v_max_f32_e32 v84, v76, v76
	v_max_f32_e32 v85, v77, v77
	v_pk_add_f32 v[8:9], v[74:75], v[8:9]
	v_min_f32_e32 v74, v84, v94
	v_min_f32_e32 v75, v85, v92
	v_pk_add_f32 v[74:75], v[68:69], v[74:75]
	v_min_f32_e32 v68, v84, v97
	v_min_f32_e32 v69, v85, v96
	;; [unrolled: 3-line block ×3, first 2 shown]
	v_max_f32_e32 v81, v81, v81
	v_max_f32_e32 v80, v80, v80
	v_pk_add_f32 v[66:67], v[24:25], v[26:27]
	v_pk_add_f32 v[72:73], v[72:73], v[68:69]
	v_min_f32_e32 v69, v85, v81
	v_min_f32_e32 v68, v84, v80
	v_pk_add_f32 v[84:85], v[66:67], v[68:69]
	s_waitcnt lgkmcnt(0)
	v_max_f32_e32 v68, v88, v88
	v_max_f32_e32 v69, v89, v89
	v_min_f32_e32 v66, v68, v94
	v_min_f32_e32 v67, v69, v92
	v_pk_add_f32 v[60:61], v[60:61], v[66:67]
	v_min_f32_e32 v66, v68, v97
	v_min_f32_e32 v67, v69, v96
	v_pk_add_f32 v[108:109], v[108:109], v[146:147]
	v_pk_add_f32 v[88:89], v[62:63], v[66:67]
	v_min_f32_e32 v62, v68, v115
	v_min_f32_e32 v63, v69, v114
	v_pk_add_f32 v[36:37], v[108:109], v[186:187]
	v_pk_add_f32 v[108:109], v[64:65], v[62:63]
	ds_read_b128 v[64:67], v212 offset:256
	v_min_f32_e32 v63, v69, v81
	v_min_f32_e32 v62, v68, v80
	ds_read_b128 v[68:71], v212 offset:384
	v_pk_add_f32 v[58:59], v[58:59], v[62:63]
	s_waitcnt lgkmcnt(1)
	v_max_f32_e32 v64, v64, v64
	v_max_f32_e32 v65, v65, v65
	v_min_f32_e32 v62, v64, v94
	v_min_f32_e32 v63, v65, v92
	v_pk_add_f32 v[52:53], v[52:53], v[62:63]
	v_min_f32_e32 v62, v64, v97
	v_min_f32_e32 v63, v65, v96
	v_pk_add_f32 v[54:55], v[54:55], v[62:63]
	;; [unrolled: 3-line block ×3, first 2 shown]
	v_pk_add_f32 v[56:57], v[56:57], v[62:63]
	v_min_f32_e32 v63, v65, v81
	v_min_f32_e32 v62, v64, v80
	v_pk_add_f32 v[28:29], v[110:111], v[196:197]
	v_pk_add_f32 v[110:111], v[50:51], v[62:63]
	s_waitcnt lgkmcnt(0)
	v_max_f32_e32 v62, v68, v68
	v_max_f32_e32 v63, v69, v69
	v_min_f32_e32 v50, v62, v94
	v_min_f32_e32 v51, v63, v92
	v_pk_add_f32 v[112:113], v[112:113], v[158:159]
	v_pk_add_f32 v[68:69], v[44:45], v[50:51]
	v_min_f32_e32 v44, v62, v97
	v_min_f32_e32 v45, v63, v96
	v_pk_add_f32 v[24:25], v[112:113], v[202:203]
	v_pk_add_f32 v[112:113], v[46:47], v[44:45]
	;; [unrolled: 4-line block ×3, first 2 shown]
	ds_read_b128 v[44:47], v212 offset:512
	v_min_f32_e32 v49, v63, v81
	v_min_f32_e32 v48, v62, v80
	v_pk_add_f32 v[42:43], v[42:43], v[48:49]
	ds_read_b128 v[48:51], v212 offset:640
	s_waitcnt lgkmcnt(1)
	v_max_f32_e32 v62, v44, v44
	v_max_f32_e32 v63, v45, v45
	v_min_f32_e32 v44, v62, v94
	v_min_f32_e32 v45, v63, v92
	v_pk_add_f32 v[36:37], v[36:37], v[44:45]
	v_min_f32_e32 v44, v62, v97
	v_min_f32_e32 v45, v63, v96
	v_pk_add_f32 v[38:39], v[38:39], v[44:45]
	;; [unrolled: 3-line block ×3, first 2 shown]
	v_pk_add_f32 v[40:41], v[40:41], v[44:45]
	v_min_f32_e32 v45, v63, v81
	v_min_f32_e32 v44, v62, v80
	s_waitcnt lgkmcnt(0)
	v_max_f32_e32 v48, v48, v48
	v_max_f32_e32 v49, v49, v49
	v_pk_add_f32 v[34:35], v[34:35], v[44:45]
	v_min_f32_e32 v44, v48, v94
	v_min_f32_e32 v45, v49, v92
	v_pk_add_f32 v[28:29], v[28:29], v[44:45]
	v_min_f32_e32 v44, v48, v97
	v_min_f32_e32 v45, v49, v96
	;; [unrolled: 3-line block ×3, first 2 shown]
	v_pk_add_f32 v[26:27], v[118:119], v[198:199]
	v_pk_add_f32 v[32:33], v[32:33], v[44:45]
	v_min_f32_e32 v45, v49, v81
	v_min_f32_e32 v44, v48, v80
	v_pk_add_f32 v[26:27], v[26:27], v[44:45]
	v_max_f32_e32 v44, v12, v12
	v_max_f32_e32 v45, v13, v13
	v_min_f32_e32 v12, v44, v94
	v_min_f32_e32 v13, v45, v92
	v_pk_add_f32 v[12:13], v[24:25], v[12:13]
	v_min_f32_e32 v24, v44, v97
	v_min_f32_e32 v25, v45, v96
	v_pk_add_f32 v[22:23], v[22:23], v[24:25]
	;; [unrolled: 3-line block ×4, first 2 shown]
	v_min_f32_e32 v25, v93, v81
	v_min_f32_e32 v24, v95, v80
	;; [unrolled: 1-line block ×4, first 2 shown]
	v_pk_add_f32 v[16:17], v[16:17], v[24:25]
	v_max_f32_e32 v24, v3, v3
	v_max_f32_e32 v7, v7, v7
	v_max_f32_e32 v25, v2, v2
	v_max_f32_e32 v6, v6, v6
	v_pk_add_f32 v[0:1], v[124:125], v[0:1]
	v_min_f32_e32 v3, v7, v24
	v_min_f32_e32 v2, v6, v25
	v_pk_add_f32 v[96:97], v[0:1], v[2:3]
	v_max_f32_e32 v2, v11, v11
	v_max_f32_e32 v3, v10, v10
	v_min_f32_e32 v1, v7, v2
	v_min_f32_e32 v0, v6, v3
	v_pk_add_f32 v[80:81], v[4:5], v[0:1]
	v_max_f32_e32 v4, v87, v87
	v_max_f32_e32 v5, v86, v86
	;; [unrolled: 5-line block ×3, first 2 shown]
	v_min_f32_e32 v0, v8, v25
	v_min_f32_e32 v1, v9, v24
	v_pk_add_f32 v[120:121], v[74:75], v[0:1]
	v_min_f32_e32 v0, v8, v3
	v_min_f32_e32 v1, v9, v2
	v_pk_add_f32 v[94:95], v[76:77], v[0:1]
	v_min_f32_e32 v0, v8, v5
	v_min_f32_e32 v1, v9, v4
	v_max_f32_e32 v10, v83, v83
	v_pk_add_f32 v[78:79], v[72:73], v[0:1]
	v_min_f32_e32 v1, v9, v10
	v_max_f32_e32 v9, v82, v82
	v_min_f32_e32 v0, v8, v9
	v_max_f32_e32 v8, v90, v90
	v_max_f32_e32 v11, v91, v91
	v_pk_add_f32 v[62:63], v[84:85], v[0:1]
	v_min_f32_e32 v0, v8, v25
	v_min_f32_e32 v1, v11, v24
	v_pk_add_f32 v[118:119], v[60:61], v[0:1]
	v_min_f32_e32 v0, v8, v3
	v_min_f32_e32 v1, v11, v2
	v_pk_add_f32 v[92:93], v[88:89], v[0:1]
	v_min_f32_e32 v0, v8, v5
	v_min_f32_e32 v1, v11, v4
	v_pk_add_f32 v[76:77], v[108:109], v[0:1]
	v_min_f32_e32 v1, v11, v10
	v_min_f32_e32 v0, v8, v9
	v_max_f32_e32 v8, v66, v66
	v_max_f32_e32 v11, v67, v67
	v_pk_add_f32 v[60:61], v[58:59], v[0:1]
	v_min_f32_e32 v0, v8, v25
	v_min_f32_e32 v1, v11, v24
	v_pk_add_f32 v[116:117], v[52:53], v[0:1]
	v_min_f32_e32 v0, v8, v3
	v_min_f32_e32 v1, v11, v2
	v_pk_add_f32 v[90:91], v[54:55], v[0:1]
	v_min_f32_e32 v0, v8, v5
	v_min_f32_e32 v1, v11, v4
	v_pk_add_f32 v[74:75], v[56:57], v[0:1]
	v_min_f32_e32 v1, v11, v10
	;; [unrolled: 14-line block ×6, first 2 shown]
	v_min_f32_e32 v0, v8, v9
	v_pk_add_f32 v[50:51], v[20:21], v[0:1]
	v_min_f32_e32 v1, v7, v10
	v_min_f32_e32 v0, v6, v9
	s_add_i32 s27, s27, 8
	v_pk_add_f32 v[48:49], v[16:17], v[0:1]
	s_cmp_ge_i32 s27, s26
	v_lshl_add_u64 v[98:99], v[98:99], 0, s[16:17]
	ds_write_b32 v213, v217
	ds_write2st64_b32 v214, v219, v218 offset1:4
	s_waitcnt lgkmcnt(0)
	s_barrier
	s_cbranch_scc1 .LBB32_36
.LBB32_24:                              ; =>This Inner Loop Header: Depth=1
	v_add_u32_e32 v122, s27, v206
	v_add_u32_e32 v0, 8, v122
	v_cmp_gt_i32_e64 s[2:3], s22, v0
	s_and_b64 s[2:3], vcc, s[2:3]
	s_and_b64 s[18:19], s[10:11], s[2:3]
	v_mov_b32_e32 v124, 0
	v_mov_b32_e32 v125, 0
	s_and_saveexec_b64 s[2:3], s[18:19]
	s_cbranch_execz .LBB32_26
; %bb.25:                               ;   in Loop: Header=BB32_24 Depth=1
	v_lshl_add_u64 v[0:1], v[98:99], 0, v[106:107]
	flat_load_dword v0, v[0:1]
	s_waitcnt vmcnt(0) lgkmcnt(0)
	v_mul_f32_e32 v125, s23, v0
.LBB32_26:                              ;   in Loop: Header=BB32_24 Depth=1
	s_or_b64 exec, exec, s[2:3]
	v_add_u32_e32 v123, s27, v207
	v_add_u32_e32 v0, 8, v123
	v_cmp_le_i32_e64 s[2:3], s22, v0
	v_min_i32_e32 v0, s31, v0
	v_ashrrev_i32_e32 v1, 31, v0
	s_or_b64 s[18:19], s[14:15], s[2:3]
	v_lshl_add_u64 v[0:1], v[0:1], 2, s[12:13]
	s_xor_b64 s[34:35], s[18:19], -1
	s_and_saveexec_b64 s[18:19], s[34:35]
	s_cbranch_execz .LBB32_28
; %bb.27:                               ;   in Loop: Header=BB32_24 Depth=1
	v_lshl_add_u64 v[2:3], v[100:101], 2, v[0:1]
	flat_load_dword v2, v[2:3]
	s_waitcnt vmcnt(0) lgkmcnt(0)
	v_mul_f32_e32 v124, s23, v2
.LBB32_28:                              ;   in Loop: Header=BB32_24 Depth=1
	s_or_b64 exec, exec, s[18:19]
	s_or_b64 s[2:3], s[4:5], s[2:3]
	s_xor_b64 s[18:19], s[2:3], -1
	v_mov_b32_e32 v217, 0
	v_mov_b32_e32 v126, 0
	s_and_saveexec_b64 s[2:3], s[18:19]
	s_cbranch_execz .LBB32_30
; %bb.29:                               ;   in Loop: Header=BB32_24 Depth=1
	v_lshl_add_u64 v[0:1], v[102:103], 2, v[0:1]
	flat_load_dword v0, v[0:1]
	s_waitcnt vmcnt(0) lgkmcnt(0)
	v_mul_f32_e32 v126, s23, v0
.LBB32_30:                              ;   in Loop: Header=BB32_24 Depth=1
	s_or_b64 exec, exec, s[2:3]
	ds_read_b128 v[40:43], v216
	ds_read_b128 v[36:39], v216 offset:512
	ds_read_b128 v[24:27], v216 offset:1536
	;; [unrolled: 1-line block ×3, first 2 shown]
	ds_read_b128 v[28:31], v215
	ds_read_b128 v[20:23], v215 offset:128
	ds_read_b128 v[16:19], v215 offset:256
	;; [unrolled: 1-line block ×7, first 2 shown]
	v_add_u32_e32 v122, 12, v122
	v_cmp_gt_i32_e64 s[2:3], s22, v122
	s_and_b64 s[2:3], vcc, s[2:3]
	s_and_b64 s[18:19], s[10:11], s[2:3]
	ds_write_b32 v211, v125
	ds_write2st64_b32 v210, v124, v126 offset1:4
	s_waitcnt lgkmcnt(0)
	s_barrier
	s_and_saveexec_b64 s[2:3], s[18:19]
	s_cbranch_execz .LBB32_32
; %bb.31:                               ;   in Loop: Header=BB32_24 Depth=1
	v_lshl_add_u64 v[124:125], v[98:99], 0, v[104:105]
	flat_load_dword v122, v[124:125]
	s_waitcnt vmcnt(0) lgkmcnt(0)
	v_mul_f32_e32 v217, s23, v122
.LBB32_32:                              ;   in Loop: Header=BB32_24 Depth=1
	s_or_b64 exec, exec, s[2:3]
	v_add_u32_e32 v122, 12, v123
	v_cmp_le_i32_e64 s[2:3], s22, v122
	v_min_i32_e32 v122, s31, v122
	v_ashrrev_i32_e32 v123, 31, v122
	s_or_b64 s[18:19], s[14:15], s[2:3]
	v_lshl_add_u64 v[122:123], v[122:123], 2, s[12:13]
	s_xor_b64 s[34:35], s[18:19], -1
	v_mov_b32_e32 v218, 0
	v_mov_b32_e32 v219, 0
	s_and_saveexec_b64 s[18:19], s[34:35]
	s_cbranch_execz .LBB32_34
; %bb.33:                               ;   in Loop: Header=BB32_24 Depth=1
	v_lshl_add_u64 v[124:125], v[100:101], 2, v[122:123]
	flat_load_dword v124, v[124:125]
	s_waitcnt vmcnt(0) lgkmcnt(0)
	v_mul_f32_e32 v219, s23, v124
.LBB32_34:                              ;   in Loop: Header=BB32_24 Depth=1
	s_or_b64 exec, exec, s[18:19]
	v_max_f32_e32 v156, v41, v41
	v_max_f32_e32 v162, v45, v45
	;; [unrolled: 1-line block ×34, first 2 shown]
	v_min_f32_e32 v41, v162, v156
	v_min_f32_e32 v40, v164, v157
	;; [unrolled: 1-line block ×62, first 2 shown]
	v_max_f32_e32 v193, v47, v47
	v_max_f32_e32 v220, v46, v46
	;; [unrolled: 1-line block ×12, first 2 shown]
	v_min_f32_e32 v196, v6, v200
	v_min_f32_e32 v197, v7, v192
	;; [unrolled: 1-line block ×8, first 2 shown]
	v_max_f32_e32 v6, v2, v2
	v_max_f32_e32 v7, v3, v3
	s_or_b64 s[2:3], s[4:5], s[2:3]
	v_min_f32_e32 v32, v164, v165
	v_min_f32_e32 v0, v168, v165
	v_min_f32_e32 v43, v193, v192
	v_min_f32_e32 v42, v220, v200
	v_min_f32_e32 v39, v193, v201
	v_min_f32_e32 v38, v220, v221
	v_min_f32_e32 v35, v193, v222
	v_min_f32_e32 v34, v220, v223
	v_min_f32_e32 v164, v166, v200
	v_min_f32_e32 v165, v167, v192
	v_min_f32_e32 v46, v166, v221
	v_min_f32_e32 v47, v167, v201
	v_min_f32_e32 v30, v166, v223
	v_min_f32_e32 v31, v167, v222
	v_min_f32_e32 v27, v167, v224
	v_min_f32_e32 v26, v166, v225
	v_min_f32_e32 v168, v170, v200
	v_min_f32_e32 v169, v171, v192
	v_min_f32_e32 v166, v170, v221
	v_min_f32_e32 v167, v171, v201
	v_min_f32_e32 v22, v170, v223
	v_min_f32_e32 v23, v171, v222
	v_min_f32_e32 v171, v171, v224
	v_min_f32_e32 v170, v170, v225
	v_min_f32_e32 v174, v176, v200
	v_min_f32_e32 v175, v177, v192
	v_min_f32_e32 v172, v176, v221
	v_min_f32_e32 v173, v177, v201
	v_min_f32_e32 v18, v176, v223
	v_min_f32_e32 v19, v177, v222
	v_min_f32_e32 v177, v177, v224
	v_min_f32_e32 v176, v176, v225
	v_min_f32_e32 v180, v182, v200
	v_min_f32_e32 v181, v183, v192
	v_min_f32_e32 v178, v182, v221
	v_min_f32_e32 v179, v183, v201
	v_min_f32_e32 v14, v182, v223
	v_min_f32_e32 v15, v183, v222
	v_min_f32_e32 v183, v183, v224
	v_min_f32_e32 v182, v182, v225
	v_min_f32_e32 v186, v188, v200
	v_min_f32_e32 v187, v189, v192
	v_min_f32_e32 v184, v188, v221
	v_min_f32_e32 v185, v189, v201
	v_min_f32_e32 v10, v188, v223
	v_min_f32_e32 v11, v189, v222
	v_min_f32_e32 v189, v189, v224
	v_min_f32_e32 v188, v188, v225
	v_min_f32_e32 v202, v6, v200
	v_min_f32_e32 v203, v7, v192
	v_min_f32_e32 v200, v6, v221
	v_min_f32_e32 v201, v7, v201
	v_min_f32_e32 v2, v6, v223
	v_min_f32_e32 v3, v7, v222
	v_min_f32_e32 v7, v7, v224
	v_min_f32_e32 v6, v6, v225
	v_min_f32_e32 v193, v193, v224
	v_min_f32_e32 v192, v220, v225
	s_xor_b64 s[18:19], s[2:3], -1
	s_and_saveexec_b64 s[2:3], s[18:19]
	s_cbranch_execz .LBB32_23
; %bb.35:                               ;   in Loop: Header=BB32_24 Depth=1
	v_lshl_add_u64 v[122:123], v[102:103], 2, v[122:123]
	flat_load_dword v122, v[122:123]
	s_waitcnt vmcnt(0) lgkmcnt(0)
	v_mul_f32_e32 v218, s23, v122
	s_branch .LBB32_23
.LBB32_36:
	s_load_dwordx2 s[2:3], s[0:1], 0x70
	s_load_dword s33, s[0:1], 0x50
	s_load_dword s31, s[0:1], 0x68
	ds_read_b128 v[44:47], v209 offset:2048
	ds_read_b128 v[40:43], v209 offset:2560
	;; [unrolled: 1-line block ×12, first 2 shown]
	s_waitcnt lgkmcnt(0)
	s_lshl_b64 s[0:1], s[2:3], 2
	s_add_u32 s22, s6, s0
	v_add_u32_e32 v126, s30, v205
	s_addc_u32 s23, s7, s1
	v_mad_i64_i32 v[100:101], s[0:1], v126, s33, 0
	v_add_u32_e32 v98, s29, v204
	v_lshl_add_u64 v[124:125], v[100:101], 2, s[24:25]
	v_mad_i64_i32 v[100:101], s[0:1], v126, s31, 0
	v_cmp_gt_i32_e64 s[18:19], s21, v126
	v_lshl_add_u64 v[122:123], v[100:101], 2, s[22:23]
	v_cmp_gt_i32_e64 s[2:3], s20, v98
	v_cndmask_b32_e64 v100, 0, 1, s[8:9]
	s_and_b64 s[6:7], s[2:3], s[18:19]
	v_ashrrev_i32_e32 v99, 31, v98
	v_cmp_ne_u32_e64 s[0:1], 1, v100
	s_and_saveexec_b64 s[4:5], s[6:7]
	s_cbranch_execz .LBB32_41
; %bb.37:
	s_and_b64 vcc, exec, s[0:1]
	s_cbranch_vccnz .LBB32_39
; %bb.38:
	v_lshl_add_u64 v[100:101], v[98:99], 2, v[124:125]
	flat_load_dword v100, v[100:101]
	s_waitcnt vmcnt(0) lgkmcnt(0)
	v_mul_f32_e32 v100, s28, v100
	s_branch .LBB32_40
.LBB32_39:
	v_mov_b32_e32 v100, 0
.LBB32_40:
	v_max_f32_e32 v101, v44, v44
	v_max_f32_e32 v102, v32, v32
	v_min_f32_e32 v102, v102, v101
	v_max_f32_e32 v101, v45, v45
	v_max_f32_e32 v103, v33, v33
	v_min_f32_e32 v103, v103, v101
	;; [unrolled: 3-line block ×3, first 2 shown]
	v_max_f32_e32 v101, v47, v47
	v_max_f32_e32 v105, v35, v35
	v_pk_add_f32 v[102:103], v[120:121], v[102:103]
	v_min_f32_e32 v105, v105, v101
	v_pk_add_f32 v[102:103], v[102:103], v[104:105]
	s_nop 0
	v_add_f32_e32 v101, v102, v103
	v_add_f32_e32 v102, v101, v100
	v_lshl_add_u64 v[100:101], v[98:99], 2, v[122:123]
	global_store_dword v[100:101], v102, off
.LBB32_41:
	s_or_b64 exec, exec, s[4:5]
	v_add_u32_e32 v100, 8, v98
	v_cmp_gt_i32_e64 s[4:5], s20, v100
	s_and_b64 s[8:9], s[4:5], s[18:19]
	v_ashrrev_i32_e32 v101, 31, v100
	s_and_saveexec_b64 s[6:7], s[8:9]
	s_cbranch_execz .LBB32_46
; %bb.42:
	s_and_b64 vcc, exec, s[0:1]
	s_cbranch_vccnz .LBB32_44
; %bb.43:
	v_lshl_add_u64 v[102:103], v[100:101], 2, v[124:125]
	flat_load_dword v102, v[102:103]
	s_waitcnt vmcnt(0) lgkmcnt(0)
	v_mul_f32_e32 v102, s28, v102
	s_branch .LBB32_45
.LBB32_44:
	v_mov_b32_e32 v102, 0
.LBB32_45:
	v_max_f32_e32 v103, v44, v44
	v_max_f32_e32 v104, v28, v28
	v_min_f32_e32 v104, v104, v103
	v_max_f32_e32 v103, v45, v45
	v_max_f32_e32 v105, v29, v29
	v_min_f32_e32 v105, v105, v103
	;; [unrolled: 3-line block ×3, first 2 shown]
	v_max_f32_e32 v103, v47, v47
	v_max_f32_e32 v107, v31, v31
	v_pk_add_f32 v[104:105], v[118:119], v[104:105]
	v_min_f32_e32 v107, v107, v103
	v_pk_add_f32 v[104:105], v[104:105], v[106:107]
	s_nop 0
	v_add_f32_e32 v103, v104, v105
	v_add_f32_e32 v104, v103, v102
	v_lshl_add_u64 v[102:103], v[100:101], 2, v[122:123]
	global_store_dword v[102:103], v104, off
.LBB32_46:
	s_or_b64 exec, exec, s[6:7]
	v_add_u32_e32 v102, 16, v98
	v_cmp_gt_i32_e64 s[6:7], s20, v102
	s_and_b64 s[10:11], s[6:7], s[18:19]
	v_ashrrev_i32_e32 v103, 31, v102
	s_and_saveexec_b64 s[8:9], s[10:11]
	s_cbranch_execz .LBB32_51
; %bb.47:
	s_and_b64 vcc, exec, s[0:1]
	s_cbranch_vccnz .LBB32_49
; %bb.48:
	v_lshl_add_u64 v[104:105], v[102:103], 2, v[124:125]
	flat_load_dword v104, v[104:105]
	s_waitcnt vmcnt(0) lgkmcnt(0)
	v_mul_f32_e32 v104, s28, v104
	s_branch .LBB32_50
.LBB32_49:
	v_mov_b32_e32 v104, 0
.LBB32_50:
	v_max_f32_e32 v105, v44, v44
	v_max_f32_e32 v106, v24, v24
	v_min_f32_e32 v106, v106, v105
	v_max_f32_e32 v105, v45, v45
	v_max_f32_e32 v107, v25, v25
	v_min_f32_e32 v107, v107, v105
	v_pk_add_f32 v[106:107], v[116:117], v[106:107]
	v_max_f32_e32 v105, v46, v46
	v_max_f32_e32 v116, v26, v26
	v_min_f32_e32 v116, v116, v105
	v_max_f32_e32 v105, v47, v47
	v_max_f32_e32 v117, v27, v27
	v_min_f32_e32 v117, v117, v105
	v_pk_add_f32 v[106:107], v[106:107], v[116:117]
	s_nop 0
	v_add_f32_e32 v105, v106, v107
	v_add_f32_e32 v106, v105, v104
	v_lshl_add_u64 v[104:105], v[102:103], 2, v[122:123]
	global_store_dword v[104:105], v106, off
.LBB32_51:
	s_or_b64 exec, exec, s[8:9]
	v_add_u32_e32 v104, 24, v98
	v_cmp_gt_i32_e64 s[8:9], s20, v104
	s_and_b64 s[12:13], s[8:9], s[18:19]
	v_ashrrev_i32_e32 v105, 31, v104
	s_and_saveexec_b64 s[10:11], s[12:13]
	s_cbranch_execz .LBB32_56
; %bb.52:
	s_and_b64 vcc, exec, s[0:1]
	s_cbranch_vccnz .LBB32_54
; %bb.53:
	v_lshl_add_u64 v[106:107], v[104:105], 2, v[124:125]
	flat_load_dword v106, v[106:107]
	s_waitcnt vmcnt(0) lgkmcnt(0)
	v_mul_f32_e32 v106, s28, v106
	s_branch .LBB32_55
.LBB32_54:
	v_mov_b32_e32 v106, 0
.LBB32_55:
	v_max_f32_e32 v107, v44, v44
	v_max_f32_e32 v116, v20, v20
	v_min_f32_e32 v116, v116, v107
	v_max_f32_e32 v107, v45, v45
	v_max_f32_e32 v117, v21, v21
	v_min_f32_e32 v117, v117, v107
	v_pk_add_f32 v[114:115], v[114:115], v[116:117]
	v_max_f32_e32 v107, v46, v46
	v_max_f32_e32 v116, v22, v22
	v_min_f32_e32 v116, v116, v107
	v_max_f32_e32 v107, v47, v47
	v_max_f32_e32 v117, v23, v23
	v_min_f32_e32 v117, v117, v107
	v_pk_add_f32 v[114:115], v[114:115], v[116:117]
	s_nop 0
	v_add_f32_e32 v107, v114, v115
	v_add_f32_e32 v114, v107, v106
	v_lshl_add_u64 v[106:107], v[104:105], 2, v[122:123]
	global_store_dword v[106:107], v114, off
.LBB32_56:
	;; [unrolled: 39-line block ×6, first 2 shown]
	s_or_b64 exec, exec, s[18:19]
	v_add_u32_e32 v96, 32, v126
	v_mad_i64_i32 v[44:45], s[26:27], v96, s33, 0
	v_cmp_gt_i32_e64 s[18:19], s21, v96
	v_lshl_add_u64 v[46:47], v[44:45], 2, s[24:25]
	v_mad_i64_i32 v[44:45], s[26:27], v96, s31, 0
	v_lshl_add_u64 v[44:45], v[44:45], 2, s[22:23]
	s_and_b64 s[34:35], s[2:3], s[18:19]
	s_and_saveexec_b64 s[26:27], s[34:35]
	s_cbranch_execnz .LBB32_84
; %bb.77:
	s_or_b64 exec, exec, s[26:27]
	s_and_b64 s[34:35], s[4:5], s[18:19]
	s_and_saveexec_b64 s[26:27], s[34:35]
	s_cbranch_execnz .LBB32_88
.LBB32_78:
	s_or_b64 exec, exec, s[26:27]
	s_and_b64 s[34:35], s[6:7], s[18:19]
	s_and_saveexec_b64 s[26:27], s[34:35]
	s_cbranch_execnz .LBB32_92
.LBB32_79:
	s_or_b64 exec, exec, s[26:27]
	s_and_b64 s[34:35], s[8:9], s[18:19]
	s_and_saveexec_b64 s[26:27], s[34:35]
	s_cbranch_execnz .LBB32_96
.LBB32_80:
	s_or_b64 exec, exec, s[26:27]
	s_and_b64 s[34:35], s[10:11], s[18:19]
	s_and_saveexec_b64 s[26:27], s[34:35]
	s_cbranch_execnz .LBB32_100
.LBB32_81:
	s_or_b64 exec, exec, s[26:27]
	s_and_b64 s[34:35], s[12:13], s[18:19]
	s_and_saveexec_b64 s[26:27], s[34:35]
	s_cbranch_execnz .LBB32_104
.LBB32_82:
	s_or_b64 exec, exec, s[26:27]
	s_and_b64 s[34:35], s[14:15], s[18:19]
	s_and_saveexec_b64 s[26:27], s[34:35]
	s_cbranch_execnz .LBB32_108
.LBB32_83:
	s_or_b64 exec, exec, s[26:27]
	s_and_b64 s[26:27], s[16:17], s[18:19]
	s_and_saveexec_b64 s[18:19], s[26:27]
	s_cbranch_execnz .LBB32_112
	s_branch .LBB32_116
.LBB32_84:
	s_and_b64 vcc, exec, s[0:1]
	s_cbranch_vccnz .LBB32_86
; %bb.85:
	v_lshl_add_u64 v[96:97], v[98:99], 2, v[46:47]
	flat_load_dword v96, v[96:97]
	s_waitcnt vmcnt(0) lgkmcnt(0)
	v_mul_f32_e32 v96, s28, v96
	s_branch .LBB32_87
.LBB32_86:
	v_mov_b32_e32 v96, 0
.LBB32_87:
	v_max_f32_e32 v97, v40, v40
	v_max_f32_e32 v114, v32, v32
	v_min_f32_e32 v114, v114, v97
	v_max_f32_e32 v97, v41, v41
	v_max_f32_e32 v115, v33, v33
	v_min_f32_e32 v115, v115, v97
	v_pk_add_f32 v[94:95], v[94:95], v[114:115]
	v_max_f32_e32 v97, v42, v42
	v_max_f32_e32 v114, v34, v34
	v_min_f32_e32 v114, v114, v97
	v_max_f32_e32 v97, v43, v43
	v_max_f32_e32 v115, v35, v35
	v_min_f32_e32 v115, v115, v97
	v_pk_add_f32 v[94:95], v[94:95], v[114:115]
	s_nop 0
	v_add_f32_e32 v94, v94, v95
	v_add_f32_e32 v96, v94, v96
	v_lshl_add_u64 v[94:95], v[98:99], 2, v[44:45]
	global_store_dword v[94:95], v96, off
	s_or_b64 exec, exec, s[26:27]
	s_and_b64 s[34:35], s[4:5], s[18:19]
	s_and_saveexec_b64 s[26:27], s[34:35]
	s_cbranch_execz .LBB32_78
.LBB32_88:
	s_and_b64 vcc, exec, s[0:1]
	s_cbranch_vccnz .LBB32_90
; %bb.89:
	v_lshl_add_u64 v[94:95], v[100:101], 2, v[46:47]
	flat_load_dword v94, v[94:95]
	s_waitcnt vmcnt(0) lgkmcnt(0)
	v_mul_f32_e32 v94, s28, v94
	s_branch .LBB32_91
.LBB32_90:
	v_mov_b32_e32 v94, 0
.LBB32_91:
	v_max_f32_e32 v95, v40, v40
	v_max_f32_e32 v96, v28, v28
	v_min_f32_e32 v96, v96, v95
	v_max_f32_e32 v95, v41, v41
	v_max_f32_e32 v97, v29, v29
	v_min_f32_e32 v97, v97, v95
	v_pk_add_f32 v[92:93], v[92:93], v[96:97]
	v_max_f32_e32 v95, v42, v42
	v_max_f32_e32 v96, v30, v30
	v_min_f32_e32 v96, v96, v95
	v_max_f32_e32 v95, v43, v43
	v_max_f32_e32 v97, v31, v31
	v_min_f32_e32 v97, v97, v95
	v_pk_add_f32 v[92:93], v[92:93], v[96:97]
	s_nop 0
	v_add_f32_e32 v92, v92, v93
	v_add_f32_e32 v94, v92, v94
	v_lshl_add_u64 v[92:93], v[100:101], 2, v[44:45]
	global_store_dword v[92:93], v94, off
	s_or_b64 exec, exec, s[26:27]
	s_and_b64 s[34:35], s[6:7], s[18:19]
	s_and_saveexec_b64 s[26:27], s[34:35]
	s_cbranch_execz .LBB32_79
.LBB32_92:
	s_and_b64 vcc, exec, s[0:1]
	s_cbranch_vccnz .LBB32_94
; %bb.93:
	v_lshl_add_u64 v[92:93], v[102:103], 2, v[46:47]
	flat_load_dword v92, v[92:93]
	s_waitcnt vmcnt(0) lgkmcnt(0)
	v_mul_f32_e32 v92, s28, v92
	s_branch .LBB32_95
.LBB32_94:
	v_mov_b32_e32 v92, 0
.LBB32_95:
	v_max_f32_e32 v93, v40, v40
	v_max_f32_e32 v94, v24, v24
	v_min_f32_e32 v94, v94, v93
	v_max_f32_e32 v93, v41, v41
	v_max_f32_e32 v95, v25, v25
	v_min_f32_e32 v95, v95, v93
	v_pk_add_f32 v[90:91], v[90:91], v[94:95]
	v_max_f32_e32 v93, v42, v42
	v_max_f32_e32 v94, v26, v26
	v_min_f32_e32 v94, v94, v93
	v_max_f32_e32 v93, v43, v43
	v_max_f32_e32 v95, v27, v27
	v_min_f32_e32 v95, v95, v93
	v_pk_add_f32 v[90:91], v[90:91], v[94:95]
	s_nop 0
	v_add_f32_e32 v90, v90, v91
	v_add_f32_e32 v92, v90, v92
	v_lshl_add_u64 v[90:91], v[102:103], 2, v[44:45]
	global_store_dword v[90:91], v92, off
	s_or_b64 exec, exec, s[26:27]
	s_and_b64 s[34:35], s[8:9], s[18:19]
	s_and_saveexec_b64 s[26:27], s[34:35]
	s_cbranch_execz .LBB32_80
.LBB32_96:
	s_and_b64 vcc, exec, s[0:1]
	s_cbranch_vccnz .LBB32_98
; %bb.97:
	v_lshl_add_u64 v[90:91], v[104:105], 2, v[46:47]
	flat_load_dword v90, v[90:91]
	s_waitcnt vmcnt(0) lgkmcnt(0)
	v_mul_f32_e32 v90, s28, v90
	s_branch .LBB32_99
.LBB32_98:
	v_mov_b32_e32 v90, 0
.LBB32_99:
	v_max_f32_e32 v91, v40, v40
	v_max_f32_e32 v92, v20, v20
	v_min_f32_e32 v92, v92, v91
	v_max_f32_e32 v91, v41, v41
	v_max_f32_e32 v93, v21, v21
	v_min_f32_e32 v93, v93, v91
	v_pk_add_f32 v[88:89], v[88:89], v[92:93]
	v_max_f32_e32 v91, v42, v42
	v_max_f32_e32 v92, v22, v22
	v_min_f32_e32 v92, v92, v91
	v_max_f32_e32 v91, v43, v43
	v_max_f32_e32 v93, v23, v23
	v_min_f32_e32 v93, v93, v91
	v_pk_add_f32 v[88:89], v[88:89], v[92:93]
	s_nop 0
	v_add_f32_e32 v88, v88, v89
	v_add_f32_e32 v90, v88, v90
	v_lshl_add_u64 v[88:89], v[104:105], 2, v[44:45]
	global_store_dword v[88:89], v90, off
	s_or_b64 exec, exec, s[26:27]
	s_and_b64 s[34:35], s[10:11], s[18:19]
	s_and_saveexec_b64 s[26:27], s[34:35]
	s_cbranch_execz .LBB32_81
.LBB32_100:
	s_and_b64 vcc, exec, s[0:1]
	s_cbranch_vccnz .LBB32_102
; %bb.101:
	v_lshl_add_u64 v[88:89], v[106:107], 2, v[46:47]
	flat_load_dword v88, v[88:89]
	s_waitcnt vmcnt(0) lgkmcnt(0)
	v_mul_f32_e32 v88, s28, v88
	s_branch .LBB32_103
.LBB32_102:
	v_mov_b32_e32 v88, 0
.LBB32_103:
	v_max_f32_e32 v89, v40, v40
	v_max_f32_e32 v90, v16, v16
	v_min_f32_e32 v90, v90, v89
	v_max_f32_e32 v89, v41, v41
	v_max_f32_e32 v91, v17, v17
	v_min_f32_e32 v91, v91, v89
	v_pk_add_f32 v[86:87], v[86:87], v[90:91]
	v_max_f32_e32 v89, v42, v42
	v_max_f32_e32 v90, v18, v18
	v_min_f32_e32 v90, v90, v89
	v_max_f32_e32 v89, v43, v43
	v_max_f32_e32 v91, v19, v19
	v_min_f32_e32 v91, v91, v89
	v_pk_add_f32 v[86:87], v[86:87], v[90:91]
	s_nop 0
	v_add_f32_e32 v86, v86, v87
	v_add_f32_e32 v88, v86, v88
	v_lshl_add_u64 v[86:87], v[106:107], 2, v[44:45]
	global_store_dword v[86:87], v88, off
	s_or_b64 exec, exec, s[26:27]
	s_and_b64 s[34:35], s[12:13], s[18:19]
	s_and_saveexec_b64 s[26:27], s[34:35]
	s_cbranch_execz .LBB32_82
.LBB32_104:
	s_and_b64 vcc, exec, s[0:1]
	s_cbranch_vccnz .LBB32_106
; %bb.105:
	v_lshl_add_u64 v[86:87], v[108:109], 2, v[46:47]
	flat_load_dword v86, v[86:87]
	s_waitcnt vmcnt(0) lgkmcnt(0)
	v_mul_f32_e32 v86, s28, v86
	s_branch .LBB32_107
.LBB32_106:
	v_mov_b32_e32 v86, 0
.LBB32_107:
	v_max_f32_e32 v87, v40, v40
	v_max_f32_e32 v88, v12, v12
	v_min_f32_e32 v88, v88, v87
	v_max_f32_e32 v87, v41, v41
	v_max_f32_e32 v89, v13, v13
	v_min_f32_e32 v89, v89, v87
	v_pk_add_f32 v[84:85], v[84:85], v[88:89]
	v_max_f32_e32 v87, v42, v42
	v_max_f32_e32 v88, v14, v14
	v_min_f32_e32 v88, v88, v87
	v_max_f32_e32 v87, v43, v43
	v_max_f32_e32 v89, v15, v15
	v_min_f32_e32 v89, v89, v87
	v_pk_add_f32 v[84:85], v[84:85], v[88:89]
	s_nop 0
	v_add_f32_e32 v84, v84, v85
	v_add_f32_e32 v86, v84, v86
	v_lshl_add_u64 v[84:85], v[108:109], 2, v[44:45]
	global_store_dword v[84:85], v86, off
	s_or_b64 exec, exec, s[26:27]
	s_and_b64 s[34:35], s[14:15], s[18:19]
	s_and_saveexec_b64 s[26:27], s[34:35]
	s_cbranch_execz .LBB32_83
.LBB32_108:
	s_and_b64 vcc, exec, s[0:1]
	s_cbranch_vccnz .LBB32_110
; %bb.109:
	v_lshl_add_u64 v[84:85], v[110:111], 2, v[46:47]
	flat_load_dword v84, v[84:85]
	s_waitcnt vmcnt(0) lgkmcnt(0)
	v_mul_f32_e32 v84, s28, v84
	s_branch .LBB32_111
.LBB32_110:
	v_mov_b32_e32 v84, 0
.LBB32_111:
	v_max_f32_e32 v85, v40, v40
	v_max_f32_e32 v86, v8, v8
	v_min_f32_e32 v86, v86, v85
	v_max_f32_e32 v85, v41, v41
	v_max_f32_e32 v87, v9, v9
	v_min_f32_e32 v87, v87, v85
	v_pk_add_f32 v[82:83], v[82:83], v[86:87]
	v_max_f32_e32 v85, v42, v42
	v_max_f32_e32 v86, v10, v10
	v_min_f32_e32 v86, v86, v85
	v_max_f32_e32 v85, v43, v43
	v_max_f32_e32 v87, v11, v11
	v_min_f32_e32 v87, v87, v85
	v_pk_add_f32 v[82:83], v[82:83], v[86:87]
	s_nop 0
	v_add_f32_e32 v82, v82, v83
	v_add_f32_e32 v84, v82, v84
	v_lshl_add_u64 v[82:83], v[110:111], 2, v[44:45]
	global_store_dword v[82:83], v84, off
	s_or_b64 exec, exec, s[26:27]
	s_and_b64 s[26:27], s[16:17], s[18:19]
	s_and_saveexec_b64 s[18:19], s[26:27]
	s_cbranch_execz .LBB32_116
.LBB32_112:
	s_and_b64 vcc, exec, s[0:1]
	s_cbranch_vccnz .LBB32_114
; %bb.113:
	v_lshl_add_u64 v[46:47], v[112:113], 2, v[46:47]
	flat_load_dword v46, v[46:47]
	s_waitcnt vmcnt(0) lgkmcnt(0)
	v_mul_f32_e32 v46, s28, v46
	s_branch .LBB32_115
.LBB32_114:
	v_mov_b32_e32 v46, 0
.LBB32_115:
	v_max_f32_e32 v41, v41, v41
	v_max_f32_e32 v47, v5, v5
	v_min_f32_e32 v41, v47, v41
	v_max_f32_e32 v40, v40, v40
	v_max_f32_e32 v47, v4, v4
	v_min_f32_e32 v40, v47, v40
	;; [unrolled: 3-line block ×3, first 2 shown]
	v_max_f32_e32 v42, v42, v42
	v_max_f32_e32 v47, v6, v6
	v_pk_add_f32 v[40:41], v[80:81], v[40:41]
	v_min_f32_e32 v42, v47, v42
	v_pk_add_f32 v[40:41], v[40:41], v[42:43]
	s_nop 0
	v_add_f32_e32 v40, v40, v41
	v_add_f32_e32 v42, v40, v46
	v_lshl_add_u64 v[40:41], v[112:113], 2, v[44:45]
	global_store_dword v[40:41], v42, off
.LBB32_116:
	s_or_b64 exec, exec, s[18:19]
	v_add_u32_e32 v44, 64, v126
	v_mad_i64_i32 v[40:41], s[26:27], v44, s33, 0
	v_cmp_gt_i32_e64 s[18:19], s21, v44
	v_lshl_add_u64 v[42:43], v[40:41], 2, s[24:25]
	v_mad_i64_i32 v[40:41], s[26:27], v44, s31, 0
	v_lshl_add_u64 v[40:41], v[40:41], 2, s[22:23]
	s_and_b64 s[34:35], s[2:3], s[18:19]
	s_and_saveexec_b64 s[26:27], s[34:35]
	s_cbranch_execnz .LBB32_124
; %bb.117:
	s_or_b64 exec, exec, s[26:27]
	s_and_b64 s[34:35], s[4:5], s[18:19]
	s_and_saveexec_b64 s[26:27], s[34:35]
	s_cbranch_execnz .LBB32_128
.LBB32_118:
	s_or_b64 exec, exec, s[26:27]
	s_and_b64 s[34:35], s[6:7], s[18:19]
	s_and_saveexec_b64 s[26:27], s[34:35]
	s_cbranch_execnz .LBB32_132
.LBB32_119:
	s_or_b64 exec, exec, s[26:27]
	s_and_b64 s[34:35], s[8:9], s[18:19]
	s_and_saveexec_b64 s[26:27], s[34:35]
	s_cbranch_execnz .LBB32_136
.LBB32_120:
	s_or_b64 exec, exec, s[26:27]
	s_and_b64 s[34:35], s[10:11], s[18:19]
	s_and_saveexec_b64 s[26:27], s[34:35]
	s_cbranch_execnz .LBB32_140
.LBB32_121:
	s_or_b64 exec, exec, s[26:27]
	s_and_b64 s[34:35], s[12:13], s[18:19]
	s_and_saveexec_b64 s[26:27], s[34:35]
	s_cbranch_execnz .LBB32_144
.LBB32_122:
	s_or_b64 exec, exec, s[26:27]
	s_and_b64 s[34:35], s[14:15], s[18:19]
	s_and_saveexec_b64 s[26:27], s[34:35]
	s_cbranch_execnz .LBB32_148
.LBB32_123:
	s_or_b64 exec, exec, s[26:27]
	s_and_b64 s[26:27], s[16:17], s[18:19]
	s_and_saveexec_b64 s[18:19], s[26:27]
	s_cbranch_execnz .LBB32_152
	s_branch .LBB32_156
.LBB32_124:
	s_and_b64 vcc, exec, s[0:1]
	s_cbranch_vccnz .LBB32_126
; %bb.125:
	v_lshl_add_u64 v[44:45], v[98:99], 2, v[42:43]
	flat_load_dword v44, v[44:45]
	s_waitcnt vmcnt(0) lgkmcnt(0)
	v_mul_f32_e32 v44, s28, v44
	s_branch .LBB32_127
.LBB32_126:
	v_mov_b32_e32 v44, 0
.LBB32_127:
	v_max_f32_e32 v45, v36, v36
	v_max_f32_e32 v46, v32, v32
	v_min_f32_e32 v46, v46, v45
	v_max_f32_e32 v45, v37, v37
	v_max_f32_e32 v47, v33, v33
	v_min_f32_e32 v47, v47, v45
	v_pk_add_f32 v[46:47], v[78:79], v[46:47]
	v_max_f32_e32 v45, v38, v38
	v_max_f32_e32 v78, v34, v34
	v_min_f32_e32 v78, v78, v45
	v_max_f32_e32 v45, v39, v39
	v_max_f32_e32 v79, v35, v35
	v_min_f32_e32 v79, v79, v45
	v_pk_add_f32 v[46:47], v[46:47], v[78:79]
	s_nop 0
	v_add_f32_e32 v45, v46, v47
	v_add_f32_e32 v46, v45, v44
	v_lshl_add_u64 v[44:45], v[98:99], 2, v[40:41]
	global_store_dword v[44:45], v46, off
	s_or_b64 exec, exec, s[26:27]
	s_and_b64 s[34:35], s[4:5], s[18:19]
	s_and_saveexec_b64 s[26:27], s[34:35]
	s_cbranch_execz .LBB32_118
.LBB32_128:
	s_and_b64 vcc, exec, s[0:1]
	s_cbranch_vccnz .LBB32_130
; %bb.129:
	v_lshl_add_u64 v[44:45], v[100:101], 2, v[42:43]
	flat_load_dword v44, v[44:45]
	s_waitcnt vmcnt(0) lgkmcnt(0)
	v_mul_f32_e32 v44, s28, v44
	s_branch .LBB32_131
.LBB32_130:
	v_mov_b32_e32 v44, 0
.LBB32_131:
	v_max_f32_e32 v45, v36, v36
	v_max_f32_e32 v46, v28, v28
	v_min_f32_e32 v46, v46, v45
	v_max_f32_e32 v45, v37, v37
	v_max_f32_e32 v47, v29, v29
	v_min_f32_e32 v47, v47, v45
	v_pk_add_f32 v[46:47], v[76:77], v[46:47]
	v_max_f32_e32 v45, v38, v38
	v_max_f32_e32 v76, v30, v30
	v_min_f32_e32 v76, v76, v45
	v_max_f32_e32 v45, v39, v39
	v_max_f32_e32 v77, v31, v31
	v_min_f32_e32 v77, v77, v45
	v_pk_add_f32 v[46:47], v[46:47], v[76:77]
	s_nop 0
	v_add_f32_e32 v45, v46, v47
	v_add_f32_e32 v46, v45, v44
	v_lshl_add_u64 v[44:45], v[100:101], 2, v[40:41]
	global_store_dword v[44:45], v46, off
	s_or_b64 exec, exec, s[26:27]
	s_and_b64 s[34:35], s[6:7], s[18:19]
	s_and_saveexec_b64 s[26:27], s[34:35]
	s_cbranch_execz .LBB32_119
.LBB32_132:
	s_and_b64 vcc, exec, s[0:1]
	s_cbranch_vccnz .LBB32_134
; %bb.133:
	v_lshl_add_u64 v[44:45], v[102:103], 2, v[42:43]
	flat_load_dword v44, v[44:45]
	s_waitcnt vmcnt(0) lgkmcnt(0)
	v_mul_f32_e32 v44, s28, v44
	s_branch .LBB32_135
.LBB32_134:
	v_mov_b32_e32 v44, 0
.LBB32_135:
	v_max_f32_e32 v45, v36, v36
	v_max_f32_e32 v46, v24, v24
	v_min_f32_e32 v46, v46, v45
	v_max_f32_e32 v45, v37, v37
	v_max_f32_e32 v47, v25, v25
	v_min_f32_e32 v47, v47, v45
	v_pk_add_f32 v[46:47], v[74:75], v[46:47]
	v_max_f32_e32 v45, v38, v38
	v_max_f32_e32 v74, v26, v26
	v_min_f32_e32 v74, v74, v45
	v_max_f32_e32 v45, v39, v39
	v_max_f32_e32 v75, v27, v27
	v_min_f32_e32 v75, v75, v45
	v_pk_add_f32 v[46:47], v[46:47], v[74:75]
	s_nop 0
	v_add_f32_e32 v45, v46, v47
	v_add_f32_e32 v46, v45, v44
	v_lshl_add_u64 v[44:45], v[102:103], 2, v[40:41]
	global_store_dword v[44:45], v46, off
	s_or_b64 exec, exec, s[26:27]
	s_and_b64 s[34:35], s[8:9], s[18:19]
	s_and_saveexec_b64 s[26:27], s[34:35]
	s_cbranch_execz .LBB32_120
.LBB32_136:
	s_and_b64 vcc, exec, s[0:1]
	s_cbranch_vccnz .LBB32_138
; %bb.137:
	v_lshl_add_u64 v[44:45], v[104:105], 2, v[42:43]
	flat_load_dword v44, v[44:45]
	s_waitcnt vmcnt(0) lgkmcnt(0)
	v_mul_f32_e32 v44, s28, v44
	s_branch .LBB32_139
.LBB32_138:
	v_mov_b32_e32 v44, 0
.LBB32_139:
	v_max_f32_e32 v45, v36, v36
	v_max_f32_e32 v46, v20, v20
	v_min_f32_e32 v46, v46, v45
	v_max_f32_e32 v45, v37, v37
	v_max_f32_e32 v47, v21, v21
	v_min_f32_e32 v47, v47, v45
	v_pk_add_f32 v[46:47], v[72:73], v[46:47]
	v_max_f32_e32 v45, v38, v38
	v_max_f32_e32 v72, v22, v22
	v_min_f32_e32 v72, v72, v45
	v_max_f32_e32 v45, v39, v39
	v_max_f32_e32 v73, v23, v23
	v_min_f32_e32 v73, v73, v45
	v_pk_add_f32 v[46:47], v[46:47], v[72:73]
	s_nop 0
	v_add_f32_e32 v45, v46, v47
	v_add_f32_e32 v46, v45, v44
	v_lshl_add_u64 v[44:45], v[104:105], 2, v[40:41]
	global_store_dword v[44:45], v46, off
	s_or_b64 exec, exec, s[26:27]
	s_and_b64 s[34:35], s[10:11], s[18:19]
	s_and_saveexec_b64 s[26:27], s[34:35]
	s_cbranch_execz .LBB32_121
.LBB32_140:
	s_and_b64 vcc, exec, s[0:1]
	s_cbranch_vccnz .LBB32_142
; %bb.141:
	v_lshl_add_u64 v[44:45], v[106:107], 2, v[42:43]
	flat_load_dword v44, v[44:45]
	s_waitcnt vmcnt(0) lgkmcnt(0)
	v_mul_f32_e32 v44, s28, v44
	s_branch .LBB32_143
.LBB32_142:
	v_mov_b32_e32 v44, 0
.LBB32_143:
	v_max_f32_e32 v45, v36, v36
	v_max_f32_e32 v46, v16, v16
	v_min_f32_e32 v46, v46, v45
	v_max_f32_e32 v45, v37, v37
	v_max_f32_e32 v47, v17, v17
	v_min_f32_e32 v47, v47, v45
	v_pk_add_f32 v[46:47], v[70:71], v[46:47]
	v_max_f32_e32 v45, v38, v38
	v_max_f32_e32 v70, v18, v18
	v_min_f32_e32 v70, v70, v45
	v_max_f32_e32 v45, v39, v39
	v_max_f32_e32 v71, v19, v19
	v_min_f32_e32 v71, v71, v45
	v_pk_add_f32 v[46:47], v[46:47], v[70:71]
	s_nop 0
	v_add_f32_e32 v45, v46, v47
	v_add_f32_e32 v46, v45, v44
	v_lshl_add_u64 v[44:45], v[106:107], 2, v[40:41]
	global_store_dword v[44:45], v46, off
	s_or_b64 exec, exec, s[26:27]
	s_and_b64 s[34:35], s[12:13], s[18:19]
	s_and_saveexec_b64 s[26:27], s[34:35]
	s_cbranch_execz .LBB32_122
.LBB32_144:
	s_and_b64 vcc, exec, s[0:1]
	s_cbranch_vccnz .LBB32_146
; %bb.145:
	v_lshl_add_u64 v[44:45], v[108:109], 2, v[42:43]
	flat_load_dword v44, v[44:45]
	s_waitcnt vmcnt(0) lgkmcnt(0)
	v_mul_f32_e32 v44, s28, v44
	s_branch .LBB32_147
.LBB32_146:
	v_mov_b32_e32 v44, 0
.LBB32_147:
	v_max_f32_e32 v45, v36, v36
	v_max_f32_e32 v46, v12, v12
	v_min_f32_e32 v46, v46, v45
	v_max_f32_e32 v45, v37, v37
	v_max_f32_e32 v47, v13, v13
	v_min_f32_e32 v47, v47, v45
	v_pk_add_f32 v[46:47], v[68:69], v[46:47]
	v_max_f32_e32 v45, v38, v38
	v_max_f32_e32 v68, v14, v14
	v_min_f32_e32 v68, v68, v45
	v_max_f32_e32 v45, v39, v39
	v_max_f32_e32 v69, v15, v15
	v_min_f32_e32 v69, v69, v45
	v_pk_add_f32 v[46:47], v[46:47], v[68:69]
	s_nop 0
	v_add_f32_e32 v45, v46, v47
	v_add_f32_e32 v46, v45, v44
	v_lshl_add_u64 v[44:45], v[108:109], 2, v[40:41]
	global_store_dword v[44:45], v46, off
	s_or_b64 exec, exec, s[26:27]
	s_and_b64 s[34:35], s[14:15], s[18:19]
	s_and_saveexec_b64 s[26:27], s[34:35]
	s_cbranch_execz .LBB32_123
.LBB32_148:
	s_and_b64 vcc, exec, s[0:1]
	s_cbranch_vccnz .LBB32_150
; %bb.149:
	v_lshl_add_u64 v[44:45], v[110:111], 2, v[42:43]
	flat_load_dword v44, v[44:45]
	s_waitcnt vmcnt(0) lgkmcnt(0)
	v_mul_f32_e32 v44, s28, v44
	s_branch .LBB32_151
.LBB32_150:
	v_mov_b32_e32 v44, 0
.LBB32_151:
	v_max_f32_e32 v45, v36, v36
	v_max_f32_e32 v46, v8, v8
	v_min_f32_e32 v46, v46, v45
	v_max_f32_e32 v45, v37, v37
	v_max_f32_e32 v47, v9, v9
	v_min_f32_e32 v47, v47, v45
	v_pk_add_f32 v[46:47], v[66:67], v[46:47]
	v_max_f32_e32 v45, v38, v38
	v_max_f32_e32 v66, v10, v10
	v_min_f32_e32 v66, v66, v45
	v_max_f32_e32 v45, v39, v39
	v_max_f32_e32 v67, v11, v11
	v_min_f32_e32 v67, v67, v45
	v_pk_add_f32 v[46:47], v[46:47], v[66:67]
	s_nop 0
	v_add_f32_e32 v45, v46, v47
	v_add_f32_e32 v46, v45, v44
	v_lshl_add_u64 v[44:45], v[110:111], 2, v[40:41]
	global_store_dword v[44:45], v46, off
	s_or_b64 exec, exec, s[26:27]
	s_and_b64 s[26:27], s[16:17], s[18:19]
	s_and_saveexec_b64 s[18:19], s[26:27]
	s_cbranch_execz .LBB32_156
.LBB32_152:
	s_and_b64 vcc, exec, s[0:1]
	s_cbranch_vccnz .LBB32_154
; %bb.153:
	v_lshl_add_u64 v[42:43], v[112:113], 2, v[42:43]
	flat_load_dword v42, v[42:43]
	s_waitcnt vmcnt(0) lgkmcnt(0)
	v_mul_f32_e32 v42, s28, v42
	s_branch .LBB32_155
.LBB32_154:
	v_mov_b32_e32 v42, 0
.LBB32_155:
	v_max_f32_e32 v37, v37, v37
	v_max_f32_e32 v43, v5, v5
	v_min_f32_e32 v37, v43, v37
	v_max_f32_e32 v36, v36, v36
	v_max_f32_e32 v43, v4, v4
	v_min_f32_e32 v36, v43, v36
	v_max_f32_e32 v39, v39, v39
	v_max_f32_e32 v43, v7, v7
	v_min_f32_e32 v39, v43, v39
	v_max_f32_e32 v38, v38, v38
	v_max_f32_e32 v43, v6, v6
	v_pk_add_f32 v[36:37], v[64:65], v[36:37]
	v_min_f32_e32 v38, v43, v38
	v_pk_add_f32 v[36:37], v[36:37], v[38:39]
	s_nop 0
	v_add_f32_e32 v36, v36, v37
	v_add_f32_e32 v38, v36, v42
	v_lshl_add_u64 v[36:37], v[112:113], 2, v[40:41]
	global_store_dword v[36:37], v38, off
.LBB32_156:
	s_or_b64 exec, exec, s[18:19]
	v_add_u32_e32 v40, 0x60, v126
	v_cmp_gt_i32_e64 s[18:19], s21, v40
	v_mad_i64_i32 v[36:37], s[20:21], v40, s33, 0
	v_lshl_add_u64 v[38:39], v[36:37], 2, s[24:25]
	v_mad_i64_i32 v[36:37], s[20:21], v40, s31, 0
	v_lshl_add_u64 v[36:37], v[36:37], 2, s[22:23]
	s_and_b64 s[20:21], s[2:3], s[18:19]
	s_and_saveexec_b64 s[2:3], s[20:21]
	s_cbranch_execnz .LBB32_165
; %bb.157:
	s_or_b64 exec, exec, s[2:3]
	s_and_b64 s[4:5], s[4:5], s[18:19]
	s_and_saveexec_b64 s[2:3], s[4:5]
	s_cbranch_execnz .LBB32_169
.LBB32_158:
	s_or_b64 exec, exec, s[2:3]
	s_and_b64 s[4:5], s[6:7], s[18:19]
	s_and_saveexec_b64 s[2:3], s[4:5]
	s_cbranch_execnz .LBB32_173
.LBB32_159:
	s_or_b64 exec, exec, s[2:3]
	s_and_b64 s[4:5], s[8:9], s[18:19]
	s_and_saveexec_b64 s[2:3], s[4:5]
	s_cbranch_execnz .LBB32_177
.LBB32_160:
	s_or_b64 exec, exec, s[2:3]
	s_and_b64 s[4:5], s[10:11], s[18:19]
	s_and_saveexec_b64 s[2:3], s[4:5]
	s_cbranch_execnz .LBB32_181
.LBB32_161:
	s_or_b64 exec, exec, s[2:3]
	s_and_b64 s[4:5], s[12:13], s[18:19]
	s_and_saveexec_b64 s[2:3], s[4:5]
	s_cbranch_execnz .LBB32_185
.LBB32_162:
	s_or_b64 exec, exec, s[2:3]
	s_and_b64 s[4:5], s[14:15], s[18:19]
	s_and_saveexec_b64 s[2:3], s[4:5]
	s_cbranch_execnz .LBB32_189
.LBB32_163:
	s_or_b64 exec, exec, s[2:3]
	s_and_b64 s[2:3], s[16:17], s[18:19]
	s_and_saveexec_b64 s[4:5], s[2:3]
	s_cbranch_execnz .LBB32_193
.LBB32_164:
	s_endpgm
.LBB32_165:
	s_and_b64 vcc, exec, s[0:1]
	s_cbranch_vccnz .LBB32_167
; %bb.166:
	v_lshl_add_u64 v[40:41], v[98:99], 2, v[38:39]
	flat_load_dword v40, v[40:41]
	s_waitcnt vmcnt(0) lgkmcnt(0)
	v_mul_f32_e32 v40, s28, v40
	s_branch .LBB32_168
.LBB32_167:
	v_mov_b32_e32 v40, 0
.LBB32_168:
	v_max_f32_e32 v41, v1, v1
	v_max_f32_e32 v33, v33, v33
	v_min_f32_e32 v33, v33, v41
	v_max_f32_e32 v41, v0, v0
	v_max_f32_e32 v32, v32, v32
	v_min_f32_e32 v32, v32, v41
	;; [unrolled: 3-line block ×3, first 2 shown]
	v_max_f32_e32 v41, v2, v2
	v_max_f32_e32 v34, v34, v34
	v_pk_add_f32 v[32:33], v[62:63], v[32:33]
	v_min_f32_e32 v34, v34, v41
	v_pk_add_f32 v[32:33], v[32:33], v[34:35]
	s_nop 0
	v_add_f32_e32 v32, v32, v33
	v_add_f32_e32 v34, v32, v40
	v_lshl_add_u64 v[32:33], v[98:99], 2, v[36:37]
	global_store_dword v[32:33], v34, off
	s_or_b64 exec, exec, s[2:3]
	s_and_b64 s[4:5], s[4:5], s[18:19]
	s_and_saveexec_b64 s[2:3], s[4:5]
	s_cbranch_execz .LBB32_158
.LBB32_169:
	s_and_b64 vcc, exec, s[0:1]
	s_cbranch_vccnz .LBB32_171
; %bb.170:
	v_lshl_add_u64 v[32:33], v[100:101], 2, v[38:39]
	flat_load_dword v32, v[32:33]
	s_waitcnt vmcnt(0) lgkmcnt(0)
	v_mul_f32_e32 v32, s28, v32
	s_branch .LBB32_172
.LBB32_171:
	v_mov_b32_e32 v32, 0
.LBB32_172:
	v_max_f32_e32 v33, v1, v1
	v_max_f32_e32 v29, v29, v29
	v_min_f32_e32 v29, v29, v33
	v_max_f32_e32 v33, v0, v0
	v_max_f32_e32 v28, v28, v28
	v_min_f32_e32 v28, v28, v33
	;; [unrolled: 3-line block ×3, first 2 shown]
	v_max_f32_e32 v33, v2, v2
	v_max_f32_e32 v30, v30, v30
	v_pk_add_f32 v[28:29], v[60:61], v[28:29]
	v_min_f32_e32 v30, v30, v33
	v_pk_add_f32 v[28:29], v[28:29], v[30:31]
	s_nop 0
	v_add_f32_e32 v28, v28, v29
	v_add_f32_e32 v30, v28, v32
	v_lshl_add_u64 v[28:29], v[100:101], 2, v[36:37]
	global_store_dword v[28:29], v30, off
	s_or_b64 exec, exec, s[2:3]
	s_and_b64 s[4:5], s[6:7], s[18:19]
	s_and_saveexec_b64 s[2:3], s[4:5]
	s_cbranch_execz .LBB32_159
.LBB32_173:
	s_and_b64 vcc, exec, s[0:1]
	s_cbranch_vccnz .LBB32_175
; %bb.174:
	v_lshl_add_u64 v[28:29], v[102:103], 2, v[38:39]
	flat_load_dword v28, v[28:29]
	s_waitcnt vmcnt(0) lgkmcnt(0)
	v_mul_f32_e32 v28, s28, v28
	s_branch .LBB32_176
.LBB32_175:
	v_mov_b32_e32 v28, 0
.LBB32_176:
	v_max_f32_e32 v29, v1, v1
	v_max_f32_e32 v25, v25, v25
	v_min_f32_e32 v25, v25, v29
	v_max_f32_e32 v29, v0, v0
	v_max_f32_e32 v24, v24, v24
	v_min_f32_e32 v24, v24, v29
	;; [unrolled: 3-line block ×3, first 2 shown]
	v_max_f32_e32 v29, v2, v2
	v_max_f32_e32 v26, v26, v26
	v_pk_add_f32 v[24:25], v[58:59], v[24:25]
	v_min_f32_e32 v26, v26, v29
	v_pk_add_f32 v[24:25], v[24:25], v[26:27]
	s_nop 0
	v_add_f32_e32 v24, v24, v25
	v_add_f32_e32 v26, v24, v28
	v_lshl_add_u64 v[24:25], v[102:103], 2, v[36:37]
	global_store_dword v[24:25], v26, off
	s_or_b64 exec, exec, s[2:3]
	s_and_b64 s[4:5], s[8:9], s[18:19]
	s_and_saveexec_b64 s[2:3], s[4:5]
	s_cbranch_execz .LBB32_160
.LBB32_177:
	s_and_b64 vcc, exec, s[0:1]
	s_cbranch_vccnz .LBB32_179
; %bb.178:
	v_lshl_add_u64 v[24:25], v[104:105], 2, v[38:39]
	flat_load_dword v24, v[24:25]
	s_waitcnt vmcnt(0) lgkmcnt(0)
	v_mul_f32_e32 v24, s28, v24
	s_branch .LBB32_180
.LBB32_179:
	v_mov_b32_e32 v24, 0
.LBB32_180:
	v_max_f32_e32 v25, v1, v1
	v_max_f32_e32 v21, v21, v21
	v_min_f32_e32 v21, v21, v25
	v_max_f32_e32 v25, v0, v0
	v_max_f32_e32 v20, v20, v20
	v_min_f32_e32 v20, v20, v25
	;; [unrolled: 3-line block ×3, first 2 shown]
	v_max_f32_e32 v25, v2, v2
	v_max_f32_e32 v22, v22, v22
	v_pk_add_f32 v[20:21], v[56:57], v[20:21]
	v_min_f32_e32 v22, v22, v25
	v_pk_add_f32 v[20:21], v[20:21], v[22:23]
	s_nop 0
	v_add_f32_e32 v20, v20, v21
	v_add_f32_e32 v22, v20, v24
	v_lshl_add_u64 v[20:21], v[104:105], 2, v[36:37]
	global_store_dword v[20:21], v22, off
	s_or_b64 exec, exec, s[2:3]
	s_and_b64 s[4:5], s[10:11], s[18:19]
	s_and_saveexec_b64 s[2:3], s[4:5]
	s_cbranch_execz .LBB32_161
.LBB32_181:
	s_and_b64 vcc, exec, s[0:1]
	s_cbranch_vccnz .LBB32_183
; %bb.182:
	v_lshl_add_u64 v[20:21], v[106:107], 2, v[38:39]
	flat_load_dword v20, v[20:21]
	s_waitcnt vmcnt(0) lgkmcnt(0)
	v_mul_f32_e32 v20, s28, v20
	s_branch .LBB32_184
.LBB32_183:
	v_mov_b32_e32 v20, 0
.LBB32_184:
	v_max_f32_e32 v21, v1, v1
	v_max_f32_e32 v17, v17, v17
	v_min_f32_e32 v17, v17, v21
	v_max_f32_e32 v21, v0, v0
	v_max_f32_e32 v16, v16, v16
	v_min_f32_e32 v16, v16, v21
	;; [unrolled: 3-line block ×3, first 2 shown]
	v_max_f32_e32 v21, v2, v2
	v_max_f32_e32 v18, v18, v18
	v_pk_add_f32 v[16:17], v[54:55], v[16:17]
	v_min_f32_e32 v18, v18, v21
	v_pk_add_f32 v[16:17], v[16:17], v[18:19]
	s_nop 0
	v_add_f32_e32 v16, v16, v17
	v_add_f32_e32 v18, v16, v20
	v_lshl_add_u64 v[16:17], v[106:107], 2, v[36:37]
	global_store_dword v[16:17], v18, off
	s_or_b64 exec, exec, s[2:3]
	s_and_b64 s[4:5], s[12:13], s[18:19]
	s_and_saveexec_b64 s[2:3], s[4:5]
	s_cbranch_execz .LBB32_162
.LBB32_185:
	s_and_b64 vcc, exec, s[0:1]
	s_cbranch_vccnz .LBB32_187
; %bb.186:
	v_lshl_add_u64 v[16:17], v[108:109], 2, v[38:39]
	flat_load_dword v16, v[16:17]
	s_waitcnt vmcnt(0) lgkmcnt(0)
	v_mul_f32_e32 v16, s28, v16
	s_branch .LBB32_188
.LBB32_187:
	v_mov_b32_e32 v16, 0
.LBB32_188:
	v_max_f32_e32 v17, v1, v1
	v_max_f32_e32 v13, v13, v13
	v_min_f32_e32 v13, v13, v17
	v_max_f32_e32 v17, v0, v0
	v_max_f32_e32 v12, v12, v12
	v_min_f32_e32 v12, v12, v17
	;; [unrolled: 3-line block ×3, first 2 shown]
	v_max_f32_e32 v17, v2, v2
	v_max_f32_e32 v14, v14, v14
	v_pk_add_f32 v[12:13], v[52:53], v[12:13]
	v_min_f32_e32 v14, v14, v17
	v_pk_add_f32 v[12:13], v[12:13], v[14:15]
	s_nop 0
	v_add_f32_e32 v12, v12, v13
	v_add_f32_e32 v14, v12, v16
	v_lshl_add_u64 v[12:13], v[108:109], 2, v[36:37]
	global_store_dword v[12:13], v14, off
	s_or_b64 exec, exec, s[2:3]
	s_and_b64 s[4:5], s[14:15], s[18:19]
	s_and_saveexec_b64 s[2:3], s[4:5]
	s_cbranch_execz .LBB32_163
.LBB32_189:
	s_and_b64 vcc, exec, s[0:1]
	s_cbranch_vccnz .LBB32_191
; %bb.190:
	v_lshl_add_u64 v[12:13], v[110:111], 2, v[38:39]
	flat_load_dword v12, v[12:13]
	s_waitcnt vmcnt(0) lgkmcnt(0)
	v_mul_f32_e32 v12, s28, v12
	s_branch .LBB32_192
.LBB32_191:
	v_mov_b32_e32 v12, 0
.LBB32_192:
	v_max_f32_e32 v13, v1, v1
	v_max_f32_e32 v9, v9, v9
	v_min_f32_e32 v9, v9, v13
	v_max_f32_e32 v13, v0, v0
	v_max_f32_e32 v8, v8, v8
	v_min_f32_e32 v8, v8, v13
	;; [unrolled: 3-line block ×3, first 2 shown]
	v_max_f32_e32 v13, v2, v2
	v_max_f32_e32 v10, v10, v10
	v_pk_add_f32 v[8:9], v[50:51], v[8:9]
	v_min_f32_e32 v10, v10, v13
	v_pk_add_f32 v[8:9], v[8:9], v[10:11]
	s_nop 0
	v_add_f32_e32 v8, v8, v9
	v_add_f32_e32 v10, v8, v12
	v_lshl_add_u64 v[8:9], v[110:111], 2, v[36:37]
	global_store_dword v[8:9], v10, off
	s_or_b64 exec, exec, s[2:3]
	s_and_b64 s[2:3], s[16:17], s[18:19]
	s_and_saveexec_b64 s[4:5], s[2:3]
	s_cbranch_execz .LBB32_164
.LBB32_193:
	s_and_b64 vcc, exec, s[0:1]
	s_cbranch_vccnz .LBB32_195
; %bb.194:
	v_lshl_add_u64 v[8:9], v[112:113], 2, v[38:39]
	flat_load_dword v8, v[8:9]
	s_waitcnt vmcnt(0) lgkmcnt(0)
	v_mul_f32_e32 v8, s28, v8
	s_branch .LBB32_196
.LBB32_195:
	v_mov_b32_e32 v8, 0
.LBB32_196:
	v_max_f32_e32 v0, v0, v0
	v_max_f32_e32 v4, v4, v4
	;; [unrolled: 1-line block ×4, first 2 shown]
	v_min_f32_e32 v0, v4, v0
	v_max_f32_e32 v3, v3, v3
	v_max_f32_e32 v4, v7, v7
	v_min_f32_e32 v1, v5, v1
	v_min_f32_e32 v3, v4, v3
	v_max_f32_e32 v2, v2, v2
	v_max_f32_e32 v4, v6, v6
	v_pk_add_f32 v[0:1], v[48:49], v[0:1]
	v_min_f32_e32 v2, v4, v2
	v_pk_add_f32 v[0:1], v[0:1], v[2:3]
	s_nop 0
	v_add_f32_e32 v0, v0, v1
	v_add_f32_e32 v2, v0, v8
	v_lshl_add_u64 v[0:1], v[112:113], 2, v[36:37]
	global_store_dword v[0:1], v2, off
	s_endpgm
	.section	.rodata,"a",@progbits
	.p2align	6, 0x0
	.amdhsa_kernel _ZN12_GLOBAL__N_120geam_min_plus_kernelIf15HIP_vector_typeIfLj2EES2_Li8ELi32ELi64ELi128ELi4ELi64ELi4ELi4ELi64ELc78ELc78ELb0ELb1ELb0EfKPKfKPfEEviiiT16_PT17_ilSA_ilS8_SA_ilPT18_ili26rocblas_geam_ex_operation_
		.amdhsa_group_segment_fixed_size 6144
		.amdhsa_private_segment_fixed_size 0
		.amdhsa_kernarg_size 128
		.amdhsa_user_sgpr_count 2
		.amdhsa_user_sgpr_dispatch_ptr 0
		.amdhsa_user_sgpr_queue_ptr 0
		.amdhsa_user_sgpr_kernarg_segment_ptr 1
		.amdhsa_user_sgpr_dispatch_id 0
		.amdhsa_user_sgpr_kernarg_preload_length 0
		.amdhsa_user_sgpr_kernarg_preload_offset 0
		.amdhsa_user_sgpr_private_segment_size 0
		.amdhsa_uses_dynamic_stack 0
		.amdhsa_enable_private_segment 0
		.amdhsa_system_sgpr_workgroup_id_x 1
		.amdhsa_system_sgpr_workgroup_id_y 0
		.amdhsa_system_sgpr_workgroup_id_z 1
		.amdhsa_system_sgpr_workgroup_info 0
		.amdhsa_system_vgpr_workitem_id 1
		.amdhsa_next_free_vgpr 226
		.amdhsa_next_free_sgpr 36
		.amdhsa_accum_offset 228
		.amdhsa_reserve_vcc 1
		.amdhsa_float_round_mode_32 0
		.amdhsa_float_round_mode_16_64 0
		.amdhsa_float_denorm_mode_32 3
		.amdhsa_float_denorm_mode_16_64 3
		.amdhsa_dx10_clamp 1
		.amdhsa_ieee_mode 1
		.amdhsa_fp16_overflow 0
		.amdhsa_tg_split 0
		.amdhsa_exception_fp_ieee_invalid_op 0
		.amdhsa_exception_fp_denorm_src 0
		.amdhsa_exception_fp_ieee_div_zero 0
		.amdhsa_exception_fp_ieee_overflow 0
		.amdhsa_exception_fp_ieee_underflow 0
		.amdhsa_exception_fp_ieee_inexact 0
		.amdhsa_exception_int_div_zero 0
	.end_amdhsa_kernel
	.section	.text._ZN12_GLOBAL__N_120geam_min_plus_kernelIf15HIP_vector_typeIfLj2EES2_Li8ELi32ELi64ELi128ELi4ELi64ELi4ELi4ELi64ELc78ELc78ELb0ELb1ELb0EfKPKfKPfEEviiiT16_PT17_ilSA_ilS8_SA_ilPT18_ili26rocblas_geam_ex_operation_,"axG",@progbits,_ZN12_GLOBAL__N_120geam_min_plus_kernelIf15HIP_vector_typeIfLj2EES2_Li8ELi32ELi64ELi128ELi4ELi64ELi4ELi4ELi64ELc78ELc78ELb0ELb1ELb0EfKPKfKPfEEviiiT16_PT17_ilSA_ilS8_SA_ilPT18_ili26rocblas_geam_ex_operation_,comdat
.Lfunc_end32:
	.size	_ZN12_GLOBAL__N_120geam_min_plus_kernelIf15HIP_vector_typeIfLj2EES2_Li8ELi32ELi64ELi128ELi4ELi64ELi4ELi4ELi64ELc78ELc78ELb0ELb1ELb0EfKPKfKPfEEviiiT16_PT17_ilSA_ilS8_SA_ilPT18_ili26rocblas_geam_ex_operation_, .Lfunc_end32-_ZN12_GLOBAL__N_120geam_min_plus_kernelIf15HIP_vector_typeIfLj2EES2_Li8ELi32ELi64ELi128ELi4ELi64ELi4ELi4ELi64ELc78ELc78ELb0ELb1ELb0EfKPKfKPfEEviiiT16_PT17_ilSA_ilS8_SA_ilPT18_ili26rocblas_geam_ex_operation_
                                        ; -- End function
	.section	.AMDGPU.csdata,"",@progbits
; Kernel info:
; codeLenInByte = 11236
; NumSgprs: 42
; NumVgprs: 226
; NumAgprs: 0
; TotalNumVgprs: 226
; ScratchSize: 0
; MemoryBound: 0
; FloatMode: 240
; IeeeMode: 1
; LDSByteSize: 6144 bytes/workgroup (compile time only)
; SGPRBlocks: 5
; VGPRBlocks: 28
; NumSGPRsForWavesPerEU: 42
; NumVGPRsForWavesPerEU: 226
; AccumOffset: 228
; Occupancy: 2
; WaveLimiterHint : 1
; COMPUTE_PGM_RSRC2:SCRATCH_EN: 0
; COMPUTE_PGM_RSRC2:USER_SGPR: 2
; COMPUTE_PGM_RSRC2:TRAP_HANDLER: 0
; COMPUTE_PGM_RSRC2:TGID_X_EN: 1
; COMPUTE_PGM_RSRC2:TGID_Y_EN: 0
; COMPUTE_PGM_RSRC2:TGID_Z_EN: 1
; COMPUTE_PGM_RSRC2:TIDIG_COMP_CNT: 1
; COMPUTE_PGM_RSRC3_GFX90A:ACCUM_OFFSET: 56
; COMPUTE_PGM_RSRC3_GFX90A:TG_SPLIT: 0
	.section	.text._ZN12_GLOBAL__N_120geam_min_plus_kernelIf15HIP_vector_typeIfLj2EES2_Li8ELi32ELi64ELi128ELi4ELi4ELi64ELi4ELi64ELc84ELc78ELb0ELb0ELb0EPKfKS4_KPfEEviiiT16_PT17_ilSA_ilS8_SA_ilPT18_ili26rocblas_geam_ex_operation_,"axG",@progbits,_ZN12_GLOBAL__N_120geam_min_plus_kernelIf15HIP_vector_typeIfLj2EES2_Li8ELi32ELi64ELi128ELi4ELi4ELi64ELi4ELi64ELc84ELc78ELb0ELb0ELb0EPKfKS4_KPfEEviiiT16_PT17_ilSA_ilS8_SA_ilPT18_ili26rocblas_geam_ex_operation_,comdat
	.globl	_ZN12_GLOBAL__N_120geam_min_plus_kernelIf15HIP_vector_typeIfLj2EES2_Li8ELi32ELi64ELi128ELi4ELi4ELi64ELi4ELi64ELc84ELc78ELb0ELb0ELb0EPKfKS4_KPfEEviiiT16_PT17_ilSA_ilS8_SA_ilPT18_ili26rocblas_geam_ex_operation_ ; -- Begin function _ZN12_GLOBAL__N_120geam_min_plus_kernelIf15HIP_vector_typeIfLj2EES2_Li8ELi32ELi64ELi128ELi4ELi4ELi64ELi4ELi64ELc84ELc78ELb0ELb0ELb0EPKfKS4_KPfEEviiiT16_PT17_ilSA_ilS8_SA_ilPT18_ili26rocblas_geam_ex_operation_
	.p2align	8
	.type	_ZN12_GLOBAL__N_120geam_min_plus_kernelIf15HIP_vector_typeIfLj2EES2_Li8ELi32ELi64ELi128ELi4ELi4ELi64ELi4ELi64ELc84ELc78ELb0ELb0ELb0EPKfKS4_KPfEEviiiT16_PT17_ilSA_ilS8_SA_ilPT18_ili26rocblas_geam_ex_operation_,@function
_ZN12_GLOBAL__N_120geam_min_plus_kernelIf15HIP_vector_typeIfLj2EES2_Li8ELi32ELi64ELi128ELi4ELi4ELi64ELi4ELi64ELc84ELc78ELb0ELb0ELb0EPKfKS4_KPfEEviiiT16_PT17_ilSA_ilS8_SA_ilPT18_ili26rocblas_geam_ex_operation_: ; @_ZN12_GLOBAL__N_120geam_min_plus_kernelIf15HIP_vector_typeIfLj2EES2_Li8ELi32ELi64ELi128ELi4ELi4ELi64ELi4ELi64ELc84ELc78ELb0ELb0ELb0EPKfKS4_KPfEEviiiT16_PT17_ilSA_ilS8_SA_ilPT18_ili26rocblas_geam_ex_operation_
; %bb.0:
	s_load_dwordx4 s[12:15], s[0:1], 0x10
	s_load_dwordx4 s[4:7], s[0:1], 0x28
	s_mov_b32 s20, s3
	s_mov_b32 s21, 0
	s_lshl_b64 s[16:17], s[20:21], 2
	s_waitcnt lgkmcnt(0)
	s_add_u32 s18, s12, s16
	s_load_dwordx4 s[8:11], s[0:1], 0x40
	s_addc_u32 s19, s13, s17
	s_load_dword s12, s[18:19], 0x0
	s_load_dwordx2 s[22:23], s[0:1], 0x50
	s_waitcnt lgkmcnt(0)
	s_add_u32 s10, s10, s16
	v_cmp_eq_f32_e64 s[18:19], s12, 0
	s_addc_u32 s11, s11, s17
	v_cmp_neq_f32_e64 s[24:25], s12, 0
	s_mov_b64 s[16:17], 0
	s_and_b64 vcc, exec, s[18:19]
	s_mov_b64 s[18:19], 0
	s_cbranch_vccnz .LBB33_2
; %bb.1:
	s_lshl_b64 s[18:19], s[20:21], 3
	s_add_u32 s14, s14, s18
	s_addc_u32 s15, s15, s19
	s_load_dwordx2 s[14:15], s[14:15], 0x0
	s_lshl_b64 s[4:5], s[4:5], 2
	s_waitcnt lgkmcnt(0)
	s_add_u32 s18, s14, s4
	s_addc_u32 s19, s15, s5
.LBB33_2:
	s_load_dword s14, s[10:11], 0x0
	v_cndmask_b32_e64 v1, 0, 1, s[24:25]
	v_cmp_ne_u32_e64 s[4:5], 1, v1
	s_andn2_b64 vcc, exec, s[24:25]
	s_cbranch_vccnz .LBB33_4
; %bb.3:
	s_lshl_b64 s[10:11], s[20:21], 3
	s_add_u32 s6, s6, s10
	s_addc_u32 s7, s7, s11
	s_load_dwordx2 s[6:7], s[6:7], 0x0
	s_lshl_b64 s[8:9], s[8:9], 2
	s_waitcnt lgkmcnt(0)
	s_add_u32 s16, s6, s8
	s_addc_u32 s17, s7, s9
.LBB33_4:
	s_load_dwordx4 s[8:11], s[0:1], 0x60
	s_waitcnt lgkmcnt(0)
	v_cmp_eq_f32_e64 s[6:7], s14, 0
	s_and_b64 s[6:7], exec, s[6:7]
	s_mov_b64 vcc, s[6:7]
	s_cbranch_vccnz .LBB33_6
; %bb.5:
	s_lshl_b64 s[24:25], s[20:21], 3
	s_add_u32 s22, s22, s24
	s_addc_u32 s23, s23, s25
	s_load_dwordx2 s[22:23], s[22:23], 0x0
	s_lshl_b64 s[8:9], s[8:9], 2
	s_waitcnt lgkmcnt(0)
	s_add_u32 s8, s22, s8
	s_addc_u32 s9, s23, s9
	s_branch .LBB33_7
.LBB33_6:
	s_mov_b64 s[8:9], 0
.LBB33_7:
	s_load_dword s3, s[0:1], 0x0
	s_load_dword s13, s[0:1], 0x20
	s_lshl_b64 s[20:21], s[20:21], 3
	s_add_u32 s10, s10, s20
	s_addc_u32 s11, s11, s21
	s_waitcnt lgkmcnt(0)
	s_add_i32 s3, s3, -1
	s_ashr_i32 s15, s3, 31
	s_lshr_b32 s15, s15, 26
	s_add_i32 s3, s3, s15
	s_ashr_i32 s3, s3, 6
	s_add_i32 s15, s3, 1
	v_cvt_f32_u32_e32 v1, s15
	s_not_b32 s3, s3
	v_and_b32_e32 v206, 0x3ff, v0
	v_bfe_u32 v207, v0, 10, 10
	v_rcp_iflag_f32_e32 v1, v1
	v_lshl_add_u32 v0, v207, 3, v206
	v_and_b32_e32 v2, 3, v206
	v_lshrrev_b32_e32 v8, 2, v0
	v_mul_f32_e32 v1, 0x4f7ffffe, v1
	v_cvt_u32_f32_e32 v1, v1
	v_lshlrev_b32_e32 v48, 2, v2
	v_readfirstlane_b32 s20, v1
	s_mul_i32 s3, s3, s20
	s_mul_hi_u32 s3, s20, s3
	s_add_i32 s20, s20, s3
	s_mul_hi_u32 s3, s2, s20
	s_mul_i32 s20, s3, s15
	s_sub_i32 s20, s2, s20
	s_add_i32 s21, s3, 1
	s_sub_i32 s22, s20, s15
	s_cmp_ge_u32 s20, s15
	s_cselect_b32 s3, s21, s3
	s_cselect_b32 s20, s22, s20
	s_add_i32 s21, s3, 1
	s_cmp_ge_u32 s20, s15
	s_cselect_b32 s3, s21, s3
	s_mul_i32 s15, s3, s15
	s_sub_i32 s2, s2, s15
	s_lshl_b32 s15, s2, 6
	s_and_b64 vcc, exec, s[4:5]
	v_add_u32_e32 v4, s15, v8
	s_cbranch_vccnz .LBB33_9
; %bb.8:
	v_mad_i64_i32 v[0:1], s[20:21], v4, s13, 0
	v_lshl_add_u64 v[0:1], v[0:1], 2, s[18:19]
	v_mov_b32_e32 v49, 0
	v_lshl_add_u64 v[0:1], v[0:1], 0, v[48:49]
	flat_load_dword v0, v[0:1]
	s_waitcnt vmcnt(0) lgkmcnt(0)
	v_mul_f32_e32 v9, s12, v0
	s_branch .LBB33_10
.LBB33_9:
	v_mov_b32_e32 v9, 0
.LBB33_10:
	s_load_dword s21, s[0:1], 0x38
	s_lshl_b32 s20, s3, 7
	v_add_u32_e32 v5, s20, v8
	s_and_b64 vcc, exec, s[4:5]
	v_add_u32_e32 v6, 64, v5
	s_cbranch_vccnz .LBB33_14
; %bb.11:
	v_mov_b32_e32 v49, 0
	v_lshl_add_u64 v[0:1], s[16:17], 0, v[48:49]
	s_waitcnt lgkmcnt(0)
	v_mad_i64_i32 v[2:3], s[2:3], v5, s21, 0
	v_lshl_add_u64 v[2:3], v[2:3], 2, v[0:1]
	v_mad_i64_i32 v[10:11], s[2:3], v6, s21, 0
	v_lshl_add_u64 v[0:1], v[10:11], 2, v[0:1]
	flat_load_dword v10, v[2:3]
	flat_load_dword v11, v[0:1]
	s_waitcnt vmcnt(0) lgkmcnt(0)
	v_pk_mul_f32 v[2:3], s[12:13], v[10:11] op_sel_hi:[0,1]
	s_and_b64 vcc, exec, s[4:5]
	s_cbranch_vccnz .LBB33_15
.LBB33_12:
	v_mad_i64_i32 v[0:1], s[2:3], v4, s13, 0
	v_lshl_add_u64 v[0:1], v[0:1], 2, s[18:19]
	v_mov_b32_e32 v49, 0
	v_lshl_add_u64 v[0:1], v[0:1], 0, v[48:49]
	flat_load_dword v0, v[0:1] offset:16
	s_waitcnt vmcnt(0) lgkmcnt(0)
	v_mul_f32_e32 v7, s12, v0
	s_and_b64 vcc, exec, s[4:5]
	s_cbranch_vccnz .LBB33_16
.LBB33_13:
	v_mov_b32_e32 v49, 0
	v_lshl_add_u64 v[0:1], s[16:17], 0, v[48:49]
	s_waitcnt lgkmcnt(0)
	v_mad_i64_i32 v[10:11], s[2:3], v5, s21, 0
	v_lshl_add_u64 v[10:11], v[10:11], 2, v[0:1]
	v_mad_i64_i32 v[12:13], s[2:3], v6, s21, 0
	v_lshl_add_u64 v[0:1], v[12:13], 2, v[0:1]
	flat_load_dword v12, v[10:11] offset:16
	flat_load_dword v13, v[0:1] offset:16
	s_waitcnt vmcnt(0) lgkmcnt(0)
	v_pk_mul_f32 v[0:1], s[12:13], v[12:13] op_sel_hi:[0,1]
	s_branch .LBB33_17
.LBB33_14:
	v_mov_b32_e32 v2, 0
	v_mov_b32_e32 v3, 0
	s_and_b64 vcc, exec, s[4:5]
	s_cbranch_vccz .LBB33_12
.LBB33_15:
	v_mov_b32_e32 v7, 0
	s_and_b64 vcc, exec, s[4:5]
	s_cbranch_vccz .LBB33_13
.LBB33_16:
	v_mov_b32_e32 v0, 0
	v_mov_b32_e32 v1, 0
.LBB33_17:
	v_lshl_or_b32 v210, v8, 4, v48
	v_lshlrev_b32_e32 v209, 4, v207
	s_load_dwordx2 s[2:3], s[10:11], 0x0
	ds_write_b32 v210, v9 offset:4096
	ds_write2st64_b32 v210, v2, v3 offset1:4
	s_waitcnt lgkmcnt(0)
	s_barrier
	ds_read_b128 v[8:11], v209
	v_lshlrev_b32_e32 v208, 4, v206
	ds_read_b128 v[12:15], v208 offset:4992
	ds_read_b128 v[16:19], v209 offset:512
	;; [unrolled: 1-line block ×5, first 2 shown]
	s_waitcnt lgkmcnt(5)
	v_max_f32_e32 v49, v9, v9
	v_max_f32_e32 v54, v8, v8
	ds_read_b128 v[32:35], v208 offset:4096
	ds_read_b128 v[36:39], v208 offset:4224
	v_max_f32_e32 v106, v11, v11
	v_max_f32_e32 v107, v10, v10
	ds_read_b128 v[8:11], v208 offset:4352
	s_waitcnt lgkmcnt(7)
	v_max_f32_e32 v58, v13, v13
	v_max_f32_e32 v59, v12, v12
	s_waitcnt lgkmcnt(6)
	v_max_f32_e32 v56, v17, v17
	v_max_f32_e32 v57, v16, v16
	s_waitcnt lgkmcnt(3)
	v_max_f32_e32 v61, v28, v28
	s_waitcnt lgkmcnt(2)
	v_max_f32_e32 v28, v32, v32
	v_max_f32_e32 v120, v15, v15
	v_max_f32_e32 v121, v14, v14
	ds_read_b128 v[12:15], v208 offset:4480
	v_max_f32_e32 v122, v19, v19
	v_max_f32_e32 v123, v18, v18
	s_waitcnt lgkmcnt(1)
	v_max_f32_e32 v32, v8, v8
	v_max_f32_e32 v125, v30, v30
	;; [unrolled: 1-line block ×4, first 2 shown]
	ds_read_b128 v[16:19], v208 offset:4608
	v_max_f32_e32 v75, v11, v11
	ds_read_b128 v[8:11], v208 offset:4736
	v_max_f32_e32 v60, v29, v29
	v_max_f32_e32 v62, v25, v25
	;; [unrolled: 1-line block ×4, first 2 shown]
	s_waitcnt lgkmcnt(0)
	v_max_f32_e32 v52, v8, v8
	v_max_f32_e32 v53, v9, v9
	;; [unrolled: 1-line block ×10, first 2 shown]
	v_min_f32_e32 v46, v52, v54
	v_min_f32_e32 v47, v53, v49
	;; [unrolled: 1-line block ×10, first 2 shown]
	v_max_f32_e32 v126, v27, v27
	v_max_f32_e32 v127, v26, v26
	;; [unrolled: 1-line block ×11, first 2 shown]
	v_min_f32_e32 v2, v28, v54
	v_min_f32_e32 v3, v29, v49
	;; [unrolled: 1-line block ×39, first 2 shown]
	v_pk_add_f32 v[52:53], v[52:53], 0 op_sel_hi:[1,0]
	v_min_f32_e32 v59, v120, v106
	v_min_f32_e32 v58, v121, v107
	v_max_f32_e32 v124, v31, v31
	v_pk_add_f32 v[90:91], v[58:59], v[52:53]
	v_pk_add_f32 v[52:53], v[54:55], 0 op_sel_hi:[1,0]
	v_min_f32_e32 v55, v120, v122
	v_min_f32_e32 v54, v121, v123
	v_max_f32_e32 v68, v34, v34
	v_max_f32_e32 v69, v35, v35
	v_pk_add_f32 v[76:77], v[54:55], v[52:53]
	v_pk_add_f32 v[52:53], v[56:57], 0 op_sel_hi:[1,0]
	v_min_f32_e32 v55, v120, v124
	v_min_f32_e32 v54, v121, v125
	v_max_f32_e32 v71, v39, v39
	v_min_f32_e32 v31, v37, v49
	v_min_f32_e32 v34, v36, v61
	;; [unrolled: 1-line block ×12, first 2 shown]
	v_pk_add_f32 v[62:63], v[54:55], v[52:53]
	v_pk_add_f32 v[2:3], v[2:3], 0 op_sel_hi:[1,0]
	v_min_f32_e32 v52, v68, v107
	v_min_f32_e32 v53, v69, v106
	v_pk_add_f32 v[118:119], v[52:53], v[2:3]
	v_pk_add_f32 v[2:3], v[8:9], 0 op_sel_hi:[1,0]
	v_min_f32_e32 v8, v68, v123
	v_min_f32_e32 v9, v69, v122
	;; [unrolled: 4-line block ×3, first 2 shown]
	v_min_f32_e32 v83, v73, v49
	v_min_f32_e32 v100, v72, v61
	;; [unrolled: 1-line block ×3, first 2 shown]
	v_pk_add_f32 v[72:73], v[8:9], v[2:3]
	v_min_f32_e32 v3, v69, v126
	v_min_f32_e32 v2, v68, v127
	v_pk_add_f32 v[8:9], v[12:13], 0 op_sel_hi:[1,0]
	s_load_dword s10, s[0:1], 0x8
	v_pk_add_f32 v[58:59], v[2:3], v[8:9]
	v_pk_add_f32 v[2:3], v[14:15], 0 op_sel_hi:[1,0]
	v_min_f32_e32 v8, v70, v107
	v_min_f32_e32 v9, v71, v106
	v_pk_add_f32 v[116:117], v[8:9], v[2:3]
	v_pk_add_f32 v[2:3], v[16:17], 0 op_sel_hi:[1,0]
	v_min_f32_e32 v8, v70, v123
	v_min_f32_e32 v9, v71, v122
	;; [unrolled: 4-line block ×3, first 2 shown]
	v_pk_add_f32 v[68:69], v[8:9], v[2:3]
	v_min_f32_e32 v3, v71, v126
	v_min_f32_e32 v2, v70, v127
	v_pk_add_f32 v[8:9], v[20:21], 0 op_sel_hi:[1,0]
	s_waitcnt lgkmcnt(0)
	s_cmp_lt_i32 s10, 9
	v_pk_add_f32 v[52:53], v[2:3], v[8:9]
	v_pk_add_f32 v[2:3], v[22:23], 0 op_sel_hi:[1,0]
	v_min_f32_e32 v8, v74, v107
	v_min_f32_e32 v9, v75, v106
	v_pk_add_f32 v[114:115], v[8:9], v[2:3]
	v_pk_add_f32 v[2:3], v[24:25], 0 op_sel_hi:[1,0]
	v_min_f32_e32 v8, v74, v123
	v_min_f32_e32 v9, v75, v122
	;; [unrolled: 4-line block ×3, first 2 shown]
	v_pk_add_f32 v[70:71], v[8:9], v[2:3]
	v_min_f32_e32 v3, v75, v126
	v_min_f32_e32 v2, v74, v127
	v_pk_add_f32 v[8:9], v[28:29], 0 op_sel_hi:[1,0]
	ds_write2st64_b32 v210, v0, v1 offset0:8 offset1:12
	ds_write_b32 v210, v7 offset:5120
	v_pk_add_f32 v[54:55], v[2:3], v[8:9]
	v_pk_add_f32 v[2:3], v[30:31], 0 op_sel_hi:[1,0]
	v_min_f32_e32 v8, v78, v107
	v_min_f32_e32 v9, v79, v106
	v_pk_add_f32 v[112:113], v[8:9], v[2:3]
	v_pk_add_f32 v[2:3], v[32:33], 0 op_sel_hi:[1,0]
	v_min_f32_e32 v8, v78, v123
	v_min_f32_e32 v9, v79, v122
	;; [unrolled: 4-line block ×3, first 2 shown]
	v_pk_add_f32 v[74:75], v[8:9], v[2:3]
	v_min_f32_e32 v3, v79, v126
	v_min_f32_e32 v2, v78, v127
	v_pk_add_f32 v[8:9], v[36:37], 0 op_sel_hi:[1,0]
	s_waitcnt lgkmcnt(0)
	v_pk_add_f32 v[56:57], v[2:3], v[8:9]
	v_pk_add_f32 v[2:3], v[38:39], 0 op_sel_hi:[1,0]
	v_min_f32_e32 v8, v80, v107
	v_min_f32_e32 v9, v81, v106
	v_pk_add_f32 v[110:111], v[8:9], v[2:3]
	v_pk_add_f32 v[2:3], v[40:41], 0 op_sel_hi:[1,0]
	v_min_f32_e32 v8, v80, v123
	v_min_f32_e32 v9, v81, v122
	;; [unrolled: 4-line block ×3, first 2 shown]
	v_pk_add_f32 v[78:79], v[8:9], v[2:3]
	v_min_f32_e32 v3, v81, v126
	v_min_f32_e32 v2, v80, v127
	v_pk_add_f32 v[8:9], v[44:45], 0 op_sel_hi:[1,0]
	s_barrier
	v_pk_add_f32 v[60:61], v[2:3], v[8:9]
	v_pk_add_f32 v[2:3], v[46:47], 0 op_sel_hi:[1,0]
	v_min_f32_e32 v8, v128, v107
	v_min_f32_e32 v9, v129, v106
	v_pk_add_f32 v[108:109], v[8:9], v[2:3]
	v_pk_add_f32 v[2:3], v[50:51], 0 op_sel_hi:[1,0]
	v_min_f32_e32 v8, v128, v123
	v_min_f32_e32 v9, v129, v122
	;; [unrolled: 4-line block ×3, first 2 shown]
	v_pk_add_f32 v[80:81], v[8:9], v[2:3]
	v_min_f32_e32 v3, v129, v126
	v_min_f32_e32 v2, v128, v127
	v_pk_add_f32 v[8:9], v[66:67], 0 op_sel_hi:[1,0]
	s_nop 0
	v_pk_add_f32 v[64:65], v[2:3], v[8:9]
	v_min_f32_e32 v2, v130, v107
	v_min_f32_e32 v3, v131, v106
	v_pk_add_f32 v[8:9], v[82:83], 0 op_sel_hi:[1,0]
	s_nop 0
	;; [unrolled: 5-line block ×6, first 2 shown]
	v_pk_add_f32 v[50:51], v[2:3], v[8:9]
	s_cbranch_scc1 .LBB33_31
; %bb.18:
	v_mad_i64_i32 v[0:1], s[22:23], v4, s13, 0
	v_lshl_add_u64 v[100:101], v[0:1], 2, s[18:19]
	v_mov_b32_e32 v0, 0x1400
	v_lshl_add_u32 v215, v206, 4, v0
	v_mov_b32_e32 v0, 0x800
	v_lshl_add_u32 v216, v207, 4, v0
	v_mad_i64_i32 v[0:1], s[18:19], s21, v6, 0
	v_lshl_add_u64 v[102:103], v[0:1], 2, s[16:17]
	v_mad_i64_i32 v[0:1], s[18:19], s21, v5, 0
	v_add_u32_e32 v211, 0x1000, v210
	v_add_u32_e32 v212, 0x1000, v208
	;; [unrolled: 1-line block ×4, first 2 shown]
	s_add_i32 s10, s10, -8
	s_mov_b32 s13, s12
	v_mov_b32_e32 v49, 0
	v_lshl_add_u64 v[104:105], v[0:1], 2, s[16:17]
	s_mov_b32 s11, 0
	s_branch .LBB33_21
.LBB33_19:                              ;   in Loop: Header=BB33_21 Depth=1
	flat_load_dword v16, v[120:121] offset:48
	flat_load_dword v17, v[122:123] offset:48
	s_waitcnt vmcnt(0) lgkmcnt(0)
	v_pk_mul_f32 v[16:17], s[12:13], v[16:17]
.LBB33_20:                              ;   in Loop: Header=BB33_21 Depth=1
	v_pk_add_f32 v[40:41], v[40:41], v[90:91]
	v_pk_add_f32 v[32:33], v[32:33], v[62:63]
	;; [unrolled: 1-line block ×32, first 2 shown]
	ds_read_b128 v[0:3], v209
	ds_read_b128 v[8:11], v209 offset:512
	v_pk_add_f32 v[22:23], v[6:7], v[82:83]
	ds_read_b128 v[4:7], v212 offset:896
	ds_read_b128 v[12:15], v212 offset:768
	;; [unrolled: 1-line block ×4, first 2 shown]
	v_pk_add_f32 v[90:91], v[132:133], v[70:71]
	v_pk_add_f32 v[92:93], v[140:141], v[92:93]
	;; [unrolled: 1-line block ×6, first 2 shown]
	ds_read_b128 v[90:93], v212
	v_pk_add_f32 v[36:37], v[36:37], v[76:77]
	v_pk_add_f32 v[112:113], v[142:143], v[112:113]
	v_pk_add_f32 v[80:81], v[38:39], v[36:37]
	v_pk_add_f32 v[74:75], v[46:47], v[44:45]
	v_pk_add_f32 v[76:77], v[30:31], v[28:29]
	v_pk_add_f32 v[46:47], v[182:183], v[112:113]
	v_pk_add_f32 v[44:45], v[184:185], v[114:115]
	v_pk_add_f32 v[36:37], v[190:191], v[116:117]
	v_pk_add_f32 v[28:29], v[200:201], v[118:119]
	s_waitcnt lgkmcnt(4)
	v_max_f32_e32 v113, v5, v5
	v_max_f32_e32 v115, v4, v4
	;; [unrolled: 1-line block ×4, first 2 shown]
	s_waitcnt lgkmcnt(1)
	v_max_f32_e32 v118, v87, v87
	v_max_f32_e32 v119, v86, v86
	v_min_f32_e32 v5, v113, v116
	v_min_f32_e32 v4, v115, v117
	;; [unrolled: 1-line block ×4, first 2 shown]
	v_max_f32_e32 v112, v1, v1
	v_max_f32_e32 v114, v0, v0
	v_pk_add_f32 v[4:5], v[4:5], v[80:81]
	v_pk_add_f32 v[8:9], v[8:9], v[78:79]
	ds_read_b128 v[78:81], v212 offset:128
	s_waitcnt lgkmcnt(1)
	v_max_f32_e32 v90, v90, v90
	v_max_f32_e32 v91, v91, v91
	v_min_f32_e32 v86, v90, v114
	v_min_f32_e32 v87, v91, v112
	v_pk_add_f32 v[94:95], v[146:147], v[94:95]
	v_pk_add_f32 v[86:87], v[86:87], v[72:73]
	v_min_f32_e32 v72, v90, v117
	v_min_f32_e32 v73, v91, v116
	v_pk_add_f32 v[96:97], v[152:153], v[96:97]
	v_pk_add_f32 v[40:41], v[186:187], v[94:95]
	v_pk_add_f32 v[94:95], v[72:73], v[74:75]
	v_min_f32_e32 v72, v90, v119
	v_min_f32_e32 v73, v91, v118
	v_pk_add_f32 v[32:33], v[196:197], v[96:97]
	v_pk_add_f32 v[96:97], v[72:73], v[76:77]
	v_max_f32_e32 v76, v83, v83
	v_max_f32_e32 v77, v82, v82
	v_pk_add_f32 v[70:71], v[26:27], v[24:25]
	v_min_f32_e32 v73, v91, v76
	v_min_f32_e32 v72, v90, v77
	s_waitcnt lgkmcnt(0)
	v_max_f32_e32 v74, v78, v78
	v_max_f32_e32 v75, v79, v79
	v_pk_add_f32 v[70:71], v[72:73], v[70:71]
	v_min_f32_e32 v72, v74, v114
	v_min_f32_e32 v73, v75, v112
	v_pk_add_f32 v[78:79], v[72:73], v[64:65]
	v_min_f32_e32 v64, v74, v117
	v_min_f32_e32 v65, v75, v116
	;; [unrolled: 3-line block ×3, first 2 shown]
	v_pk_add_f32 v[68:69], v[64:65], v[68:69]
	ds_read_b128 v[64:67], v212 offset:256
	v_pk_add_f32 v[98:99], v[158:159], v[98:99]
	v_min_f32_e32 v73, v75, v76
	v_min_f32_e32 v72, v74, v77
	v_pk_add_f32 v[24:25], v[202:203], v[98:99]
	v_pk_add_f32 v[98:99], v[72:73], v[62:63]
	ds_read_b128 v[72:75], v212 offset:384
	s_waitcnt lgkmcnt(1)
	v_max_f32_e32 v90, v64, v64
	v_max_f32_e32 v91, v65, v65
	v_min_f32_e32 v62, v90, v114
	v_min_f32_e32 v63, v91, v112
	v_pk_add_f32 v[56:57], v[62:63], v[56:57]
	v_min_f32_e32 v62, v90, v117
	v_min_f32_e32 v63, v91, v116
	v_pk_add_f32 v[54:55], v[138:139], v[54:55]
	v_pk_add_f32 v[106:107], v[160:161], v[106:107]
	v_pk_add_f32 v[64:65], v[62:63], v[58:59]
	v_min_f32_e32 v58, v90, v119
	v_min_f32_e32 v59, v91, v118
	v_pk_add_f32 v[54:55], v[178:179], v[54:55]
	v_pk_add_f32 v[26:27], v[204:205], v[106:107]
	;; [unrolled: 1-line block ×3, first 2 shown]
	v_min_f32_e32 v59, v91, v76
	v_min_f32_e32 v58, v90, v77
	s_waitcnt lgkmcnt(0)
	v_max_f32_e32 v62, v72, v72
	v_max_f32_e32 v63, v73, v73
	v_pk_add_f32 v[108:109], v[154:155], v[108:109]
	v_pk_add_f32 v[54:55], v[58:59], v[54:55]
	v_min_f32_e32 v58, v62, v114
	v_min_f32_e32 v59, v63, v112
	v_pk_add_f32 v[30:31], v[198:199], v[108:109]
	v_pk_add_f32 v[108:109], v[58:59], v[46:47]
	ds_read_b128 v[58:61], v212 offset:512
	v_min_f32_e32 v46, v62, v117
	v_min_f32_e32 v47, v63, v116
	v_pk_add_f32 v[110:111], v[148:149], v[110:111]
	v_pk_add_f32 v[50:51], v[46:47], v[50:51]
	v_min_f32_e32 v46, v62, v119
	v_min_f32_e32 v47, v63, v118
	v_pk_add_f32 v[38:39], v[188:189], v[110:111]
	v_pk_add_f32 v[110:111], v[46:47], v[52:53]
	;; [unrolled: 4-line block ×3, first 2 shown]
	ds_read_b128 v[44:47], v212 offset:640
	s_waitcnt lgkmcnt(1)
	v_max_f32_e32 v58, v58, v58
	v_max_f32_e32 v59, v59, v59
	v_min_f32_e32 v52, v58, v114
	v_min_f32_e32 v53, v59, v112
	v_pk_add_f32 v[38:39], v[52:53], v[38:39]
	v_min_f32_e32 v52, v58, v117
	v_min_f32_e32 v53, v59, v116
	v_pk_add_f32 v[40:41], v[52:53], v[40:41]
	;; [unrolled: 3-line block ×4, first 2 shown]
	s_waitcnt lgkmcnt(0)
	v_max_f32_e32 v52, v44, v44
	v_max_f32_e32 v53, v45, v45
	v_min_f32_e32 v44, v52, v114
	v_min_f32_e32 v45, v53, v112
	v_pk_add_f32 v[30:31], v[44:45], v[30:31]
	v_min_f32_e32 v44, v52, v117
	v_min_f32_e32 v45, v53, v116
	v_pk_add_f32 v[32:33], v[44:45], v[32:33]
	;; [unrolled: 3-line block ×4, first 2 shown]
	v_max_f32_e32 v44, v12, v12
	v_max_f32_e32 v45, v13, v13
	v_min_f32_e32 v12, v44, v114
	v_min_f32_e32 v13, v45, v112
	v_pk_add_f32 v[12:13], v[12:13], v[26:27]
	v_min_f32_e32 v26, v44, v117
	v_min_f32_e32 v27, v45, v116
	v_pk_add_f32 v[24:25], v[26:27], v[24:25]
	;; [unrolled: 3-line block ×4, first 2 shown]
	v_min_f32_e32 v27, v113, v76
	v_min_f32_e32 v26, v115, v77
	;; [unrolled: 1-line block ×4, first 2 shown]
	v_pk_add_f32 v[18:19], v[26:27], v[18:19]
	v_max_f32_e32 v26, v3, v3
	v_max_f32_e32 v7, v7, v7
	;; [unrolled: 1-line block ×4, first 2 shown]
	v_pk_add_f32 v[0:1], v[0:1], v[122:123]
	v_min_f32_e32 v3, v7, v26
	v_min_f32_e32 v2, v6, v27
	v_pk_add_f32 v[90:91], v[2:3], v[0:1]
	v_max_f32_e32 v2, v11, v11
	v_max_f32_e32 v3, v10, v10
	v_min_f32_e32 v1, v7, v2
	v_min_f32_e32 v0, v6, v3
	v_pk_add_f32 v[76:77], v[0:1], v[4:5]
	v_max_f32_e32 v4, v89, v89
	v_max_f32_e32 v5, v88, v88
	;; [unrolled: 5-line block ×3, first 2 shown]
	v_min_f32_e32 v0, v8, v27
	v_min_f32_e32 v1, v9, v26
	v_pk_add_f32 v[118:119], v[0:1], v[86:87]
	v_min_f32_e32 v0, v8, v3
	v_min_f32_e32 v1, v9, v2
	v_pk_add_f32 v[88:89], v[0:1], v[94:95]
	v_min_f32_e32 v0, v8, v5
	v_min_f32_e32 v1, v9, v4
	v_max_f32_e32 v10, v85, v85
	v_pk_add_f32 v[72:73], v[0:1], v[96:97]
	v_min_f32_e32 v1, v9, v10
	v_max_f32_e32 v9, v84, v84
	v_min_f32_e32 v0, v8, v9
	v_max_f32_e32 v8, v80, v80
	v_max_f32_e32 v11, v81, v81
	v_pk_add_f32 v[58:59], v[0:1], v[70:71]
	v_min_f32_e32 v0, v8, v27
	v_min_f32_e32 v1, v11, v26
	v_pk_add_f32 v[116:117], v[0:1], v[78:79]
	v_min_f32_e32 v0, v8, v3
	v_min_f32_e32 v1, v11, v2
	v_pk_add_f32 v[84:85], v[0:1], v[82:83]
	v_min_f32_e32 v0, v8, v5
	v_min_f32_e32 v1, v11, v4
	v_pk_add_f32 v[68:69], v[0:1], v[68:69]
	v_min_f32_e32 v1, v11, v10
	v_min_f32_e32 v0, v8, v9
	v_max_f32_e32 v8, v66, v66
	v_max_f32_e32 v11, v67, v67
	v_pk_add_f32 v[52:53], v[0:1], v[98:99]
	v_min_f32_e32 v0, v8, v27
	v_min_f32_e32 v1, v11, v26
	v_pk_add_f32 v[114:115], v[0:1], v[56:57]
	v_min_f32_e32 v0, v8, v3
	v_min_f32_e32 v1, v11, v2
	v_pk_add_f32 v[86:87], v[0:1], v[64:65]
	v_min_f32_e32 v0, v8, v5
	v_min_f32_e32 v1, v11, v4
	v_pk_add_f32 v[70:71], v[0:1], v[106:107]
	v_min_f32_e32 v1, v11, v10
	;; [unrolled: 14-line block ×6, first 2 shown]
	v_min_f32_e32 v0, v8, v9
	v_pk_add_f32 v[66:67], v[0:1], v[22:23]
	v_min_f32_e32 v1, v7, v10
	v_min_f32_e32 v0, v6, v9
	s_add_i32 s11, s11, 8
	v_pk_add_f32 v[50:51], v[0:1], v[18:19]
	v_lshl_add_u64 v[102:103], v[102:103], 0, 32
	v_lshl_add_u64 v[104:105], v[104:105], 0, 32
	s_cmp_ge_i32 s11, s10
	v_lshl_add_u64 v[100:101], v[100:101], 0, 32
	ds_write_b32 v213, v217
	ds_write2st64_b32 v214, v16, v17 offset1:4
	s_waitcnt lgkmcnt(0)
	s_barrier
	s_cbranch_scc1 .LBB33_31
.LBB33_21:                              ; =>This Inner Loop Header: Depth=1
	s_and_b64 vcc, exec, s[4:5]
	v_lshl_add_u64 v[124:125], v[100:101], 0, v[48:49]
	v_mov_b32_e32 v128, 0
	s_cbranch_vccnz .LBB33_23
; %bb.22:                               ;   in Loop: Header=BB33_21 Depth=1
	flat_load_dword v0, v[124:125] offset:32
	s_waitcnt vmcnt(0) lgkmcnt(0)
	v_mul_f32_e32 v128, s12, v0
.LBB33_23:                              ;   in Loop: Header=BB33_21 Depth=1
	s_and_b64 vcc, exec, s[4:5]
	v_lshl_add_u64 v[120:121], v[104:105], 0, v[48:49]
	v_lshl_add_u64 v[122:123], v[102:103], 0, v[48:49]
	s_cbranch_vccnz .LBB33_25
; %bb.24:                               ;   in Loop: Header=BB33_21 Depth=1
	flat_load_dword v0, v[120:121] offset:32
	flat_load_dword v1, v[122:123] offset:32
	s_waitcnt vmcnt(0) lgkmcnt(0)
	v_pk_mul_f32 v[126:127], s[12:13], v[0:1]
	s_branch .LBB33_26
.LBB33_25:                              ;   in Loop: Header=BB33_21 Depth=1
	v_mov_b32_e32 v126, 0
	v_mov_b32_e32 v127, 0
.LBB33_26:                              ;   in Loop: Header=BB33_21 Depth=1
	ds_read_b128 v[40:43], v216
	ds_read_b128 v[36:39], v216 offset:512
	ds_read_b128 v[24:27], v216 offset:1536
	;; [unrolled: 1-line block ×3, first 2 shown]
	ds_read_b128 v[28:31], v215
	ds_read_b128 v[20:23], v215 offset:128
	ds_read_b128 v[16:19], v215 offset:256
	;; [unrolled: 1-line block ×7, first 2 shown]
	s_and_b64 vcc, exec, s[4:5]
	ds_write_b32 v211, v128
	ds_write2st64_b32 v210, v126, v127 offset1:4
	s_waitcnt lgkmcnt(0)
	s_barrier
	s_cbranch_vccnz .LBB33_28
; %bb.27:                               ;   in Loop: Header=BB33_21 Depth=1
	flat_load_dword v124, v[124:125] offset:48
	s_waitcnt vmcnt(0) lgkmcnt(0)
	v_mul_f32_e32 v217, s12, v124
	s_branch .LBB33_29
.LBB33_28:                              ;   in Loop: Header=BB33_21 Depth=1
	v_mov_b32_e32 v217, 0
.LBB33_29:                              ;   in Loop: Header=BB33_21 Depth=1
	v_max_f32_e32 v158, v41, v41
	v_max_f32_e32 v159, v40, v40
	;; [unrolled: 1-line block ×10, first 2 shown]
	v_min_f32_e32 v136, v16, v159
	v_min_f32_e32 v137, v17, v158
	v_min_f32_e32 v134, v16, v163
	v_min_f32_e32 v135, v17, v162
	v_min_f32_e32 v132, v16, v167
	v_min_f32_e32 v133, v17, v165
	v_min_f32_e32 v139, v17, v168
	v_min_f32_e32 v138, v16, v169
	v_max_f32_e32 v16, v12, v12
	v_max_f32_e32 v17, v13, v13
	v_min_f32_e32 v142, v16, v159
	v_min_f32_e32 v143, v17, v158
	v_min_f32_e32 v140, v16, v163
	v_min_f32_e32 v141, v17, v162
	v_min_f32_e32 v12, v16, v167
	v_min_f32_e32 v13, v17, v165
	v_min_f32_e32 v145, v17, v168
	v_min_f32_e32 v144, v16, v169
	v_max_f32_e32 v16, v8, v8
	v_max_f32_e32 v17, v9, v9
	;; [unrolled: 10-line block ×3, first 2 shown]
	v_max_f32_e32 v164, v45, v45
	v_max_f32_e32 v166, v44, v44
	;; [unrolled: 1-line block ×6, first 2 shown]
	v_min_f32_e32 v154, v16, v159
	v_min_f32_e32 v155, v17, v158
	;; [unrolled: 1-line block ×8, first 2 shown]
	v_max_f32_e32 v16, v0, v0
	v_max_f32_e32 v17, v1, v1
	v_min_f32_e32 v41, v164, v158
	v_min_f32_e32 v40, v166, v159
	;; [unrolled: 1-line block ×17, first 2 shown]
	v_max_f32_e32 v16, v43, v43
	v_max_f32_e32 v194, v42, v42
	;; [unrolled: 1-line block ×10, first 2 shown]
	v_min_f32_e32 v36, v166, v163
	v_min_f32_e32 v33, v164, v165
	;; [unrolled: 1-line block ×14, first 2 shown]
	v_max_f32_e32 v17, v47, v47
	v_max_f32_e32 v218, v46, v46
	;; [unrolled: 1-line block ×12, first 2 shown]
	v_min_f32_e32 v198, v6, v194
	v_min_f32_e32 v199, v7, v16
	v_min_f32_e32 v196, v6, v202
	v_min_f32_e32 v197, v7, v195
	v_min_f32_e32 v192, v6, v220
	v_min_f32_e32 v193, v7, v219
	v_min_f32_e32 v201, v7, v221
	v_min_f32_e32 v200, v6, v222
	v_max_f32_e32 v6, v2, v2
	v_max_f32_e32 v7, v3, v3
	v_min_f32_e32 v32, v166, v167
	v_min_f32_e32 v43, v17, v16
	;; [unrolled: 1-line block ×56, first 2 shown]
	s_and_b64 vcc, exec, s[4:5]
	v_min_f32_e32 v194, v218, v222
	s_cbranch_vccz .LBB33_19
; %bb.30:                               ;   in Loop: Header=BB33_21 Depth=1
	v_mov_b32_e32 v16, 0
	v_mov_b32_e32 v17, 0
	s_branch .LBB33_20
.LBB33_31:
	s_load_dword s10, s[0:1], 0x58
	ds_read_b128 v[40:43], v209 offset:2048
	ds_read_b128 v[44:47], v208 offset:5120
	v_add_u32_e32 v102, s20, v207
	v_cmp_neq_f32_e64 s[4:5], s14, 0
	v_add_u32_e32 v48, s15, v206
	s_waitcnt lgkmcnt(0)
	v_mad_i64_i32 v[0:1], s[12:13], v102, s10, 0
	v_ashrrev_i32_e32 v49, 31, v48
	v_lshl_add_u64 v[100:101], v[0:1], 2, s[8:9]
	s_and_b64 vcc, exec, s[4:5]
	v_mov_b32_e32 v105, 0
	v_mov_b32_e32 v104, 0
	s_cbranch_vccz .LBB33_33
; %bb.32:
	v_lshl_add_u64 v[0:1], v[48:49], 2, v[100:101]
	flat_load_dword v0, v[0:1]
	s_waitcnt vmcnt(0) lgkmcnt(0)
	v_mul_f32_e32 v104, s14, v0
.LBB33_33:
	ds_read_b128 v[12:15], v208 offset:6016
	ds_read_b128 v[0:3], v209 offset:3584
	;; [unrolled: 1-line block ×6, first 2 shown]
	s_load_dword s11, s[0:1], 0x70
	s_load_dwordx2 s[12:13], s[0:1], 0x78
	v_max_f32_e32 v120, v40, v40
	v_max_f32_e32 v44, v44, v44
	;; [unrolled: 1-line block ×4, first 2 shown]
	ds_read_b128 v[28:31], v208 offset:5504
	ds_read_b128 v[24:27], v208 offset:5632
	;; [unrolled: 1-line block ×4, first 2 shown]
	v_min_f32_e32 v40, v44, v120
	v_min_f32_e32 v41, v103, v121
	v_pk_add_f32 v[40:41], v[40:41], v[118:119]
	v_max_f32_e32 v118, v42, v42
	v_max_f32_e32 v45, v46, v46
	;; [unrolled: 1-line block ×4, first 2 shown]
	s_waitcnt lgkmcnt(0)
	s_lshl_b64 s[0:1], s[12:13], 2
	v_min_f32_e32 v42, v45, v118
	v_min_f32_e32 v43, v46, v119
	s_add_u32 s2, s2, s0
	v_pk_add_f32 v[122:123], v[42:43], v[40:41]
	s_addc_u32 s3, s3, s1
	v_mad_i64_i32 v[42:43], s[0:1], v102, s11, 0
	v_add_f32_e32 v47, v122, v123
	v_add_u32_e32 v40, 8, v48
	v_lshl_add_u64 v[42:43], v[42:43], 2, s[2:3]
	v_add_f32_e32 v47, v47, v104
	v_cndmask_b32_e64 v104, 0, 1, s[4:5]
	v_ashrrev_i32_e32 v41, 31, v40
	v_lshl_add_u64 v[122:123], v[48:49], 2, v[42:43]
	v_cmp_ne_u32_e64 s[0:1], 1, v104
	s_andn2_b64 vcc, exec, s[4:5]
	global_store_dword v[122:123], v47, off
	s_cbranch_vccnz .LBB33_35
; %bb.34:
	v_lshl_add_u64 v[104:105], v[40:41], 2, v[100:101]
	flat_load_dword v47, v[104:105]
	s_waitcnt vmcnt(0) lgkmcnt(0)
	v_mul_f32_e32 v105, s14, v47
.LBB33_35:
	v_max_f32_e32 v47, v36, v36
	v_max_f32_e32 v104, v37, v37
	v_min_f32_e32 v36, v47, v120
	v_min_f32_e32 v37, v104, v121
	v_max_f32_e32 v38, v38, v38
	v_max_f32_e32 v39, v39, v39
	v_pk_add_f32 v[36:37], v[36:37], v[116:117]
	v_min_f32_e32 v116, v38, v118
	v_min_f32_e32 v117, v39, v119
	v_pk_add_f32 v[36:37], v[116:117], v[36:37]
	s_and_b64 vcc, exec, s[0:1]
	v_add_f32_e32 v116, v36, v37
	v_add_u32_e32 v36, 16, v48
	v_add_f32_e32 v105, v116, v105
	v_lshl_add_u64 v[116:117], v[40:41], 2, v[42:43]
	v_ashrrev_i32_e32 v37, 31, v36
	global_store_dword v[116:117], v105, off
	v_mov_b32_e32 v117, 0
	v_mov_b32_e32 v122, 0
	s_cbranch_vccnz .LBB33_37
; %bb.36:
	v_lshl_add_u64 v[122:123], v[36:37], 2, v[100:101]
	flat_load_dword v105, v[122:123]
	s_waitcnt vmcnt(0) lgkmcnt(0)
	v_mul_f32_e32 v122, s14, v105
.LBB33_37:
	v_max_f32_e32 v105, v32, v32
	v_max_f32_e32 v116, v33, v33
	v_min_f32_e32 v32, v105, v120
	v_min_f32_e32 v33, v116, v121
	v_max_f32_e32 v34, v34, v34
	v_max_f32_e32 v35, v35, v35
	v_pk_add_f32 v[32:33], v[32:33], v[114:115]
	v_min_f32_e32 v114, v34, v118
	v_min_f32_e32 v115, v35, v119
	v_pk_add_f32 v[32:33], v[114:115], v[32:33]
	s_and_b64 vcc, exec, s[0:1]
	v_add_f32_e32 v114, v32, v33
	v_add_u32_e32 v32, 24, v48
	v_ashrrev_i32_e32 v33, 31, v32
	v_add_f32_e32 v122, v114, v122
	v_lshl_add_u64 v[114:115], v[36:37], 2, v[42:43]
	global_store_dword v[114:115], v122, off
	s_cbranch_vccnz .LBB33_39
; %bb.38:
	v_lshl_add_u64 v[114:115], v[32:33], 2, v[100:101]
	flat_load_dword v114, v[114:115]
	s_waitcnt vmcnt(0) lgkmcnt(0)
	v_mul_f32_e32 v117, s14, v114
.LBB33_39:
	v_max_f32_e32 v114, v28, v28
	v_max_f32_e32 v115, v29, v29
	v_min_f32_e32 v28, v114, v120
	v_min_f32_e32 v29, v115, v121
	v_max_f32_e32 v30, v30, v30
	v_max_f32_e32 v31, v31, v31
	v_pk_add_f32 v[28:29], v[28:29], v[112:113]
	v_min_f32_e32 v112, v30, v118
	v_min_f32_e32 v113, v31, v119
	v_pk_add_f32 v[28:29], v[112:113], v[28:29]
	s_and_b64 vcc, exec, s[0:1]
	v_add_f32_e32 v112, v28, v29
	v_add_u32_e32 v28, 32, v48
	v_add_f32_e32 v117, v112, v117
	v_lshl_add_u64 v[112:113], v[32:33], 2, v[42:43]
	v_ashrrev_i32_e32 v29, 31, v28
	global_store_dword v[112:113], v117, off
	v_mov_b32_e32 v117, 0
	v_mov_b32_e32 v122, 0
	s_cbranch_vccnz .LBB33_41
; %bb.40:
	v_lshl_add_u64 v[112:113], v[28:29], 2, v[100:101]
	flat_load_dword v112, v[112:113]
	s_waitcnt vmcnt(0) lgkmcnt(0)
	v_mul_f32_e32 v122, s14, v112
.LBB33_41:
	v_max_f32_e32 v112, v24, v24
	v_max_f32_e32 v113, v25, v25
	v_min_f32_e32 v24, v112, v120
	v_min_f32_e32 v25, v113, v121
	v_max_f32_e32 v26, v26, v26
	v_max_f32_e32 v27, v27, v27
	v_pk_add_f32 v[24:25], v[24:25], v[110:111]
	v_min_f32_e32 v110, v26, v118
	v_min_f32_e32 v111, v27, v119
	v_pk_add_f32 v[24:25], v[110:111], v[24:25]
	s_and_b64 vcc, exec, s[0:1]
	v_add_f32_e32 v110, v24, v25
	v_add_u32_e32 v24, 40, v48
	v_ashrrev_i32_e32 v25, 31, v24
	v_add_f32_e32 v122, v110, v122
	v_lshl_add_u64 v[110:111], v[28:29], 2, v[42:43]
	global_store_dword v[110:111], v122, off
	s_cbranch_vccnz .LBB33_43
; %bb.42:
	v_lshl_add_u64 v[110:111], v[24:25], 2, v[100:101]
	flat_load_dword v110, v[110:111]
	s_waitcnt vmcnt(0) lgkmcnt(0)
	v_mul_f32_e32 v117, s14, v110
.LBB33_43:
	v_max_f32_e32 v110, v20, v20
	v_max_f32_e32 v111, v21, v21
	v_min_f32_e32 v20, v110, v120
	v_min_f32_e32 v21, v111, v121
	v_max_f32_e32 v22, v22, v22
	v_max_f32_e32 v23, v23, v23
	v_pk_add_f32 v[20:21], v[20:21], v[108:109]
	v_min_f32_e32 v108, v22, v118
	v_min_f32_e32 v109, v23, v119
	v_pk_add_f32 v[20:21], v[108:109], v[20:21]
	s_and_b64 vcc, exec, s[0:1]
	v_add_f32_e32 v108, v20, v21
	v_add_u32_e32 v20, 48, v48
	v_add_f32_e32 v117, v108, v117
	v_lshl_add_u64 v[108:109], v[24:25], 2, v[42:43]
	v_ashrrev_i32_e32 v21, 31, v20
	global_store_dword v[108:109], v117, off
	v_mov_b32_e32 v117, 0
	v_mov_b32_e32 v122, 0
	s_cbranch_vccnz .LBB33_45
; %bb.44:
	v_lshl_add_u64 v[108:109], v[20:21], 2, v[100:101]
	flat_load_dword v108, v[108:109]
	s_waitcnt vmcnt(0) lgkmcnt(0)
	v_mul_f32_e32 v122, s14, v108
.LBB33_45:
	v_max_f32_e32 v108, v16, v16
	v_max_f32_e32 v109, v17, v17
	v_min_f32_e32 v16, v108, v120
	v_min_f32_e32 v17, v109, v121
	v_pk_add_f32 v[16:17], v[16:17], v[106:107]
	v_max_f32_e32 v106, v18, v18
	v_max_f32_e32 v107, v19, v19
	v_min_f32_e32 v18, v106, v118
	v_min_f32_e32 v19, v107, v119
	v_pk_add_f32 v[16:17], v[18:19], v[16:17]
	s_and_b64 vcc, exec, s[0:1]
	v_add_f32_e32 v18, v16, v17
	v_add_u32_e32 v16, 56, v48
	v_ashrrev_i32_e32 v17, 31, v16
	v_add_f32_e32 v122, v18, v122
	v_lshl_add_u64 v[18:19], v[20:21], 2, v[42:43]
	global_store_dword v[18:19], v122, off
	s_cbranch_vccnz .LBB33_47
; %bb.46:
	v_lshl_add_u64 v[18:19], v[16:17], 2, v[100:101]
	flat_load_dword v18, v[18:19]
	s_waitcnt vmcnt(0) lgkmcnt(0)
	v_mul_f32_e32 v117, s14, v18
.LBB33_47:
	v_max_f32_e32 v18, v13, v13
	v_max_f32_e32 v19, v12, v12
	v_min_f32_e32 v13, v18, v121
	v_min_f32_e32 v12, v19, v120
	v_max_f32_e32 v15, v15, v15
	v_max_f32_e32 v14, v14, v14
	v_pk_add_f32 v[12:13], v[12:13], v[90:91]
	v_min_f32_e32 v91, v15, v119
	v_min_f32_e32 v90, v14, v118
	v_pk_add_f32 v[12:13], v[90:91], v[12:13]
	v_add_u32_e32 v91, 32, v102
	v_add_f32_e32 v12, v12, v13
	v_add_f32_e32 v90, v12, v117
	v_lshl_add_u64 v[12:13], v[16:17], 2, v[42:43]
	global_store_dword v[12:13], v90, off
	v_mad_i64_i32 v[12:13], s[4:5], v91, s10, 0
	v_lshl_add_u64 v[12:13], v[12:13], 2, s[8:9]
	s_and_b64 vcc, exec, s[0:1]
	v_mov_b32_e32 v90, 0
	v_mov_b32_e32 v100, 0
	s_cbranch_vccnz .LBB33_49
; %bb.48:
	v_lshl_add_u64 v[42:43], v[48:49], 2, v[12:13]
	flat_load_dword v42, v[42:43]
	s_waitcnt vmcnt(0) lgkmcnt(0)
	v_mul_f32_e32 v100, s14, v42
.LBB33_49:
	v_max_f32_e32 v42, v8, v8
	v_max_f32_e32 v43, v9, v9
	v_min_f32_e32 v8, v44, v42
	v_min_f32_e32 v9, v103, v43
	v_max_f32_e32 v10, v10, v10
	v_max_f32_e32 v11, v11, v11
	v_pk_add_f32 v[8:9], v[8:9], v[88:89]
	v_min_f32_e32 v88, v45, v10
	v_min_f32_e32 v89, v46, v11
	v_pk_add_f32 v[88:89], v[88:89], v[8:9]
	v_mad_i64_i32 v[8:9], s[4:5], v91, s11, 0
	v_lshl_add_u64 v[8:9], v[8:9], 2, s[2:3]
	v_add_f32_e32 v88, v88, v89
	v_add_f32_e32 v91, v88, v100
	v_lshl_add_u64 v[88:89], v[48:49], 2, v[8:9]
	s_and_b64 vcc, exec, s[0:1]
	global_store_dword v[88:89], v91, off
	s_cbranch_vccnz .LBB33_51
; %bb.50:
	v_lshl_add_u64 v[88:89], v[40:41], 2, v[12:13]
	flat_load_dword v88, v[88:89]
	s_waitcnt vmcnt(0) lgkmcnt(0)
	v_mul_f32_e32 v90, s14, v88
.LBB33_51:
	v_min_f32_e32 v88, v47, v42
	v_min_f32_e32 v89, v104, v43
	v_pk_add_f32 v[84:85], v[88:89], v[84:85]
	v_min_f32_e32 v88, v38, v10
	v_min_f32_e32 v89, v39, v11
	v_pk_add_f32 v[84:85], v[88:89], v[84:85]
	s_and_b64 vcc, exec, s[0:1]
	v_add_f32_e32 v84, v84, v85
	v_add_f32_e32 v88, v84, v90
	v_lshl_add_u64 v[84:85], v[40:41], 2, v[8:9]
	global_store_dword v[84:85], v88, off
	v_mov_b32_e32 v84, 0
	v_mov_b32_e32 v85, 0
	s_cbranch_vccnz .LBB33_53
; %bb.52:
	v_lshl_add_u64 v[88:89], v[36:37], 2, v[12:13]
	flat_load_dword v85, v[88:89]
	s_waitcnt vmcnt(0) lgkmcnt(0)
	v_mul_f32_e32 v85, s14, v85
.LBB33_53:
	v_min_f32_e32 v88, v105, v42
	v_min_f32_e32 v89, v116, v43
	v_pk_add_f32 v[86:87], v[88:89], v[86:87]
	v_min_f32_e32 v88, v34, v10
	v_min_f32_e32 v89, v35, v11
	v_pk_add_f32 v[86:87], v[88:89], v[86:87]
	s_and_b64 vcc, exec, s[0:1]
	v_add_f32_e32 v86, v86, v87
	v_add_f32_e32 v85, v86, v85
	v_lshl_add_u64 v[86:87], v[36:37], 2, v[8:9]
	global_store_dword v[86:87], v85, off
	s_cbranch_vccnz .LBB33_55
; %bb.54:
	v_lshl_add_u64 v[84:85], v[32:33], 2, v[12:13]
	flat_load_dword v84, v[84:85]
	s_waitcnt vmcnt(0) lgkmcnt(0)
	v_mul_f32_e32 v84, s14, v84
.LBB33_55:
	v_min_f32_e32 v86, v114, v42
	v_min_f32_e32 v87, v115, v43
	v_pk_add_f32 v[86:87], v[86:87], v[92:93]
	v_min_f32_e32 v88, v30, v10
	v_min_f32_e32 v89, v31, v11
	v_pk_add_f32 v[86:87], v[88:89], v[86:87]
	s_and_b64 vcc, exec, s[0:1]
	v_add_f32_e32 v85, v86, v87
	v_add_f32_e32 v86, v85, v84
	v_lshl_add_u64 v[84:85], v[32:33], 2, v[8:9]
	global_store_dword v[84:85], v86, off
	v_mov_b32_e32 v84, 0
	v_mov_b32_e32 v85, 0
	s_cbranch_vccnz .LBB33_57
; %bb.56:
	v_lshl_add_u64 v[86:87], v[28:29], 2, v[12:13]
	flat_load_dword v85, v[86:87]
	s_waitcnt vmcnt(0) lgkmcnt(0)
	v_mul_f32_e32 v85, s14, v85
.LBB33_57:
	v_min_f32_e32 v86, v112, v42
	v_min_f32_e32 v87, v113, v43
	v_pk_add_f32 v[86:87], v[86:87], v[94:95]
	v_min_f32_e32 v88, v26, v10
	v_min_f32_e32 v89, v27, v11
	v_pk_add_f32 v[86:87], v[88:89], v[86:87]
	s_and_b64 vcc, exec, s[0:1]
	v_add_f32_e32 v86, v86, v87
	v_add_f32_e32 v85, v86, v85
	v_lshl_add_u64 v[86:87], v[28:29], 2, v[8:9]
	global_store_dword v[86:87], v85, off
	s_cbranch_vccnz .LBB33_59
; %bb.58:
	v_lshl_add_u64 v[84:85], v[24:25], 2, v[12:13]
	flat_load_dword v84, v[84:85]
	s_waitcnt vmcnt(0) lgkmcnt(0)
	v_mul_f32_e32 v84, s14, v84
.LBB33_59:
	v_min_f32_e32 v86, v110, v42
	v_min_f32_e32 v87, v111, v43
	v_pk_add_f32 v[86:87], v[86:87], v[96:97]
	v_min_f32_e32 v88, v22, v10
	v_min_f32_e32 v89, v23, v11
	v_pk_add_f32 v[86:87], v[88:89], v[86:87]
	s_and_b64 vcc, exec, s[0:1]
	v_add_f32_e32 v85, v86, v87
	v_add_f32_e32 v86, v85, v84
	v_lshl_add_u64 v[84:85], v[24:25], 2, v[8:9]
	global_store_dword v[84:85], v86, off
	v_mov_b32_e32 v84, 0
	v_mov_b32_e32 v85, 0
	s_cbranch_vccnz .LBB33_61
; %bb.60:
	v_lshl_add_u64 v[86:87], v[20:21], 2, v[12:13]
	flat_load_dword v85, v[86:87]
	s_waitcnt vmcnt(0) lgkmcnt(0)
	v_mul_f32_e32 v85, s14, v85
.LBB33_61:
	v_min_f32_e32 v86, v108, v42
	v_min_f32_e32 v87, v109, v43
	v_pk_add_f32 v[86:87], v[86:87], v[98:99]
	v_min_f32_e32 v88, v106, v10
	v_min_f32_e32 v89, v107, v11
	v_pk_add_f32 v[86:87], v[88:89], v[86:87]
	s_and_b64 vcc, exec, s[0:1]
	v_add_f32_e32 v86, v86, v87
	v_add_f32_e32 v85, v86, v85
	v_lshl_add_u64 v[86:87], v[20:21], 2, v[8:9]
	global_store_dword v[86:87], v85, off
	s_cbranch_vccnz .LBB33_63
; %bb.62:
	v_lshl_add_u64 v[12:13], v[16:17], 2, v[12:13]
	flat_load_dword v12, v[12:13]
	s_waitcnt vmcnt(0) lgkmcnt(0)
	v_mul_f32_e32 v84, s14, v12
.LBB33_63:
	v_min_f32_e32 v13, v18, v43
	v_min_f32_e32 v12, v19, v42
	v_pk_add_f32 v[12:13], v[12:13], v[76:77]
	v_min_f32_e32 v11, v15, v11
	v_min_f32_e32 v10, v14, v10
	v_pk_add_f32 v[10:11], v[10:11], v[12:13]
	v_lshl_add_u64 v[8:9], v[16:17], 2, v[8:9]
	v_add_f32_e32 v10, v10, v11
	v_add_f32_e32 v10, v10, v84
	v_add_u32_e32 v13, 64, v102
	global_store_dword v[8:9], v10, off
	v_mad_i64_i32 v[8:9], s[4:5], v13, s10, 0
	v_lshl_add_u64 v[8:9], v[8:9], 2, s[8:9]
	s_and_b64 vcc, exec, s[0:1]
	v_mov_b32_e32 v12, 0
	v_mov_b32_e32 v42, 0
	s_cbranch_vccnz .LBB33_65
; %bb.64:
	v_lshl_add_u64 v[10:11], v[48:49], 2, v[8:9]
	flat_load_dword v10, v[10:11]
	s_waitcnt vmcnt(0) lgkmcnt(0)
	v_mul_f32_e32 v42, s14, v10
.LBB33_65:
	v_max_f32_e32 v10, v4, v4
	v_max_f32_e32 v11, v5, v5
	v_min_f32_e32 v4, v44, v10
	v_min_f32_e32 v5, v103, v11
	v_max_f32_e32 v6, v6, v6
	v_max_f32_e32 v7, v7, v7
	v_pk_add_f32 v[4:5], v[4:5], v[72:73]
	v_min_f32_e32 v72, v45, v6
	v_min_f32_e32 v73, v46, v7
	v_pk_add_f32 v[72:73], v[72:73], v[4:5]
	v_mad_i64_i32 v[4:5], s[4:5], v13, s11, 0
	v_lshl_add_u64 v[4:5], v[4:5], 2, s[2:3]
	v_add_f32_e32 v13, v72, v73
	v_add_f32_e32 v13, v13, v42
	v_lshl_add_u64 v[42:43], v[48:49], 2, v[4:5]
	s_and_b64 vcc, exec, s[0:1]
	global_store_dword v[42:43], v13, off
	s_cbranch_vccnz .LBB33_67
; %bb.66:
	v_lshl_add_u64 v[12:13], v[40:41], 2, v[8:9]
	flat_load_dword v12, v[12:13]
	s_waitcnt vmcnt(0) lgkmcnt(0)
	v_mul_f32_e32 v12, s14, v12
.LBB33_67:
	v_min_f32_e32 v42, v47, v10
	v_min_f32_e32 v43, v104, v11
	v_pk_add_f32 v[42:43], v[42:43], v[68:69]
	v_min_f32_e32 v68, v38, v6
	v_min_f32_e32 v69, v39, v7
	v_pk_add_f32 v[42:43], v[68:69], v[42:43]
	s_and_b64 vcc, exec, s[0:1]
	v_add_f32_e32 v13, v42, v43
	v_add_f32_e32 v42, v13, v12
	v_lshl_add_u64 v[12:13], v[40:41], 2, v[4:5]
	global_store_dword v[12:13], v42, off
	v_mov_b32_e32 v12, 0
	v_mov_b32_e32 v13, 0
	s_cbranch_vccnz .LBB33_69
; %bb.68:
	v_lshl_add_u64 v[42:43], v[36:37], 2, v[8:9]
	flat_load_dword v13, v[42:43]
	s_waitcnt vmcnt(0) lgkmcnt(0)
	v_mul_f32_e32 v13, s14, v13
.LBB33_69:
	v_min_f32_e32 v42, v105, v10
	v_min_f32_e32 v43, v116, v11
	v_pk_add_f32 v[42:43], v[42:43], v[70:71]
	v_min_f32_e32 v68, v34, v6
	v_min_f32_e32 v69, v35, v7
	v_pk_add_f32 v[42:43], v[68:69], v[42:43]
	s_and_b64 vcc, exec, s[0:1]
	v_add_f32_e32 v42, v42, v43
	v_add_f32_e32 v13, v42, v13
	v_lshl_add_u64 v[42:43], v[36:37], 2, v[4:5]
	global_store_dword v[42:43], v13, off
	s_cbranch_vccnz .LBB33_71
; %bb.70:
	v_lshl_add_u64 v[12:13], v[32:33], 2, v[8:9]
	flat_load_dword v12, v[12:13]
	s_waitcnt vmcnt(0) lgkmcnt(0)
	v_mul_f32_e32 v12, s14, v12
.LBB33_71:
	v_min_f32_e32 v42, v114, v10
	v_min_f32_e32 v43, v115, v11
	v_pk_add_f32 v[42:43], v[42:43], v[74:75]
	v_min_f32_e32 v68, v30, v6
	v_min_f32_e32 v69, v31, v7
	v_pk_add_f32 v[42:43], v[68:69], v[42:43]
	s_and_b64 vcc, exec, s[0:1]
	v_add_f32_e32 v13, v42, v43
	v_add_f32_e32 v42, v13, v12
	v_lshl_add_u64 v[12:13], v[32:33], 2, v[4:5]
	global_store_dword v[12:13], v42, off
	v_mov_b32_e32 v12, 0
	v_mov_b32_e32 v13, 0
	s_cbranch_vccnz .LBB33_73
; %bb.72:
	v_lshl_add_u64 v[42:43], v[28:29], 2, v[8:9]
	flat_load_dword v13, v[42:43]
	s_waitcnt vmcnt(0) lgkmcnt(0)
	v_mul_f32_e32 v13, s14, v13
.LBB33_73:
	v_min_f32_e32 v42, v112, v10
	v_min_f32_e32 v43, v113, v11
	v_pk_add_f32 v[42:43], v[42:43], v[78:79]
	v_min_f32_e32 v68, v26, v6
	v_min_f32_e32 v69, v27, v7
	v_pk_add_f32 v[42:43], v[68:69], v[42:43]
	s_and_b64 vcc, exec, s[0:1]
	v_add_f32_e32 v42, v42, v43
	v_add_f32_e32 v13, v42, v13
	v_lshl_add_u64 v[42:43], v[28:29], 2, v[4:5]
	global_store_dword v[42:43], v13, off
	s_cbranch_vccnz .LBB33_75
; %bb.74:
	v_lshl_add_u64 v[12:13], v[24:25], 2, v[8:9]
	flat_load_dword v12, v[12:13]
	s_waitcnt vmcnt(0) lgkmcnt(0)
	v_mul_f32_e32 v12, s14, v12
.LBB33_75:
	v_min_f32_e32 v42, v110, v10
	v_min_f32_e32 v43, v111, v11
	v_pk_add_f32 v[42:43], v[42:43], v[80:81]
	v_min_f32_e32 v68, v22, v6
	v_min_f32_e32 v69, v23, v7
	v_pk_add_f32 v[42:43], v[68:69], v[42:43]
	s_and_b64 vcc, exec, s[0:1]
	v_add_f32_e32 v13, v42, v43
	v_add_f32_e32 v42, v13, v12
	v_lshl_add_u64 v[12:13], v[24:25], 2, v[4:5]
	global_store_dword v[12:13], v42, off
	v_mov_b32_e32 v12, 0
	v_mov_b32_e32 v13, 0
	s_cbranch_vccnz .LBB33_77
; %bb.76:
	v_lshl_add_u64 v[42:43], v[20:21], 2, v[8:9]
	flat_load_dword v13, v[42:43]
	s_waitcnt vmcnt(0) lgkmcnt(0)
	v_mul_f32_e32 v13, s14, v13
.LBB33_77:
	v_min_f32_e32 v42, v108, v10
	v_min_f32_e32 v43, v109, v11
	v_pk_add_f32 v[42:43], v[42:43], v[82:83]
	v_min_f32_e32 v68, v106, v6
	v_min_f32_e32 v69, v107, v7
	v_pk_add_f32 v[42:43], v[68:69], v[42:43]
	s_and_b64 vcc, exec, s[0:1]
	v_add_f32_e32 v42, v42, v43
	v_add_f32_e32 v13, v42, v13
	v_lshl_add_u64 v[42:43], v[20:21], 2, v[4:5]
	global_store_dword v[42:43], v13, off
	s_cbranch_vccnz .LBB33_79
; %bb.78:
	v_lshl_add_u64 v[8:9], v[16:17], 2, v[8:9]
	flat_load_dword v8, v[8:9]
	s_waitcnt vmcnt(0) lgkmcnt(0)
	v_mul_f32_e32 v12, s14, v8
.LBB33_79:
	v_min_f32_e32 v9, v18, v11
	v_min_f32_e32 v8, v19, v10
	v_pk_add_f32 v[8:9], v[8:9], v[62:63]
	v_min_f32_e32 v7, v15, v7
	v_min_f32_e32 v6, v14, v6
	v_pk_add_f32 v[6:7], v[6:7], v[8:9]
	v_lshl_add_u64 v[4:5], v[16:17], 2, v[4:5]
	v_add_f32_e32 v6, v6, v7
	v_add_f32_e32 v6, v6, v12
	v_add_u32_e32 v9, 0x60, v102
	global_store_dword v[4:5], v6, off
	v_mad_i64_i32 v[4:5], s[4:5], v9, s10, 0
	v_lshl_add_u64 v[4:5], v[4:5], 2, s[8:9]
	s_and_b64 vcc, exec, s[0:1]
	v_mov_b32_e32 v8, 0
	v_mov_b32_e32 v10, 0
	s_cbranch_vccnz .LBB33_81
; %bb.80:
	v_lshl_add_u64 v[6:7], v[48:49], 2, v[4:5]
	flat_load_dword v6, v[6:7]
	s_waitcnt vmcnt(0) lgkmcnt(0)
	v_mul_f32_e32 v10, s14, v6
.LBB33_81:
	v_max_f32_e32 v6, v1, v1
	v_max_f32_e32 v7, v0, v0
	v_min_f32_e32 v1, v103, v6
	v_min_f32_e32 v0, v44, v7
	v_max_f32_e32 v3, v3, v3
	v_max_f32_e32 v2, v2, v2
	v_pk_add_f32 v[0:1], v[0:1], v[58:59]
	v_min_f32_e32 v13, v46, v3
	v_min_f32_e32 v12, v45, v2
	v_pk_add_f32 v[12:13], v[12:13], v[0:1]
	v_mad_i64_i32 v[0:1], s[4:5], v9, s11, 0
	v_lshl_add_u64 v[0:1], v[0:1], 2, s[2:3]
	v_add_f32_e32 v9, v12, v13
	v_add_f32_e32 v9, v9, v10
	v_lshl_add_u64 v[10:11], v[48:49], 2, v[0:1]
	s_and_b64 vcc, exec, s[0:1]
	global_store_dword v[10:11], v9, off
	s_cbranch_vccnz .LBB33_83
; %bb.82:
	v_lshl_add_u64 v[8:9], v[40:41], 2, v[4:5]
	flat_load_dword v8, v[8:9]
	s_waitcnt vmcnt(0) lgkmcnt(0)
	v_mul_f32_e32 v8, s14, v8
.LBB33_83:
	v_min_f32_e32 v11, v104, v6
	v_min_f32_e32 v10, v47, v7
	v_pk_add_f32 v[10:11], v[10:11], v[52:53]
	v_min_f32_e32 v13, v39, v3
	v_min_f32_e32 v12, v38, v2
	v_pk_add_f32 v[10:11], v[12:13], v[10:11]
	s_and_b64 vcc, exec, s[0:1]
	v_add_f32_e32 v9, v10, v11
	v_add_f32_e32 v10, v9, v8
	v_lshl_add_u64 v[8:9], v[40:41], 2, v[0:1]
	global_store_dword v[8:9], v10, off
	v_mov_b32_e32 v8, 0
	v_mov_b32_e32 v9, 0
	s_cbranch_vccnz .LBB33_85
; %bb.84:
	v_lshl_add_u64 v[10:11], v[36:37], 2, v[4:5]
	flat_load_dword v9, v[10:11]
	s_waitcnt vmcnt(0) lgkmcnt(0)
	v_mul_f32_e32 v9, s14, v9
.LBB33_85:
	v_min_f32_e32 v11, v116, v6
	v_min_f32_e32 v10, v105, v7
	v_pk_add_f32 v[10:11], v[10:11], v[54:55]
	v_min_f32_e32 v13, v35, v3
	v_min_f32_e32 v12, v34, v2
	v_pk_add_f32 v[10:11], v[12:13], v[10:11]
	s_and_b64 vcc, exec, s[0:1]
	v_add_f32_e32 v10, v10, v11
	v_add_f32_e32 v9, v10, v9
	v_lshl_add_u64 v[10:11], v[36:37], 2, v[0:1]
	global_store_dword v[10:11], v9, off
	s_cbranch_vccnz .LBB33_87
; %bb.86:
	v_lshl_add_u64 v[8:9], v[32:33], 2, v[4:5]
	flat_load_dword v8, v[8:9]
	s_waitcnt vmcnt(0) lgkmcnt(0)
	v_mul_f32_e32 v8, s14, v8
.LBB33_87:
	v_min_f32_e32 v11, v115, v6
	v_min_f32_e32 v10, v114, v7
	v_pk_add_f32 v[10:11], v[10:11], v[56:57]
	v_min_f32_e32 v13, v31, v3
	v_min_f32_e32 v12, v30, v2
	v_pk_add_f32 v[10:11], v[12:13], v[10:11]
	s_and_b64 vcc, exec, s[0:1]
	v_add_f32_e32 v9, v10, v11
	v_add_f32_e32 v10, v9, v8
	v_lshl_add_u64 v[8:9], v[32:33], 2, v[0:1]
	global_store_dword v[8:9], v10, off
	v_mov_b32_e32 v8, 0
	v_mov_b32_e32 v9, 0
	s_cbranch_vccnz .LBB33_89
; %bb.88:
	v_lshl_add_u64 v[10:11], v[28:29], 2, v[4:5]
	flat_load_dword v9, v[10:11]
	s_waitcnt vmcnt(0) lgkmcnt(0)
	v_mul_f32_e32 v9, s14, v9
.LBB33_89:
	v_min_f32_e32 v11, v113, v6
	v_min_f32_e32 v10, v112, v7
	v_pk_add_f32 v[10:11], v[10:11], v[60:61]
	v_min_f32_e32 v13, v27, v3
	v_min_f32_e32 v12, v26, v2
	v_pk_add_f32 v[10:11], v[12:13], v[10:11]
	s_and_b64 vcc, exec, s[0:1]
	v_add_f32_e32 v10, v10, v11
	v_add_f32_e32 v9, v10, v9
	v_lshl_add_u64 v[10:11], v[28:29], 2, v[0:1]
	global_store_dword v[10:11], v9, off
	s_cbranch_vccnz .LBB33_91
; %bb.90:
	v_lshl_add_u64 v[8:9], v[24:25], 2, v[4:5]
	flat_load_dword v8, v[8:9]
	s_waitcnt vmcnt(0) lgkmcnt(0)
	v_mul_f32_e32 v8, s14, v8
.LBB33_91:
	v_min_f32_e32 v11, v111, v6
	v_min_f32_e32 v10, v110, v7
	v_pk_add_f32 v[10:11], v[10:11], v[64:65]
	v_min_f32_e32 v13, v23, v3
	v_min_f32_e32 v12, v22, v2
	v_pk_add_f32 v[10:11], v[12:13], v[10:11]
	v_min_f32_e32 v13, v107, v3
	v_add_f32_e32 v9, v10, v11
	v_min_f32_e32 v11, v109, v6
	v_min_f32_e32 v10, v108, v7
	v_pk_add_f32 v[10:11], v[10:11], v[66:67]
	v_min_f32_e32 v12, v106, v2
	v_pk_add_f32 v[10:11], v[12:13], v[10:11]
	v_add_f32_e32 v12, v9, v8
	v_lshl_add_u64 v[8:9], v[24:25], 2, v[0:1]
	global_store_dword v[8:9], v12, off
	v_add_f32_e32 v8, v10, v11
	s_mov_b64 vcc, s[6:7]
	s_cbranch_vccz .LBB33_94
; %bb.92:
	v_add_f32_e32 v9, 0, v8
	v_lshl_add_u64 v[10:11], v[20:21], 2, v[0:1]
	s_mov_b32 s2, 0
	global_store_dword v[10:11], v9, off
	s_cbranch_execz .LBB33_95
; %bb.93:
	v_mov_b32_e32 v4, s2
	s_branch .LBB33_96
.LBB33_94:
                                        ; implicit-def: $sgpr2
.LBB33_95:
	v_lshlrev_b64 v[10:11], 2, v[20:21]
	v_lshl_add_u64 v[12:13], v[4:5], 0, v[10:11]
	flat_load_dword v9, v[12:13]
	v_lshl_add_u64 v[10:11], v[0:1], 0, v[10:11]
	v_lshl_add_u64 v[4:5], v[16:17], 2, v[4:5]
	s_waitcnt vmcnt(0) lgkmcnt(0)
	v_fmac_f32_e32 v8, s14, v9
	global_store_dword v[10:11], v8, off
	flat_load_dword v4, v[4:5]
	s_waitcnt vmcnt(0) lgkmcnt(0)
	v_mul_f32_e32 v4, s14, v4
.LBB33_96:
	v_min_f32_e32 v9, v18, v6
	v_min_f32_e32 v8, v19, v7
	;; [unrolled: 1-line block ×4, first 2 shown]
	v_pk_add_f32 v[6:7], v[8:9], v[50:51]
	v_lshl_add_u64 v[0:1], v[16:17], 2, v[0:1]
	v_pk_add_f32 v[2:3], v[2:3], v[6:7]
	s_nop 0
	v_add_f32_e32 v2, v2, v3
	v_add_f32_e32 v2, v2, v4
	global_store_dword v[0:1], v2, off
	s_endpgm
	.section	.rodata,"a",@progbits
	.p2align	6, 0x0
	.amdhsa_kernel _ZN12_GLOBAL__N_120geam_min_plus_kernelIf15HIP_vector_typeIfLj2EES2_Li8ELi32ELi64ELi128ELi4ELi4ELi64ELi4ELi64ELc84ELc78ELb0ELb0ELb0EPKfKS4_KPfEEviiiT16_PT17_ilSA_ilS8_SA_ilPT18_ili26rocblas_geam_ex_operation_
		.amdhsa_group_segment_fixed_size 6144
		.amdhsa_private_segment_fixed_size 0
		.amdhsa_kernarg_size 136
		.amdhsa_user_sgpr_count 2
		.amdhsa_user_sgpr_dispatch_ptr 0
		.amdhsa_user_sgpr_queue_ptr 0
		.amdhsa_user_sgpr_kernarg_segment_ptr 1
		.amdhsa_user_sgpr_dispatch_id 0
		.amdhsa_user_sgpr_kernarg_preload_length 0
		.amdhsa_user_sgpr_kernarg_preload_offset 0
		.amdhsa_user_sgpr_private_segment_size 0
		.amdhsa_uses_dynamic_stack 0
		.amdhsa_enable_private_segment 0
		.amdhsa_system_sgpr_workgroup_id_x 1
		.amdhsa_system_sgpr_workgroup_id_y 0
		.amdhsa_system_sgpr_workgroup_id_z 1
		.amdhsa_system_sgpr_workgroup_info 0
		.amdhsa_system_vgpr_workitem_id 1
		.amdhsa_next_free_vgpr 223
		.amdhsa_next_free_sgpr 26
		.amdhsa_accum_offset 224
		.amdhsa_reserve_vcc 1
		.amdhsa_float_round_mode_32 0
		.amdhsa_float_round_mode_16_64 0
		.amdhsa_float_denorm_mode_32 3
		.amdhsa_float_denorm_mode_16_64 3
		.amdhsa_dx10_clamp 1
		.amdhsa_ieee_mode 1
		.amdhsa_fp16_overflow 0
		.amdhsa_tg_split 0
		.amdhsa_exception_fp_ieee_invalid_op 0
		.amdhsa_exception_fp_denorm_src 0
		.amdhsa_exception_fp_ieee_div_zero 0
		.amdhsa_exception_fp_ieee_overflow 0
		.amdhsa_exception_fp_ieee_underflow 0
		.amdhsa_exception_fp_ieee_inexact 0
		.amdhsa_exception_int_div_zero 0
	.end_amdhsa_kernel
	.section	.text._ZN12_GLOBAL__N_120geam_min_plus_kernelIf15HIP_vector_typeIfLj2EES2_Li8ELi32ELi64ELi128ELi4ELi4ELi64ELi4ELi64ELc84ELc78ELb0ELb0ELb0EPKfKS4_KPfEEviiiT16_PT17_ilSA_ilS8_SA_ilPT18_ili26rocblas_geam_ex_operation_,"axG",@progbits,_ZN12_GLOBAL__N_120geam_min_plus_kernelIf15HIP_vector_typeIfLj2EES2_Li8ELi32ELi64ELi128ELi4ELi4ELi64ELi4ELi64ELc84ELc78ELb0ELb0ELb0EPKfKS4_KPfEEviiiT16_PT17_ilSA_ilS8_SA_ilPT18_ili26rocblas_geam_ex_operation_,comdat
.Lfunc_end33:
	.size	_ZN12_GLOBAL__N_120geam_min_plus_kernelIf15HIP_vector_typeIfLj2EES2_Li8ELi32ELi64ELi128ELi4ELi4ELi64ELi4ELi64ELc84ELc78ELb0ELb0ELb0EPKfKS4_KPfEEviiiT16_PT17_ilSA_ilS8_SA_ilPT18_ili26rocblas_geam_ex_operation_, .Lfunc_end33-_ZN12_GLOBAL__N_120geam_min_plus_kernelIf15HIP_vector_typeIfLj2EES2_Li8ELi32ELi64ELi128ELi4ELi4ELi64ELi4ELi64ELc84ELc78ELb0ELb0ELb0EPKfKS4_KPfEEviiiT16_PT17_ilSA_ilS8_SA_ilPT18_ili26rocblas_geam_ex_operation_
                                        ; -- End function
	.section	.AMDGPU.csdata,"",@progbits
; Kernel info:
; codeLenInByte = 8872
; NumSgprs: 32
; NumVgprs: 223
; NumAgprs: 0
; TotalNumVgprs: 223
; ScratchSize: 0
; MemoryBound: 0
; FloatMode: 240
; IeeeMode: 1
; LDSByteSize: 6144 bytes/workgroup (compile time only)
; SGPRBlocks: 3
; VGPRBlocks: 27
; NumSGPRsForWavesPerEU: 32
; NumVGPRsForWavesPerEU: 223
; AccumOffset: 224
; Occupancy: 2
; WaveLimiterHint : 1
; COMPUTE_PGM_RSRC2:SCRATCH_EN: 0
; COMPUTE_PGM_RSRC2:USER_SGPR: 2
; COMPUTE_PGM_RSRC2:TRAP_HANDLER: 0
; COMPUTE_PGM_RSRC2:TGID_X_EN: 1
; COMPUTE_PGM_RSRC2:TGID_Y_EN: 0
; COMPUTE_PGM_RSRC2:TGID_Z_EN: 1
; COMPUTE_PGM_RSRC2:TIDIG_COMP_CNT: 1
; COMPUTE_PGM_RSRC3_GFX90A:ACCUM_OFFSET: 55
; COMPUTE_PGM_RSRC3_GFX90A:TG_SPLIT: 0
	.section	.text._ZN12_GLOBAL__N_120geam_min_plus_kernelIf15HIP_vector_typeIfLj2EES2_Li8ELi32ELi64ELi128ELi4ELi4ELi64ELi4ELi64ELc84ELc78ELb1ELb0ELb0EfKPKfKPfEEviiiT16_PT17_ilSA_ilS8_SA_ilPT18_ili26rocblas_geam_ex_operation_,"axG",@progbits,_ZN12_GLOBAL__N_120geam_min_plus_kernelIf15HIP_vector_typeIfLj2EES2_Li8ELi32ELi64ELi128ELi4ELi4ELi64ELi4ELi64ELc84ELc78ELb1ELb0ELb0EfKPKfKPfEEviiiT16_PT17_ilSA_ilS8_SA_ilPT18_ili26rocblas_geam_ex_operation_,comdat
	.globl	_ZN12_GLOBAL__N_120geam_min_plus_kernelIf15HIP_vector_typeIfLj2EES2_Li8ELi32ELi64ELi128ELi4ELi4ELi64ELi4ELi64ELc84ELc78ELb1ELb0ELb0EfKPKfKPfEEviiiT16_PT17_ilSA_ilS8_SA_ilPT18_ili26rocblas_geam_ex_operation_ ; -- Begin function _ZN12_GLOBAL__N_120geam_min_plus_kernelIf15HIP_vector_typeIfLj2EES2_Li8ELi32ELi64ELi128ELi4ELi4ELi64ELi4ELi64ELc84ELc78ELb1ELb0ELb0EfKPKfKPfEEviiiT16_PT17_ilSA_ilS8_SA_ilPT18_ili26rocblas_geam_ex_operation_
	.p2align	8
	.type	_ZN12_GLOBAL__N_120geam_min_plus_kernelIf15HIP_vector_typeIfLj2EES2_Li8ELi32ELi64ELi128ELi4ELi4ELi64ELi4ELi64ELc84ELc78ELb1ELb0ELb0EfKPKfKPfEEviiiT16_PT17_ilSA_ilS8_SA_ilPT18_ili26rocblas_geam_ex_operation_,@function
_ZN12_GLOBAL__N_120geam_min_plus_kernelIf15HIP_vector_typeIfLj2EES2_Li8ELi32ELi64ELi128ELi4ELi4ELi64ELi4ELi64ELc84ELc78ELb1ELb0ELb0EfKPKfKPfEEviiiT16_PT17_ilSA_ilS8_SA_ilPT18_ili26rocblas_geam_ex_operation_: ; @_ZN12_GLOBAL__N_120geam_min_plus_kernelIf15HIP_vector_typeIfLj2EES2_Li8ELi32ELi64ELi128ELi4ELi4ELi64ELi4ELi64ELc84ELc78ELb1ELb0ELb0EfKPKfKPfEEviiiT16_PT17_ilSA_ilS8_SA_ilPT18_ili26rocblas_geam_ex_operation_
; %bb.0:
	s_load_dwordx2 s[12:13], s[0:1], 0x8
	s_load_dwordx4 s[4:7], s[0:1], 0x20
	s_mov_b32 s18, s3
	s_mov_b32 s19, 0
	s_waitcnt lgkmcnt(0)
	v_cmp_eq_f32_e64 s[8:9], s13, 0
	s_and_b64 vcc, exec, s[8:9]
	s_cbranch_vccnz .LBB34_3
; %bb.1:
	s_load_dwordx2 s[10:11], s[0:1], 0x10
	s_lshl_b64 s[14:15], s[18:19], 3
	s_waitcnt lgkmcnt(0)
	s_add_u32 s10, s10, s14
	s_addc_u32 s11, s11, s15
	s_load_dwordx2 s[10:11], s[10:11], 0x0
	s_lshl_b64 s[4:5], s[4:5], 2
	s_waitcnt lgkmcnt(0)
	s_add_u32 s16, s10, s4
	s_addc_u32 s17, s11, s5
	s_andn2_b64 vcc, exec, s[8:9]
	s_cbranch_vccnz .LBB34_4
.LBB34_2:
	s_mov_b64 s[14:15], 0
	s_cbranch_execz .LBB34_5
	s_branch .LBB34_6
.LBB34_3:
	s_mov_b64 s[16:17], 0
	s_andn2_b64 vcc, exec, s[8:9]
	s_cbranch_vccz .LBB34_2
.LBB34_4:
                                        ; implicit-def: $sgpr14_sgpr15
.LBB34_5:
	s_lshl_b64 s[8:9], s[18:19], 3
	s_add_u32 s6, s6, s8
	s_load_dwordx2 s[4:5], s[0:1], 0x38
	s_addc_u32 s7, s7, s9
	s_load_dwordx2 s[6:7], s[6:7], 0x0
	s_waitcnt lgkmcnt(0)
	s_lshl_b64 s[4:5], s[4:5], 2
	s_add_u32 s14, s6, s4
	s_addc_u32 s15, s7, s5
.LBB34_6:
	s_load_dword s13, s[0:1], 0x40
	s_load_dwordx4 s[8:11], s[0:1], 0x58
	s_waitcnt lgkmcnt(0)
	v_cmp_eq_f32_e64 s[4:5], s13, 0
	s_and_b64 s[4:5], exec, s[4:5]
	s_mov_b64 vcc, s[4:5]
	s_cbranch_vccnz .LBB34_8
; %bb.7:
	s_load_dwordx2 s[6:7], s[0:1], 0x48
	s_lshl_b64 s[20:21], s[18:19], 3
	s_waitcnt lgkmcnt(0)
	s_add_u32 s6, s6, s20
	s_addc_u32 s7, s7, s21
	s_load_dwordx2 s[6:7], s[6:7], 0x0
	s_lshl_b64 s[8:9], s[8:9], 2
	s_waitcnt lgkmcnt(0)
	s_add_u32 s6, s6, s8
	s_addc_u32 s7, s7, s9
	s_branch .LBB34_9
.LBB34_8:
	s_mov_b64 s[6:7], 0
.LBB34_9:
	s_load_dword s3, s[0:1], 0x0
	s_load_dword s20, s[0:1], 0x18
	;; [unrolled: 1-line block ×3, first 2 shown]
	s_lshl_b64 s[8:9], s[18:19], 3
	s_add_u32 s8, s10, s8
	s_addc_u32 s9, s11, s9
	s_waitcnt lgkmcnt(0)
	s_add_i32 s3, s3, -1
	s_ashr_i32 s10, s3, 31
	s_lshr_b32 s10, s10, 26
	s_add_i32 s3, s3, s10
	s_ashr_i32 s3, s3, 6
	s_add_i32 s10, s3, 1
	v_cvt_f32_u32_e32 v1, s10
	s_not_b32 s3, s3
	v_and_b32_e32 v140, 0x3ff, v0
	v_bfe_u32 v141, v0, 10, 10
	v_rcp_iflag_f32_e32 v1, v1
	v_lshl_add_u32 v0, v141, 3, v140
	v_lshrrev_b32_e32 v6, 2, v0
	v_and_b32_e32 v2, 3, v140
	v_mul_f32_e32 v1, 0x4f7ffffe, v1
	v_cvt_u32_f32_e32 v1, v1
	v_lshlrev_b32_e32 v42, 2, v2
	v_mov_b32_e32 v43, 0
	v_lshl_add_u64 v[2:3], s[14:15], 0, v[42:43]
	v_readfirstlane_b32 s11, v1
	s_mul_i32 s3, s3, s11
	s_mul_hi_u32 s3, s11, s3
	s_add_i32 s11, s11, s3
	s_mul_hi_u32 s3, s2, s11
	s_mul_i32 s11, s3, s10
	s_sub_i32 s11, s2, s11
	s_add_i32 s18, s3, 1
	s_sub_i32 s19, s11, s10
	s_cmp_ge_u32 s11, s10
	s_cselect_b32 s3, s18, s3
	s_cselect_b32 s11, s19, s11
	s_add_i32 s18, s3, 1
	s_cmp_ge_u32 s11, s10
	s_cselect_b32 s3, s18, s3
	s_mul_i32 s10, s3, s10
	s_sub_i32 s2, s2, s10
	s_lshl_b32 s11, s3, 7
	s_lshl_b32 s10, s2, 6
	v_add_u32_e32 v7, s11, v6
	v_add_u32_e32 v0, s10, v6
	v_mad_i64_i32 v[28:29], s[2:3], v7, s21, 0
	v_add_u32_e32 v7, 64, v7
	v_mad_i64_i32 v[0:1], s[2:3], v0, s20, 0
	v_mad_i64_i32 v[30:31], s[2:3], v7, s21, 0
	v_lshl_add_u64 v[40:41], v[0:1], 2, s[16:17]
	v_lshl_add_u64 v[4:5], v[28:29], 2, v[2:3]
	;; [unrolled: 1-line block ×4, first 2 shown]
	flat_load_dword v8, v[4:5]
	flat_load_dword v7, v[2:3]
	;; [unrolled: 1-line block ×3, first 2 shown]
	s_load_dwordx2 s[2:3], s[8:9], 0x0
	flat_load_dword v32, v[2:3] offset:16
	flat_load_dword v34, v[4:5] offset:16
	;; [unrolled: 1-line block ×3, first 2 shown]
	v_lshlrev_b32_e32 v143, 4, v141
	v_lshl_or_b32 v144, v6, 4, v42
	v_lshlrev_b32_e32 v142, 4, v140
	s_cmp_lt_i32 s12, 9
	s_waitcnt vmcnt(0) lgkmcnt(0)
	ds_write2st64_b32 v144, v8, v7 offset1:4
	ds_write_b32 v144, v9 offset:4096
	s_waitcnt lgkmcnt(0)
	s_barrier
	ds_read_b128 v[4:7], v143
	ds_read_b128 v[8:11], v143 offset:512
	ds_read_b128 v[0:3], v143 offset:1536
	ds_read_b128 v[12:15], v143 offset:1024
	ds_read_b128 v[16:19], v142 offset:4096
	ds_read_b128 v[20:23], v142 offset:4224
	ds_read_b128 v[24:27], v142 offset:4352
	ds_read_b128 v[36:39], v142 offset:4480
	ds_read_b128 v[44:47], v142 offset:4992
	ds_read_b128 v[48:51], v142 offset:4864
	ds_read_b128 v[52:55], v142 offset:4608
	ds_read_b128 v[56:59], v142 offset:4736
	s_waitcnt lgkmcnt(11)
	v_max_f32_e32 v35, v5, v5
	s_waitcnt lgkmcnt(3)
	v_max_f32_e32 v62, v45, v45
	v_max_f32_e32 v63, v4, v4
	;; [unrolled: 1-line block ×13, first 2 shown]
	s_waitcnt lgkmcnt(1)
	v_max_f32_e32 v100, v54, v54
	v_max_f32_e32 v101, v55, v55
	s_waitcnt lgkmcnt(0)
	v_max_f32_e32 v54, v56, v56
	v_max_f32_e32 v55, v57, v57
	;; [unrolled: 1-line block ×6, first 2 shown]
	v_min_f32_e32 v49, v62, v35
	v_min_f32_e32 v48, v64, v63
	v_max_f32_e32 v120, v11, v11
	v_max_f32_e32 v121, v10, v10
	;; [unrolled: 1-line block ×11, first 2 shown]
	v_min_f32_e32 v74, v54, v63
	v_min_f32_e32 v75, v55, v35
	;; [unrolled: 1-line block ×10, first 2 shown]
	v_pk_add_f32 v[48:49], v[48:49], 0 op_sel_hi:[1,0]
	v_min_f32_e32 v55, v118, v116
	v_min_f32_e32 v54, v119, v117
	v_max_f32_e32 v6, v16, v16
	v_max_f32_e32 v122, v15, v15
	;; [unrolled: 1-line block ×13, first 2 shown]
	v_min_f32_e32 v16, v24, v63
	v_min_f32_e32 v17, v22, v35
	;; [unrolled: 1-line block ×26, first 2 shown]
	v_pk_add_f32 v[86:87], v[54:55], v[48:49]
	v_pk_add_f32 v[48:49], v[50:51], 0 op_sel_hi:[1,0]
	v_min_f32_e32 v51, v118, v120
	v_min_f32_e32 v50, v119, v121
	v_max_f32_e32 v125, v2, v2
	v_min_f32_e32 v0, v6, v63
	v_min_f32_e32 v1, v7, v35
	;; [unrolled: 1-line block ×11, first 2 shown]
	v_pk_add_f32 v[70:71], v[50:51], v[48:49]
	v_pk_add_f32 v[48:49], v[52:53], 0 op_sel_hi:[1,0]
	v_min_f32_e32 v51, v118, v122
	v_min_f32_e32 v50, v119, v123
	v_max_f32_e32 v124, v3, v3
	v_min_f32_e32 v3, v7, v65
	v_pk_add_f32 v[54:55], v[50:51], v[48:49]
	v_pk_add_f32 v[0:1], v[0:1], 0 op_sel_hi:[1,0]
	v_min_f32_e32 v48, v72, v117
	v_min_f32_e32 v49, v73, v116
	v_min_f32_e32 v5, v7, v67
	v_pk_add_f32 v[98:99], v[48:49], v[0:1]
	v_pk_add_f32 v[0:1], v[2:3], 0 op_sel_hi:[1,0]
	v_min_f32_e32 v2, v72, v121
	v_min_f32_e32 v3, v73, v120
	;; [unrolled: 5-line block ×3, first 2 shown]
	v_min_f32_e32 v9, v15, v35
	v_min_f32_e32 v11, v15, v65
	;; [unrolled: 1-line block ×7, first 2 shown]
	v_pk_add_f32 v[68:69], v[2:3], v[0:1]
	v_min_f32_e32 v1, v73, v124
	v_min_f32_e32 v0, v72, v125
	v_pk_add_f32 v[2:3], v[6:7], 0 op_sel_hi:[1,0]
	v_min_f32_e32 v106, v58, v63
	v_min_f32_e32 v107, v59, v35
	;; [unrolled: 1-line block ×5, first 2 shown]
	v_pk_add_f32 v[58:59], v[0:1], v[2:3]
	v_pk_add_f32 v[0:1], v[8:9], 0 op_sel_hi:[1,0]
	v_min_f32_e32 v2, v76, v117
	v_min_f32_e32 v3, v77, v116
	v_pk_add_f32 v[94:95], v[2:3], v[0:1]
	v_pk_add_f32 v[0:1], v[10:11], 0 op_sel_hi:[1,0]
	v_min_f32_e32 v2, v76, v121
	v_min_f32_e32 v3, v77, v120
	;; [unrolled: 4-line block ×3, first 2 shown]
	v_pk_add_f32 v[64:65], v[2:3], v[0:1]
	v_min_f32_e32 v1, v77, v124
	v_min_f32_e32 v0, v76, v125
	v_pk_add_f32 v[2:3], v[14:15], 0 op_sel_hi:[1,0]
	ds_write2st64_b32 v144, v34, v32 offset0:8 offset1:12
	ds_write_b32 v144, v33 offset:5120
	v_pk_add_f32 v[50:51], v[0:1], v[2:3]
	v_pk_add_f32 v[0:1], v[16:17], 0 op_sel_hi:[1,0]
	v_min_f32_e32 v2, v80, v117
	v_min_f32_e32 v3, v81, v116
	v_pk_add_f32 v[90:91], v[2:3], v[0:1]
	v_pk_add_f32 v[0:1], v[18:19], 0 op_sel_hi:[1,0]
	v_min_f32_e32 v2, v80, v121
	v_min_f32_e32 v3, v81, v120
	v_pk_add_f32 v[76:77], v[2:3], v[0:1]
	v_pk_add_f32 v[0:1], v[20:21], 0 op_sel_hi:[1,0]
	v_min_f32_e32 v2, v80, v123
	v_min_f32_e32 v3, v81, v122
	v_pk_add_f32 v[62:63], v[2:3], v[0:1]
	v_min_f32_e32 v1, v81, v124
	v_min_f32_e32 v0, v80, v125
	v_pk_add_f32 v[2:3], v[22:23], 0 op_sel_hi:[1,0]
	s_waitcnt lgkmcnt(0)
	v_pk_add_f32 v[48:49], v[0:1], v[2:3]
	v_pk_add_f32 v[0:1], v[24:25], 0 op_sel_hi:[1,0]
	v_min_f32_e32 v2, v84, v117
	v_min_f32_e32 v3, v85, v116
	v_pk_add_f32 v[92:93], v[2:3], v[0:1]
	v_pk_add_f32 v[0:1], v[26:27], 0 op_sel_hi:[1,0]
	v_min_f32_e32 v2, v84, v121
	v_min_f32_e32 v3, v85, v120
	;; [unrolled: 4-line block ×3, first 2 shown]
	v_pk_add_f32 v[66:67], v[2:3], v[0:1]
	v_min_f32_e32 v1, v85, v124
	v_min_f32_e32 v0, v84, v125
	v_pk_add_f32 v[2:3], v[38:39], 0 op_sel_hi:[1,0]
	s_barrier
	v_pk_add_f32 v[52:53], v[0:1], v[2:3]
	v_pk_add_f32 v[0:1], v[44:45], 0 op_sel_hi:[1,0]
	v_min_f32_e32 v2, v100, v117
	v_min_f32_e32 v3, v101, v116
	v_pk_add_f32 v[96:97], v[2:3], v[0:1]
	v_pk_add_f32 v[0:1], v[46:47], 0 op_sel_hi:[1,0]
	v_min_f32_e32 v2, v100, v121
	v_min_f32_e32 v3, v101, v120
	;; [unrolled: 4-line block ×3, first 2 shown]
	v_pk_add_f32 v[72:73], v[2:3], v[0:1]
	v_min_f32_e32 v1, v101, v124
	v_min_f32_e32 v0, v100, v125
	v_pk_add_f32 v[2:3], v[60:61], 0 op_sel_hi:[1,0]
	s_nop 0
	v_pk_add_f32 v[56:57], v[0:1], v[2:3]
	v_pk_add_f32 v[0:1], v[74:75], 0 op_sel_hi:[1,0]
	v_min_f32_e32 v2, v126, v117
	v_min_f32_e32 v3, v127, v116
	v_pk_add_f32 v[100:101], v[2:3], v[0:1]
	v_pk_add_f32 v[0:1], v[88:89], 0 op_sel_hi:[1,0]
	v_min_f32_e32 v2, v126, v121
	v_min_f32_e32 v3, v127, v120
	;; [unrolled: 4-line block ×3, first 2 shown]
	v_pk_add_f32 v[74:75], v[2:3], v[0:1]
	v_min_f32_e32 v1, v127, v124
	v_min_f32_e32 v0, v126, v125
	v_pk_add_f32 v[2:3], v[104:105], 0 op_sel_hi:[1,0]
	s_nop 0
	v_pk_add_f32 v[60:61], v[0:1], v[2:3]
	v_min_f32_e32 v0, v128, v117
	v_min_f32_e32 v1, v129, v116
	v_pk_add_f32 v[2:3], v[106:107], 0 op_sel_hi:[1,0]
	s_nop 0
	;; [unrolled: 5-line block ×6, first 2 shown]
	v_pk_add_f32 v[102:103], v[0:1], v[2:3]
	s_cbranch_scc1 .LBB34_12
; %bb.10:
	v_mov_b32_e32 v0, 0x1400
	v_lshl_add_u32 v149, v140, 4, v0
	v_mov_b32_e32 v0, 0x800
	v_add_u32_e32 v145, 0x1000, v144
	v_add_u32_e32 v146, 0x1000, v142
	;; [unrolled: 1-line block ×4, first 2 shown]
	s_add_i32 s8, s12, -8
	v_lshl_add_u32 v150, v141, 4, v0
	v_lshl_add_u64 v[44:45], v[30:31], 2, s[14:15]
	v_lshl_add_u64 v[46:47], v[28:29], 2, s[14:15]
	s_mov_b32 s9, 0
.LBB34_11:                              ; =>This Inner Loop Header: Depth=1
	v_lshl_add_u64 v[112:113], v[40:41], 0, v[42:43]
	flat_load_dword v153, v[112:113] offset:32
	v_lshl_add_u64 v[110:111], v[46:47], 0, v[42:43]
	v_lshl_add_u64 v[114:115], v[44:45], 0, v[42:43]
	flat_load_dword v151, v[110:111] offset:32
	flat_load_dword v152, v[114:115] offset:32
	ds_read_b128 v[10:13], v149 offset:896
	ds_read_b128 v[0:3], v150 offset:1536
	ds_read_b128 v[16:19], v150
	ds_read_b128 v[20:23], v150 offset:512
	ds_read_b128 v[24:27], v150 offset:1024
	ds_read_b128 v[28:31], v149
	ds_read_b128 v[32:35], v149 offset:128
	s_waitcnt lgkmcnt(0)
	v_max_f32_e32 v154, v17, v17
	v_max_f32_e32 v155, v11, v11
	;; [unrolled: 1-line block ×4, first 2 shown]
	v_min_f32_e32 v5, v155, v154
	v_min_f32_e32 v4, v157, v156
	ds_read_b128 v[8:11], v149 offset:512
	v_max_f32_e32 v21, v21, v21
	v_max_f32_e32 v20, v20, v20
	v_pk_add_f32 v[86:87], v[4:5], v[86:87]
	v_min_f32_e32 v5, v155, v21
	v_min_f32_e32 v4, v157, v20
	v_max_f32_e32 v158, v25, v25
	v_max_f32_e32 v159, v24, v24
	v_pk_add_f32 v[118:119], v[4:5], v[70:71]
	v_min_f32_e32 v5, v155, v158
	v_min_f32_e32 v4, v157, v159
	;; [unrolled: 5-line block ×3, first 2 shown]
	v_pk_add_f32 v[98:99], v[4:5], v[98:99]
	v_min_f32_e32 v4, v6, v20
	v_min_f32_e32 v5, v7, v21
	v_pk_add_f32 v[122:123], v[4:5], v[82:83]
	v_min_f32_e32 v4, v6, v159
	v_min_f32_e32 v5, v7, v158
	v_max_f32_e32 v160, v1, v1
	v_max_f32_e32 v161, v0, v0
	ds_read_b128 v[36:39], v149 offset:256
	ds_read_b128 v[14:17], v149 offset:384
	v_pk_add_f32 v[124:125], v[4:5], v[68:69]
	v_min_f32_e32 v1, v7, v160
	v_min_f32_e32 v0, v6, v161
	v_max_f32_e32 v4, v32, v32
	v_max_f32_e32 v5, v33, v33
	v_pk_add_f32 v[68:69], v[0:1], v[58:59]
	v_min_f32_e32 v0, v4, v156
	v_min_f32_e32 v1, v5, v154
	v_pk_add_f32 v[94:95], v[0:1], v[94:95]
	v_min_f32_e32 v0, v4, v20
	v_min_f32_e32 v1, v5, v21
	;; [unrolled: 3-line block ×4, first 2 shown]
	s_waitcnt lgkmcnt(0)
	v_max_f32_e32 v4, v36, v36
	v_max_f32_e32 v5, v37, v37
	v_pk_add_f32 v[130:131], v[0:1], v[50:51]
	v_min_f32_e32 v0, v4, v156
	v_min_f32_e32 v1, v5, v154
	v_pk_add_f32 v[132:133], v[0:1], v[90:91]
	v_min_f32_e32 v0, v4, v20
	v_min_f32_e32 v1, v5, v21
	;; [unrolled: 3-line block ×4, first 2 shown]
	v_max_f32_e32 v4, v14, v14
	v_max_f32_e32 v5, v15, v15
	v_pk_add_f32 v[138:139], v[0:1], v[48:49]
	v_min_f32_e32 v0, v4, v156
	v_min_f32_e32 v1, v5, v154
	v_pk_add_f32 v[78:79], v[0:1], v[92:93]
	v_min_f32_e32 v0, v4, v20
	v_min_f32_e32 v1, v5, v21
	;; [unrolled: 3-line block ×4, first 2 shown]
	v_max_f32_e32 v4, v8, v8
	v_max_f32_e32 v5, v9, v9
	ds_read_b128 v[6:9], v149 offset:640
	v_pk_add_f32 v[90:91], v[0:1], v[52:53]
	v_min_f32_e32 v0, v4, v156
	v_min_f32_e32 v1, v5, v154
	v_pk_add_f32 v[64:65], v[0:1], v[96:97]
	v_min_f32_e32 v0, v4, v20
	v_min_f32_e32 v1, v5, v21
	;; [unrolled: 3-line block ×4, first 2 shown]
	s_waitcnt lgkmcnt(0)
	v_max_f32_e32 v4, v6, v6
	v_max_f32_e32 v5, v7, v7
	v_pk_add_f32 v[76:77], v[0:1], v[56:57]
	v_min_f32_e32 v0, v4, v156
	v_min_f32_e32 v1, v5, v154
	v_pk_add_f32 v[28:29], v[0:1], v[100:101]
	v_min_f32_e32 v0, v4, v20
	v_min_f32_e32 v1, v5, v21
	;; [unrolled: 3-line block ×4, first 2 shown]
	ds_read_b128 v[4:7], v149 offset:768
	v_max_f32_e32 v96, v19, v19
	v_max_f32_e32 v97, v18, v18
	;; [unrolled: 1-line block ×8, first 2 shown]
	v_min_f32_e32 v16, v88, v97
	v_min_f32_e32 v17, v89, v96
	s_waitcnt lgkmcnt(0)
	v_max_f32_e32 v4, v4, v4
	v_max_f32_e32 v5, v5, v5
	;; [unrolled: 1-line block ×6, first 2 shown]
	v_min_f32_e32 v30, v50, v97
	v_min_f32_e32 v31, v51, v96
	v_pk_add_f32 v[74:75], v[16:17], v[78:79]
	v_min_f32_e32 v16, v88, v22
	v_min_f32_e32 v17, v89, v23
	v_pk_add_f32 v[58:59], v[0:1], v[60:61]
	v_min_f32_e32 v0, v4, v156
	v_min_f32_e32 v1, v5, v154
	v_min_f32_e32 v13, v92, v96
	v_min_f32_e32 v12, v93, v97
	v_pk_add_f32 v[30:31], v[30:31], v[98:99]
	v_max_f32_e32 v98, v3, v3
	v_max_f32_e32 v99, v2, v2
	v_pk_add_f32 v[84:85], v[16:17], v[80:81]
	v_min_f32_e32 v16, v88, v26
	v_min_f32_e32 v17, v89, v27
	v_pk_add_f32 v[24:25], v[0:1], v[116:117]
	v_min_f32_e32 v0, v4, v20
	v_min_f32_e32 v1, v5, v21
	v_pk_add_f32 v[12:13], v[12:13], v[86:87]
	v_pk_add_f32 v[86:87], v[16:17], v[82:83]
	v_min_f32_e32 v17, v89, v98
	v_min_f32_e32 v16, v88, v99
	v_pk_add_f32 v[20:21], v[0:1], v[108:109]
	v_min_f32_e32 v0, v4, v159
	v_min_f32_e32 v1, v5, v158
	v_pk_add_f32 v[88:89], v[16:17], v[90:91]
	v_max_f32_e32 v16, v10, v10
	v_max_f32_e32 v17, v11, v11
	v_pk_add_f32 v[14:15], v[0:1], v[106:107]
	v_min_f32_e32 v1, v5, v160
	v_min_f32_e32 v0, v4, v161
	;; [unrolled: 1-line block ×4, first 2 shown]
	v_pk_add_f32 v[4:5], v[0:1], v[104:105]
	v_min_f32_e32 v1, v155, v160
	v_min_f32_e32 v0, v157, v161
	v_pk_add_f32 v[100:101], v[10:11], v[64:65]
	v_min_f32_e32 v10, v16, v22
	v_min_f32_e32 v11, v17, v23
	v_pk_add_f32 v[0:1], v[0:1], v[102:103]
	v_pk_add_f32 v[102:103], v[10:11], v[70:71]
	v_min_f32_e32 v10, v16, v26
	v_min_f32_e32 v11, v17, v27
	v_pk_add_f32 v[104:105], v[10:11], v[72:73]
	v_min_f32_e32 v11, v17, v98
	v_min_f32_e32 v10, v16, v99
	v_pk_add_f32 v[106:107], v[10:11], v[76:77]
	v_max_f32_e32 v10, v8, v8
	v_max_f32_e32 v11, v9, v9
	v_min_f32_e32 v8, v10, v97
	v_min_f32_e32 v9, v11, v96
	v_pk_add_f32 v[108:109], v[8:9], v[28:29]
	v_min_f32_e32 v8, v10, v22
	v_min_f32_e32 v9, v11, v23
	;; [unrolled: 1-line block ×4, first 2 shown]
	v_pk_add_f32 v[116:117], v[8:9], v[54:55]
	v_min_f32_e32 v8, v10, v26
	v_min_f32_e32 v9, v11, v27
	v_pk_add_f32 v[18:19], v[18:19], v[118:119]
	v_min_f32_e32 v33, v92, v27
	v_min_f32_e32 v32, v93, v26
	v_pk_add_f32 v[118:119], v[8:9], v[56:57]
	v_min_f32_e32 v9, v11, v98
	v_min_f32_e32 v8, v10, v99
	v_pk_add_f32 v[32:33], v[32:33], v[120:121]
	v_pk_add_f32 v[120:121], v[8:9], v[58:59]
	v_max_f32_e32 v8, v6, v6
	v_max_f32_e32 v9, v7, v7
	v_min_f32_e32 v36, v50, v22
	v_min_f32_e32 v37, v51, v23
	;; [unrolled: 1-line block ×6, first 2 shown]
	v_pk_add_f32 v[36:37], v[36:37], v[122:123]
	v_min_f32_e32 v48, v50, v26
	v_min_f32_e32 v49, v51, v27
	v_pk_add_f32 v[60:61], v[2:3], v[68:69]
	v_max_f32_e32 v52, v34, v34
	v_max_f32_e32 v53, v35, v35
	v_max_f32_e32 v68, v38, v38
	v_max_f32_e32 v69, v39, v39
	v_pk_add_f32 v[122:123], v[6:7], v[24:25]
	v_min_f32_e32 v6, v8, v22
	v_min_f32_e32 v7, v9, v23
	v_pk_add_f32 v[48:49], v[48:49], v[124:125]
	v_min_f32_e32 v34, v52, v22
	v_min_f32_e32 v35, v53, v23
	;; [unrolled: 1-line block ×4, first 2 shown]
	v_pk_add_f32 v[124:125], v[6:7], v[20:21]
	v_min_f32_e32 v6, v8, v26
	v_min_f32_e32 v7, v9, v27
	v_pk_add_f32 v[34:35], v[34:35], v[126:127]
	v_min_f32_e32 v50, v52, v26
	v_min_f32_e32 v51, v53, v27
	;; [unrolled: 3-line block ×3, first 2 shown]
	v_min_f32_e32 v66, v68, v26
	v_min_f32_e32 v67, v69, v27
	v_pk_add_f32 v[126:127], v[6:7], v[14:15]
	v_min_f32_e32 v7, v9, v98
	v_min_f32_e32 v6, v8, v99
	s_waitcnt vmcnt(0)
	ds_write_b32 v145, v153
	ds_write2st64_b32 v144, v151, v152 offset1:4
	s_waitcnt lgkmcnt(0)
	s_barrier
	flat_load_dword v112, v[112:113] offset:48
	s_nop 0
	flat_load_dword v113, v[110:111] offset:48
	flat_load_dword v132, v[114:115] offset:48
	ds_read_b128 v[20:23], v146 offset:896
	ds_read_b128 v[8:11], v143 offset:1536
	ds_read_b128 v[26:29], v143
	v_min_f32_e32 v2, v52, v97
	v_min_f32_e32 v3, v53, v96
	v_pk_add_f32 v[50:51], v[50:51], v[128:129]
	v_min_f32_e32 v53, v53, v98
	s_waitcnt lgkmcnt(0)
	v_max_f32_e32 v110, v27, v27
	v_max_f32_e32 v114, v26, v26
	ds_read_b128 v[24:27], v143 offset:512
	v_min_f32_e32 v52, v52, v99
	v_pk_add_f32 v[128:129], v[6:7], v[4:5]
	v_min_f32_e32 v5, v92, v98
	v_min_f32_e32 v4, v93, v99
	v_max_f32_e32 v111, v21, v21
	v_max_f32_e32 v115, v20, v20
	v_pk_add_f32 v[52:53], v[52:53], v[130:131]
	v_pk_add_f32 v[62:63], v[62:63], v[134:135]
	;; [unrolled: 1-line block ×4, first 2 shown]
	v_min_f32_e32 v1, v111, v110
	v_min_f32_e32 v0, v115, v114
	v_max_f32_e32 v135, v9, v9
	v_max_f32_e32 v136, v8, v8
	ds_read_b128 v[6:9], v146 offset:384
	s_waitcnt lgkmcnt(0)
	v_max_f32_e32 v25, v25, v25
	v_max_f32_e32 v24, v24, v24
	v_min_f32_e32 v69, v69, v98
	v_min_f32_e32 v68, v68, v99
	v_pk_add_f32 v[98:99], v[0:1], v[12:13]
	v_min_f32_e32 v1, v111, v25
	v_min_f32_e32 v0, v115, v24
	v_pk_add_f32 v[70:71], v[0:1], v[18:19]
	ds_read_b128 v[18:21], v143 offset:1024
	v_pk_add_f32 v[2:3], v[2:3], v[94:95]
	v_pk_add_f32 v[68:69], v[68:69], v[138:139]
	v_max_f32_e32 v29, v29, v29
	v_max_f32_e32 v23, v23, v23
	s_waitcnt lgkmcnt(0)
	v_max_f32_e32 v133, v19, v19
	v_max_f32_e32 v134, v18, v18
	ds_read_b128 v[16:19], v146
	v_min_f32_e32 v1, v111, v133
	v_min_f32_e32 v0, v115, v134
	v_pk_add_f32 v[54:55], v[0:1], v[32:33]
	v_max_f32_e32 v28, v28, v28
	s_waitcnt lgkmcnt(0)
	v_max_f32_e32 v4, v16, v16
	v_max_f32_e32 v5, v17, v17
	ds_read_b128 v[14:17], v146 offset:128
	v_min_f32_e32 v0, v4, v114
	v_min_f32_e32 v1, v5, v110
	v_pk_add_f32 v[78:79], v[0:1], v[30:31]
	v_min_f32_e32 v0, v4, v24
	v_min_f32_e32 v1, v5, v25
	v_pk_add_f32 v[82:83], v[0:1], v[36:37]
	;; [unrolled: 3-line block ×3, first 2 shown]
	v_min_f32_e32 v1, v5, v135
	v_min_f32_e32 v0, v4, v136
	s_waitcnt lgkmcnt(0)
	v_max_f32_e32 v4, v14, v14
	v_max_f32_e32 v5, v15, v15
	ds_read_b128 v[12:15], v146 offset:256
	v_pk_add_f32 v[58:59], v[0:1], v[60:61]
	v_min_f32_e32 v0, v4, v114
	v_min_f32_e32 v1, v5, v110
	v_pk_add_f32 v[64:65], v[0:1], v[2:3]
	v_min_f32_e32 v0, v4, v24
	v_min_f32_e32 v1, v5, v25
	;; [unrolled: 3-line block ×4, first 2 shown]
	s_waitcnt lgkmcnt(0)
	v_max_f32_e32 v2, v12, v12
	v_max_f32_e32 v3, v13, v13
	v_pk_add_f32 v[90:91], v[0:1], v[52:53]
	v_min_f32_e32 v0, v2, v114
	v_min_f32_e32 v1, v3, v110
	v_pk_add_f32 v[48:49], v[0:1], v[38:39]
	v_min_f32_e32 v0, v2, v24
	v_min_f32_e32 v1, v3, v25
	;; [unrolled: 3-line block ×4, first 2 shown]
	v_max_f32_e32 v2, v6, v6
	v_max_f32_e32 v3, v7, v7
	ds_read_b128 v[4:7], v146 offset:512
	v_pk_add_f32 v[92:93], v[0:1], v[68:69]
	v_min_f32_e32 v0, v2, v114
	v_min_f32_e32 v1, v3, v110
	v_pk_add_f32 v[52:53], v[0:1], v[74:75]
	v_min_f32_e32 v0, v2, v24
	v_min_f32_e32 v1, v3, v25
	;; [unrolled: 3-line block ×4, first 2 shown]
	s_waitcnt lgkmcnt(0)
	v_max_f32_e32 v2, v4, v4
	v_max_f32_e32 v3, v5, v5
	v_pk_add_f32 v[96:97], v[0:1], v[88:89]
	v_min_f32_e32 v0, v2, v114
	v_min_f32_e32 v1, v3, v110
	v_pk_add_f32 v[56:57], v[0:1], v[100:101]
	v_max_f32_e32 v22, v22, v22
	v_max_f32_e32 v100, v18, v18
	;; [unrolled: 1-line block ×3, first 2 shown]
	v_min_f32_e32 v69, v23, v29
	v_min_f32_e32 v68, v22, v28
	v_max_f32_e32 v27, v27, v27
	v_max_f32_e32 v26, v26, v26
	v_min_f32_e32 v18, v100, v28
	v_min_f32_e32 v19, v101, v29
	v_pk_add_f32 v[86:87], v[68:69], v[98:99]
	v_min_f32_e32 v69, v23, v27
	v_min_f32_e32 v68, v22, v26
	v_max_f32_e32 v21, v21, v21
	v_max_f32_e32 v20, v20, v20
	v_pk_add_f32 v[98:99], v[18:19], v[78:79]
	v_min_f32_e32 v18, v100, v26
	v_min_f32_e32 v19, v101, v27
	v_pk_add_f32 v[70:71], v[68:69], v[70:71]
	v_min_f32_e32 v69, v23, v21
	v_min_f32_e32 v68, v22, v20
	;; [unrolled: 3-line block ×3, first 2 shown]
	v_max_f32_e32 v11, v11, v11
	v_max_f32_e32 v10, v10, v10
	v_pk_add_f32 v[54:55], v[68:69], v[54:55]
	v_pk_add_f32 v[68:69], v[18:19], v[94:95]
	v_min_f32_e32 v19, v101, v11
	v_min_f32_e32 v18, v100, v10
	v_pk_add_f32 v[58:59], v[18:19], v[58:59]
	v_max_f32_e32 v18, v16, v16
	v_max_f32_e32 v19, v17, v17
	v_min_f32_e32 v16, v18, v28
	v_min_f32_e32 v17, v19, v29
	v_pk_add_f32 v[94:95], v[16:17], v[64:65]
	v_min_f32_e32 v16, v18, v26
	v_min_f32_e32 v17, v19, v27
	v_pk_add_f32 v[78:79], v[16:17], v[76:77]
	;; [unrolled: 3-line block ×4, first 2 shown]
	v_max_f32_e32 v16, v14, v14
	v_max_f32_e32 v17, v15, v15
	v_min_f32_e32 v14, v16, v28
	v_min_f32_e32 v15, v17, v29
	;; [unrolled: 1-line block ×4, first 2 shown]
	v_pk_add_f32 v[90:91], v[14:15], v[48:49]
	v_min_f32_e32 v14, v16, v26
	v_min_f32_e32 v15, v17, v27
	v_pk_add_f32 v[72:73], v[0:1], v[102:103]
	v_min_f32_e32 v0, v2, v134
	v_min_f32_e32 v1, v3, v133
	;; [unrolled: 3-line block ×4, first 2 shown]
	ds_read_b128 v[2:5], v146 offset:640
	v_pk_add_f32 v[62:63], v[14:15], v[80:81]
	v_min_f32_e32 v15, v17, v11
	v_min_f32_e32 v14, v16, v10
	v_pk_add_f32 v[48:49], v[14:15], v[92:93]
	v_max_f32_e32 v14, v8, v8
	v_max_f32_e32 v15, v9, v9
	v_min_f32_e32 v8, v14, v28
	v_min_f32_e32 v9, v15, v29
	v_pk_add_f32 v[92:93], v[8:9], v[52:53]
	v_min_f32_e32 v8, v14, v26
	v_min_f32_e32 v9, v15, v27
	v_pk_add_f32 v[80:81], v[8:9], v[66:67]
	v_min_f32_e32 v8, v14, v20
	v_min_f32_e32 v9, v15, v21
	s_waitcnt lgkmcnt(0)
	v_max_f32_e32 v2, v2, v2
	v_max_f32_e32 v3, v3, v3
	v_pk_add_f32 v[66:67], v[8:9], v[84:85]
	v_min_f32_e32 v9, v15, v11
	v_min_f32_e32 v8, v14, v10
	v_pk_add_f32 v[88:89], v[0:1], v[106:107]
	v_min_f32_e32 v0, v2, v114
	v_min_f32_e32 v1, v3, v110
	v_pk_add_f32 v[52:53], v[8:9], v[96:97]
	v_max_f32_e32 v8, v6, v6
	v_max_f32_e32 v9, v7, v7
	v_pk_add_f32 v[34:35], v[0:1], v[108:109]
	v_min_f32_e32 v0, v2, v24
	v_min_f32_e32 v1, v3, v25
	;; [unrolled: 1-line block ×4, first 2 shown]
	v_pk_add_f32 v[36:37], v[0:1], v[116:117]
	v_min_f32_e32 v0, v2, v134
	v_min_f32_e32 v1, v3, v133
	v_pk_add_f32 v[96:97], v[6:7], v[56:57]
	v_min_f32_e32 v6, v8, v26
	v_min_f32_e32 v7, v9, v27
	;; [unrolled: 3-line block ×4, first 2 shown]
	v_pk_add_f32 v[60:61], v[0:1], v[120:121]
	ds_read_b128 v[0:3], v146 offset:768
	v_pk_add_f32 v[72:73], v[6:7], v[74:75]
	v_min_f32_e32 v7, v9, v11
	v_min_f32_e32 v6, v8, v10
	v_pk_add_f32 v[56:57], v[6:7], v[88:89]
	v_max_f32_e32 v6, v4, v4
	v_max_f32_e32 v7, v5, v5
	v_min_f32_e32 v4, v6, v28
	v_min_f32_e32 v5, v7, v29
	v_pk_add_f32 v[100:101], v[4:5], v[34:35]
	v_min_f32_e32 v4, v6, v26
	v_min_f32_e32 v5, v7, v27
	v_pk_add_f32 v[88:89], v[4:5], v[36:37]
	v_min_f32_e32 v4, v6, v20
	v_min_f32_e32 v5, v7, v21
	s_waitcnt lgkmcnt(0)
	v_max_f32_e32 v12, v0, v0
	v_max_f32_e32 v13, v1, v1
	v_pk_add_f32 v[74:75], v[4:5], v[38:39]
	v_min_f32_e32 v5, v7, v11
	v_min_f32_e32 v4, v6, v10
	;; [unrolled: 1-line block ×4, first 2 shown]
	v_pk_add_f32 v[60:61], v[4:5], v[60:61]
	v_max_f32_e32 v4, v2, v2
	v_max_f32_e32 v5, v3, v3
	v_pk_add_f32 v[32:33], v[0:1], v[122:123]
	v_min_f32_e32 v0, v12, v24
	v_min_f32_e32 v1, v13, v25
	;; [unrolled: 1-line block ×4, first 2 shown]
	v_pk_add_f32 v[30:31], v[0:1], v[124:125]
	v_min_f32_e32 v0, v12, v134
	v_min_f32_e32 v1, v13, v133
	v_pk_add_f32 v[116:117], v[2:3], v[32:33]
	v_min_f32_e32 v2, v4, v26
	v_min_f32_e32 v3, v5, v27
	;; [unrolled: 3-line block ×6, first 2 shown]
	v_pk_add_f32 v[0:1], v[0:1], v[130:131]
	v_pk_add_f32 v[104:105], v[2:3], v[12:13]
	v_min_f32_e32 v3, v23, v11
	v_min_f32_e32 v2, v22, v10
	s_add_i32 s9, s9, 8
	v_pk_add_f32 v[102:103], v[2:3], v[0:1]
	v_lshl_add_u64 v[44:45], v[44:45], 0, 32
	v_lshl_add_u64 v[46:47], v[46:47], 0, 32
	;; [unrolled: 1-line block ×3, first 2 shown]
	s_cmp_ge_i32 s9, s8
	s_waitcnt vmcnt(0)
	ds_write_b32 v147, v112
	ds_write2st64_b32 v148, v113, v132 offset1:4
	s_waitcnt lgkmcnt(0)
	s_barrier
	s_cbranch_scc0 .LBB34_11
.LBB34_12:
	s_load_dword s12, s[0:1], 0x50
	ds_read_b128 v[40:43], v143 offset:2048
	ds_read_b128 v[44:47], v142 offset:5120
	v_add_u32_e32 v114, s11, v141
	v_cmp_neq_f32_e64 s[8:9], s13, 0
	v_add_u32_e32 v110, s10, v140
	s_waitcnt lgkmcnt(0)
	v_mad_i64_i32 v[0:1], s[10:11], v114, s12, 0
	v_ashrrev_i32_e32 v111, 31, v110
	v_lshl_add_u64 v[112:113], v[0:1], 2, s[6:7]
	s_and_b64 vcc, exec, s[8:9]
	v_mov_b32_e32 v122, 0
	v_mov_b32_e32 v123, 0
	s_cbranch_vccz .LBB34_14
; %bb.13:
	v_lshl_add_u64 v[0:1], v[110:111], 2, v[112:113]
	flat_load_dword v0, v[0:1]
	s_waitcnt vmcnt(0) lgkmcnt(0)
	v_mul_f32_e32 v123, s13, v0
.LBB34_14:
	ds_read_b128 v[12:15], v142 offset:6016
	ds_read_b128 v[0:3], v143 offset:3584
	;; [unrolled: 1-line block ×6, first 2 shown]
	s_load_dword s10, s[0:1], 0x68
	s_load_dwordx2 s[14:15], s[0:1], 0x70
	ds_read_b128 v[28:31], v142 offset:5504
	ds_read_b128 v[24:27], v142 offset:5632
	;; [unrolled: 1-line block ×4, first 2 shown]
	v_max_f32_e32 v118, v40, v40
	v_max_f32_e32 v44, v44, v44
	;; [unrolled: 1-line block ×4, first 2 shown]
	v_min_f32_e32 v40, v44, v118
	v_min_f32_e32 v41, v115, v120
	v_max_f32_e32 v119, v42, v42
	v_max_f32_e32 v45, v46, v46
	;; [unrolled: 1-line block ×4, first 2 shown]
	s_waitcnt lgkmcnt(0)
	s_lshl_b64 s[0:1], s[14:15], 2
	v_pk_add_f32 v[40:41], v[40:41], v[98:99]
	v_min_f32_e32 v42, v45, v119
	v_min_f32_e32 v43, v46, v121
	s_add_u32 s2, s2, s0
	v_pk_add_f32 v[98:99], v[42:43], v[40:41]
	s_addc_u32 s3, s3, s1
	v_mad_i64_i32 v[42:43], s[0:1], v114, s10, 0
	v_add_f32_e32 v47, v98, v99
	v_add_u32_e32 v40, 8, v110
	v_lshl_add_u64 v[42:43], v[42:43], 2, s[2:3]
	v_add_f32_e32 v47, v47, v123
	v_cndmask_b32_e64 v123, 0, 1, s[8:9]
	v_ashrrev_i32_e32 v41, 31, v40
	v_lshl_add_u64 v[98:99], v[110:111], 2, v[42:43]
	v_cmp_ne_u32_e64 s[0:1], 1, v123
	s_andn2_b64 vcc, exec, s[8:9]
	global_store_dword v[98:99], v47, off
	s_cbranch_vccnz .LBB34_16
; %bb.15:
	v_lshl_add_u64 v[98:99], v[40:41], 2, v[112:113]
	flat_load_dword v47, v[98:99]
	s_waitcnt vmcnt(0) lgkmcnt(0)
	v_mul_f32_e32 v122, s13, v47
.LBB34_16:
	v_max_f32_e32 v47, v36, v36
	v_max_f32_e32 v98, v37, v37
	v_min_f32_e32 v36, v47, v118
	v_min_f32_e32 v37, v98, v120
	v_max_f32_e32 v38, v38, v38
	v_max_f32_e32 v39, v39, v39
	v_pk_add_f32 v[36:37], v[36:37], v[94:95]
	v_min_f32_e32 v94, v38, v119
	v_min_f32_e32 v95, v39, v121
	v_pk_add_f32 v[36:37], v[94:95], v[36:37]
	s_and_b64 vcc, exec, s[0:1]
	v_add_f32_e32 v94, v36, v37
	v_add_u32_e32 v36, 16, v110
	v_add_f32_e32 v99, v94, v122
	v_lshl_add_u64 v[94:95], v[40:41], 2, v[42:43]
	v_ashrrev_i32_e32 v37, 31, v36
	global_store_dword v[94:95], v99, off
	v_mov_b32_e32 v99, 0
	v_mov_b32_e32 v122, 0
	s_cbranch_vccnz .LBB34_18
; %bb.17:
	v_lshl_add_u64 v[94:95], v[36:37], 2, v[112:113]
	flat_load_dword v94, v[94:95]
	s_waitcnt vmcnt(0) lgkmcnt(0)
	v_mul_f32_e32 v122, s13, v94
.LBB34_18:
	v_max_f32_e32 v94, v32, v32
	v_max_f32_e32 v95, v33, v33
	v_min_f32_e32 v32, v94, v118
	v_min_f32_e32 v33, v95, v120
	v_max_f32_e32 v34, v34, v34
	v_max_f32_e32 v35, v35, v35
	v_pk_add_f32 v[32:33], v[32:33], v[90:91]
	v_min_f32_e32 v90, v34, v119
	v_min_f32_e32 v91, v35, v121
	v_pk_add_f32 v[32:33], v[90:91], v[32:33]
	s_and_b64 vcc, exec, s[0:1]
	v_add_f32_e32 v90, v32, v33
	v_add_u32_e32 v32, 24, v110
	v_ashrrev_i32_e32 v33, 31, v32
	v_add_f32_e32 v122, v90, v122
	v_lshl_add_u64 v[90:91], v[36:37], 2, v[42:43]
	global_store_dword v[90:91], v122, off
	s_cbranch_vccnz .LBB34_20
; %bb.19:
	v_lshl_add_u64 v[90:91], v[32:33], 2, v[112:113]
	flat_load_dword v90, v[90:91]
	s_waitcnt vmcnt(0) lgkmcnt(0)
	v_mul_f32_e32 v99, s13, v90
.LBB34_20:
	v_max_f32_e32 v90, v28, v28
	v_max_f32_e32 v91, v29, v29
	v_min_f32_e32 v28, v90, v118
	v_min_f32_e32 v29, v91, v120
	v_max_f32_e32 v30, v30, v30
	v_max_f32_e32 v31, v31, v31
	v_pk_add_f32 v[28:29], v[28:29], v[92:93]
	v_min_f32_e32 v92, v30, v119
	v_min_f32_e32 v93, v31, v121
	v_pk_add_f32 v[28:29], v[92:93], v[28:29]
	s_and_b64 vcc, exec, s[0:1]
	v_add_f32_e32 v92, v28, v29
	v_add_u32_e32 v28, 32, v110
	v_add_f32_e32 v99, v92, v99
	v_lshl_add_u64 v[92:93], v[32:33], 2, v[42:43]
	v_ashrrev_i32_e32 v29, 31, v28
	global_store_dword v[92:93], v99, off
	v_mov_b32_e32 v99, 0
	v_mov_b32_e32 v122, 0
	s_cbranch_vccnz .LBB34_22
; %bb.21:
	v_lshl_add_u64 v[92:93], v[28:29], 2, v[112:113]
	flat_load_dword v92, v[92:93]
	s_waitcnt vmcnt(0) lgkmcnt(0)
	v_mul_f32_e32 v122, s13, v92
.LBB34_22:
	v_max_f32_e32 v92, v24, v24
	v_max_f32_e32 v93, v25, v25
	v_min_f32_e32 v24, v92, v118
	v_min_f32_e32 v25, v93, v120
	v_max_f32_e32 v26, v26, v26
	v_max_f32_e32 v27, v27, v27
	v_pk_add_f32 v[24:25], v[24:25], v[96:97]
	v_min_f32_e32 v96, v26, v119
	v_min_f32_e32 v97, v27, v121
	v_pk_add_f32 v[24:25], v[96:97], v[24:25]
	s_and_b64 vcc, exec, s[0:1]
	v_add_f32_e32 v96, v24, v25
	v_add_u32_e32 v24, 40, v110
	v_ashrrev_i32_e32 v25, 31, v24
	v_add_f32_e32 v122, v96, v122
	v_lshl_add_u64 v[96:97], v[28:29], 2, v[42:43]
	global_store_dword v[96:97], v122, off
	s_cbranch_vccnz .LBB34_24
; %bb.23:
	v_lshl_add_u64 v[96:97], v[24:25], 2, v[112:113]
	flat_load_dword v96, v[96:97]
	s_waitcnt vmcnt(0) lgkmcnt(0)
	v_mul_f32_e32 v99, s13, v96
.LBB34_24:
	v_max_f32_e32 v96, v20, v20
	v_max_f32_e32 v97, v21, v21
	v_min_f32_e32 v20, v96, v118
	v_min_f32_e32 v21, v97, v120
	v_max_f32_e32 v22, v22, v22
	v_max_f32_e32 v23, v23, v23
	v_pk_add_f32 v[20:21], v[20:21], v[100:101]
	v_min_f32_e32 v100, v22, v119
	v_min_f32_e32 v101, v23, v121
	v_pk_add_f32 v[20:21], v[100:101], v[20:21]
	s_and_b64 vcc, exec, s[0:1]
	v_add_f32_e32 v100, v20, v21
	v_add_u32_e32 v20, 48, v110
	v_ashrrev_i32_e32 v21, 31, v20
	v_add_f32_e32 v99, v100, v99
	v_lshl_add_u64 v[100:101], v[24:25], 2, v[42:43]
	v_mov_b32_e32 v122, 0
	v_mov_b32_e32 v123, 0
	global_store_dword v[100:101], v99, off
	s_cbranch_vccnz .LBB34_26
; %bb.25:
	v_lshl_add_u64 v[100:101], v[20:21], 2, v[112:113]
	flat_load_dword v99, v[100:101]
	s_waitcnt vmcnt(0) lgkmcnt(0)
	v_mul_f32_e32 v123, s13, v99
.LBB34_26:
	v_max_f32_e32 v99, v16, v16
	v_max_f32_e32 v101, v17, v17
	v_min_f32_e32 v16, v99, v118
	v_min_f32_e32 v17, v101, v120
	v_pk_add_f32 v[16:17], v[16:17], v[116:117]
	v_max_f32_e32 v100, v18, v18
	v_max_f32_e32 v116, v19, v19
	v_min_f32_e32 v18, v100, v119
	v_min_f32_e32 v19, v116, v121
	v_pk_add_f32 v[16:17], v[18:19], v[16:17]
	s_and_b64 vcc, exec, s[0:1]
	v_add_f32_e32 v18, v16, v17
	v_add_u32_e32 v16, 56, v110
	v_ashrrev_i32_e32 v17, 31, v16
	v_add_f32_e32 v117, v18, v123
	v_lshl_add_u64 v[18:19], v[20:21], 2, v[42:43]
	global_store_dword v[18:19], v117, off
	s_cbranch_vccnz .LBB34_28
; %bb.27:
	v_lshl_add_u64 v[18:19], v[16:17], 2, v[112:113]
	flat_load_dword v18, v[18:19]
	s_waitcnt vmcnt(0) lgkmcnt(0)
	v_mul_f32_e32 v122, s13, v18
.LBB34_28:
	v_max_f32_e32 v18, v13, v13
	v_max_f32_e32 v19, v12, v12
	v_min_f32_e32 v13, v18, v120
	v_min_f32_e32 v12, v19, v118
	v_max_f32_e32 v15, v15, v15
	v_max_f32_e32 v14, v14, v14
	v_pk_add_f32 v[12:13], v[12:13], v[86:87]
	v_min_f32_e32 v87, v15, v121
	v_min_f32_e32 v86, v14, v119
	v_pk_add_f32 v[12:13], v[86:87], v[12:13]
	v_add_u32_e32 v87, 32, v114
	v_add_f32_e32 v12, v12, v13
	v_add_f32_e32 v86, v12, v122
	v_lshl_add_u64 v[12:13], v[16:17], 2, v[42:43]
	global_store_dword v[12:13], v86, off
	v_mad_i64_i32 v[12:13], s[8:9], v87, s12, 0
	v_lshl_add_u64 v[12:13], v[12:13], 2, s[6:7]
	s_and_b64 vcc, exec, s[0:1]
	v_mov_b32_e32 v86, 0
	v_mov_b32_e32 v112, 0
	s_cbranch_vccnz .LBB34_30
; %bb.29:
	v_lshl_add_u64 v[42:43], v[110:111], 2, v[12:13]
	flat_load_dword v42, v[42:43]
	s_waitcnt vmcnt(0) lgkmcnt(0)
	v_mul_f32_e32 v112, s13, v42
.LBB34_30:
	v_max_f32_e32 v42, v8, v8
	v_max_f32_e32 v43, v9, v9
	v_min_f32_e32 v8, v44, v42
	v_min_f32_e32 v9, v115, v43
	v_max_f32_e32 v10, v10, v10
	v_max_f32_e32 v11, v11, v11
	v_pk_add_f32 v[8:9], v[8:9], v[82:83]
	v_min_f32_e32 v82, v45, v10
	v_min_f32_e32 v83, v46, v11
	v_pk_add_f32 v[82:83], v[82:83], v[8:9]
	v_mad_i64_i32 v[8:9], s[8:9], v87, s10, 0
	v_lshl_add_u64 v[8:9], v[8:9], 2, s[2:3]
	v_add_f32_e32 v82, v82, v83
	v_add_f32_e32 v87, v82, v112
	v_lshl_add_u64 v[82:83], v[110:111], 2, v[8:9]
	s_and_b64 vcc, exec, s[0:1]
	global_store_dword v[82:83], v87, off
	s_cbranch_vccnz .LBB34_32
; %bb.31:
	v_lshl_add_u64 v[82:83], v[40:41], 2, v[12:13]
	flat_load_dword v82, v[82:83]
	s_waitcnt vmcnt(0) lgkmcnt(0)
	v_mul_f32_e32 v86, s13, v82
.LBB34_32:
	v_min_f32_e32 v82, v47, v42
	v_min_f32_e32 v83, v98, v43
	v_pk_add_f32 v[78:79], v[82:83], v[78:79]
	v_min_f32_e32 v82, v38, v10
	v_min_f32_e32 v83, v39, v11
	v_pk_add_f32 v[78:79], v[82:83], v[78:79]
	s_and_b64 vcc, exec, s[0:1]
	v_add_f32_e32 v78, v78, v79
	v_add_f32_e32 v82, v78, v86
	v_lshl_add_u64 v[78:79], v[40:41], 2, v[8:9]
	global_store_dword v[78:79], v82, off
	v_mov_b32_e32 v78, 0
	v_mov_b32_e32 v79, 0
	s_cbranch_vccnz .LBB34_34
; %bb.33:
	v_lshl_add_u64 v[82:83], v[36:37], 2, v[12:13]
	flat_load_dword v79, v[82:83]
	s_waitcnt vmcnt(0) lgkmcnt(0)
	v_mul_f32_e32 v79, s13, v79
.LBB34_34:
	v_min_f32_e32 v82, v94, v42
	v_min_f32_e32 v83, v95, v43
	v_pk_add_f32 v[76:77], v[82:83], v[76:77]
	v_min_f32_e32 v82, v34, v10
	v_min_f32_e32 v83, v35, v11
	v_pk_add_f32 v[76:77], v[82:83], v[76:77]
	s_and_b64 vcc, exec, s[0:1]
	v_add_f32_e32 v76, v76, v77
	v_add_f32_e32 v79, v76, v79
	v_lshl_add_u64 v[76:77], v[36:37], 2, v[8:9]
	global_store_dword v[76:77], v79, off
	s_cbranch_vccnz .LBB34_36
; %bb.35:
	v_lshl_add_u64 v[76:77], v[32:33], 2, v[12:13]
	flat_load_dword v76, v[76:77]
	s_waitcnt vmcnt(0) lgkmcnt(0)
	v_mul_f32_e32 v78, s13, v76
.LBB34_36:
	v_min_f32_e32 v76, v90, v42
	v_min_f32_e32 v77, v91, v43
	v_pk_add_f32 v[76:77], v[76:77], v[80:81]
	v_min_f32_e32 v80, v30, v10
	v_min_f32_e32 v81, v31, v11
	v_pk_add_f32 v[76:77], v[80:81], v[76:77]
	s_and_b64 vcc, exec, s[0:1]
	v_add_f32_e32 v76, v76, v77
	v_add_f32_e32 v78, v76, v78
	v_lshl_add_u64 v[76:77], v[32:33], 2, v[8:9]
	global_store_dword v[76:77], v78, off
	v_mov_b32_e32 v76, 0
	v_mov_b32_e32 v77, 0
	s_cbranch_vccnz .LBB34_38
; %bb.37:
	v_lshl_add_u64 v[78:79], v[28:29], 2, v[12:13]
	flat_load_dword v77, v[78:79]
	s_waitcnt vmcnt(0) lgkmcnt(0)
	v_mul_f32_e32 v77, s13, v77
.LBB34_38:
	v_min_f32_e32 v78, v92, v42
	v_min_f32_e32 v79, v93, v43
	v_pk_add_f32 v[78:79], v[78:79], v[84:85]
	v_min_f32_e32 v80, v26, v10
	v_min_f32_e32 v81, v27, v11
	v_pk_add_f32 v[78:79], v[80:81], v[78:79]
	s_and_b64 vcc, exec, s[0:1]
	v_add_f32_e32 v78, v78, v79
	v_add_f32_e32 v77, v78, v77
	v_lshl_add_u64 v[78:79], v[28:29], 2, v[8:9]
	;; [unrolled: 38-line block ×3, first 2 shown]
	global_store_dword v[78:79], v77, off
	s_cbranch_vccnz .LBB34_44
; %bb.43:
	v_lshl_add_u64 v[12:13], v[16:17], 2, v[12:13]
	flat_load_dword v12, v[12:13]
	s_waitcnt vmcnt(0) lgkmcnt(0)
	v_mul_f32_e32 v76, s13, v12
.LBB34_44:
	v_min_f32_e32 v13, v18, v43
	v_min_f32_e32 v12, v19, v42
	v_pk_add_f32 v[12:13], v[12:13], v[70:71]
	v_min_f32_e32 v11, v15, v11
	v_min_f32_e32 v10, v14, v10
	v_pk_add_f32 v[10:11], v[10:11], v[12:13]
	v_lshl_add_u64 v[8:9], v[16:17], 2, v[8:9]
	v_add_f32_e32 v10, v10, v11
	v_add_f32_e32 v10, v10, v76
	v_add_u32_e32 v13, 64, v114
	global_store_dword v[8:9], v10, off
	v_mad_i64_i32 v[8:9], s[8:9], v13, s12, 0
	v_lshl_add_u64 v[8:9], v[8:9], 2, s[6:7]
	s_and_b64 vcc, exec, s[0:1]
	v_mov_b32_e32 v12, 0
	v_mov_b32_e32 v42, 0
	s_cbranch_vccnz .LBB34_46
; %bb.45:
	v_lshl_add_u64 v[10:11], v[110:111], 2, v[8:9]
	flat_load_dword v10, v[10:11]
	s_waitcnt vmcnt(0) lgkmcnt(0)
	v_mul_f32_e32 v42, s13, v10
.LBB34_46:
	v_max_f32_e32 v10, v4, v4
	v_max_f32_e32 v11, v5, v5
	v_min_f32_e32 v4, v44, v10
	v_min_f32_e32 v5, v115, v11
	v_max_f32_e32 v6, v6, v6
	v_max_f32_e32 v7, v7, v7
	v_pk_add_f32 v[4:5], v[4:5], v[68:69]
	v_min_f32_e32 v68, v45, v6
	v_min_f32_e32 v69, v46, v7
	v_pk_add_f32 v[68:69], v[68:69], v[4:5]
	v_mad_i64_i32 v[4:5], s[8:9], v13, s10, 0
	v_lshl_add_u64 v[4:5], v[4:5], 2, s[2:3]
	v_add_f32_e32 v13, v68, v69
	v_add_f32_e32 v13, v13, v42
	v_lshl_add_u64 v[42:43], v[110:111], 2, v[4:5]
	s_and_b64 vcc, exec, s[0:1]
	global_store_dword v[42:43], v13, off
	s_cbranch_vccnz .LBB34_48
; %bb.47:
	v_lshl_add_u64 v[12:13], v[40:41], 2, v[8:9]
	flat_load_dword v12, v[12:13]
	s_waitcnt vmcnt(0) lgkmcnt(0)
	v_mul_f32_e32 v12, s13, v12
.LBB34_48:
	v_min_f32_e32 v42, v47, v10
	v_min_f32_e32 v43, v98, v11
	v_pk_add_f32 v[42:43], v[42:43], v[64:65]
	v_min_f32_e32 v64, v38, v6
	v_min_f32_e32 v65, v39, v7
	v_pk_add_f32 v[42:43], v[64:65], v[42:43]
	s_and_b64 vcc, exec, s[0:1]
	v_add_f32_e32 v13, v42, v43
	v_add_f32_e32 v42, v13, v12
	v_lshl_add_u64 v[12:13], v[40:41], 2, v[4:5]
	global_store_dword v[12:13], v42, off
	v_mov_b32_e32 v12, 0
	v_mov_b32_e32 v13, 0
	s_cbranch_vccnz .LBB34_50
; %bb.49:
	v_lshl_add_u64 v[42:43], v[36:37], 2, v[8:9]
	flat_load_dword v13, v[42:43]
	s_waitcnt vmcnt(0) lgkmcnt(0)
	v_mul_f32_e32 v13, s13, v13
.LBB34_50:
	v_min_f32_e32 v42, v94, v10
	v_min_f32_e32 v43, v95, v11
	v_pk_add_f32 v[42:43], v[42:43], v[62:63]
	v_min_f32_e32 v62, v34, v6
	v_min_f32_e32 v63, v35, v7
	v_pk_add_f32 v[42:43], v[62:63], v[42:43]
	s_and_b64 vcc, exec, s[0:1]
	v_add_f32_e32 v42, v42, v43
	v_add_f32_e32 v13, v42, v13
	v_lshl_add_u64 v[42:43], v[36:37], 2, v[4:5]
	global_store_dword v[42:43], v13, off
	s_cbranch_vccnz .LBB34_52
; %bb.51:
	v_lshl_add_u64 v[12:13], v[32:33], 2, v[8:9]
	flat_load_dword v12, v[12:13]
	s_waitcnt vmcnt(0) lgkmcnt(0)
	v_mul_f32_e32 v12, s13, v12
.LBB34_52:
	v_min_f32_e32 v42, v90, v10
	v_min_f32_e32 v43, v91, v11
	v_pk_add_f32 v[42:43], v[42:43], v[66:67]
	v_min_f32_e32 v62, v30, v6
	v_min_f32_e32 v63, v31, v7
	v_pk_add_f32 v[42:43], v[62:63], v[42:43]
	s_and_b64 vcc, exec, s[0:1]
	v_add_f32_e32 v13, v42, v43
	v_add_f32_e32 v42, v13, v12
	v_lshl_add_u64 v[12:13], v[32:33], 2, v[4:5]
	global_store_dword v[12:13], v42, off
	v_mov_b32_e32 v12, 0
	v_mov_b32_e32 v13, 0
	s_cbranch_vccnz .LBB34_54
; %bb.53:
	v_lshl_add_u64 v[42:43], v[28:29], 2, v[8:9]
	flat_load_dword v13, v[42:43]
	s_waitcnt vmcnt(0) lgkmcnt(0)
	v_mul_f32_e32 v13, s13, v13
.LBB34_54:
	v_min_f32_e32 v42, v92, v10
	v_min_f32_e32 v43, v93, v11
	v_pk_add_f32 v[42:43], v[42:43], v[72:73]
	v_min_f32_e32 v62, v26, v6
	v_min_f32_e32 v63, v27, v7
	v_pk_add_f32 v[42:43], v[62:63], v[42:43]
	s_and_b64 vcc, exec, s[0:1]
	v_add_f32_e32 v42, v42, v43
	v_add_f32_e32 v13, v42, v13
	v_lshl_add_u64 v[42:43], v[28:29], 2, v[4:5]
	;; [unrolled: 38-line block ×3, first 2 shown]
	global_store_dword v[42:43], v13, off
	s_cbranch_vccnz .LBB34_60
; %bb.59:
	v_lshl_add_u64 v[8:9], v[16:17], 2, v[8:9]
	flat_load_dword v8, v[8:9]
	s_waitcnt vmcnt(0) lgkmcnt(0)
	v_mul_f32_e32 v12, s13, v8
.LBB34_60:
	v_min_f32_e32 v9, v18, v11
	v_min_f32_e32 v8, v19, v10
	v_pk_add_f32 v[8:9], v[8:9], v[54:55]
	v_min_f32_e32 v7, v15, v7
	v_min_f32_e32 v6, v14, v6
	v_pk_add_f32 v[6:7], v[6:7], v[8:9]
	v_lshl_add_u64 v[4:5], v[16:17], 2, v[4:5]
	v_add_f32_e32 v6, v6, v7
	v_add_f32_e32 v6, v6, v12
	v_add_u32_e32 v9, 0x60, v114
	global_store_dword v[4:5], v6, off
	v_mad_i64_i32 v[4:5], s[8:9], v9, s12, 0
	v_lshl_add_u64 v[4:5], v[4:5], 2, s[6:7]
	s_and_b64 vcc, exec, s[0:1]
	v_mov_b32_e32 v8, 0
	v_mov_b32_e32 v10, 0
	s_cbranch_vccnz .LBB34_62
; %bb.61:
	v_lshl_add_u64 v[6:7], v[110:111], 2, v[4:5]
	flat_load_dword v6, v[6:7]
	s_waitcnt vmcnt(0) lgkmcnt(0)
	v_mul_f32_e32 v10, s13, v6
.LBB34_62:
	v_max_f32_e32 v6, v1, v1
	v_max_f32_e32 v7, v0, v0
	v_min_f32_e32 v1, v115, v6
	v_min_f32_e32 v0, v44, v7
	v_max_f32_e32 v3, v3, v3
	v_max_f32_e32 v2, v2, v2
	v_pk_add_f32 v[0:1], v[0:1], v[58:59]
	v_min_f32_e32 v13, v46, v3
	v_min_f32_e32 v12, v45, v2
	v_pk_add_f32 v[12:13], v[12:13], v[0:1]
	v_mad_i64_i32 v[0:1], s[6:7], v9, s10, 0
	v_lshl_add_u64 v[0:1], v[0:1], 2, s[2:3]
	v_add_f32_e32 v9, v12, v13
	v_add_f32_e32 v9, v9, v10
	v_lshl_add_u64 v[10:11], v[110:111], 2, v[0:1]
	s_and_b64 vcc, exec, s[0:1]
	global_store_dword v[10:11], v9, off
	s_cbranch_vccnz .LBB34_64
; %bb.63:
	v_lshl_add_u64 v[8:9], v[40:41], 2, v[4:5]
	flat_load_dword v8, v[8:9]
	s_waitcnt vmcnt(0) lgkmcnt(0)
	v_mul_f32_e32 v8, s13, v8
.LBB34_64:
	v_min_f32_e32 v11, v98, v6
	v_min_f32_e32 v10, v47, v7
	v_pk_add_f32 v[10:11], v[10:11], v[50:51]
	v_min_f32_e32 v13, v39, v3
	v_min_f32_e32 v12, v38, v2
	v_pk_add_f32 v[10:11], v[12:13], v[10:11]
	s_and_b64 vcc, exec, s[0:1]
	v_add_f32_e32 v9, v10, v11
	v_add_f32_e32 v10, v9, v8
	v_lshl_add_u64 v[8:9], v[40:41], 2, v[0:1]
	global_store_dword v[8:9], v10, off
	v_mov_b32_e32 v8, 0
	v_mov_b32_e32 v9, 0
	s_cbranch_vccnz .LBB34_66
; %bb.65:
	v_lshl_add_u64 v[10:11], v[36:37], 2, v[4:5]
	flat_load_dword v9, v[10:11]
	s_waitcnt vmcnt(0) lgkmcnt(0)
	v_mul_f32_e32 v9, s13, v9
.LBB34_66:
	v_min_f32_e32 v11, v95, v6
	v_min_f32_e32 v10, v94, v7
	v_pk_add_f32 v[10:11], v[10:11], v[48:49]
	v_min_f32_e32 v13, v35, v3
	v_min_f32_e32 v12, v34, v2
	v_pk_add_f32 v[10:11], v[12:13], v[10:11]
	s_and_b64 vcc, exec, s[0:1]
	v_add_f32_e32 v10, v10, v11
	v_add_f32_e32 v9, v10, v9
	v_lshl_add_u64 v[10:11], v[36:37], 2, v[0:1]
	global_store_dword v[10:11], v9, off
	s_cbranch_vccnz .LBB34_68
; %bb.67:
	v_lshl_add_u64 v[8:9], v[32:33], 2, v[4:5]
	flat_load_dword v8, v[8:9]
	s_waitcnt vmcnt(0) lgkmcnt(0)
	v_mul_f32_e32 v8, s13, v8
.LBB34_68:
	v_min_f32_e32 v11, v91, v6
	v_min_f32_e32 v10, v90, v7
	v_pk_add_f32 v[10:11], v[10:11], v[52:53]
	v_min_f32_e32 v13, v31, v3
	v_min_f32_e32 v12, v30, v2
	v_pk_add_f32 v[10:11], v[12:13], v[10:11]
	s_and_b64 vcc, exec, s[0:1]
	v_add_f32_e32 v9, v10, v11
	v_add_f32_e32 v10, v9, v8
	v_lshl_add_u64 v[8:9], v[32:33], 2, v[0:1]
	global_store_dword v[8:9], v10, off
	v_mov_b32_e32 v8, 0
	v_mov_b32_e32 v9, 0
	s_cbranch_vccnz .LBB34_70
; %bb.69:
	v_lshl_add_u64 v[10:11], v[28:29], 2, v[4:5]
	flat_load_dword v9, v[10:11]
	s_waitcnt vmcnt(0) lgkmcnt(0)
	v_mul_f32_e32 v9, s13, v9
.LBB34_70:
	v_min_f32_e32 v11, v93, v6
	v_min_f32_e32 v10, v92, v7
	v_pk_add_f32 v[10:11], v[10:11], v[56:57]
	v_min_f32_e32 v13, v27, v3
	v_min_f32_e32 v12, v26, v2
	v_pk_add_f32 v[10:11], v[12:13], v[10:11]
	s_and_b64 vcc, exec, s[0:1]
	v_add_f32_e32 v10, v10, v11
	v_add_f32_e32 v9, v10, v9
	v_lshl_add_u64 v[10:11], v[28:29], 2, v[0:1]
	global_store_dword v[10:11], v9, off
	s_cbranch_vccnz .LBB34_72
; %bb.71:
	v_lshl_add_u64 v[8:9], v[24:25], 2, v[4:5]
	flat_load_dword v8, v[8:9]
	s_waitcnt vmcnt(0) lgkmcnt(0)
	v_mul_f32_e32 v8, s13, v8
.LBB34_72:
	v_min_f32_e32 v11, v97, v6
	v_min_f32_e32 v10, v96, v7
	v_pk_add_f32 v[10:11], v[10:11], v[60:61]
	v_min_f32_e32 v13, v23, v3
	v_min_f32_e32 v12, v22, v2
	v_pk_add_f32 v[10:11], v[12:13], v[10:11]
	v_min_f32_e32 v13, v116, v3
	v_add_f32_e32 v9, v10, v11
	v_min_f32_e32 v11, v101, v6
	v_min_f32_e32 v10, v99, v7
	v_pk_add_f32 v[10:11], v[10:11], v[104:105]
	v_min_f32_e32 v12, v100, v2
	v_pk_add_f32 v[10:11], v[12:13], v[10:11]
	v_add_f32_e32 v12, v9, v8
	v_lshl_add_u64 v[8:9], v[24:25], 2, v[0:1]
	global_store_dword v[8:9], v12, off
	v_add_f32_e32 v8, v10, v11
	s_mov_b64 vcc, s[4:5]
	s_cbranch_vccz .LBB34_75
; %bb.73:
	v_add_f32_e32 v9, 0, v8
	v_lshl_add_u64 v[10:11], v[20:21], 2, v[0:1]
	s_mov_b32 s2, 0
	global_store_dword v[10:11], v9, off
	s_cbranch_execz .LBB34_76
; %bb.74:
	v_mov_b32_e32 v4, s2
	s_branch .LBB34_77
.LBB34_75:
                                        ; implicit-def: $sgpr2
.LBB34_76:
	v_lshlrev_b64 v[10:11], 2, v[20:21]
	v_lshl_add_u64 v[12:13], v[4:5], 0, v[10:11]
	flat_load_dword v9, v[12:13]
	v_lshl_add_u64 v[10:11], v[0:1], 0, v[10:11]
	v_lshl_add_u64 v[4:5], v[16:17], 2, v[4:5]
	s_waitcnt vmcnt(0) lgkmcnt(0)
	v_fmac_f32_e32 v8, s13, v9
	global_store_dword v[10:11], v8, off
	flat_load_dword v4, v[4:5]
	s_waitcnt vmcnt(0) lgkmcnt(0)
	v_mul_f32_e32 v4, s13, v4
.LBB34_77:
	v_min_f32_e32 v9, v18, v6
	v_min_f32_e32 v8, v19, v7
	;; [unrolled: 1-line block ×4, first 2 shown]
	v_pk_add_f32 v[6:7], v[8:9], v[102:103]
	v_lshl_add_u64 v[0:1], v[16:17], 2, v[0:1]
	v_pk_add_f32 v[2:3], v[2:3], v[6:7]
	s_nop 0
	v_add_f32_e32 v2, v2, v3
	v_add_f32_e32 v2, v2, v4
	global_store_dword v[0:1], v2, off
	s_endpgm
	.section	.rodata,"a",@progbits
	.p2align	6, 0x0
	.amdhsa_kernel _ZN12_GLOBAL__N_120geam_min_plus_kernelIf15HIP_vector_typeIfLj2EES2_Li8ELi32ELi64ELi128ELi4ELi4ELi64ELi4ELi64ELc84ELc78ELb1ELb0ELb0EfKPKfKPfEEviiiT16_PT17_ilSA_ilS8_SA_ilPT18_ili26rocblas_geam_ex_operation_
		.amdhsa_group_segment_fixed_size 6144
		.amdhsa_private_segment_fixed_size 0
		.amdhsa_kernarg_size 128
		.amdhsa_user_sgpr_count 2
		.amdhsa_user_sgpr_dispatch_ptr 0
		.amdhsa_user_sgpr_queue_ptr 0
		.amdhsa_user_sgpr_kernarg_segment_ptr 1
		.amdhsa_user_sgpr_dispatch_id 0
		.amdhsa_user_sgpr_kernarg_preload_length 0
		.amdhsa_user_sgpr_kernarg_preload_offset 0
		.amdhsa_user_sgpr_private_segment_size 0
		.amdhsa_uses_dynamic_stack 0
		.amdhsa_enable_private_segment 0
		.amdhsa_system_sgpr_workgroup_id_x 1
		.amdhsa_system_sgpr_workgroup_id_y 0
		.amdhsa_system_sgpr_workgroup_id_z 1
		.amdhsa_system_sgpr_workgroup_info 0
		.amdhsa_system_vgpr_workitem_id 1
		.amdhsa_next_free_vgpr 162
		.amdhsa_next_free_sgpr 22
		.amdhsa_accum_offset 164
		.amdhsa_reserve_vcc 1
		.amdhsa_float_round_mode_32 0
		.amdhsa_float_round_mode_16_64 0
		.amdhsa_float_denorm_mode_32 3
		.amdhsa_float_denorm_mode_16_64 3
		.amdhsa_dx10_clamp 1
		.amdhsa_ieee_mode 1
		.amdhsa_fp16_overflow 0
		.amdhsa_tg_split 0
		.amdhsa_exception_fp_ieee_invalid_op 0
		.amdhsa_exception_fp_denorm_src 0
		.amdhsa_exception_fp_ieee_div_zero 0
		.amdhsa_exception_fp_ieee_overflow 0
		.amdhsa_exception_fp_ieee_underflow 0
		.amdhsa_exception_fp_ieee_inexact 0
		.amdhsa_exception_int_div_zero 0
	.end_amdhsa_kernel
	.section	.text._ZN12_GLOBAL__N_120geam_min_plus_kernelIf15HIP_vector_typeIfLj2EES2_Li8ELi32ELi64ELi128ELi4ELi4ELi64ELi4ELi64ELc84ELc78ELb1ELb0ELb0EfKPKfKPfEEviiiT16_PT17_ilSA_ilS8_SA_ilPT18_ili26rocblas_geam_ex_operation_,"axG",@progbits,_ZN12_GLOBAL__N_120geam_min_plus_kernelIf15HIP_vector_typeIfLj2EES2_Li8ELi32ELi64ELi128ELi4ELi4ELi64ELi4ELi64ELc84ELc78ELb1ELb0ELb0EfKPKfKPfEEviiiT16_PT17_ilSA_ilS8_SA_ilPT18_ili26rocblas_geam_ex_operation_,comdat
.Lfunc_end34:
	.size	_ZN12_GLOBAL__N_120geam_min_plus_kernelIf15HIP_vector_typeIfLj2EES2_Li8ELi32ELi64ELi128ELi4ELi4ELi64ELi4ELi64ELc84ELc78ELb1ELb0ELb0EfKPKfKPfEEviiiT16_PT17_ilSA_ilS8_SA_ilPT18_ili26rocblas_geam_ex_operation_, .Lfunc_end34-_ZN12_GLOBAL__N_120geam_min_plus_kernelIf15HIP_vector_typeIfLj2EES2_Li8ELi32ELi64ELi128ELi4ELi4ELi64ELi4ELi64ELc84ELc78ELb1ELb0ELb0EfKPKfKPfEEviiiT16_PT17_ilSA_ilS8_SA_ilPT18_ili26rocblas_geam_ex_operation_
                                        ; -- End function
	.section	.AMDGPU.csdata,"",@progbits
; Kernel info:
; codeLenInByte = 8508
; NumSgprs: 28
; NumVgprs: 162
; NumAgprs: 0
; TotalNumVgprs: 162
; ScratchSize: 0
; MemoryBound: 0
; FloatMode: 240
; IeeeMode: 1
; LDSByteSize: 6144 bytes/workgroup (compile time only)
; SGPRBlocks: 3
; VGPRBlocks: 20
; NumSGPRsForWavesPerEU: 28
; NumVGPRsForWavesPerEU: 162
; AccumOffset: 164
; Occupancy: 3
; WaveLimiterHint : 1
; COMPUTE_PGM_RSRC2:SCRATCH_EN: 0
; COMPUTE_PGM_RSRC2:USER_SGPR: 2
; COMPUTE_PGM_RSRC2:TRAP_HANDLER: 0
; COMPUTE_PGM_RSRC2:TGID_X_EN: 1
; COMPUTE_PGM_RSRC2:TGID_Y_EN: 0
; COMPUTE_PGM_RSRC2:TGID_Z_EN: 1
; COMPUTE_PGM_RSRC2:TIDIG_COMP_CNT: 1
; COMPUTE_PGM_RSRC3_GFX90A:ACCUM_OFFSET: 40
; COMPUTE_PGM_RSRC3_GFX90A:TG_SPLIT: 0
	.section	.text._ZN12_GLOBAL__N_120geam_min_plus_kernelIf15HIP_vector_typeIfLj2EES2_Li8ELi32ELi64ELi128ELi4ELi4ELi64ELi4ELi64ELc84ELc78ELb0ELb0ELb0EfKPKfKPfEEviiiT16_PT17_ilSA_ilS8_SA_ilPT18_ili26rocblas_geam_ex_operation_,"axG",@progbits,_ZN12_GLOBAL__N_120geam_min_plus_kernelIf15HIP_vector_typeIfLj2EES2_Li8ELi32ELi64ELi128ELi4ELi4ELi64ELi4ELi64ELc84ELc78ELb0ELb0ELb0EfKPKfKPfEEviiiT16_PT17_ilSA_ilS8_SA_ilPT18_ili26rocblas_geam_ex_operation_,comdat
	.globl	_ZN12_GLOBAL__N_120geam_min_plus_kernelIf15HIP_vector_typeIfLj2EES2_Li8ELi32ELi64ELi128ELi4ELi4ELi64ELi4ELi64ELc84ELc78ELb0ELb0ELb0EfKPKfKPfEEviiiT16_PT17_ilSA_ilS8_SA_ilPT18_ili26rocblas_geam_ex_operation_ ; -- Begin function _ZN12_GLOBAL__N_120geam_min_plus_kernelIf15HIP_vector_typeIfLj2EES2_Li8ELi32ELi64ELi128ELi4ELi4ELi64ELi4ELi64ELc84ELc78ELb0ELb0ELb0EfKPKfKPfEEviiiT16_PT17_ilSA_ilS8_SA_ilPT18_ili26rocblas_geam_ex_operation_
	.p2align	8
	.type	_ZN12_GLOBAL__N_120geam_min_plus_kernelIf15HIP_vector_typeIfLj2EES2_Li8ELi32ELi64ELi128ELi4ELi4ELi64ELi4ELi64ELc84ELc78ELb0ELb0ELb0EfKPKfKPfEEviiiT16_PT17_ilSA_ilS8_SA_ilPT18_ili26rocblas_geam_ex_operation_,@function
_ZN12_GLOBAL__N_120geam_min_plus_kernelIf15HIP_vector_typeIfLj2EES2_Li8ELi32ELi64ELi128ELi4ELi4ELi64ELi4ELi64ELc84ELc78ELb0ELb0ELb0EfKPKfKPfEEviiiT16_PT17_ilSA_ilS8_SA_ilPT18_ili26rocblas_geam_ex_operation_: ; @_ZN12_GLOBAL__N_120geam_min_plus_kernelIf15HIP_vector_typeIfLj2EES2_Li8ELi32ELi64ELi128ELi4ELi4ELi64ELi4ELi64ELc84ELc78ELb0ELb0ELb0EfKPKfKPfEEviiiT16_PT17_ilSA_ilS8_SA_ilPT18_ili26rocblas_geam_ex_operation_
; %bb.0:
	s_load_dwordx2 s[12:13], s[0:1], 0x8
	s_load_dwordx4 s[4:7], s[0:1], 0x20
	s_mov_b32 s18, s3
	s_mov_b32 s19, 0
	s_waitcnt lgkmcnt(0)
	v_cmp_eq_f32_e64 s[8:9], s13, 0
	s_and_b64 vcc, exec, s[8:9]
	s_cbranch_vccnz .LBB35_3
; %bb.1:
	s_load_dwordx2 s[10:11], s[0:1], 0x10
	s_lshl_b64 s[14:15], s[18:19], 3
	s_waitcnt lgkmcnt(0)
	s_add_u32 s10, s10, s14
	s_addc_u32 s11, s11, s15
	s_load_dwordx2 s[10:11], s[10:11], 0x0
	s_lshl_b64 s[4:5], s[4:5], 2
	s_waitcnt lgkmcnt(0)
	s_add_u32 s14, s10, s4
	s_addc_u32 s15, s11, s5
	s_andn2_b64 vcc, exec, s[8:9]
	s_cbranch_vccnz .LBB35_4
.LBB35_2:
	s_mov_b64 s[16:17], 0
	s_cbranch_execz .LBB35_5
	s_branch .LBB35_6
.LBB35_3:
	s_mov_b64 s[14:15], 0
	s_andn2_b64 vcc, exec, s[8:9]
	s_cbranch_vccz .LBB35_2
.LBB35_4:
                                        ; implicit-def: $sgpr16_sgpr17
.LBB35_5:
	s_lshl_b64 s[8:9], s[18:19], 3
	s_add_u32 s6, s6, s8
	s_load_dwordx2 s[4:5], s[0:1], 0x38
	s_addc_u32 s7, s7, s9
	s_load_dwordx2 s[6:7], s[6:7], 0x0
	s_waitcnt lgkmcnt(0)
	s_lshl_b64 s[4:5], s[4:5], 2
	s_add_u32 s16, s6, s4
	s_addc_u32 s17, s7, s5
.LBB35_6:
	s_load_dword s22, s[0:1], 0x40
	s_load_dwordx4 s[8:11], s[0:1], 0x58
	v_cmp_neq_f32_e64 s[20:21], s13, 0
	s_waitcnt lgkmcnt(0)
	v_cmp_eq_f32_e64 s[4:5], s22, 0
	s_and_b64 s[6:7], exec, s[4:5]
	s_mov_b64 vcc, s[6:7]
	s_cbranch_vccnz .LBB35_8
; %bb.7:
	s_load_dwordx2 s[4:5], s[0:1], 0x48
	s_lshl_b64 s[24:25], s[18:19], 3
	s_waitcnt lgkmcnt(0)
	s_add_u32 s4, s4, s24
	s_addc_u32 s5, s5, s25
	s_load_dwordx2 s[4:5], s[4:5], 0x0
	s_lshl_b64 s[8:9], s[8:9], 2
	s_waitcnt lgkmcnt(0)
	s_add_u32 s8, s4, s8
	s_addc_u32 s9, s5, s9
	s_branch .LBB35_9
.LBB35_8:
	s_mov_b64 s[8:9], 0
.LBB35_9:
	s_load_dword s3, s[0:1], 0x0
	s_load_dword s23, s[0:1], 0x18
	s_lshl_b64 s[4:5], s[18:19], 3
	s_add_u32 s10, s10, s4
	s_addc_u32 s11, s11, s5
	s_waitcnt lgkmcnt(0)
	s_add_i32 s3, s3, -1
	s_ashr_i32 s4, s3, 31
	s_lshr_b32 s4, s4, 26
	s_add_i32 s3, s3, s4
	s_ashr_i32 s3, s3, 6
	s_add_i32 s4, s3, 1
	v_cvt_f32_u32_e32 v1, s4
	s_not_b32 s3, s3
	v_and_b32_e32 v206, 0x3ff, v0
	v_bfe_u32 v207, v0, 10, 10
	v_rcp_iflag_f32_e32 v1, v1
	v_lshl_add_u32 v2, v207, 3, v206
	v_cndmask_b32_e64 v0, 0, 1, s[20:21]
	v_and_b32_e32 v3, 3, v206
	v_mul_f32_e32 v1, 0x4f7ffffe, v1
	v_cvt_u32_f32_e32 v1, v1
	v_lshrrev_b32_e32 v8, 2, v2
	v_lshlrev_b32_e32 v48, 2, v3
	v_readfirstlane_b32 s5, v1
	s_mul_i32 s3, s3, s5
	s_mul_hi_u32 s3, s5, s3
	s_add_i32 s5, s5, s3
	s_mul_hi_u32 s3, s2, s5
	s_mul_i32 s5, s3, s4
	s_sub_i32 s5, s2, s5
	s_add_i32 s18, s3, 1
	s_sub_i32 s19, s5, s4
	s_cmp_ge_u32 s5, s4
	s_cselect_b32 s3, s18, s3
	s_cselect_b32 s5, s19, s5
	s_add_i32 s18, s3, 1
	s_cmp_ge_u32 s5, s4
	s_cselect_b32 s3, s18, s3
	s_mul_i32 s4, s3, s4
	s_sub_i32 s2, s2, s4
	s_lshl_b32 s18, s2, 6
	v_cmp_ne_u32_e64 s[4:5], 1, v0
	s_andn2_b64 vcc, exec, s[20:21]
	v_add_u32_e32 v4, s18, v8
	s_cbranch_vccnz .LBB35_11
; %bb.10:
	v_mad_i64_i32 v[0:1], s[20:21], v4, s23, 0
	v_lshl_add_u64 v[0:1], v[0:1], 2, s[14:15]
	v_mov_b32_e32 v49, 0
	v_lshl_add_u64 v[0:1], v[0:1], 0, v[48:49]
	flat_load_dword v0, v[0:1]
	s_waitcnt vmcnt(0) lgkmcnt(0)
	v_mul_f32_e32 v9, s13, v0
	s_branch .LBB35_12
.LBB35_11:
	v_mov_b32_e32 v9, 0
.LBB35_12:
	s_load_dword s20, s[0:1], 0x30
	s_lshl_b32 s19, s3, 7
	v_add_u32_e32 v5, s19, v8
	s_and_b64 vcc, exec, s[4:5]
	v_add_u32_e32 v6, 64, v5
	s_cbranch_vccnz .LBB35_16
; %bb.13:
	v_mov_b32_e32 v49, 0
	v_lshl_add_u64 v[0:1], s[16:17], 0, v[48:49]
	s_waitcnt lgkmcnt(0)
	v_mad_i64_i32 v[2:3], s[2:3], v5, s20, 0
	v_lshl_add_u64 v[2:3], v[2:3], 2, v[0:1]
	v_mad_i64_i32 v[10:11], s[2:3], v6, s20, 0
	v_lshl_add_u64 v[0:1], v[10:11], 2, v[0:1]
	flat_load_dword v10, v[2:3]
	flat_load_dword v11, v[0:1]
	s_mov_b32 s2, s13
	s_waitcnt vmcnt(0) lgkmcnt(0)
	v_pk_mul_f32 v[2:3], v[10:11], s[2:3] op_sel_hi:[1,0]
	s_and_b64 vcc, exec, s[4:5]
	s_cbranch_vccnz .LBB35_17
.LBB35_14:
	v_mad_i64_i32 v[0:1], s[2:3], v4, s23, 0
	v_lshl_add_u64 v[0:1], v[0:1], 2, s[14:15]
	v_mov_b32_e32 v49, 0
	v_lshl_add_u64 v[0:1], v[0:1], 0, v[48:49]
	flat_load_dword v0, v[0:1] offset:16
	s_waitcnt vmcnt(0) lgkmcnt(0)
	v_mul_f32_e32 v7, s13, v0
	s_and_b64 vcc, exec, s[4:5]
	s_cbranch_vccnz .LBB35_18
.LBB35_15:
	v_mov_b32_e32 v49, 0
	v_lshl_add_u64 v[0:1], s[16:17], 0, v[48:49]
	s_waitcnt lgkmcnt(0)
	v_mad_i64_i32 v[10:11], s[2:3], v5, s20, 0
	v_lshl_add_u64 v[10:11], v[10:11], 2, v[0:1]
	v_mad_i64_i32 v[12:13], s[2:3], v6, s20, 0
	v_lshl_add_u64 v[0:1], v[12:13], 2, v[0:1]
	flat_load_dword v12, v[10:11] offset:16
	flat_load_dword v13, v[0:1] offset:16
	s_mov_b32 s2, s13
	s_waitcnt vmcnt(0) lgkmcnt(0)
	v_pk_mul_f32 v[0:1], v[12:13], s[2:3] op_sel_hi:[1,0]
	s_branch .LBB35_19
.LBB35_16:
	v_mov_b32_e32 v2, 0
	v_mov_b32_e32 v3, 0
	s_and_b64 vcc, exec, s[4:5]
	s_cbranch_vccz .LBB35_14
.LBB35_17:
	v_mov_b32_e32 v7, 0
	s_and_b64 vcc, exec, s[4:5]
	s_cbranch_vccz .LBB35_15
.LBB35_18:
	v_mov_b32_e32 v0, 0
	v_mov_b32_e32 v1, 0
.LBB35_19:
	v_lshl_or_b32 v210, v8, 4, v48
	v_lshlrev_b32_e32 v209, 4, v207
	s_load_dwordx2 s[2:3], s[10:11], 0x0
	ds_write_b32 v210, v9 offset:4096
	ds_write2st64_b32 v210, v2, v3 offset1:4
	s_waitcnt lgkmcnt(0)
	s_barrier
	ds_read_b128 v[8:11], v209
	v_lshlrev_b32_e32 v208, 4, v206
	ds_read_b128 v[12:15], v208 offset:4992
	ds_read_b128 v[16:19], v209 offset:512
	;; [unrolled: 1-line block ×5, first 2 shown]
	s_waitcnt lgkmcnt(5)
	v_max_f32_e32 v49, v9, v9
	v_max_f32_e32 v54, v8, v8
	ds_read_b128 v[32:35], v208 offset:4096
	ds_read_b128 v[36:39], v208 offset:4224
	v_max_f32_e32 v106, v11, v11
	v_max_f32_e32 v107, v10, v10
	ds_read_b128 v[8:11], v208 offset:4352
	s_waitcnt lgkmcnt(7)
	v_max_f32_e32 v58, v13, v13
	v_max_f32_e32 v59, v12, v12
	s_waitcnt lgkmcnt(6)
	v_max_f32_e32 v56, v17, v17
	v_max_f32_e32 v57, v16, v16
	s_waitcnt lgkmcnt(3)
	v_max_f32_e32 v61, v28, v28
	s_waitcnt lgkmcnt(2)
	v_max_f32_e32 v28, v32, v32
	v_max_f32_e32 v120, v15, v15
	;; [unrolled: 1-line block ×3, first 2 shown]
	ds_read_b128 v[12:15], v208 offset:4480
	v_max_f32_e32 v122, v19, v19
	v_max_f32_e32 v123, v18, v18
	s_waitcnt lgkmcnt(1)
	v_max_f32_e32 v32, v8, v8
	v_max_f32_e32 v125, v30, v30
	;; [unrolled: 1-line block ×4, first 2 shown]
	ds_read_b128 v[16:19], v208 offset:4608
	v_max_f32_e32 v75, v11, v11
	ds_read_b128 v[8:11], v208 offset:4736
	v_max_f32_e32 v60, v29, v29
	v_max_f32_e32 v62, v25, v25
	;; [unrolled: 1-line block ×4, first 2 shown]
	s_waitcnt lgkmcnt(0)
	v_max_f32_e32 v52, v8, v8
	v_max_f32_e32 v53, v9, v9
	;; [unrolled: 1-line block ×10, first 2 shown]
	v_min_f32_e32 v46, v52, v54
	v_min_f32_e32 v47, v53, v49
	;; [unrolled: 1-line block ×10, first 2 shown]
	v_max_f32_e32 v126, v27, v27
	v_max_f32_e32 v127, v26, v26
	;; [unrolled: 1-line block ×11, first 2 shown]
	v_min_f32_e32 v2, v28, v54
	v_min_f32_e32 v3, v29, v49
	;; [unrolled: 1-line block ×39, first 2 shown]
	v_pk_add_f32 v[52:53], v[52:53], 0 op_sel_hi:[1,0]
	v_min_f32_e32 v59, v120, v106
	v_min_f32_e32 v58, v121, v107
	v_max_f32_e32 v124, v31, v31
	v_pk_add_f32 v[90:91], v[58:59], v[52:53]
	v_pk_add_f32 v[52:53], v[54:55], 0 op_sel_hi:[1,0]
	v_min_f32_e32 v55, v120, v122
	v_min_f32_e32 v54, v121, v123
	v_max_f32_e32 v68, v34, v34
	v_max_f32_e32 v69, v35, v35
	v_pk_add_f32 v[76:77], v[54:55], v[52:53]
	v_pk_add_f32 v[52:53], v[56:57], 0 op_sel_hi:[1,0]
	v_min_f32_e32 v55, v120, v124
	v_min_f32_e32 v54, v121, v125
	v_max_f32_e32 v71, v39, v39
	v_min_f32_e32 v31, v37, v49
	v_min_f32_e32 v34, v36, v61
	;; [unrolled: 1-line block ×12, first 2 shown]
	v_pk_add_f32 v[62:63], v[54:55], v[52:53]
	v_pk_add_f32 v[2:3], v[2:3], 0 op_sel_hi:[1,0]
	v_min_f32_e32 v52, v68, v107
	v_min_f32_e32 v53, v69, v106
	v_pk_add_f32 v[118:119], v[52:53], v[2:3]
	v_pk_add_f32 v[2:3], v[8:9], 0 op_sel_hi:[1,0]
	v_min_f32_e32 v8, v68, v123
	v_min_f32_e32 v9, v69, v122
	;; [unrolled: 4-line block ×3, first 2 shown]
	v_min_f32_e32 v83, v73, v49
	v_min_f32_e32 v100, v72, v61
	;; [unrolled: 1-line block ×3, first 2 shown]
	v_pk_add_f32 v[72:73], v[8:9], v[2:3]
	v_min_f32_e32 v3, v69, v126
	v_min_f32_e32 v2, v68, v127
	v_pk_add_f32 v[8:9], v[12:13], 0 op_sel_hi:[1,0]
	s_cmp_lt_i32 s12, 9
	v_pk_add_f32 v[58:59], v[2:3], v[8:9]
	v_pk_add_f32 v[2:3], v[14:15], 0 op_sel_hi:[1,0]
	v_min_f32_e32 v8, v70, v107
	v_min_f32_e32 v9, v71, v106
	v_pk_add_f32 v[116:117], v[8:9], v[2:3]
	v_pk_add_f32 v[2:3], v[16:17], 0 op_sel_hi:[1,0]
	v_min_f32_e32 v8, v70, v123
	v_min_f32_e32 v9, v71, v122
	;; [unrolled: 4-line block ×3, first 2 shown]
	v_pk_add_f32 v[68:69], v[8:9], v[2:3]
	v_min_f32_e32 v3, v71, v126
	v_min_f32_e32 v2, v70, v127
	v_pk_add_f32 v[8:9], v[20:21], 0 op_sel_hi:[1,0]
	ds_write2st64_b32 v210, v0, v1 offset0:8 offset1:12
	ds_write_b32 v210, v7 offset:5120
	v_pk_add_f32 v[52:53], v[2:3], v[8:9]
	v_pk_add_f32 v[2:3], v[22:23], 0 op_sel_hi:[1,0]
	v_min_f32_e32 v8, v74, v107
	v_min_f32_e32 v9, v75, v106
	v_pk_add_f32 v[114:115], v[8:9], v[2:3]
	v_pk_add_f32 v[2:3], v[24:25], 0 op_sel_hi:[1,0]
	v_min_f32_e32 v8, v74, v123
	v_min_f32_e32 v9, v75, v122
	v_pk_add_f32 v[86:87], v[8:9], v[2:3]
	v_pk_add_f32 v[2:3], v[26:27], 0 op_sel_hi:[1,0]
	v_min_f32_e32 v8, v74, v125
	v_min_f32_e32 v9, v75, v124
	v_pk_add_f32 v[70:71], v[8:9], v[2:3]
	v_min_f32_e32 v3, v75, v126
	v_min_f32_e32 v2, v74, v127
	v_pk_add_f32 v[8:9], v[28:29], 0 op_sel_hi:[1,0]
	s_waitcnt lgkmcnt(0)
	v_pk_add_f32 v[54:55], v[2:3], v[8:9]
	v_pk_add_f32 v[2:3], v[30:31], 0 op_sel_hi:[1,0]
	v_min_f32_e32 v8, v78, v107
	v_min_f32_e32 v9, v79, v106
	v_pk_add_f32 v[112:113], v[8:9], v[2:3]
	v_pk_add_f32 v[2:3], v[32:33], 0 op_sel_hi:[1,0]
	v_min_f32_e32 v8, v78, v123
	v_min_f32_e32 v9, v79, v122
	;; [unrolled: 4-line block ×3, first 2 shown]
	v_pk_add_f32 v[74:75], v[8:9], v[2:3]
	v_min_f32_e32 v3, v79, v126
	v_min_f32_e32 v2, v78, v127
	v_pk_add_f32 v[8:9], v[36:37], 0 op_sel_hi:[1,0]
	s_barrier
	v_pk_add_f32 v[56:57], v[2:3], v[8:9]
	v_pk_add_f32 v[2:3], v[38:39], 0 op_sel_hi:[1,0]
	v_min_f32_e32 v8, v80, v107
	v_min_f32_e32 v9, v81, v106
	v_pk_add_f32 v[110:111], v[8:9], v[2:3]
	v_pk_add_f32 v[2:3], v[40:41], 0 op_sel_hi:[1,0]
	v_min_f32_e32 v8, v80, v123
	v_min_f32_e32 v9, v81, v122
	;; [unrolled: 4-line block ×3, first 2 shown]
	v_pk_add_f32 v[78:79], v[8:9], v[2:3]
	v_min_f32_e32 v3, v81, v126
	v_min_f32_e32 v2, v80, v127
	v_pk_add_f32 v[8:9], v[44:45], 0 op_sel_hi:[1,0]
	s_nop 0
	v_pk_add_f32 v[60:61], v[2:3], v[8:9]
	v_pk_add_f32 v[2:3], v[46:47], 0 op_sel_hi:[1,0]
	v_min_f32_e32 v8, v128, v107
	v_min_f32_e32 v9, v129, v106
	v_pk_add_f32 v[108:109], v[8:9], v[2:3]
	v_pk_add_f32 v[2:3], v[50:51], 0 op_sel_hi:[1,0]
	v_min_f32_e32 v8, v128, v123
	v_min_f32_e32 v9, v129, v122
	;; [unrolled: 4-line block ×3, first 2 shown]
	v_pk_add_f32 v[80:81], v[8:9], v[2:3]
	v_min_f32_e32 v3, v129, v126
	v_min_f32_e32 v2, v128, v127
	v_pk_add_f32 v[8:9], v[66:67], 0 op_sel_hi:[1,0]
	s_nop 0
	v_pk_add_f32 v[64:65], v[2:3], v[8:9]
	v_min_f32_e32 v2, v130, v107
	v_min_f32_e32 v3, v131, v106
	v_pk_add_f32 v[8:9], v[82:83], 0 op_sel_hi:[1,0]
	s_nop 0
	;; [unrolled: 5-line block ×6, first 2 shown]
	v_pk_add_f32 v[50:51], v[2:3], v[8:9]
	s_cbranch_scc1 .LBB35_33
; %bb.20:
	v_mad_i64_i32 v[0:1], s[24:25], v4, s23, 0
	v_lshl_add_u64 v[100:101], v[0:1], 2, s[14:15]
	v_mov_b32_e32 v0, 0x1400
	v_lshl_add_u32 v215, v206, 4, v0
	v_mov_b32_e32 v0, 0x800
	v_lshl_add_u32 v216, v207, 4, v0
	v_mad_i64_i32 v[0:1], s[14:15], s20, v6, 0
	v_lshl_add_u64 v[102:103], v[0:1], 2, s[16:17]
	v_mad_i64_i32 v[0:1], s[14:15], s20, v5, 0
	v_add_u32_e32 v211, 0x1000, v210
	v_add_u32_e32 v212, 0x1000, v208
	;; [unrolled: 1-line block ×4, first 2 shown]
	s_add_i32 s10, s12, -8
	s_mov_b32 s12, s13
	v_mov_b32_e32 v49, 0
	v_lshl_add_u64 v[104:105], v[0:1], 2, s[16:17]
	s_mov_b32 s11, 0
	s_branch .LBB35_23
.LBB35_21:                              ;   in Loop: Header=BB35_23 Depth=1
	flat_load_dword v16, v[120:121] offset:48
	flat_load_dword v17, v[122:123] offset:48
	s_waitcnt vmcnt(0) lgkmcnt(0)
	v_pk_mul_f32 v[16:17], v[16:17], s[12:13]
.LBB35_22:                              ;   in Loop: Header=BB35_23 Depth=1
	v_pk_add_f32 v[40:41], v[40:41], v[90:91]
	v_pk_add_f32 v[32:33], v[32:33], v[62:63]
	;; [unrolled: 1-line block ×32, first 2 shown]
	ds_read_b128 v[0:3], v209
	ds_read_b128 v[8:11], v209 offset:512
	v_pk_add_f32 v[22:23], v[6:7], v[82:83]
	ds_read_b128 v[4:7], v212 offset:896
	ds_read_b128 v[12:15], v212 offset:768
	;; [unrolled: 1-line block ×4, first 2 shown]
	v_pk_add_f32 v[90:91], v[132:133], v[70:71]
	v_pk_add_f32 v[92:93], v[140:141], v[92:93]
	;; [unrolled: 1-line block ×6, first 2 shown]
	ds_read_b128 v[90:93], v212
	v_pk_add_f32 v[36:37], v[36:37], v[76:77]
	v_pk_add_f32 v[112:113], v[142:143], v[112:113]
	;; [unrolled: 1-line block ×9, first 2 shown]
	s_waitcnt lgkmcnt(4)
	v_max_f32_e32 v113, v5, v5
	v_max_f32_e32 v115, v4, v4
	;; [unrolled: 1-line block ×4, first 2 shown]
	s_waitcnt lgkmcnt(1)
	v_max_f32_e32 v118, v87, v87
	v_max_f32_e32 v119, v86, v86
	v_min_f32_e32 v5, v113, v116
	v_min_f32_e32 v4, v115, v117
	v_min_f32_e32 v9, v113, v118
	v_min_f32_e32 v8, v115, v119
	v_max_f32_e32 v112, v1, v1
	v_max_f32_e32 v114, v0, v0
	v_pk_add_f32 v[4:5], v[4:5], v[80:81]
	v_pk_add_f32 v[8:9], v[8:9], v[78:79]
	ds_read_b128 v[78:81], v212 offset:128
	s_waitcnt lgkmcnt(1)
	v_max_f32_e32 v90, v90, v90
	v_max_f32_e32 v91, v91, v91
	v_min_f32_e32 v86, v90, v114
	v_min_f32_e32 v87, v91, v112
	v_pk_add_f32 v[94:95], v[146:147], v[94:95]
	v_pk_add_f32 v[86:87], v[86:87], v[72:73]
	v_min_f32_e32 v72, v90, v117
	v_min_f32_e32 v73, v91, v116
	v_pk_add_f32 v[96:97], v[152:153], v[96:97]
	v_pk_add_f32 v[40:41], v[186:187], v[94:95]
	;; [unrolled: 1-line block ×3, first 2 shown]
	v_min_f32_e32 v72, v90, v119
	v_min_f32_e32 v73, v91, v118
	v_pk_add_f32 v[32:33], v[196:197], v[96:97]
	v_pk_add_f32 v[96:97], v[72:73], v[76:77]
	v_max_f32_e32 v76, v83, v83
	v_max_f32_e32 v77, v82, v82
	v_pk_add_f32 v[70:71], v[26:27], v[24:25]
	v_min_f32_e32 v73, v91, v76
	v_min_f32_e32 v72, v90, v77
	s_waitcnt lgkmcnt(0)
	v_max_f32_e32 v74, v78, v78
	v_max_f32_e32 v75, v79, v79
	v_pk_add_f32 v[70:71], v[72:73], v[70:71]
	v_min_f32_e32 v72, v74, v114
	v_min_f32_e32 v73, v75, v112
	v_pk_add_f32 v[78:79], v[72:73], v[64:65]
	v_min_f32_e32 v64, v74, v117
	v_min_f32_e32 v65, v75, v116
	;; [unrolled: 3-line block ×3, first 2 shown]
	v_pk_add_f32 v[68:69], v[64:65], v[68:69]
	ds_read_b128 v[64:67], v212 offset:256
	v_pk_add_f32 v[98:99], v[158:159], v[98:99]
	v_min_f32_e32 v73, v75, v76
	v_min_f32_e32 v72, v74, v77
	v_pk_add_f32 v[24:25], v[202:203], v[98:99]
	v_pk_add_f32 v[98:99], v[72:73], v[62:63]
	ds_read_b128 v[72:75], v212 offset:384
	s_waitcnt lgkmcnt(1)
	v_max_f32_e32 v90, v64, v64
	v_max_f32_e32 v91, v65, v65
	v_min_f32_e32 v62, v90, v114
	v_min_f32_e32 v63, v91, v112
	v_pk_add_f32 v[56:57], v[62:63], v[56:57]
	v_min_f32_e32 v62, v90, v117
	v_min_f32_e32 v63, v91, v116
	v_pk_add_f32 v[54:55], v[138:139], v[54:55]
	v_pk_add_f32 v[106:107], v[160:161], v[106:107]
	;; [unrolled: 1-line block ×3, first 2 shown]
	v_min_f32_e32 v58, v90, v119
	v_min_f32_e32 v59, v91, v118
	v_pk_add_f32 v[54:55], v[178:179], v[54:55]
	v_pk_add_f32 v[26:27], v[204:205], v[106:107]
	v_pk_add_f32 v[106:107], v[58:59], v[60:61]
	v_min_f32_e32 v59, v91, v76
	v_min_f32_e32 v58, v90, v77
	s_waitcnt lgkmcnt(0)
	v_max_f32_e32 v62, v72, v72
	v_max_f32_e32 v63, v73, v73
	v_pk_add_f32 v[108:109], v[154:155], v[108:109]
	v_pk_add_f32 v[54:55], v[58:59], v[54:55]
	v_min_f32_e32 v58, v62, v114
	v_min_f32_e32 v59, v63, v112
	v_pk_add_f32 v[30:31], v[198:199], v[108:109]
	v_pk_add_f32 v[108:109], v[58:59], v[46:47]
	ds_read_b128 v[58:61], v212 offset:512
	v_min_f32_e32 v46, v62, v117
	v_min_f32_e32 v47, v63, v116
	v_pk_add_f32 v[110:111], v[148:149], v[110:111]
	v_pk_add_f32 v[50:51], v[46:47], v[50:51]
	v_min_f32_e32 v46, v62, v119
	v_min_f32_e32 v47, v63, v118
	v_pk_add_f32 v[38:39], v[188:189], v[110:111]
	v_pk_add_f32 v[110:111], v[46:47], v[52:53]
	;; [unrolled: 4-line block ×3, first 2 shown]
	ds_read_b128 v[44:47], v212 offset:640
	s_waitcnt lgkmcnt(1)
	v_max_f32_e32 v58, v58, v58
	v_max_f32_e32 v59, v59, v59
	v_min_f32_e32 v52, v58, v114
	v_min_f32_e32 v53, v59, v112
	v_pk_add_f32 v[38:39], v[52:53], v[38:39]
	v_min_f32_e32 v52, v58, v117
	v_min_f32_e32 v53, v59, v116
	v_pk_add_f32 v[40:41], v[52:53], v[40:41]
	;; [unrolled: 3-line block ×4, first 2 shown]
	s_waitcnt lgkmcnt(0)
	v_max_f32_e32 v52, v44, v44
	v_max_f32_e32 v53, v45, v45
	v_min_f32_e32 v44, v52, v114
	v_min_f32_e32 v45, v53, v112
	v_pk_add_f32 v[30:31], v[44:45], v[30:31]
	v_min_f32_e32 v44, v52, v117
	v_min_f32_e32 v45, v53, v116
	v_pk_add_f32 v[32:33], v[44:45], v[32:33]
	;; [unrolled: 3-line block ×4, first 2 shown]
	v_max_f32_e32 v44, v12, v12
	v_max_f32_e32 v45, v13, v13
	v_min_f32_e32 v12, v44, v114
	v_min_f32_e32 v13, v45, v112
	v_pk_add_f32 v[12:13], v[12:13], v[26:27]
	v_min_f32_e32 v26, v44, v117
	v_min_f32_e32 v27, v45, v116
	v_pk_add_f32 v[24:25], v[26:27], v[24:25]
	;; [unrolled: 3-line block ×4, first 2 shown]
	v_min_f32_e32 v27, v113, v76
	v_min_f32_e32 v26, v115, v77
	;; [unrolled: 1-line block ×4, first 2 shown]
	v_pk_add_f32 v[18:19], v[26:27], v[18:19]
	v_max_f32_e32 v26, v3, v3
	v_max_f32_e32 v7, v7, v7
	;; [unrolled: 1-line block ×4, first 2 shown]
	v_pk_add_f32 v[0:1], v[0:1], v[122:123]
	v_min_f32_e32 v3, v7, v26
	v_min_f32_e32 v2, v6, v27
	v_pk_add_f32 v[90:91], v[2:3], v[0:1]
	v_max_f32_e32 v2, v11, v11
	v_max_f32_e32 v3, v10, v10
	v_min_f32_e32 v1, v7, v2
	v_min_f32_e32 v0, v6, v3
	v_pk_add_f32 v[76:77], v[0:1], v[4:5]
	v_max_f32_e32 v4, v89, v89
	v_max_f32_e32 v5, v88, v88
	;; [unrolled: 5-line block ×3, first 2 shown]
	v_min_f32_e32 v0, v8, v27
	v_min_f32_e32 v1, v9, v26
	v_pk_add_f32 v[118:119], v[0:1], v[86:87]
	v_min_f32_e32 v0, v8, v3
	v_min_f32_e32 v1, v9, v2
	v_pk_add_f32 v[88:89], v[0:1], v[94:95]
	v_min_f32_e32 v0, v8, v5
	v_min_f32_e32 v1, v9, v4
	v_max_f32_e32 v10, v85, v85
	v_pk_add_f32 v[72:73], v[0:1], v[96:97]
	v_min_f32_e32 v1, v9, v10
	v_max_f32_e32 v9, v84, v84
	v_min_f32_e32 v0, v8, v9
	v_max_f32_e32 v8, v80, v80
	v_max_f32_e32 v11, v81, v81
	v_pk_add_f32 v[58:59], v[0:1], v[70:71]
	v_min_f32_e32 v0, v8, v27
	v_min_f32_e32 v1, v11, v26
	v_pk_add_f32 v[116:117], v[0:1], v[78:79]
	v_min_f32_e32 v0, v8, v3
	v_min_f32_e32 v1, v11, v2
	v_pk_add_f32 v[84:85], v[0:1], v[82:83]
	v_min_f32_e32 v0, v8, v5
	v_min_f32_e32 v1, v11, v4
	v_pk_add_f32 v[68:69], v[0:1], v[68:69]
	v_min_f32_e32 v1, v11, v10
	v_min_f32_e32 v0, v8, v9
	v_max_f32_e32 v8, v66, v66
	v_max_f32_e32 v11, v67, v67
	v_pk_add_f32 v[52:53], v[0:1], v[98:99]
	v_min_f32_e32 v0, v8, v27
	v_min_f32_e32 v1, v11, v26
	v_pk_add_f32 v[114:115], v[0:1], v[56:57]
	v_min_f32_e32 v0, v8, v3
	v_min_f32_e32 v1, v11, v2
	v_pk_add_f32 v[86:87], v[0:1], v[64:65]
	v_min_f32_e32 v0, v8, v5
	v_min_f32_e32 v1, v11, v4
	v_pk_add_f32 v[70:71], v[0:1], v[106:107]
	v_min_f32_e32 v1, v11, v10
	;; [unrolled: 14-line block ×6, first 2 shown]
	v_min_f32_e32 v0, v8, v9
	v_pk_add_f32 v[66:67], v[0:1], v[22:23]
	v_min_f32_e32 v1, v7, v10
	v_min_f32_e32 v0, v6, v9
	s_add_i32 s11, s11, 8
	v_pk_add_f32 v[50:51], v[0:1], v[18:19]
	v_lshl_add_u64 v[102:103], v[102:103], 0, 32
	v_lshl_add_u64 v[104:105], v[104:105], 0, 32
	s_cmp_ge_i32 s11, s10
	v_lshl_add_u64 v[100:101], v[100:101], 0, 32
	ds_write_b32 v213, v217
	ds_write2st64_b32 v214, v16, v17 offset1:4
	s_waitcnt lgkmcnt(0)
	s_barrier
	s_cbranch_scc1 .LBB35_33
.LBB35_23:                              ; =>This Inner Loop Header: Depth=1
	s_and_b64 vcc, exec, s[4:5]
	v_lshl_add_u64 v[124:125], v[100:101], 0, v[48:49]
	v_mov_b32_e32 v128, 0
	s_cbranch_vccnz .LBB35_25
; %bb.24:                               ;   in Loop: Header=BB35_23 Depth=1
	flat_load_dword v0, v[124:125] offset:32
	s_waitcnt vmcnt(0) lgkmcnt(0)
	v_mul_f32_e32 v128, s13, v0
.LBB35_25:                              ;   in Loop: Header=BB35_23 Depth=1
	s_and_b64 vcc, exec, s[4:5]
	v_lshl_add_u64 v[120:121], v[104:105], 0, v[48:49]
	v_lshl_add_u64 v[122:123], v[102:103], 0, v[48:49]
	s_cbranch_vccnz .LBB35_27
; %bb.26:                               ;   in Loop: Header=BB35_23 Depth=1
	flat_load_dword v0, v[120:121] offset:32
	flat_load_dword v1, v[122:123] offset:32
	s_waitcnt vmcnt(0) lgkmcnt(0)
	v_pk_mul_f32 v[126:127], v[0:1], s[12:13]
	s_branch .LBB35_28
.LBB35_27:                              ;   in Loop: Header=BB35_23 Depth=1
	v_mov_b32_e32 v126, 0
	v_mov_b32_e32 v127, 0
.LBB35_28:                              ;   in Loop: Header=BB35_23 Depth=1
	ds_read_b128 v[40:43], v216
	ds_read_b128 v[36:39], v216 offset:512
	ds_read_b128 v[24:27], v216 offset:1536
	;; [unrolled: 1-line block ×3, first 2 shown]
	ds_read_b128 v[28:31], v215
	ds_read_b128 v[20:23], v215 offset:128
	ds_read_b128 v[16:19], v215 offset:256
	;; [unrolled: 1-line block ×7, first 2 shown]
	s_and_b64 vcc, exec, s[4:5]
	ds_write_b32 v211, v128
	ds_write2st64_b32 v210, v126, v127 offset1:4
	s_waitcnt lgkmcnt(0)
	s_barrier
	s_cbranch_vccnz .LBB35_30
; %bb.29:                               ;   in Loop: Header=BB35_23 Depth=1
	flat_load_dword v124, v[124:125] offset:48
	s_waitcnt vmcnt(0) lgkmcnt(0)
	v_mul_f32_e32 v217, s13, v124
	s_branch .LBB35_31
.LBB35_30:                              ;   in Loop: Header=BB35_23 Depth=1
	v_mov_b32_e32 v217, 0
.LBB35_31:                              ;   in Loop: Header=BB35_23 Depth=1
	v_max_f32_e32 v158, v41, v41
	v_max_f32_e32 v159, v40, v40
	;; [unrolled: 1-line block ×10, first 2 shown]
	v_min_f32_e32 v136, v16, v159
	v_min_f32_e32 v137, v17, v158
	v_min_f32_e32 v134, v16, v163
	v_min_f32_e32 v135, v17, v162
	v_min_f32_e32 v132, v16, v167
	v_min_f32_e32 v133, v17, v165
	v_min_f32_e32 v139, v17, v168
	v_min_f32_e32 v138, v16, v169
	v_max_f32_e32 v16, v12, v12
	v_max_f32_e32 v17, v13, v13
	v_min_f32_e32 v142, v16, v159
	v_min_f32_e32 v143, v17, v158
	v_min_f32_e32 v140, v16, v163
	v_min_f32_e32 v141, v17, v162
	v_min_f32_e32 v12, v16, v167
	v_min_f32_e32 v13, v17, v165
	v_min_f32_e32 v145, v17, v168
	v_min_f32_e32 v144, v16, v169
	v_max_f32_e32 v16, v8, v8
	v_max_f32_e32 v17, v9, v9
	;; [unrolled: 10-line block ×3, first 2 shown]
	v_max_f32_e32 v164, v45, v45
	v_max_f32_e32 v166, v44, v44
	;; [unrolled: 1-line block ×6, first 2 shown]
	v_min_f32_e32 v154, v16, v159
	v_min_f32_e32 v155, v17, v158
	;; [unrolled: 1-line block ×8, first 2 shown]
	v_max_f32_e32 v16, v0, v0
	v_max_f32_e32 v17, v1, v1
	v_min_f32_e32 v41, v164, v158
	v_min_f32_e32 v40, v166, v159
	;; [unrolled: 1-line block ×17, first 2 shown]
	v_max_f32_e32 v16, v43, v43
	v_max_f32_e32 v194, v42, v42
	v_max_f32_e32 v195, v39, v39
	v_max_f32_e32 v202, v38, v38
	v_max_f32_e32 v219, v35, v35
	v_max_f32_e32 v220, v34, v34
	v_max_f32_e32 v221, v27, v27
	v_max_f32_e32 v222, v26, v26
	v_max_f32_e32 v6, v6, v6
	v_max_f32_e32 v7, v7, v7
	v_min_f32_e32 v36, v166, v163
	v_min_f32_e32 v33, v164, v165
	v_min_f32_e32 v44, v126, v163
	v_min_f32_e32 v28, v126, v167
	v_min_f32_e32 v24, v126, v169
	v_min_f32_e32 v126, v130, v163
	v_min_f32_e32 v20, v130, v167
	v_min_f32_e32 v21, v131, v165
	v_min_f32_e32 v131, v131, v168
	v_min_f32_e32 v130, v130, v169
	v_min_f32_e32 v1, v17, v165
	v_min_f32_e32 v163, v17, v168
	v_min_f32_e32 v165, v164, v168
	v_min_f32_e32 v164, v166, v169
	v_max_f32_e32 v17, v47, v47
	v_max_f32_e32 v218, v46, v46
	;; [unrolled: 1-line block ×12, first 2 shown]
	v_min_f32_e32 v198, v6, v194
	v_min_f32_e32 v199, v7, v16
	;; [unrolled: 1-line block ×8, first 2 shown]
	v_max_f32_e32 v6, v2, v2
	v_max_f32_e32 v7, v3, v3
	v_min_f32_e32 v32, v166, v167
	v_min_f32_e32 v43, v17, v16
	;; [unrolled: 1-line block ×56, first 2 shown]
	s_and_b64 vcc, exec, s[4:5]
	v_min_f32_e32 v194, v218, v222
	s_cbranch_vccz .LBB35_21
; %bb.32:                               ;   in Loop: Header=BB35_23 Depth=1
	v_mov_b32_e32 v16, 0
	v_mov_b32_e32 v17, 0
	s_branch .LBB35_22
.LBB35_33:
	s_load_dword s10, s[0:1], 0x50
	ds_read_b128 v[40:43], v209 offset:2048
	ds_read_b128 v[44:47], v208 offset:5120
	v_add_u32_e32 v102, s19, v207
	v_cmp_neq_f32_e64 s[4:5], s22, 0
	v_add_u32_e32 v48, s18, v206
	s_waitcnt lgkmcnt(0)
	v_mad_i64_i32 v[0:1], s[12:13], v102, s10, 0
	v_ashrrev_i32_e32 v49, 31, v48
	v_lshl_add_u64 v[100:101], v[0:1], 2, s[8:9]
	s_and_b64 vcc, exec, s[4:5]
	v_mov_b32_e32 v105, 0
	v_mov_b32_e32 v104, 0
	s_cbranch_vccz .LBB35_35
; %bb.34:
	v_lshl_add_u64 v[0:1], v[48:49], 2, v[100:101]
	flat_load_dword v0, v[0:1]
	s_waitcnt vmcnt(0) lgkmcnt(0)
	v_mul_f32_e32 v104, s22, v0
.LBB35_35:
	ds_read_b128 v[12:15], v208 offset:6016
	ds_read_b128 v[0:3], v209 offset:3584
	;; [unrolled: 1-line block ×6, first 2 shown]
	s_load_dword s11, s[0:1], 0x68
	s_load_dwordx2 s[12:13], s[0:1], 0x70
	v_max_f32_e32 v120, v40, v40
	v_max_f32_e32 v44, v44, v44
	;; [unrolled: 1-line block ×4, first 2 shown]
	ds_read_b128 v[28:31], v208 offset:5504
	ds_read_b128 v[24:27], v208 offset:5632
	;; [unrolled: 1-line block ×4, first 2 shown]
	v_min_f32_e32 v40, v44, v120
	v_min_f32_e32 v41, v103, v121
	v_pk_add_f32 v[40:41], v[40:41], v[118:119]
	v_max_f32_e32 v118, v42, v42
	v_max_f32_e32 v45, v46, v46
	;; [unrolled: 1-line block ×4, first 2 shown]
	s_waitcnt lgkmcnt(0)
	s_lshl_b64 s[0:1], s[12:13], 2
	v_min_f32_e32 v42, v45, v118
	v_min_f32_e32 v43, v46, v119
	s_add_u32 s2, s2, s0
	v_pk_add_f32 v[122:123], v[42:43], v[40:41]
	s_addc_u32 s3, s3, s1
	v_mad_i64_i32 v[42:43], s[0:1], v102, s11, 0
	v_add_f32_e32 v47, v122, v123
	v_add_u32_e32 v40, 8, v48
	v_lshl_add_u64 v[42:43], v[42:43], 2, s[2:3]
	v_add_f32_e32 v47, v47, v104
	v_cndmask_b32_e64 v104, 0, 1, s[4:5]
	v_ashrrev_i32_e32 v41, 31, v40
	v_lshl_add_u64 v[122:123], v[48:49], 2, v[42:43]
	v_cmp_ne_u32_e64 s[0:1], 1, v104
	s_andn2_b64 vcc, exec, s[4:5]
	global_store_dword v[122:123], v47, off
	s_cbranch_vccnz .LBB35_37
; %bb.36:
	v_lshl_add_u64 v[104:105], v[40:41], 2, v[100:101]
	flat_load_dword v47, v[104:105]
	s_waitcnt vmcnt(0) lgkmcnt(0)
	v_mul_f32_e32 v105, s22, v47
.LBB35_37:
	v_max_f32_e32 v47, v36, v36
	v_max_f32_e32 v104, v37, v37
	v_min_f32_e32 v36, v47, v120
	v_min_f32_e32 v37, v104, v121
	v_max_f32_e32 v38, v38, v38
	v_max_f32_e32 v39, v39, v39
	v_pk_add_f32 v[36:37], v[36:37], v[116:117]
	v_min_f32_e32 v116, v38, v118
	v_min_f32_e32 v117, v39, v119
	v_pk_add_f32 v[36:37], v[116:117], v[36:37]
	s_and_b64 vcc, exec, s[0:1]
	v_add_f32_e32 v116, v36, v37
	v_add_u32_e32 v36, 16, v48
	v_add_f32_e32 v105, v116, v105
	v_lshl_add_u64 v[116:117], v[40:41], 2, v[42:43]
	v_ashrrev_i32_e32 v37, 31, v36
	global_store_dword v[116:117], v105, off
	v_mov_b32_e32 v117, 0
	v_mov_b32_e32 v122, 0
	s_cbranch_vccnz .LBB35_39
; %bb.38:
	v_lshl_add_u64 v[122:123], v[36:37], 2, v[100:101]
	flat_load_dword v105, v[122:123]
	s_waitcnt vmcnt(0) lgkmcnt(0)
	v_mul_f32_e32 v122, s22, v105
.LBB35_39:
	v_max_f32_e32 v105, v32, v32
	v_max_f32_e32 v116, v33, v33
	v_min_f32_e32 v32, v105, v120
	v_min_f32_e32 v33, v116, v121
	v_max_f32_e32 v34, v34, v34
	v_max_f32_e32 v35, v35, v35
	v_pk_add_f32 v[32:33], v[32:33], v[114:115]
	v_min_f32_e32 v114, v34, v118
	v_min_f32_e32 v115, v35, v119
	v_pk_add_f32 v[32:33], v[114:115], v[32:33]
	s_and_b64 vcc, exec, s[0:1]
	v_add_f32_e32 v114, v32, v33
	v_add_u32_e32 v32, 24, v48
	v_ashrrev_i32_e32 v33, 31, v32
	v_add_f32_e32 v122, v114, v122
	v_lshl_add_u64 v[114:115], v[36:37], 2, v[42:43]
	global_store_dword v[114:115], v122, off
	s_cbranch_vccnz .LBB35_41
; %bb.40:
	v_lshl_add_u64 v[114:115], v[32:33], 2, v[100:101]
	flat_load_dword v114, v[114:115]
	s_waitcnt vmcnt(0) lgkmcnt(0)
	v_mul_f32_e32 v117, s22, v114
.LBB35_41:
	v_max_f32_e32 v114, v28, v28
	v_max_f32_e32 v115, v29, v29
	v_min_f32_e32 v28, v114, v120
	v_min_f32_e32 v29, v115, v121
	v_max_f32_e32 v30, v30, v30
	v_max_f32_e32 v31, v31, v31
	v_pk_add_f32 v[28:29], v[28:29], v[112:113]
	v_min_f32_e32 v112, v30, v118
	v_min_f32_e32 v113, v31, v119
	v_pk_add_f32 v[28:29], v[112:113], v[28:29]
	s_and_b64 vcc, exec, s[0:1]
	v_add_f32_e32 v112, v28, v29
	v_add_u32_e32 v28, 32, v48
	v_add_f32_e32 v117, v112, v117
	v_lshl_add_u64 v[112:113], v[32:33], 2, v[42:43]
	v_ashrrev_i32_e32 v29, 31, v28
	global_store_dword v[112:113], v117, off
	v_mov_b32_e32 v117, 0
	v_mov_b32_e32 v122, 0
	s_cbranch_vccnz .LBB35_43
; %bb.42:
	v_lshl_add_u64 v[112:113], v[28:29], 2, v[100:101]
	flat_load_dword v112, v[112:113]
	s_waitcnt vmcnt(0) lgkmcnt(0)
	v_mul_f32_e32 v122, s22, v112
.LBB35_43:
	v_max_f32_e32 v112, v24, v24
	v_max_f32_e32 v113, v25, v25
	v_min_f32_e32 v24, v112, v120
	v_min_f32_e32 v25, v113, v121
	v_max_f32_e32 v26, v26, v26
	v_max_f32_e32 v27, v27, v27
	v_pk_add_f32 v[24:25], v[24:25], v[110:111]
	v_min_f32_e32 v110, v26, v118
	v_min_f32_e32 v111, v27, v119
	v_pk_add_f32 v[24:25], v[110:111], v[24:25]
	s_and_b64 vcc, exec, s[0:1]
	v_add_f32_e32 v110, v24, v25
	v_add_u32_e32 v24, 40, v48
	v_ashrrev_i32_e32 v25, 31, v24
	v_add_f32_e32 v122, v110, v122
	v_lshl_add_u64 v[110:111], v[28:29], 2, v[42:43]
	global_store_dword v[110:111], v122, off
	s_cbranch_vccnz .LBB35_45
; %bb.44:
	v_lshl_add_u64 v[110:111], v[24:25], 2, v[100:101]
	flat_load_dword v110, v[110:111]
	s_waitcnt vmcnt(0) lgkmcnt(0)
	v_mul_f32_e32 v117, s22, v110
.LBB35_45:
	v_max_f32_e32 v110, v20, v20
	v_max_f32_e32 v111, v21, v21
	v_min_f32_e32 v20, v110, v120
	v_min_f32_e32 v21, v111, v121
	v_max_f32_e32 v22, v22, v22
	v_max_f32_e32 v23, v23, v23
	v_pk_add_f32 v[20:21], v[20:21], v[108:109]
	v_min_f32_e32 v108, v22, v118
	v_min_f32_e32 v109, v23, v119
	v_pk_add_f32 v[20:21], v[108:109], v[20:21]
	s_and_b64 vcc, exec, s[0:1]
	v_add_f32_e32 v108, v20, v21
	v_add_u32_e32 v20, 48, v48
	v_add_f32_e32 v117, v108, v117
	v_lshl_add_u64 v[108:109], v[24:25], 2, v[42:43]
	v_ashrrev_i32_e32 v21, 31, v20
	global_store_dword v[108:109], v117, off
	v_mov_b32_e32 v117, 0
	v_mov_b32_e32 v122, 0
	s_cbranch_vccnz .LBB35_47
; %bb.46:
	v_lshl_add_u64 v[108:109], v[20:21], 2, v[100:101]
	flat_load_dword v108, v[108:109]
	s_waitcnt vmcnt(0) lgkmcnt(0)
	v_mul_f32_e32 v122, s22, v108
.LBB35_47:
	v_max_f32_e32 v108, v16, v16
	v_max_f32_e32 v109, v17, v17
	v_min_f32_e32 v16, v108, v120
	v_min_f32_e32 v17, v109, v121
	v_pk_add_f32 v[16:17], v[16:17], v[106:107]
	v_max_f32_e32 v106, v18, v18
	v_max_f32_e32 v107, v19, v19
	v_min_f32_e32 v18, v106, v118
	v_min_f32_e32 v19, v107, v119
	v_pk_add_f32 v[16:17], v[18:19], v[16:17]
	s_and_b64 vcc, exec, s[0:1]
	v_add_f32_e32 v18, v16, v17
	v_add_u32_e32 v16, 56, v48
	v_ashrrev_i32_e32 v17, 31, v16
	v_add_f32_e32 v122, v18, v122
	v_lshl_add_u64 v[18:19], v[20:21], 2, v[42:43]
	global_store_dword v[18:19], v122, off
	s_cbranch_vccnz .LBB35_49
; %bb.48:
	v_lshl_add_u64 v[18:19], v[16:17], 2, v[100:101]
	flat_load_dword v18, v[18:19]
	s_waitcnt vmcnt(0) lgkmcnt(0)
	v_mul_f32_e32 v117, s22, v18
.LBB35_49:
	v_max_f32_e32 v18, v13, v13
	v_max_f32_e32 v19, v12, v12
	v_min_f32_e32 v13, v18, v121
	v_min_f32_e32 v12, v19, v120
	v_max_f32_e32 v15, v15, v15
	v_max_f32_e32 v14, v14, v14
	v_pk_add_f32 v[12:13], v[12:13], v[90:91]
	v_min_f32_e32 v91, v15, v119
	v_min_f32_e32 v90, v14, v118
	v_pk_add_f32 v[12:13], v[90:91], v[12:13]
	v_add_u32_e32 v91, 32, v102
	v_add_f32_e32 v12, v12, v13
	v_add_f32_e32 v90, v12, v117
	v_lshl_add_u64 v[12:13], v[16:17], 2, v[42:43]
	global_store_dword v[12:13], v90, off
	v_mad_i64_i32 v[12:13], s[4:5], v91, s10, 0
	v_lshl_add_u64 v[12:13], v[12:13], 2, s[8:9]
	s_and_b64 vcc, exec, s[0:1]
	v_mov_b32_e32 v90, 0
	v_mov_b32_e32 v100, 0
	s_cbranch_vccnz .LBB35_51
; %bb.50:
	v_lshl_add_u64 v[42:43], v[48:49], 2, v[12:13]
	flat_load_dword v42, v[42:43]
	s_waitcnt vmcnt(0) lgkmcnt(0)
	v_mul_f32_e32 v100, s22, v42
.LBB35_51:
	v_max_f32_e32 v42, v8, v8
	v_max_f32_e32 v43, v9, v9
	v_min_f32_e32 v8, v44, v42
	v_min_f32_e32 v9, v103, v43
	v_max_f32_e32 v10, v10, v10
	v_max_f32_e32 v11, v11, v11
	v_pk_add_f32 v[8:9], v[8:9], v[88:89]
	v_min_f32_e32 v88, v45, v10
	v_min_f32_e32 v89, v46, v11
	v_pk_add_f32 v[88:89], v[88:89], v[8:9]
	v_mad_i64_i32 v[8:9], s[4:5], v91, s11, 0
	v_lshl_add_u64 v[8:9], v[8:9], 2, s[2:3]
	v_add_f32_e32 v88, v88, v89
	v_add_f32_e32 v91, v88, v100
	v_lshl_add_u64 v[88:89], v[48:49], 2, v[8:9]
	s_and_b64 vcc, exec, s[0:1]
	global_store_dword v[88:89], v91, off
	s_cbranch_vccnz .LBB35_53
; %bb.52:
	v_lshl_add_u64 v[88:89], v[40:41], 2, v[12:13]
	flat_load_dword v88, v[88:89]
	s_waitcnt vmcnt(0) lgkmcnt(0)
	v_mul_f32_e32 v90, s22, v88
.LBB35_53:
	v_min_f32_e32 v88, v47, v42
	v_min_f32_e32 v89, v104, v43
	v_pk_add_f32 v[84:85], v[88:89], v[84:85]
	v_min_f32_e32 v88, v38, v10
	v_min_f32_e32 v89, v39, v11
	v_pk_add_f32 v[84:85], v[88:89], v[84:85]
	s_and_b64 vcc, exec, s[0:1]
	v_add_f32_e32 v84, v84, v85
	v_add_f32_e32 v88, v84, v90
	v_lshl_add_u64 v[84:85], v[40:41], 2, v[8:9]
	global_store_dword v[84:85], v88, off
	v_mov_b32_e32 v84, 0
	v_mov_b32_e32 v85, 0
	s_cbranch_vccnz .LBB35_55
; %bb.54:
	v_lshl_add_u64 v[88:89], v[36:37], 2, v[12:13]
	flat_load_dword v85, v[88:89]
	s_waitcnt vmcnt(0) lgkmcnt(0)
	v_mul_f32_e32 v85, s22, v85
.LBB35_55:
	v_min_f32_e32 v88, v105, v42
	v_min_f32_e32 v89, v116, v43
	v_pk_add_f32 v[86:87], v[88:89], v[86:87]
	v_min_f32_e32 v88, v34, v10
	v_min_f32_e32 v89, v35, v11
	v_pk_add_f32 v[86:87], v[88:89], v[86:87]
	s_and_b64 vcc, exec, s[0:1]
	v_add_f32_e32 v86, v86, v87
	v_add_f32_e32 v85, v86, v85
	v_lshl_add_u64 v[86:87], v[36:37], 2, v[8:9]
	global_store_dword v[86:87], v85, off
	s_cbranch_vccnz .LBB35_57
; %bb.56:
	v_lshl_add_u64 v[84:85], v[32:33], 2, v[12:13]
	flat_load_dword v84, v[84:85]
	s_waitcnt vmcnt(0) lgkmcnt(0)
	v_mul_f32_e32 v84, s22, v84
.LBB35_57:
	v_min_f32_e32 v86, v114, v42
	v_min_f32_e32 v87, v115, v43
	v_pk_add_f32 v[86:87], v[86:87], v[92:93]
	v_min_f32_e32 v88, v30, v10
	v_min_f32_e32 v89, v31, v11
	v_pk_add_f32 v[86:87], v[88:89], v[86:87]
	s_and_b64 vcc, exec, s[0:1]
	v_add_f32_e32 v85, v86, v87
	v_add_f32_e32 v86, v85, v84
	v_lshl_add_u64 v[84:85], v[32:33], 2, v[8:9]
	global_store_dword v[84:85], v86, off
	v_mov_b32_e32 v84, 0
	v_mov_b32_e32 v85, 0
	s_cbranch_vccnz .LBB35_59
; %bb.58:
	v_lshl_add_u64 v[86:87], v[28:29], 2, v[12:13]
	flat_load_dword v85, v[86:87]
	s_waitcnt vmcnt(0) lgkmcnt(0)
	v_mul_f32_e32 v85, s22, v85
.LBB35_59:
	v_min_f32_e32 v86, v112, v42
	v_min_f32_e32 v87, v113, v43
	v_pk_add_f32 v[86:87], v[86:87], v[94:95]
	v_min_f32_e32 v88, v26, v10
	v_min_f32_e32 v89, v27, v11
	v_pk_add_f32 v[86:87], v[88:89], v[86:87]
	s_and_b64 vcc, exec, s[0:1]
	v_add_f32_e32 v86, v86, v87
	v_add_f32_e32 v85, v86, v85
	v_lshl_add_u64 v[86:87], v[28:29], 2, v[8:9]
	;; [unrolled: 38-line block ×3, first 2 shown]
	global_store_dword v[86:87], v85, off
	s_cbranch_vccnz .LBB35_65
; %bb.64:
	v_lshl_add_u64 v[12:13], v[16:17], 2, v[12:13]
	flat_load_dword v12, v[12:13]
	s_waitcnt vmcnt(0) lgkmcnt(0)
	v_mul_f32_e32 v84, s22, v12
.LBB35_65:
	v_min_f32_e32 v13, v18, v43
	v_min_f32_e32 v12, v19, v42
	v_pk_add_f32 v[12:13], v[12:13], v[76:77]
	v_min_f32_e32 v11, v15, v11
	v_min_f32_e32 v10, v14, v10
	v_pk_add_f32 v[10:11], v[10:11], v[12:13]
	v_lshl_add_u64 v[8:9], v[16:17], 2, v[8:9]
	v_add_f32_e32 v10, v10, v11
	v_add_f32_e32 v10, v10, v84
	v_add_u32_e32 v13, 64, v102
	global_store_dword v[8:9], v10, off
	v_mad_i64_i32 v[8:9], s[4:5], v13, s10, 0
	v_lshl_add_u64 v[8:9], v[8:9], 2, s[8:9]
	s_and_b64 vcc, exec, s[0:1]
	v_mov_b32_e32 v12, 0
	v_mov_b32_e32 v42, 0
	s_cbranch_vccnz .LBB35_67
; %bb.66:
	v_lshl_add_u64 v[10:11], v[48:49], 2, v[8:9]
	flat_load_dword v10, v[10:11]
	s_waitcnt vmcnt(0) lgkmcnt(0)
	v_mul_f32_e32 v42, s22, v10
.LBB35_67:
	v_max_f32_e32 v10, v4, v4
	v_max_f32_e32 v11, v5, v5
	v_min_f32_e32 v4, v44, v10
	v_min_f32_e32 v5, v103, v11
	v_max_f32_e32 v6, v6, v6
	v_max_f32_e32 v7, v7, v7
	v_pk_add_f32 v[4:5], v[4:5], v[72:73]
	v_min_f32_e32 v72, v45, v6
	v_min_f32_e32 v73, v46, v7
	v_pk_add_f32 v[72:73], v[72:73], v[4:5]
	v_mad_i64_i32 v[4:5], s[4:5], v13, s11, 0
	v_lshl_add_u64 v[4:5], v[4:5], 2, s[2:3]
	v_add_f32_e32 v13, v72, v73
	v_add_f32_e32 v13, v13, v42
	v_lshl_add_u64 v[42:43], v[48:49], 2, v[4:5]
	s_and_b64 vcc, exec, s[0:1]
	global_store_dword v[42:43], v13, off
	s_cbranch_vccnz .LBB35_69
; %bb.68:
	v_lshl_add_u64 v[12:13], v[40:41], 2, v[8:9]
	flat_load_dword v12, v[12:13]
	s_waitcnt vmcnt(0) lgkmcnt(0)
	v_mul_f32_e32 v12, s22, v12
.LBB35_69:
	v_min_f32_e32 v42, v47, v10
	v_min_f32_e32 v43, v104, v11
	v_pk_add_f32 v[42:43], v[42:43], v[68:69]
	v_min_f32_e32 v68, v38, v6
	v_min_f32_e32 v69, v39, v7
	v_pk_add_f32 v[42:43], v[68:69], v[42:43]
	s_and_b64 vcc, exec, s[0:1]
	v_add_f32_e32 v13, v42, v43
	v_add_f32_e32 v42, v13, v12
	v_lshl_add_u64 v[12:13], v[40:41], 2, v[4:5]
	global_store_dword v[12:13], v42, off
	v_mov_b32_e32 v12, 0
	v_mov_b32_e32 v13, 0
	s_cbranch_vccnz .LBB35_71
; %bb.70:
	v_lshl_add_u64 v[42:43], v[36:37], 2, v[8:9]
	flat_load_dword v13, v[42:43]
	s_waitcnt vmcnt(0) lgkmcnt(0)
	v_mul_f32_e32 v13, s22, v13
.LBB35_71:
	v_min_f32_e32 v42, v105, v10
	v_min_f32_e32 v43, v116, v11
	v_pk_add_f32 v[42:43], v[42:43], v[70:71]
	v_min_f32_e32 v68, v34, v6
	v_min_f32_e32 v69, v35, v7
	v_pk_add_f32 v[42:43], v[68:69], v[42:43]
	s_and_b64 vcc, exec, s[0:1]
	v_add_f32_e32 v42, v42, v43
	v_add_f32_e32 v13, v42, v13
	v_lshl_add_u64 v[42:43], v[36:37], 2, v[4:5]
	global_store_dword v[42:43], v13, off
	s_cbranch_vccnz .LBB35_73
; %bb.72:
	v_lshl_add_u64 v[12:13], v[32:33], 2, v[8:9]
	flat_load_dword v12, v[12:13]
	s_waitcnt vmcnt(0) lgkmcnt(0)
	v_mul_f32_e32 v12, s22, v12
.LBB35_73:
	v_min_f32_e32 v42, v114, v10
	v_min_f32_e32 v43, v115, v11
	v_pk_add_f32 v[42:43], v[42:43], v[74:75]
	v_min_f32_e32 v68, v30, v6
	v_min_f32_e32 v69, v31, v7
	v_pk_add_f32 v[42:43], v[68:69], v[42:43]
	s_and_b64 vcc, exec, s[0:1]
	v_add_f32_e32 v13, v42, v43
	v_add_f32_e32 v42, v13, v12
	v_lshl_add_u64 v[12:13], v[32:33], 2, v[4:5]
	global_store_dword v[12:13], v42, off
	v_mov_b32_e32 v12, 0
	v_mov_b32_e32 v13, 0
	s_cbranch_vccnz .LBB35_75
; %bb.74:
	v_lshl_add_u64 v[42:43], v[28:29], 2, v[8:9]
	flat_load_dword v13, v[42:43]
	s_waitcnt vmcnt(0) lgkmcnt(0)
	v_mul_f32_e32 v13, s22, v13
.LBB35_75:
	v_min_f32_e32 v42, v112, v10
	v_min_f32_e32 v43, v113, v11
	v_pk_add_f32 v[42:43], v[42:43], v[78:79]
	v_min_f32_e32 v68, v26, v6
	v_min_f32_e32 v69, v27, v7
	v_pk_add_f32 v[42:43], v[68:69], v[42:43]
	s_and_b64 vcc, exec, s[0:1]
	v_add_f32_e32 v42, v42, v43
	v_add_f32_e32 v13, v42, v13
	v_lshl_add_u64 v[42:43], v[28:29], 2, v[4:5]
	global_store_dword v[42:43], v13, off
	s_cbranch_vccnz .LBB35_77
; %bb.76:
	v_lshl_add_u64 v[12:13], v[24:25], 2, v[8:9]
	flat_load_dword v12, v[12:13]
	s_waitcnt vmcnt(0) lgkmcnt(0)
	v_mul_f32_e32 v12, s22, v12
.LBB35_77:
	v_min_f32_e32 v42, v110, v10
	v_min_f32_e32 v43, v111, v11
	v_pk_add_f32 v[42:43], v[42:43], v[80:81]
	v_min_f32_e32 v68, v22, v6
	v_min_f32_e32 v69, v23, v7
	v_pk_add_f32 v[42:43], v[68:69], v[42:43]
	s_and_b64 vcc, exec, s[0:1]
	v_add_f32_e32 v13, v42, v43
	v_add_f32_e32 v42, v13, v12
	v_lshl_add_u64 v[12:13], v[24:25], 2, v[4:5]
	global_store_dword v[12:13], v42, off
	v_mov_b32_e32 v12, 0
	v_mov_b32_e32 v13, 0
	s_cbranch_vccnz .LBB35_79
; %bb.78:
	v_lshl_add_u64 v[42:43], v[20:21], 2, v[8:9]
	flat_load_dword v13, v[42:43]
	s_waitcnt vmcnt(0) lgkmcnt(0)
	v_mul_f32_e32 v13, s22, v13
.LBB35_79:
	v_min_f32_e32 v42, v108, v10
	v_min_f32_e32 v43, v109, v11
	v_pk_add_f32 v[42:43], v[42:43], v[82:83]
	v_min_f32_e32 v68, v106, v6
	v_min_f32_e32 v69, v107, v7
	v_pk_add_f32 v[42:43], v[68:69], v[42:43]
	s_and_b64 vcc, exec, s[0:1]
	v_add_f32_e32 v42, v42, v43
	v_add_f32_e32 v13, v42, v13
	v_lshl_add_u64 v[42:43], v[20:21], 2, v[4:5]
	global_store_dword v[42:43], v13, off
	s_cbranch_vccnz .LBB35_81
; %bb.80:
	v_lshl_add_u64 v[8:9], v[16:17], 2, v[8:9]
	flat_load_dword v8, v[8:9]
	s_waitcnt vmcnt(0) lgkmcnt(0)
	v_mul_f32_e32 v12, s22, v8
.LBB35_81:
	v_min_f32_e32 v9, v18, v11
	v_min_f32_e32 v8, v19, v10
	v_pk_add_f32 v[8:9], v[8:9], v[62:63]
	v_min_f32_e32 v7, v15, v7
	v_min_f32_e32 v6, v14, v6
	v_pk_add_f32 v[6:7], v[6:7], v[8:9]
	v_lshl_add_u64 v[4:5], v[16:17], 2, v[4:5]
	v_add_f32_e32 v6, v6, v7
	v_add_f32_e32 v6, v6, v12
	v_add_u32_e32 v9, 0x60, v102
	global_store_dword v[4:5], v6, off
	v_mad_i64_i32 v[4:5], s[4:5], v9, s10, 0
	v_lshl_add_u64 v[4:5], v[4:5], 2, s[8:9]
	s_and_b64 vcc, exec, s[0:1]
	v_mov_b32_e32 v8, 0
	v_mov_b32_e32 v10, 0
	s_cbranch_vccnz .LBB35_83
; %bb.82:
	v_lshl_add_u64 v[6:7], v[48:49], 2, v[4:5]
	flat_load_dword v6, v[6:7]
	s_waitcnt vmcnt(0) lgkmcnt(0)
	v_mul_f32_e32 v10, s22, v6
.LBB35_83:
	v_max_f32_e32 v6, v1, v1
	v_max_f32_e32 v7, v0, v0
	v_min_f32_e32 v1, v103, v6
	v_min_f32_e32 v0, v44, v7
	v_max_f32_e32 v3, v3, v3
	v_max_f32_e32 v2, v2, v2
	v_pk_add_f32 v[0:1], v[0:1], v[58:59]
	v_min_f32_e32 v13, v46, v3
	v_min_f32_e32 v12, v45, v2
	v_pk_add_f32 v[12:13], v[12:13], v[0:1]
	v_mad_i64_i32 v[0:1], s[4:5], v9, s11, 0
	v_lshl_add_u64 v[0:1], v[0:1], 2, s[2:3]
	v_add_f32_e32 v9, v12, v13
	v_add_f32_e32 v9, v9, v10
	v_lshl_add_u64 v[10:11], v[48:49], 2, v[0:1]
	s_and_b64 vcc, exec, s[0:1]
	global_store_dword v[10:11], v9, off
	s_cbranch_vccnz .LBB35_85
; %bb.84:
	v_lshl_add_u64 v[8:9], v[40:41], 2, v[4:5]
	flat_load_dword v8, v[8:9]
	s_waitcnt vmcnt(0) lgkmcnt(0)
	v_mul_f32_e32 v8, s22, v8
.LBB35_85:
	v_min_f32_e32 v11, v104, v6
	v_min_f32_e32 v10, v47, v7
	v_pk_add_f32 v[10:11], v[10:11], v[52:53]
	v_min_f32_e32 v13, v39, v3
	v_min_f32_e32 v12, v38, v2
	v_pk_add_f32 v[10:11], v[12:13], v[10:11]
	s_and_b64 vcc, exec, s[0:1]
	v_add_f32_e32 v9, v10, v11
	v_add_f32_e32 v10, v9, v8
	v_lshl_add_u64 v[8:9], v[40:41], 2, v[0:1]
	global_store_dword v[8:9], v10, off
	v_mov_b32_e32 v8, 0
	v_mov_b32_e32 v9, 0
	s_cbranch_vccnz .LBB35_87
; %bb.86:
	v_lshl_add_u64 v[10:11], v[36:37], 2, v[4:5]
	flat_load_dword v9, v[10:11]
	s_waitcnt vmcnt(0) lgkmcnt(0)
	v_mul_f32_e32 v9, s22, v9
.LBB35_87:
	v_min_f32_e32 v11, v116, v6
	v_min_f32_e32 v10, v105, v7
	v_pk_add_f32 v[10:11], v[10:11], v[54:55]
	v_min_f32_e32 v13, v35, v3
	v_min_f32_e32 v12, v34, v2
	v_pk_add_f32 v[10:11], v[12:13], v[10:11]
	s_and_b64 vcc, exec, s[0:1]
	v_add_f32_e32 v10, v10, v11
	v_add_f32_e32 v9, v10, v9
	v_lshl_add_u64 v[10:11], v[36:37], 2, v[0:1]
	global_store_dword v[10:11], v9, off
	s_cbranch_vccnz .LBB35_89
; %bb.88:
	v_lshl_add_u64 v[8:9], v[32:33], 2, v[4:5]
	flat_load_dword v8, v[8:9]
	s_waitcnt vmcnt(0) lgkmcnt(0)
	v_mul_f32_e32 v8, s22, v8
.LBB35_89:
	v_min_f32_e32 v11, v115, v6
	v_min_f32_e32 v10, v114, v7
	v_pk_add_f32 v[10:11], v[10:11], v[56:57]
	v_min_f32_e32 v13, v31, v3
	v_min_f32_e32 v12, v30, v2
	v_pk_add_f32 v[10:11], v[12:13], v[10:11]
	s_and_b64 vcc, exec, s[0:1]
	v_add_f32_e32 v9, v10, v11
	v_add_f32_e32 v10, v9, v8
	v_lshl_add_u64 v[8:9], v[32:33], 2, v[0:1]
	global_store_dword v[8:9], v10, off
	v_mov_b32_e32 v8, 0
	v_mov_b32_e32 v9, 0
	s_cbranch_vccnz .LBB35_91
; %bb.90:
	v_lshl_add_u64 v[10:11], v[28:29], 2, v[4:5]
	flat_load_dword v9, v[10:11]
	s_waitcnt vmcnt(0) lgkmcnt(0)
	v_mul_f32_e32 v9, s22, v9
.LBB35_91:
	v_min_f32_e32 v11, v113, v6
	v_min_f32_e32 v10, v112, v7
	v_pk_add_f32 v[10:11], v[10:11], v[60:61]
	v_min_f32_e32 v13, v27, v3
	v_min_f32_e32 v12, v26, v2
	v_pk_add_f32 v[10:11], v[12:13], v[10:11]
	s_and_b64 vcc, exec, s[0:1]
	v_add_f32_e32 v10, v10, v11
	v_add_f32_e32 v9, v10, v9
	v_lshl_add_u64 v[10:11], v[28:29], 2, v[0:1]
	global_store_dword v[10:11], v9, off
	s_cbranch_vccnz .LBB35_93
; %bb.92:
	v_lshl_add_u64 v[8:9], v[24:25], 2, v[4:5]
	flat_load_dword v8, v[8:9]
	s_waitcnt vmcnt(0) lgkmcnt(0)
	v_mul_f32_e32 v8, s22, v8
.LBB35_93:
	v_min_f32_e32 v11, v111, v6
	v_min_f32_e32 v10, v110, v7
	v_pk_add_f32 v[10:11], v[10:11], v[64:65]
	v_min_f32_e32 v13, v23, v3
	v_min_f32_e32 v12, v22, v2
	v_pk_add_f32 v[10:11], v[12:13], v[10:11]
	v_min_f32_e32 v13, v107, v3
	v_add_f32_e32 v9, v10, v11
	v_min_f32_e32 v11, v109, v6
	v_min_f32_e32 v10, v108, v7
	v_pk_add_f32 v[10:11], v[10:11], v[66:67]
	v_min_f32_e32 v12, v106, v2
	v_pk_add_f32 v[10:11], v[12:13], v[10:11]
	v_add_f32_e32 v12, v9, v8
	v_lshl_add_u64 v[8:9], v[24:25], 2, v[0:1]
	global_store_dword v[8:9], v12, off
	v_add_f32_e32 v8, v10, v11
	s_mov_b64 vcc, s[6:7]
	s_cbranch_vccz .LBB35_96
; %bb.94:
	v_add_f32_e32 v9, 0, v8
	v_lshl_add_u64 v[10:11], v[20:21], 2, v[0:1]
	s_mov_b32 s2, 0
	global_store_dword v[10:11], v9, off
	s_cbranch_execz .LBB35_97
; %bb.95:
	v_mov_b32_e32 v4, s2
	s_branch .LBB35_98
.LBB35_96:
                                        ; implicit-def: $sgpr2
.LBB35_97:
	v_lshlrev_b64 v[10:11], 2, v[20:21]
	v_lshl_add_u64 v[12:13], v[4:5], 0, v[10:11]
	flat_load_dword v9, v[12:13]
	v_lshl_add_u64 v[10:11], v[0:1], 0, v[10:11]
	v_lshl_add_u64 v[4:5], v[16:17], 2, v[4:5]
	s_waitcnt vmcnt(0) lgkmcnt(0)
	v_fmac_f32_e32 v8, s22, v9
	global_store_dword v[10:11], v8, off
	flat_load_dword v4, v[4:5]
	s_waitcnt vmcnt(0) lgkmcnt(0)
	v_mul_f32_e32 v4, s22, v4
.LBB35_98:
	v_min_f32_e32 v9, v18, v6
	v_min_f32_e32 v8, v19, v7
	;; [unrolled: 1-line block ×4, first 2 shown]
	v_pk_add_f32 v[6:7], v[8:9], v[50:51]
	v_lshl_add_u64 v[0:1], v[16:17], 2, v[0:1]
	v_pk_add_f32 v[2:3], v[2:3], v[6:7]
	s_nop 0
	v_add_f32_e32 v2, v2, v3
	v_add_f32_e32 v2, v2, v4
	global_store_dword v[0:1], v2, off
	s_endpgm
	.section	.rodata,"a",@progbits
	.p2align	6, 0x0
	.amdhsa_kernel _ZN12_GLOBAL__N_120geam_min_plus_kernelIf15HIP_vector_typeIfLj2EES2_Li8ELi32ELi64ELi128ELi4ELi4ELi64ELi4ELi64ELc84ELc78ELb0ELb0ELb0EfKPKfKPfEEviiiT16_PT17_ilSA_ilS8_SA_ilPT18_ili26rocblas_geam_ex_operation_
		.amdhsa_group_segment_fixed_size 6144
		.amdhsa_private_segment_fixed_size 0
		.amdhsa_kernarg_size 128
		.amdhsa_user_sgpr_count 2
		.amdhsa_user_sgpr_dispatch_ptr 0
		.amdhsa_user_sgpr_queue_ptr 0
		.amdhsa_user_sgpr_kernarg_segment_ptr 1
		.amdhsa_user_sgpr_dispatch_id 0
		.amdhsa_user_sgpr_kernarg_preload_length 0
		.amdhsa_user_sgpr_kernarg_preload_offset 0
		.amdhsa_user_sgpr_private_segment_size 0
		.amdhsa_uses_dynamic_stack 0
		.amdhsa_enable_private_segment 0
		.amdhsa_system_sgpr_workgroup_id_x 1
		.amdhsa_system_sgpr_workgroup_id_y 0
		.amdhsa_system_sgpr_workgroup_id_z 1
		.amdhsa_system_sgpr_workgroup_info 0
		.amdhsa_system_vgpr_workitem_id 1
		.amdhsa_next_free_vgpr 223
		.amdhsa_next_free_sgpr 26
		.amdhsa_accum_offset 224
		.amdhsa_reserve_vcc 1
		.amdhsa_float_round_mode_32 0
		.amdhsa_float_round_mode_16_64 0
		.amdhsa_float_denorm_mode_32 3
		.amdhsa_float_denorm_mode_16_64 3
		.amdhsa_dx10_clamp 1
		.amdhsa_ieee_mode 1
		.amdhsa_fp16_overflow 0
		.amdhsa_tg_split 0
		.amdhsa_exception_fp_ieee_invalid_op 0
		.amdhsa_exception_fp_denorm_src 0
		.amdhsa_exception_fp_ieee_div_zero 0
		.amdhsa_exception_fp_ieee_overflow 0
		.amdhsa_exception_fp_ieee_underflow 0
		.amdhsa_exception_fp_ieee_inexact 0
		.amdhsa_exception_int_div_zero 0
	.end_amdhsa_kernel
	.section	.text._ZN12_GLOBAL__N_120geam_min_plus_kernelIf15HIP_vector_typeIfLj2EES2_Li8ELi32ELi64ELi128ELi4ELi4ELi64ELi4ELi64ELc84ELc78ELb0ELb0ELb0EfKPKfKPfEEviiiT16_PT17_ilSA_ilS8_SA_ilPT18_ili26rocblas_geam_ex_operation_,"axG",@progbits,_ZN12_GLOBAL__N_120geam_min_plus_kernelIf15HIP_vector_typeIfLj2EES2_Li8ELi32ELi64ELi128ELi4ELi4ELi64ELi4ELi64ELc84ELc78ELb0ELb0ELb0EfKPKfKPfEEviiiT16_PT17_ilSA_ilS8_SA_ilPT18_ili26rocblas_geam_ex_operation_,comdat
.Lfunc_end35:
	.size	_ZN12_GLOBAL__N_120geam_min_plus_kernelIf15HIP_vector_typeIfLj2EES2_Li8ELi32ELi64ELi128ELi4ELi4ELi64ELi4ELi64ELc84ELc78ELb0ELb0ELb0EfKPKfKPfEEviiiT16_PT17_ilSA_ilS8_SA_ilPT18_ili26rocblas_geam_ex_operation_, .Lfunc_end35-_ZN12_GLOBAL__N_120geam_min_plus_kernelIf15HIP_vector_typeIfLj2EES2_Li8ELi32ELi64ELi128ELi4ELi4ELi64ELi4ELi64ELc84ELc78ELb0ELb0ELb0EfKPKfKPfEEviiiT16_PT17_ilSA_ilS8_SA_ilPT18_ili26rocblas_geam_ex_operation_
                                        ; -- End function
	.section	.AMDGPU.csdata,"",@progbits
; Kernel info:
; codeLenInByte = 8872
; NumSgprs: 32
; NumVgprs: 223
; NumAgprs: 0
; TotalNumVgprs: 223
; ScratchSize: 0
; MemoryBound: 0
; FloatMode: 240
; IeeeMode: 1
; LDSByteSize: 6144 bytes/workgroup (compile time only)
; SGPRBlocks: 3
; VGPRBlocks: 27
; NumSGPRsForWavesPerEU: 32
; NumVGPRsForWavesPerEU: 223
; AccumOffset: 224
; Occupancy: 2
; WaveLimiterHint : 1
; COMPUTE_PGM_RSRC2:SCRATCH_EN: 0
; COMPUTE_PGM_RSRC2:USER_SGPR: 2
; COMPUTE_PGM_RSRC2:TRAP_HANDLER: 0
; COMPUTE_PGM_RSRC2:TGID_X_EN: 1
; COMPUTE_PGM_RSRC2:TGID_Y_EN: 0
; COMPUTE_PGM_RSRC2:TGID_Z_EN: 1
; COMPUTE_PGM_RSRC2:TIDIG_COMP_CNT: 1
; COMPUTE_PGM_RSRC3_GFX90A:ACCUM_OFFSET: 55
; COMPUTE_PGM_RSRC3_GFX90A:TG_SPLIT: 0
	.section	.text._ZN12_GLOBAL__N_120geam_min_plus_kernelIf15HIP_vector_typeIfLj2EES2_Li8ELi32ELi64ELi128ELi4ELi4ELi64ELi4ELi64ELc84ELc78ELb0ELb1ELb0EPKfKS4_KPfEEviiiT16_PT17_ilSA_ilS8_SA_ilPT18_ili26rocblas_geam_ex_operation_,"axG",@progbits,_ZN12_GLOBAL__N_120geam_min_plus_kernelIf15HIP_vector_typeIfLj2EES2_Li8ELi32ELi64ELi128ELi4ELi4ELi64ELi4ELi64ELc84ELc78ELb0ELb1ELb0EPKfKS4_KPfEEviiiT16_PT17_ilSA_ilS8_SA_ilPT18_ili26rocblas_geam_ex_operation_,comdat
	.globl	_ZN12_GLOBAL__N_120geam_min_plus_kernelIf15HIP_vector_typeIfLj2EES2_Li8ELi32ELi64ELi128ELi4ELi4ELi64ELi4ELi64ELc84ELc78ELb0ELb1ELb0EPKfKS4_KPfEEviiiT16_PT17_ilSA_ilS8_SA_ilPT18_ili26rocblas_geam_ex_operation_ ; -- Begin function _ZN12_GLOBAL__N_120geam_min_plus_kernelIf15HIP_vector_typeIfLj2EES2_Li8ELi32ELi64ELi128ELi4ELi4ELi64ELi4ELi64ELc84ELc78ELb0ELb1ELb0EPKfKS4_KPfEEviiiT16_PT17_ilSA_ilS8_SA_ilPT18_ili26rocblas_geam_ex_operation_
	.p2align	8
	.type	_ZN12_GLOBAL__N_120geam_min_plus_kernelIf15HIP_vector_typeIfLj2EES2_Li8ELi32ELi64ELi128ELi4ELi4ELi64ELi4ELi64ELc84ELc78ELb0ELb1ELb0EPKfKS4_KPfEEviiiT16_PT17_ilSA_ilS8_SA_ilPT18_ili26rocblas_geam_ex_operation_,@function
_ZN12_GLOBAL__N_120geam_min_plus_kernelIf15HIP_vector_typeIfLj2EES2_Li8ELi32ELi64ELi128ELi4ELi4ELi64ELi4ELi64ELc84ELc78ELb0ELb1ELb0EPKfKS4_KPfEEviiiT16_PT17_ilSA_ilS8_SA_ilPT18_ili26rocblas_geam_ex_operation_: ; @_ZN12_GLOBAL__N_120geam_min_plus_kernelIf15HIP_vector_typeIfLj2EES2_Li8ELi32ELi64ELi128ELi4ELi4ELi64ELi4ELi64ELc84ELc78ELb0ELb1ELb0EPKfKS4_KPfEEviiiT16_PT17_ilSA_ilS8_SA_ilPT18_ili26rocblas_geam_ex_operation_
; %bb.0:
	s_load_dwordx4 s[12:15], s[0:1], 0x10
	s_load_dwordx4 s[4:7], s[0:1], 0x28
	s_mov_b32 s26, s3
	s_mov_b32 s27, 0
	s_lshl_b64 s[16:17], s[26:27], 2
	s_waitcnt lgkmcnt(0)
	s_add_u32 s18, s12, s16
	s_load_dwordx4 s[8:11], s[0:1], 0x40
	s_addc_u32 s19, s13, s17
	s_load_dword s29, s[18:19], 0x0
	s_load_dwordx2 s[12:13], s[0:1], 0x50
	s_waitcnt lgkmcnt(0)
	s_add_u32 s20, s10, s16
	v_cmp_eq_f32_e64 s[18:19], s29, 0
	s_addc_u32 s21, s11, s17
	v_cmp_neq_f32_e64 s[10:11], s29, 0
	s_mov_b64 s[16:17], 0
	s_and_b64 vcc, exec, s[18:19]
	s_mov_b64 s[18:19], 0
	s_cbranch_vccnz .LBB36_2
; %bb.1:
	s_lshl_b64 s[18:19], s[26:27], 3
	s_add_u32 s14, s14, s18
	s_addc_u32 s15, s15, s19
	s_load_dwordx2 s[14:15], s[14:15], 0x0
	s_lshl_b64 s[4:5], s[4:5], 2
	s_waitcnt lgkmcnt(0)
	s_add_u32 s18, s14, s4
	s_addc_u32 s19, s15, s5
.LBB36_2:
	s_load_dword s28, s[20:21], 0x0
	s_andn2_b64 vcc, exec, s[10:11]
	s_cbranch_vccnz .LBB36_4
; %bb.3:
	s_lshl_b64 s[4:5], s[26:27], 3
	s_add_u32 s4, s6, s4
	s_addc_u32 s5, s7, s5
	s_load_dwordx2 s[4:5], s[4:5], 0x0
	s_lshl_b64 s[6:7], s[8:9], 2
	s_waitcnt lgkmcnt(0)
	s_add_u32 s16, s4, s6
	s_addc_u32 s17, s5, s7
.LBB36_4:
	s_load_dwordx4 s[4:7], s[0:1], 0x60
	s_waitcnt lgkmcnt(0)
	v_cmp_eq_f32_e64 s[14:15], s28, 0
	v_cmp_neq_f32_e64 s[8:9], s28, 0
	s_and_b64 vcc, exec, s[14:15]
	s_cbranch_vccnz .LBB36_6
; %bb.5:
	s_lshl_b64 s[14:15], s[26:27], 3
	s_add_u32 s12, s12, s14
	s_addc_u32 s13, s13, s15
	s_load_dwordx2 s[12:13], s[12:13], 0x0
	s_lshl_b64 s[4:5], s[4:5], 2
	s_waitcnt lgkmcnt(0)
	s_add_u32 s24, s12, s4
	s_addc_u32 s25, s13, s5
	s_branch .LBB36_7
.LBB36_6:
	s_mov_b64 s[24:25], 0
.LBB36_7:
	s_load_dwordx4 s[20:23], s[0:1], 0x0
	s_load_dword s3, s[0:1], 0x20
	s_lshl_b64 s[4:5], s[26:27], 3
	s_add_u32 s4, s6, s4
	s_addc_u32 s5, s7, s5
	s_waitcnt lgkmcnt(0)
	s_add_i32 s6, s20, -1
	s_ashr_i32 s7, s6, 31
	s_lshr_b32 s7, s7, 26
	s_add_i32 s6, s6, s7
	s_ashr_i32 s6, s6, 6
	s_add_i32 s7, s6, 1
	v_cvt_f32_u32_e32 v1, s7
	s_load_dwordx2 s[12:13], s[4:5], 0x0
	s_not_b32 s4, s6
	v_and_b32_e32 v200, 0x3ff, v0
	v_rcp_iflag_f32_e32 v1, v1
	v_bfe_u32 v201, v0, 10, 10
	v_lshl_add_u32 v0, v201, 3, v200
	v_lshrrev_b32_e32 v4, 2, v0
	v_mul_f32_e32 v1, 0x4f7ffffe, v1
	v_cvt_u32_f32_e32 v1, v1
	v_and_b32_e32 v202, 3, v200
	v_mov_b32_e32 v9, 0
	v_lshlrev_b32_e32 v0, 2, v202
	v_readfirstlane_b32 s5, v1
	s_mul_i32 s4, s4, s5
	s_mul_hi_u32 s4, s5, s4
	s_add_i32 s5, s5, s4
	s_mul_hi_u32 s4, s2, s5
	s_mul_i32 s5, s4, s7
	s_sub_i32 s5, s2, s5
	s_add_i32 s6, s4, 1
	s_sub_i32 s14, s5, s7
	s_cmp_ge_u32 s5, s7
	s_cselect_b32 s4, s6, s4
	s_cselect_b32 s5, s14, s5
	s_add_i32 s6, s4, 1
	s_cmp_ge_u32 s5, s7
	s_cselect_b32 s6, s6, s4
	s_mul_i32 s33, s6, s7
	s_sub_i32 s4, s2, s33
	s_lshl_b32 s30, s4, 6
	v_add_u32_e32 v7, s30, v4
	v_cmp_gt_i32_e64 s[4:5], s22, v202
	v_cmp_gt_i32_e32 vcc, s20, v7
	s_and_b64 s[4:5], s[4:5], vcc
	s_and_b64 s[14:15], s[10:11], s[4:5]
	v_mov_b32_e32 v10, 0
	s_and_saveexec_b64 s[4:5], s[14:15]
	s_cbranch_execz .LBB36_9
; %bb.8:
	v_mad_i64_i32 v[2:3], s[14:15], v7, s3, 0
	v_lshl_add_u64 v[2:3], v[2:3], 2, s[18:19]
	v_mov_b32_e32 v1, 0
	v_lshl_add_u64 v[2:3], v[2:3], 0, v[0:1]
	flat_load_dword v1, v[2:3]
	s_waitcnt vmcnt(0) lgkmcnt(0)
	v_mul_f32_e32 v10, s29, v1
.LBB36_9:
	s_or_b64 exec, exec, s[4:5]
	s_lshl_b32 s31, s6, 7
	s_load_dword s34, s[0:1], 0x38
	v_add_u32_e32 v5, s31, v4
	s_add_i32 s23, s22, -1
	v_cmp_le_i32_e64 s[6:7], s21, v5
	s_xor_b64 s[26:27], s[10:11], -1
	v_cmp_le_i32_e64 s[4:5], s22, v202
	v_min_i32_e32 v2, s23, v202
	s_or_b64 s[14:15], s[6:7], s[26:27]
	v_ashrrev_i32_e32 v3, 31, v2
	s_or_b64 s[6:7], s[4:5], s[14:15]
	v_lshl_add_u64 v[2:3], v[2:3], 2, s[16:17]
	s_xor_b64 s[36:37], s[6:7], -1
	s_and_saveexec_b64 s[6:7], s[36:37]
	s_cbranch_execz .LBB36_11
; %bb.10:
	s_waitcnt lgkmcnt(0)
	v_mad_i64_i32 v[8:9], s[36:37], v5, s34, 0
	v_lshl_add_u64 v[8:9], v[8:9], 2, v[2:3]
	flat_load_dword v1, v[8:9]
	s_waitcnt vmcnt(0) lgkmcnt(0)
	v_mul_f32_e32 v9, s29, v1
.LBB36_11:
	s_or_b64 exec, exec, s[6:7]
	v_add_u32_e32 v6, 64, v5
	v_cmp_le_i32_e64 s[6:7], s21, v6
	s_or_b64 s[6:7], s[6:7], s[26:27]
	s_or_b64 s[4:5], s[4:5], s[6:7]
	s_xor_b64 s[26:27], s[4:5], -1
	v_mov_b32_e32 v1, 0
	v_mov_b32_e32 v11, 0
	s_and_saveexec_b64 s[4:5], s[26:27]
	s_cbranch_execz .LBB36_13
; %bb.12:
	s_waitcnt lgkmcnt(0)
	v_mad_i64_i32 v[12:13], s[26:27], v6, s34, 0
	v_lshl_add_u64 v[2:3], v[12:13], 2, v[2:3]
	flat_load_dword v2, v[2:3]
	s_waitcnt vmcnt(0) lgkmcnt(0)
	v_mul_f32_e32 v11, s29, v2
.LBB36_13:
	s_or_b64 exec, exec, s[4:5]
	v_or_b32_e32 v2, 4, v202
	v_cmp_gt_i32_e64 s[4:5], s22, v2
	s_and_b64 s[4:5], s[4:5], vcc
	s_and_b64 s[26:27], s[10:11], s[4:5]
	s_and_saveexec_b64 s[4:5], s[26:27]
	s_cbranch_execz .LBB36_15
; %bb.14:
	v_mad_i64_i32 v[12:13], s[26:27], v7, s3, 0
	v_lshl_add_u64 v[12:13], v[12:13], 2, s[18:19]
	v_mov_b32_e32 v1, 0
	v_lshl_add_u64 v[12:13], v[12:13], 0, v[0:1]
	flat_load_dword v1, v[12:13] offset:16
	s_waitcnt vmcnt(0) lgkmcnt(0)
	v_mul_f32_e32 v1, s29, v1
.LBB36_15:
	s_or_b64 exec, exec, s[4:5]
	v_cmp_le_i32_e64 s[4:5], s22, v2
	v_min_i32_e32 v2, s23, v2
	v_ashrrev_i32_e32 v3, 31, v2
	s_or_b64 s[26:27], s[4:5], s[14:15]
	v_lshl_add_u64 v[2:3], v[2:3], 2, s[16:17]
	s_xor_b64 s[36:37], s[26:27], -1
	v_mov_b32_e32 v7, 0
	v_mov_b32_e32 v8, 0
	s_and_saveexec_b64 s[26:27], s[36:37]
	s_cbranch_execz .LBB36_17
; %bb.16:
	s_waitcnt lgkmcnt(0)
	v_mad_i64_i32 v[12:13], s[36:37], v5, s34, 0
	v_lshl_add_u64 v[12:13], v[12:13], 2, v[2:3]
	flat_load_dword v8, v[12:13]
	s_waitcnt vmcnt(0) lgkmcnt(0)
	v_mul_f32_e32 v8, s29, v8
.LBB36_17:
	s_or_b64 exec, exec, s[26:27]
	s_or_b64 s[4:5], s[4:5], s[6:7]
	s_xor_b64 s[26:27], s[4:5], -1
	s_and_saveexec_b64 s[4:5], s[26:27]
	s_cbranch_execz .LBB36_19
; %bb.18:
	s_waitcnt lgkmcnt(0)
	v_mad_i64_i32 v[12:13], s[26:27], v6, s34, 0
	v_lshl_add_u64 v[2:3], v[12:13], 2, v[2:3]
	flat_load_dword v2, v[2:3]
	s_waitcnt vmcnt(0) lgkmcnt(0)
	v_mul_f32_e32 v7, s29, v2
.LBB36_19:
	s_or_b64 exec, exec, s[4:5]
	v_lshl_or_b32 v205, v4, 4, v0
	v_lshlrev_b32_e32 v204, 4, v201
	ds_write_b32 v205, v10 offset:4096
	ds_write2st64_b32 v205, v9, v11 offset1:4
	s_waitcnt lgkmcnt(0)
	s_barrier
	ds_read_b128 v[10:13], v204
	v_lshlrev_b32_e32 v203, 4, v200
	ds_read_b128 v[14:17], v203 offset:4992
	ds_read_b128 v[18:21], v204 offset:512
	ds_read_b128 v[22:25], v203 offset:4864
	ds_read_b128 v[26:29], v204 offset:1536
	ds_read_b128 v[30:33], v204 offset:1024
	s_waitcnt lgkmcnt(5)
	v_max_f32_e32 v9, v11, v11
	v_max_f32_e32 v56, v10, v10
	;; [unrolled: 1-line block ×4, first 2 shown]
	ds_read_b128 v[10:13], v203 offset:4352
	s_waitcnt lgkmcnt(5)
	v_max_f32_e32 v60, v15, v15
	v_max_f32_e32 v61, v14, v14
	s_waitcnt lgkmcnt(4)
	v_max_f32_e32 v58, v19, v19
	v_max_f32_e32 v59, v18, v18
	;; [unrolled: 1-line block ×4, first 2 shown]
	ds_read_b128 v[14:17], v203 offset:4480
	v_max_f32_e32 v122, v21, v21
	v_max_f32_e32 v123, v20, v20
	s_waitcnt lgkmcnt(2)
	v_max_f32_e32 v124, v33, v33
	v_max_f32_e32 v125, v32, v32
	s_waitcnt lgkmcnt(1)
	v_max_f32_e32 v32, v10, v10
	v_max_f32_e32 v33, v11, v11
	;; [unrolled: 1-line block ×3, first 2 shown]
	ds_read_b128 v[18:21], v203 offset:4608
	v_max_f32_e32 v73, v13, v13
	ds_read_b128 v[10:13], v203 offset:4736
	ds_read_b128 v[34:37], v203 offset:4096
	;; [unrolled: 1-line block ×3, first 2 shown]
	v_max_f32_e32 v62, v31, v31
	v_max_f32_e32 v63, v30, v30
	;; [unrolled: 1-line block ×4, first 2 shown]
	s_waitcnt lgkmcnt(2)
	v_max_f32_e32 v54, v10, v10
	v_max_f32_e32 v55, v11, v11
	s_waitcnt lgkmcnt(1)
	v_max_f32_e32 v30, v34, v34
	v_max_f32_e32 v31, v35, v35
	;; [unrolled: 3-line block ×3, first 2 shown]
	v_max_f32_e32 v38, v14, v14
	v_max_f32_e32 v39, v15, v15
	;; [unrolled: 1-line block ×6, first 2 shown]
	v_min_f32_e32 v48, v54, v56
	v_min_f32_e32 v49, v55, v9
	;; [unrolled: 1-line block ×10, first 2 shown]
	v_max_f32_e32 v127, v28, v28
	v_max_f32_e32 v70, v40, v40
	;; [unrolled: 1-line block ×8, first 2 shown]
	v_min_f32_e32 v2, v30, v56
	v_min_f32_e32 v10, v30, v59
	;; [unrolled: 1-line block ×33, first 2 shown]
	v_pk_add_f32 v[54:55], v[54:55], 0 op_sel_hi:[1,0]
	v_min_f32_e32 v61, v120, v112
	v_min_f32_e32 v60, v121, v113
	v_pk_add_f32 v[96:97], v[54:55], v[60:61]
	v_pk_add_f32 v[54:55], v[56:57], 0 op_sel_hi:[1,0]
	v_min_f32_e32 v57, v120, v122
	v_min_f32_e32 v56, v121, v123
	v_max_f32_e32 v68, v36, v36
	v_max_f32_e32 v69, v37, v37
	v_min_f32_e32 v3, v31, v9
	v_pk_add_f32 v[80:81], v[54:55], v[56:57]
	v_pk_add_f32 v[54:55], v[58:59], 0 op_sel_hi:[1,0]
	v_min_f32_e32 v57, v120, v124
	v_min_f32_e32 v56, v121, v125
	v_max_f32_e32 v126, v29, v29
	v_max_f32_e32 v71, v41, v41
	;; [unrolled: 1-line block ×4, first 2 shown]
	v_min_f32_e32 v13, v31, v62
	v_min_f32_e32 v15, v31, v64
	;; [unrolled: 1-line block ×17, first 2 shown]
	v_pk_add_f32 v[64:65], v[54:55], v[56:57]
	v_pk_add_f32 v[2:3], v[2:3], 0 op_sel_hi:[1,0]
	v_min_f32_e32 v54, v68, v113
	v_min_f32_e32 v55, v69, v112
	v_pk_add_f32 v[116:117], v[2:3], v[54:55]
	v_pk_add_f32 v[2:3], v[10:11], 0 op_sel_hi:[1,0]
	v_min_f32_e32 v10, v68, v123
	v_min_f32_e32 v11, v69, v122
	;; [unrolled: 4-line block ×3, first 2 shown]
	v_pk_add_f32 v[78:79], v[2:3], v[10:11]
	v_min_f32_e32 v3, v69, v126
	v_min_f32_e32 v2, v68, v127
	v_pk_add_f32 v[10:11], v[14:15], 0 op_sel_hi:[1,0]
	v_min_f32_e32 v100, v74, v63
	v_min_f32_e32 v101, v75, v62
	v_pk_add_f32 v[62:63], v[10:11], v[2:3]
	v_pk_add_f32 v[2:3], v[16:17], 0 op_sel_hi:[1,0]
	v_min_f32_e32 v10, v70, v113
	v_min_f32_e32 v11, v71, v112
	v_pk_add_f32 v[114:115], v[2:3], v[10:11]
	;; [unrolled: 4-line block ×4, first 2 shown]
	v_min_f32_e32 v3, v71, v126
	v_min_f32_e32 v2, v70, v127
	v_pk_add_f32 v[10:11], v[22:23], 0 op_sel_hi:[1,0]
	v_min_f32_e32 v83, v75, v9
	v_pk_add_f32 v[60:61], v[10:11], v[2:3]
	v_pk_add_f32 v[2:3], v[24:25], 0 op_sel_hi:[1,0]
	v_min_f32_e32 v10, v72, v113
	v_min_f32_e32 v11, v73, v112
	v_pk_add_f32 v[104:105], v[2:3], v[10:11]
	v_pk_add_f32 v[2:3], v[26:27], 0 op_sel_hi:[1,0]
	v_min_f32_e32 v10, v72, v123
	;; [unrolled: 4-line block ×3, first 2 shown]
	v_min_f32_e32 v11, v73, v124
	v_pk_add_f32 v[74:75], v[2:3], v[10:11]
	v_min_f32_e32 v3, v73, v126
	v_min_f32_e32 v2, v72, v127
	v_pk_add_f32 v[10:11], v[30:31], 0 op_sel_hi:[1,0]
	s_cmp_lt_i32 s22, 9
	v_pk_add_f32 v[58:59], v[10:11], v[2:3]
	v_pk_add_f32 v[2:3], v[32:33], 0 op_sel_hi:[1,0]
	v_min_f32_e32 v10, v84, v113
	v_min_f32_e32 v11, v85, v112
	v_pk_add_f32 v[106:107], v[2:3], v[10:11]
	v_pk_add_f32 v[2:3], v[34:35], 0 op_sel_hi:[1,0]
	v_min_f32_e32 v10, v84, v123
	v_min_f32_e32 v11, v85, v122
	;; [unrolled: 4-line block ×3, first 2 shown]
	v_pk_add_f32 v[72:73], v[2:3], v[10:11]
	v_min_f32_e32 v3, v85, v126
	v_min_f32_e32 v2, v84, v127
	v_pk_add_f32 v[10:11], v[38:39], 0 op_sel_hi:[1,0]
	ds_write2st64_b32 v205, v8, v7 offset0:8 offset1:12
	ds_write_b32 v205, v1 offset:5120
	v_pk_add_f32 v[56:57], v[10:11], v[2:3]
	v_pk_add_f32 v[2:3], v[40:41], 0 op_sel_hi:[1,0]
	v_min_f32_e32 v10, v110, v113
	v_min_f32_e32 v11, v111, v112
	v_pk_add_f32 v[108:109], v[2:3], v[10:11]
	v_pk_add_f32 v[2:3], v[42:43], 0 op_sel_hi:[1,0]
	v_min_f32_e32 v10, v110, v123
	v_min_f32_e32 v11, v111, v122
	;; [unrolled: 4-line block ×3, first 2 shown]
	v_pk_add_f32 v[70:71], v[2:3], v[10:11]
	v_min_f32_e32 v3, v111, v126
	v_min_f32_e32 v2, v110, v127
	v_pk_add_f32 v[10:11], v[46:47], 0 op_sel_hi:[1,0]
	s_waitcnt lgkmcnt(0)
	v_pk_add_f32 v[54:55], v[10:11], v[2:3]
	v_pk_add_f32 v[2:3], v[48:49], 0 op_sel_hi:[1,0]
	v_min_f32_e32 v10, v128, v113
	v_min_f32_e32 v11, v129, v112
	v_pk_add_f32 v[110:111], v[2:3], v[10:11]
	v_pk_add_f32 v[2:3], v[50:51], 0 op_sel_hi:[1,0]
	v_min_f32_e32 v10, v128, v123
	v_min_f32_e32 v11, v129, v122
	;; [unrolled: 4-line block ×3, first 2 shown]
	v_pk_add_f32 v[68:69], v[2:3], v[10:11]
	v_min_f32_e32 v3, v129, v126
	v_min_f32_e32 v2, v128, v127
	v_pk_add_f32 v[10:11], v[66:67], 0 op_sel_hi:[1,0]
	s_barrier
	v_pk_add_f32 v[52:53], v[10:11], v[2:3]
	v_min_f32_e32 v2, v130, v113
	v_min_f32_e32 v3, v131, v112
	v_pk_add_f32 v[10:11], v[82:83], 0 op_sel_hi:[1,0]
	s_nop 0
	v_pk_add_f32 v[112:113], v[10:11], v[2:3]
	v_min_f32_e32 v2, v130, v123
	v_min_f32_e32 v3, v131, v122
	v_pk_add_f32 v[10:11], v[98:99], 0 op_sel_hi:[1,0]
	s_nop 0
	;; [unrolled: 5-line block ×5, first 2 shown]
	v_pk_add_f32 v[48:49], v[10:11], v[2:3]
	s_cbranch_scc1 .LBB36_34
; %bb.20:
	v_mov_b32_e32 v1, 0x1400
	v_lshl_add_u32 v210, v200, 4, v1
	v_mov_b32_e32 v1, 0x800
	v_lshl_add_u32 v211, v201, 4, v1
	v_lshl_add_u32 v1, s2, 6, v4
	s_lshl_b32 s2, s33, 6
	v_subrev_u32_e32 v1, s2, v1
	v_mad_i64_i32 v[2:3], s[2:3], s3, v1, 0
	v_mov_b32_e32 v1, 0
	v_lshl_add_u64 v[0:1], v[2:3], 2, v[0:1]
	v_lshl_add_u64 v[0:1], v[0:1], 0, s[18:19]
	v_add_u32_e32 v206, 0x1000, v205
	v_add_u32_e32 v207, 0x1000, v203
	;; [unrolled: 1-line block ×4, first 2 shown]
	s_add_i32 s26, s22, -8
	v_mad_i64_i32 v[98:99], s[4:5], v5, s34, 0
	v_mad_i64_i32 v[100:101], s[4:5], v6, s34, 0
	v_lshl_add_u64 v[102:103], v[0:1], 0, 48
	s_mov_b32 s18, 0
	s_branch .LBB36_22
.LBB36_21:                              ;   in Loop: Header=BB36_22 Depth=1
	s_or_b64 exec, exec, s[2:3]
	v_pk_add_f32 v[40:41], v[96:97], v[40:41]
	v_pk_add_f32 v[32:33], v[64:65], v[32:33]
	;; [unrolled: 1-line block ×21, first 2 shown]
	ds_read_b128 v[0:3], v204
	ds_read_b128 v[8:11], v204 offset:512
	v_pk_add_f32 v[20:21], v[116:117], v[6:7]
	ds_read_b128 v[4:7], v207 offset:896
	v_pk_add_f32 v[44:45], v[94:95], v[44:45]
	v_pk_add_f32 v[94:95], v[58:59], v[132:133]
	;; [unrolled: 1-line block ×18, first 2 shown]
	ds_read_b128 v[12:15], v207 offset:768
	s_waitcnt lgkmcnt(1)
	v_max_f32_e32 v93, v5, v5
	v_max_f32_e32 v95, v4, v4
	;; [unrolled: 1-line block ×4, first 2 shown]
	v_pk_add_f32 v[76:77], v[36:37], v[38:39]
	v_pk_add_f32 v[72:73], v[28:29], v[30:31]
	;; [unrolled: 1-line block ×6, first 2 shown]
	ds_read_b128 v[80:83], v204 offset:1536
	ds_read_b128 v[84:87], v204 offset:1024
	v_min_f32_e32 v5, v93, v96
	v_min_f32_e32 v4, v95, v97
	v_pk_add_f32 v[60:61], v[62:63], v[164:165]
	v_pk_add_f32 v[62:63], v[78:79], v[162:163]
	;; [unrolled: 1-line block ×3, first 2 shown]
	ds_read_b128 v[76:79], v207
	v_pk_add_f32 v[112:113], v[112:113], v[154:155]
	v_pk_add_f32 v[90:91], v[90:91], v[128:129]
	;; [unrolled: 1-line block ×5, first 2 shown]
	s_waitcnt lgkmcnt(1)
	v_max_f32_e32 v112, v85, v85
	v_max_f32_e32 v113, v84, v84
	v_pk_add_f32 v[106:107], v[108:109], v[142:143]
	v_pk_add_f32 v[108:109], v[54:55], v[144:145]
	;; [unrolled: 1-line block ×4, first 2 shown]
	ds_read_b128 v[88:91], v207 offset:128
	v_max_f32_e32 v92, v1, v1
	v_max_f32_e32 v94, v0, v0
	v_min_f32_e32 v9, v93, v112
	v_min_f32_e32 v8, v95, v113
	s_waitcnt lgkmcnt(1)
	v_max_f32_e32 v84, v76, v76
	v_max_f32_e32 v85, v77, v77
	v_pk_add_f32 v[8:9], v[74:75], v[8:9]
	v_min_f32_e32 v74, v84, v94
	v_min_f32_e32 v75, v85, v92
	v_pk_add_f32 v[74:75], v[68:69], v[74:75]
	v_min_f32_e32 v68, v84, v97
	v_min_f32_e32 v69, v85, v96
	;; [unrolled: 3-line block ×3, first 2 shown]
	v_max_f32_e32 v81, v81, v81
	v_max_f32_e32 v80, v80, v80
	v_pk_add_f32 v[72:73], v[72:73], v[68:69]
	v_min_f32_e32 v69, v85, v81
	v_min_f32_e32 v68, v84, v80
	v_pk_add_f32 v[84:85], v[66:67], v[68:69]
	s_waitcnt lgkmcnt(0)
	v_max_f32_e32 v68, v88, v88
	v_max_f32_e32 v69, v89, v89
	v_min_f32_e32 v66, v68, v94
	v_min_f32_e32 v67, v69, v92
	v_pk_add_f32 v[60:61], v[60:61], v[66:67]
	v_min_f32_e32 v66, v68, v97
	v_min_f32_e32 v67, v69, v96
	v_pk_add_f32 v[88:89], v[62:63], v[66:67]
	;; [unrolled: 3-line block ×3, first 2 shown]
	v_pk_add_f32 v[104:105], v[64:65], v[62:63]
	ds_read_b128 v[64:67], v207 offset:256
	v_min_f32_e32 v63, v69, v81
	v_min_f32_e32 v62, v68, v80
	ds_read_b128 v[68:71], v207 offset:384
	v_pk_add_f32 v[58:59], v[58:59], v[62:63]
	s_waitcnt lgkmcnt(1)
	v_max_f32_e32 v64, v64, v64
	v_max_f32_e32 v65, v65, v65
	v_min_f32_e32 v62, v64, v94
	v_min_f32_e32 v63, v65, v92
	v_pk_add_f32 v[52:53], v[52:53], v[62:63]
	v_min_f32_e32 v62, v64, v97
	v_min_f32_e32 v63, v65, v96
	v_pk_add_f32 v[54:55], v[54:55], v[62:63]
	;; [unrolled: 3-line block ×4, first 2 shown]
	v_pk_add_f32 v[106:107], v[50:51], v[62:63]
	s_waitcnt lgkmcnt(0)
	v_max_f32_e32 v62, v68, v68
	v_max_f32_e32 v63, v69, v69
	v_min_f32_e32 v50, v62, v94
	v_min_f32_e32 v51, v63, v92
	v_pk_add_f32 v[68:69], v[44:45], v[50:51]
	v_min_f32_e32 v44, v62, v97
	v_min_f32_e32 v45, v63, v96
	v_pk_add_f32 v[110:111], v[110:111], v[148:149]
	v_pk_add_f32 v[34:35], v[108:109], v[184:185]
	;; [unrolled: 1-line block ×3, first 2 shown]
	v_min_f32_e32 v44, v62, v113
	v_min_f32_e32 v45, v63, v112
	v_pk_add_f32 v[28:29], v[110:111], v[192:193]
	v_pk_add_f32 v[110:111], v[48:49], v[44:45]
	ds_read_b128 v[44:47], v207 offset:512
	v_min_f32_e32 v49, v63, v81
	v_min_f32_e32 v48, v62, v80
	v_pk_add_f32 v[42:43], v[42:43], v[48:49]
	ds_read_b128 v[48:51], v207 offset:640
	s_waitcnt lgkmcnt(1)
	v_max_f32_e32 v62, v44, v44
	v_max_f32_e32 v63, v45, v45
	v_min_f32_e32 v44, v62, v94
	v_min_f32_e32 v45, v63, v92
	v_pk_add_f32 v[36:37], v[36:37], v[44:45]
	v_min_f32_e32 v44, v62, v97
	v_min_f32_e32 v45, v63, v96
	v_pk_add_f32 v[38:39], v[38:39], v[44:45]
	;; [unrolled: 3-line block ×3, first 2 shown]
	v_min_f32_e32 v45, v63, v81
	v_min_f32_e32 v44, v62, v80
	s_waitcnt lgkmcnt(0)
	v_max_f32_e32 v48, v48, v48
	v_max_f32_e32 v49, v49, v49
	v_pk_add_f32 v[34:35], v[34:35], v[44:45]
	v_min_f32_e32 v44, v48, v94
	v_min_f32_e32 v45, v49, v92
	v_pk_add_f32 v[28:29], v[28:29], v[44:45]
	v_min_f32_e32 v44, v48, v97
	v_min_f32_e32 v45, v49, v96
	;; [unrolled: 3-line block ×3, first 2 shown]
	v_pk_add_f32 v[26:27], v[114:115], v[194:195]
	v_pk_add_f32 v[32:33], v[32:33], v[44:45]
	v_min_f32_e32 v45, v49, v81
	v_min_f32_e32 v44, v48, v80
	v_pk_add_f32 v[26:27], v[26:27], v[44:45]
	v_max_f32_e32 v44, v12, v12
	v_max_f32_e32 v45, v13, v13
	v_min_f32_e32 v12, v44, v94
	v_min_f32_e32 v13, v45, v92
	v_pk_add_f32 v[12:13], v[24:25], v[12:13]
	v_min_f32_e32 v24, v44, v97
	v_min_f32_e32 v25, v45, v96
	v_pk_add_f32 v[22:23], v[22:23], v[24:25]
	;; [unrolled: 3-line block ×4, first 2 shown]
	v_pk_add_f32 v[20:21], v[20:21], v[24:25]
	v_min_f32_e32 v25, v93, v81
	v_min_f32_e32 v24, v95, v80
	;; [unrolled: 1-line block ×4, first 2 shown]
	v_pk_add_f32 v[16:17], v[16:17], v[24:25]
	v_max_f32_e32 v24, v3, v3
	v_max_f32_e32 v7, v7, v7
	;; [unrolled: 1-line block ×4, first 2 shown]
	v_pk_add_f32 v[0:1], v[120:121], v[0:1]
	v_min_f32_e32 v3, v7, v24
	v_min_f32_e32 v2, v6, v25
	v_pk_add_f32 v[96:97], v[0:1], v[2:3]
	v_max_f32_e32 v2, v11, v11
	v_max_f32_e32 v3, v10, v10
	v_min_f32_e32 v1, v7, v2
	v_min_f32_e32 v0, v6, v3
	v_pk_add_f32 v[80:81], v[4:5], v[0:1]
	v_max_f32_e32 v4, v87, v87
	v_max_f32_e32 v5, v86, v86
	;; [unrolled: 5-line block ×3, first 2 shown]
	v_min_f32_e32 v0, v8, v25
	v_min_f32_e32 v1, v9, v24
	v_pk_add_f32 v[116:117], v[74:75], v[0:1]
	v_min_f32_e32 v0, v8, v3
	v_min_f32_e32 v1, v9, v2
	v_pk_add_f32 v[94:95], v[76:77], v[0:1]
	v_min_f32_e32 v0, v8, v5
	v_min_f32_e32 v1, v9, v4
	v_max_f32_e32 v10, v83, v83
	v_pk_add_f32 v[78:79], v[72:73], v[0:1]
	v_min_f32_e32 v1, v9, v10
	v_max_f32_e32 v9, v82, v82
	v_min_f32_e32 v0, v8, v9
	v_max_f32_e32 v8, v90, v90
	v_max_f32_e32 v11, v91, v91
	v_pk_add_f32 v[62:63], v[84:85], v[0:1]
	v_min_f32_e32 v0, v8, v25
	v_min_f32_e32 v1, v11, v24
	v_pk_add_f32 v[114:115], v[60:61], v[0:1]
	v_min_f32_e32 v0, v8, v3
	v_min_f32_e32 v1, v11, v2
	v_pk_add_f32 v[92:93], v[88:89], v[0:1]
	v_min_f32_e32 v0, v8, v5
	v_min_f32_e32 v1, v11, v4
	v_pk_add_f32 v[76:77], v[104:105], v[0:1]
	v_min_f32_e32 v1, v11, v10
	v_min_f32_e32 v0, v8, v9
	v_max_f32_e32 v8, v66, v66
	v_max_f32_e32 v11, v67, v67
	v_pk_add_f32 v[60:61], v[58:59], v[0:1]
	v_min_f32_e32 v0, v8, v25
	v_min_f32_e32 v1, v11, v24
	v_pk_add_f32 v[104:105], v[52:53], v[0:1]
	v_min_f32_e32 v0, v8, v3
	v_min_f32_e32 v1, v11, v2
	v_pk_add_f32 v[90:91], v[54:55], v[0:1]
	v_min_f32_e32 v0, v8, v5
	v_min_f32_e32 v1, v11, v4
	v_pk_add_f32 v[74:75], v[56:57], v[0:1]
	v_min_f32_e32 v1, v11, v10
	;; [unrolled: 14-line block ×6, first 2 shown]
	v_min_f32_e32 v0, v8, v9
	v_pk_add_f32 v[50:51], v[20:21], v[0:1]
	v_min_f32_e32 v1, v7, v10
	v_min_f32_e32 v0, v6, v9
	s_add_i32 s18, s18, 8
	v_pk_add_f32 v[48:49], v[16:17], v[0:1]
	s_cmp_ge_i32 s18, s26
	v_lshl_add_u64 v[102:103], v[102:103], 0, 32
	ds_write_b32 v208, v213
	ds_write2st64_b32 v209, v212, v214 offset1:4
	s_waitcnt lgkmcnt(0)
	s_barrier
	s_cbranch_scc1 .LBB36_34
.LBB36_22:                              ; =>This Inner Loop Header: Depth=1
	v_add_u32_e32 v118, s18, v202
	v_add_u32_e32 v0, 8, v118
	v_cmp_gt_i32_e64 s[2:3], s22, v0
	s_and_b64 s[2:3], s[2:3], vcc
	s_and_b64 s[2:3], s[10:11], s[2:3]
	v_mov_b32_e32 v119, 0
	s_and_saveexec_b64 s[4:5], s[2:3]
	s_cbranch_execz .LBB36_24
; %bb.23:                               ;   in Loop: Header=BB36_22 Depth=1
	v_add_co_u32_e64 v2, s[2:3], -16, v102
	s_nop 1
	v_addc_co_u32_e64 v3, s[2:3], -1, v103, s[2:3]
	flat_load_dword v1, v[2:3]
	s_waitcnt vmcnt(0) lgkmcnt(0)
	v_mul_f32_e32 v119, s29, v1
.LBB36_24:                              ;   in Loop: Header=BB36_22 Depth=1
	s_or_b64 exec, exec, s[4:5]
	v_cmp_le_i32_e64 s[2:3], s22, v0
	v_min_i32_e32 v0, s23, v0
	v_ashrrev_i32_e32 v1, 31, v0
	s_or_b64 s[4:5], s[14:15], s[2:3]
	v_lshl_add_u64 v[0:1], v[0:1], 2, s[16:17]
	s_xor_b64 s[34:35], s[4:5], -1
	v_mov_b32_e32 v120, 0
	v_mov_b32_e32 v121, 0
	s_and_saveexec_b64 s[4:5], s[34:35]
	s_cbranch_execz .LBB36_26
; %bb.25:                               ;   in Loop: Header=BB36_22 Depth=1
	v_lshl_add_u64 v[2:3], v[98:99], 2, v[0:1]
	flat_load_dword v2, v[2:3]
	s_waitcnt vmcnt(0) lgkmcnt(0)
	v_mul_f32_e32 v121, s29, v2
.LBB36_26:                              ;   in Loop: Header=BB36_22 Depth=1
	s_or_b64 exec, exec, s[4:5]
	s_or_b64 s[2:3], s[6:7], s[2:3]
	s_xor_b64 s[4:5], s[2:3], -1
	s_and_saveexec_b64 s[2:3], s[4:5]
	s_cbranch_execz .LBB36_28
; %bb.27:                               ;   in Loop: Header=BB36_22 Depth=1
	v_lshl_add_u64 v[0:1], v[100:101], 2, v[0:1]
	flat_load_dword v0, v[0:1]
	s_waitcnt vmcnt(0) lgkmcnt(0)
	v_mul_f32_e32 v120, s29, v0
.LBB36_28:                              ;   in Loop: Header=BB36_22 Depth=1
	s_or_b64 exec, exec, s[2:3]
	ds_read_b128 v[40:43], v211
	ds_read_b128 v[36:39], v211 offset:512
	ds_read_b128 v[24:27], v211 offset:1536
	ds_read_b128 v[32:35], v211 offset:1024
	ds_read_b128 v[28:31], v210
	ds_read_b128 v[20:23], v210 offset:128
	ds_read_b128 v[16:19], v210 offset:256
	;; [unrolled: 1-line block ×7, first 2 shown]
	v_add_u32_e32 v118, 12, v118
	v_cmp_gt_i32_e64 s[2:3], s22, v118
	s_and_b64 s[2:3], s[2:3], vcc
	s_and_b64 s[4:5], s[10:11], s[2:3]
	v_mov_b32_e32 v212, 0
	v_mov_b32_e32 v213, 0
	ds_write_b32 v206, v119
	ds_write2st64_b32 v205, v121, v120 offset1:4
	s_waitcnt lgkmcnt(0)
	s_barrier
	s_and_saveexec_b64 s[2:3], s[4:5]
	s_cbranch_execz .LBB36_30
; %bb.29:                               ;   in Loop: Header=BB36_22 Depth=1
	flat_load_dword v119, v[102:103]
	s_waitcnt vmcnt(0) lgkmcnt(0)
	v_mul_f32_e32 v213, s29, v119
.LBB36_30:                              ;   in Loop: Header=BB36_22 Depth=1
	s_or_b64 exec, exec, s[2:3]
	v_cmp_le_i32_e64 s[2:3], s22, v118
	v_min_i32_e32 v118, s23, v118
	v_ashrrev_i32_e32 v119, 31, v118
	s_or_b64 s[4:5], s[14:15], s[2:3]
	v_lshl_add_u64 v[118:119], v[118:119], 2, s[16:17]
	s_xor_b64 s[34:35], s[4:5], -1
	s_and_saveexec_b64 s[4:5], s[34:35]
	s_cbranch_execz .LBB36_32
; %bb.31:                               ;   in Loop: Header=BB36_22 Depth=1
	v_lshl_add_u64 v[120:121], v[98:99], 2, v[118:119]
	flat_load_dword v120, v[120:121]
	s_waitcnt vmcnt(0) lgkmcnt(0)
	v_mul_f32_e32 v212, s29, v120
.LBB36_32:                              ;   in Loop: Header=BB36_22 Depth=1
	s_or_b64 exec, exec, s[4:5]
	v_max_f32_e32 v152, v41, v41
	v_max_f32_e32 v158, v45, v45
	;; [unrolled: 1-line block ×34, first 2 shown]
	v_min_f32_e32 v41, v158, v152
	v_min_f32_e32 v40, v160, v153
	;; [unrolled: 1-line block ×62, first 2 shown]
	v_max_f32_e32 v189, v47, v47
	v_max_f32_e32 v214, v46, v46
	;; [unrolled: 1-line block ×12, first 2 shown]
	v_min_f32_e32 v192, v6, v196
	v_min_f32_e32 v193, v7, v188
	;; [unrolled: 1-line block ×8, first 2 shown]
	v_max_f32_e32 v6, v2, v2
	v_max_f32_e32 v7, v3, v3
	s_or_b64 s[2:3], s[6:7], s[2:3]
	v_min_f32_e32 v32, v160, v161
	v_min_f32_e32 v0, v164, v161
	;; [unrolled: 1-line block ×58, first 2 shown]
	s_xor_b64 s[4:5], s[2:3], -1
	v_mov_b32_e32 v214, 0
	s_and_saveexec_b64 s[2:3], s[4:5]
	s_cbranch_execz .LBB36_21
; %bb.33:                               ;   in Loop: Header=BB36_22 Depth=1
	v_lshl_add_u64 v[118:119], v[100:101], 2, v[118:119]
	flat_load_dword v118, v[118:119]
	s_waitcnt vmcnt(0) lgkmcnt(0)
	v_mul_f32_e32 v214, s29, v118
	s_branch .LBB36_21
.LBB36_34:
	s_load_dwordx2 s[2:3], s[0:1], 0x78
	s_load_dword s33, s[0:1], 0x58
	s_load_dword s29, s[0:1], 0x70
	ds_read_b128 v[44:47], v204 offset:2048
	ds_read_b128 v[40:43], v204 offset:2560
	;; [unrolled: 1-line block ×12, first 2 shown]
	s_waitcnt lgkmcnt(0)
	s_lshl_b64 s[0:1], s[2:3], 2
	s_add_u32 s22, s12, s0
	v_add_u32_e32 v122, s31, v201
	s_addc_u32 s23, s13, s1
	v_mad_i64_i32 v[100:101], s[0:1], v122, s33, 0
	v_add_u32_e32 v98, s30, v200
	v_lshl_add_u64 v[120:121], v[100:101], 2, s[24:25]
	v_mad_i64_i32 v[100:101], s[0:1], v122, s29, 0
	v_cmp_gt_i32_e64 s[18:19], s21, v122
	v_lshl_add_u64 v[118:119], v[100:101], 2, s[22:23]
	v_cmp_gt_i32_e64 s[2:3], s20, v98
	v_cndmask_b32_e64 v100, 0, 1, s[8:9]
	s_and_b64 s[6:7], s[2:3], s[18:19]
	v_ashrrev_i32_e32 v99, 31, v98
	v_cmp_ne_u32_e64 s[0:1], 1, v100
	s_and_saveexec_b64 s[4:5], s[6:7]
	s_cbranch_execz .LBB36_39
; %bb.35:
	s_and_b64 vcc, exec, s[0:1]
	s_cbranch_vccnz .LBB36_37
; %bb.36:
	v_lshl_add_u64 v[100:101], v[98:99], 2, v[120:121]
	flat_load_dword v100, v[100:101]
	s_waitcnt vmcnt(0) lgkmcnt(0)
	v_mul_f32_e32 v100, s28, v100
	s_branch .LBB36_38
.LBB36_37:
	v_mov_b32_e32 v100, 0
.LBB36_38:
	v_max_f32_e32 v101, v44, v44
	v_max_f32_e32 v102, v32, v32
	v_min_f32_e32 v102, v102, v101
	v_max_f32_e32 v101, v45, v45
	v_max_f32_e32 v103, v33, v33
	v_min_f32_e32 v103, v103, v101
	v_pk_add_f32 v[102:103], v[116:117], v[102:103]
	v_max_f32_e32 v101, v46, v46
	v_max_f32_e32 v116, v34, v34
	v_min_f32_e32 v116, v116, v101
	v_max_f32_e32 v101, v47, v47
	v_max_f32_e32 v117, v35, v35
	v_min_f32_e32 v117, v117, v101
	v_pk_add_f32 v[102:103], v[102:103], v[116:117]
	s_nop 0
	v_add_f32_e32 v101, v102, v103
	v_add_f32_e32 v102, v101, v100
	v_lshl_add_u64 v[100:101], v[98:99], 2, v[118:119]
	global_store_dword v[100:101], v102, off
.LBB36_39:
	s_or_b64 exec, exec, s[4:5]
	v_add_u32_e32 v100, 8, v98
	v_cmp_gt_i32_e64 s[4:5], s20, v100
	s_and_b64 s[8:9], s[4:5], s[18:19]
	v_ashrrev_i32_e32 v101, 31, v100
	s_and_saveexec_b64 s[6:7], s[8:9]
	s_cbranch_execz .LBB36_44
; %bb.40:
	s_and_b64 vcc, exec, s[0:1]
	s_cbranch_vccnz .LBB36_42
; %bb.41:
	v_lshl_add_u64 v[102:103], v[100:101], 2, v[120:121]
	flat_load_dword v102, v[102:103]
	s_waitcnt vmcnt(0) lgkmcnt(0)
	v_mul_f32_e32 v102, s28, v102
	s_branch .LBB36_43
.LBB36_42:
	v_mov_b32_e32 v102, 0
.LBB36_43:
	v_max_f32_e32 v103, v44, v44
	v_max_f32_e32 v116, v28, v28
	v_min_f32_e32 v116, v116, v103
	v_max_f32_e32 v103, v45, v45
	v_max_f32_e32 v117, v29, v29
	v_min_f32_e32 v117, v117, v103
	v_pk_add_f32 v[114:115], v[114:115], v[116:117]
	v_max_f32_e32 v103, v46, v46
	v_max_f32_e32 v116, v30, v30
	v_min_f32_e32 v116, v116, v103
	v_max_f32_e32 v103, v47, v47
	v_max_f32_e32 v117, v31, v31
	v_min_f32_e32 v117, v117, v103
	v_pk_add_f32 v[114:115], v[114:115], v[116:117]
	s_nop 0
	v_add_f32_e32 v103, v114, v115
	v_add_f32_e32 v114, v103, v102
	v_lshl_add_u64 v[102:103], v[100:101], 2, v[118:119]
	global_store_dword v[102:103], v114, off
.LBB36_44:
	s_or_b64 exec, exec, s[6:7]
	v_add_u32_e32 v102, 16, v98
	v_cmp_gt_i32_e64 s[6:7], s20, v102
	s_and_b64 s[10:11], s[6:7], s[18:19]
	v_ashrrev_i32_e32 v103, 31, v102
	;; [unrolled: 39-line block ×7, first 2 shown]
	s_and_saveexec_b64 s[18:19], s[26:27]
	s_cbranch_execz .LBB36_74
; %bb.70:
	s_and_b64 vcc, exec, s[0:1]
	s_cbranch_vccnz .LBB36_72
; %bb.71:
	v_lshl_add_u64 v[114:115], v[112:113], 2, v[120:121]
	flat_load_dword v114, v[114:115]
	s_waitcnt vmcnt(0) lgkmcnt(0)
	v_mul_f32_e32 v114, s28, v114
	s_branch .LBB36_73
.LBB36_72:
	v_mov_b32_e32 v114, 0
.LBB36_73:
	v_max_f32_e32 v45, v45, v45
	v_max_f32_e32 v115, v5, v5
	v_min_f32_e32 v45, v115, v45
	v_max_f32_e32 v44, v44, v44
	v_max_f32_e32 v115, v4, v4
	v_min_f32_e32 v44, v115, v44
	v_pk_add_f32 v[44:45], v[96:97], v[44:45]
	v_max_f32_e32 v47, v47, v47
	v_max_f32_e32 v96, v7, v7
	v_min_f32_e32 v47, v96, v47
	v_max_f32_e32 v46, v46, v46
	v_max_f32_e32 v96, v6, v6
	v_min_f32_e32 v46, v96, v46
	v_pk_add_f32 v[44:45], v[44:45], v[46:47]
	s_nop 0
	v_add_f32_e32 v44, v44, v45
	v_add_f32_e32 v46, v44, v114
	v_lshl_add_u64 v[44:45], v[112:113], 2, v[118:119]
	global_store_dword v[44:45], v46, off
.LBB36_74:
	s_or_b64 exec, exec, s[18:19]
	v_add_u32_e32 v96, 32, v122
	v_mad_i64_i32 v[44:45], s[26:27], v96, s33, 0
	v_cmp_gt_i32_e64 s[18:19], s21, v96
	v_lshl_add_u64 v[46:47], v[44:45], 2, s[24:25]
	v_mad_i64_i32 v[44:45], s[26:27], v96, s29, 0
	v_lshl_add_u64 v[44:45], v[44:45], 2, s[22:23]
	s_and_b64 s[30:31], s[2:3], s[18:19]
	s_and_saveexec_b64 s[26:27], s[30:31]
	s_cbranch_execnz .LBB36_82
; %bb.75:
	s_or_b64 exec, exec, s[26:27]
	s_and_b64 s[30:31], s[4:5], s[18:19]
	s_and_saveexec_b64 s[26:27], s[30:31]
	s_cbranch_execnz .LBB36_86
.LBB36_76:
	s_or_b64 exec, exec, s[26:27]
	s_and_b64 s[30:31], s[6:7], s[18:19]
	s_and_saveexec_b64 s[26:27], s[30:31]
	s_cbranch_execnz .LBB36_90
.LBB36_77:
	s_or_b64 exec, exec, s[26:27]
	s_and_b64 s[30:31], s[8:9], s[18:19]
	s_and_saveexec_b64 s[26:27], s[30:31]
	s_cbranch_execnz .LBB36_94
.LBB36_78:
	s_or_b64 exec, exec, s[26:27]
	s_and_b64 s[30:31], s[10:11], s[18:19]
	s_and_saveexec_b64 s[26:27], s[30:31]
	s_cbranch_execnz .LBB36_98
.LBB36_79:
	s_or_b64 exec, exec, s[26:27]
	s_and_b64 s[30:31], s[12:13], s[18:19]
	s_and_saveexec_b64 s[26:27], s[30:31]
	s_cbranch_execnz .LBB36_102
.LBB36_80:
	s_or_b64 exec, exec, s[26:27]
	s_and_b64 s[30:31], s[14:15], s[18:19]
	s_and_saveexec_b64 s[26:27], s[30:31]
	s_cbranch_execnz .LBB36_106
.LBB36_81:
	s_or_b64 exec, exec, s[26:27]
	s_and_b64 s[26:27], s[16:17], s[18:19]
	s_and_saveexec_b64 s[18:19], s[26:27]
	s_cbranch_execnz .LBB36_110
	s_branch .LBB36_114
.LBB36_82:
	s_and_b64 vcc, exec, s[0:1]
	s_cbranch_vccnz .LBB36_84
; %bb.83:
	v_lshl_add_u64 v[96:97], v[98:99], 2, v[46:47]
	flat_load_dword v96, v[96:97]
	s_waitcnt vmcnt(0) lgkmcnt(0)
	v_mul_f32_e32 v96, s28, v96
	s_branch .LBB36_85
.LBB36_84:
	v_mov_b32_e32 v96, 0
.LBB36_85:
	v_max_f32_e32 v97, v40, v40
	v_max_f32_e32 v114, v32, v32
	v_min_f32_e32 v114, v114, v97
	v_max_f32_e32 v97, v41, v41
	v_max_f32_e32 v115, v33, v33
	v_min_f32_e32 v115, v115, v97
	v_pk_add_f32 v[94:95], v[94:95], v[114:115]
	v_max_f32_e32 v97, v42, v42
	v_max_f32_e32 v114, v34, v34
	v_min_f32_e32 v114, v114, v97
	v_max_f32_e32 v97, v43, v43
	v_max_f32_e32 v115, v35, v35
	v_min_f32_e32 v115, v115, v97
	v_pk_add_f32 v[94:95], v[94:95], v[114:115]
	s_nop 0
	v_add_f32_e32 v94, v94, v95
	v_add_f32_e32 v96, v94, v96
	v_lshl_add_u64 v[94:95], v[98:99], 2, v[44:45]
	global_store_dword v[94:95], v96, off
	s_or_b64 exec, exec, s[26:27]
	s_and_b64 s[30:31], s[4:5], s[18:19]
	s_and_saveexec_b64 s[26:27], s[30:31]
	s_cbranch_execz .LBB36_76
.LBB36_86:
	s_and_b64 vcc, exec, s[0:1]
	s_cbranch_vccnz .LBB36_88
; %bb.87:
	v_lshl_add_u64 v[94:95], v[100:101], 2, v[46:47]
	flat_load_dword v94, v[94:95]
	s_waitcnt vmcnt(0) lgkmcnt(0)
	v_mul_f32_e32 v94, s28, v94
	s_branch .LBB36_89
.LBB36_88:
	v_mov_b32_e32 v94, 0
.LBB36_89:
	v_max_f32_e32 v95, v40, v40
	v_max_f32_e32 v96, v28, v28
	v_min_f32_e32 v96, v96, v95
	v_max_f32_e32 v95, v41, v41
	v_max_f32_e32 v97, v29, v29
	v_min_f32_e32 v97, v97, v95
	v_pk_add_f32 v[92:93], v[92:93], v[96:97]
	v_max_f32_e32 v95, v42, v42
	v_max_f32_e32 v96, v30, v30
	v_min_f32_e32 v96, v96, v95
	v_max_f32_e32 v95, v43, v43
	v_max_f32_e32 v97, v31, v31
	v_min_f32_e32 v97, v97, v95
	v_pk_add_f32 v[92:93], v[92:93], v[96:97]
	s_nop 0
	v_add_f32_e32 v92, v92, v93
	v_add_f32_e32 v94, v92, v94
	v_lshl_add_u64 v[92:93], v[100:101], 2, v[44:45]
	global_store_dword v[92:93], v94, off
	s_or_b64 exec, exec, s[26:27]
	s_and_b64 s[30:31], s[6:7], s[18:19]
	s_and_saveexec_b64 s[26:27], s[30:31]
	s_cbranch_execz .LBB36_77
.LBB36_90:
	s_and_b64 vcc, exec, s[0:1]
	s_cbranch_vccnz .LBB36_92
; %bb.91:
	v_lshl_add_u64 v[92:93], v[102:103], 2, v[46:47]
	flat_load_dword v92, v[92:93]
	s_waitcnt vmcnt(0) lgkmcnt(0)
	v_mul_f32_e32 v92, s28, v92
	s_branch .LBB36_93
.LBB36_92:
	v_mov_b32_e32 v92, 0
.LBB36_93:
	v_max_f32_e32 v93, v40, v40
	v_max_f32_e32 v94, v24, v24
	v_min_f32_e32 v94, v94, v93
	v_max_f32_e32 v93, v41, v41
	v_max_f32_e32 v95, v25, v25
	v_min_f32_e32 v95, v95, v93
	v_pk_add_f32 v[90:91], v[90:91], v[94:95]
	v_max_f32_e32 v93, v42, v42
	v_max_f32_e32 v94, v26, v26
	v_min_f32_e32 v94, v94, v93
	v_max_f32_e32 v93, v43, v43
	v_max_f32_e32 v95, v27, v27
	v_min_f32_e32 v95, v95, v93
	v_pk_add_f32 v[90:91], v[90:91], v[94:95]
	s_nop 0
	v_add_f32_e32 v90, v90, v91
	v_add_f32_e32 v92, v90, v92
	v_lshl_add_u64 v[90:91], v[102:103], 2, v[44:45]
	global_store_dword v[90:91], v92, off
	s_or_b64 exec, exec, s[26:27]
	s_and_b64 s[30:31], s[8:9], s[18:19]
	s_and_saveexec_b64 s[26:27], s[30:31]
	s_cbranch_execz .LBB36_78
.LBB36_94:
	s_and_b64 vcc, exec, s[0:1]
	s_cbranch_vccnz .LBB36_96
; %bb.95:
	v_lshl_add_u64 v[90:91], v[104:105], 2, v[46:47]
	flat_load_dword v90, v[90:91]
	s_waitcnt vmcnt(0) lgkmcnt(0)
	v_mul_f32_e32 v90, s28, v90
	s_branch .LBB36_97
.LBB36_96:
	v_mov_b32_e32 v90, 0
.LBB36_97:
	v_max_f32_e32 v91, v40, v40
	v_max_f32_e32 v92, v20, v20
	v_min_f32_e32 v92, v92, v91
	v_max_f32_e32 v91, v41, v41
	v_max_f32_e32 v93, v21, v21
	v_min_f32_e32 v93, v93, v91
	v_pk_add_f32 v[88:89], v[88:89], v[92:93]
	v_max_f32_e32 v91, v42, v42
	v_max_f32_e32 v92, v22, v22
	v_min_f32_e32 v92, v92, v91
	v_max_f32_e32 v91, v43, v43
	v_max_f32_e32 v93, v23, v23
	v_min_f32_e32 v93, v93, v91
	v_pk_add_f32 v[88:89], v[88:89], v[92:93]
	s_nop 0
	v_add_f32_e32 v88, v88, v89
	v_add_f32_e32 v90, v88, v90
	v_lshl_add_u64 v[88:89], v[104:105], 2, v[44:45]
	global_store_dword v[88:89], v90, off
	s_or_b64 exec, exec, s[26:27]
	s_and_b64 s[30:31], s[10:11], s[18:19]
	s_and_saveexec_b64 s[26:27], s[30:31]
	s_cbranch_execz .LBB36_79
.LBB36_98:
	s_and_b64 vcc, exec, s[0:1]
	s_cbranch_vccnz .LBB36_100
; %bb.99:
	v_lshl_add_u64 v[88:89], v[106:107], 2, v[46:47]
	flat_load_dword v88, v[88:89]
	s_waitcnt vmcnt(0) lgkmcnt(0)
	v_mul_f32_e32 v88, s28, v88
	s_branch .LBB36_101
.LBB36_100:
	v_mov_b32_e32 v88, 0
.LBB36_101:
	v_max_f32_e32 v89, v40, v40
	v_max_f32_e32 v90, v16, v16
	v_min_f32_e32 v90, v90, v89
	v_max_f32_e32 v89, v41, v41
	v_max_f32_e32 v91, v17, v17
	v_min_f32_e32 v91, v91, v89
	v_pk_add_f32 v[86:87], v[86:87], v[90:91]
	v_max_f32_e32 v89, v42, v42
	v_max_f32_e32 v90, v18, v18
	v_min_f32_e32 v90, v90, v89
	v_max_f32_e32 v89, v43, v43
	v_max_f32_e32 v91, v19, v19
	v_min_f32_e32 v91, v91, v89
	v_pk_add_f32 v[86:87], v[86:87], v[90:91]
	s_nop 0
	v_add_f32_e32 v86, v86, v87
	v_add_f32_e32 v88, v86, v88
	v_lshl_add_u64 v[86:87], v[106:107], 2, v[44:45]
	global_store_dword v[86:87], v88, off
	s_or_b64 exec, exec, s[26:27]
	s_and_b64 s[30:31], s[12:13], s[18:19]
	s_and_saveexec_b64 s[26:27], s[30:31]
	s_cbranch_execz .LBB36_80
.LBB36_102:
	s_and_b64 vcc, exec, s[0:1]
	s_cbranch_vccnz .LBB36_104
; %bb.103:
	v_lshl_add_u64 v[86:87], v[108:109], 2, v[46:47]
	flat_load_dword v86, v[86:87]
	s_waitcnt vmcnt(0) lgkmcnt(0)
	v_mul_f32_e32 v86, s28, v86
	s_branch .LBB36_105
.LBB36_104:
	v_mov_b32_e32 v86, 0
.LBB36_105:
	v_max_f32_e32 v87, v40, v40
	v_max_f32_e32 v88, v12, v12
	v_min_f32_e32 v88, v88, v87
	v_max_f32_e32 v87, v41, v41
	v_max_f32_e32 v89, v13, v13
	v_min_f32_e32 v89, v89, v87
	v_pk_add_f32 v[84:85], v[84:85], v[88:89]
	v_max_f32_e32 v87, v42, v42
	v_max_f32_e32 v88, v14, v14
	v_min_f32_e32 v88, v88, v87
	v_max_f32_e32 v87, v43, v43
	v_max_f32_e32 v89, v15, v15
	v_min_f32_e32 v89, v89, v87
	v_pk_add_f32 v[84:85], v[84:85], v[88:89]
	s_nop 0
	v_add_f32_e32 v84, v84, v85
	v_add_f32_e32 v86, v84, v86
	v_lshl_add_u64 v[84:85], v[108:109], 2, v[44:45]
	global_store_dword v[84:85], v86, off
	s_or_b64 exec, exec, s[26:27]
	s_and_b64 s[30:31], s[14:15], s[18:19]
	s_and_saveexec_b64 s[26:27], s[30:31]
	s_cbranch_execz .LBB36_81
.LBB36_106:
	s_and_b64 vcc, exec, s[0:1]
	s_cbranch_vccnz .LBB36_108
; %bb.107:
	v_lshl_add_u64 v[84:85], v[110:111], 2, v[46:47]
	flat_load_dword v84, v[84:85]
	s_waitcnt vmcnt(0) lgkmcnt(0)
	v_mul_f32_e32 v84, s28, v84
	s_branch .LBB36_109
.LBB36_108:
	v_mov_b32_e32 v84, 0
.LBB36_109:
	v_max_f32_e32 v85, v40, v40
	v_max_f32_e32 v86, v8, v8
	v_min_f32_e32 v86, v86, v85
	v_max_f32_e32 v85, v41, v41
	v_max_f32_e32 v87, v9, v9
	v_min_f32_e32 v87, v87, v85
	v_pk_add_f32 v[82:83], v[82:83], v[86:87]
	v_max_f32_e32 v85, v42, v42
	v_max_f32_e32 v86, v10, v10
	v_min_f32_e32 v86, v86, v85
	v_max_f32_e32 v85, v43, v43
	v_max_f32_e32 v87, v11, v11
	v_min_f32_e32 v87, v87, v85
	v_pk_add_f32 v[82:83], v[82:83], v[86:87]
	s_nop 0
	v_add_f32_e32 v82, v82, v83
	v_add_f32_e32 v84, v82, v84
	v_lshl_add_u64 v[82:83], v[110:111], 2, v[44:45]
	global_store_dword v[82:83], v84, off
	s_or_b64 exec, exec, s[26:27]
	s_and_b64 s[26:27], s[16:17], s[18:19]
	s_and_saveexec_b64 s[18:19], s[26:27]
	s_cbranch_execz .LBB36_114
.LBB36_110:
	s_and_b64 vcc, exec, s[0:1]
	s_cbranch_vccnz .LBB36_112
; %bb.111:
	v_lshl_add_u64 v[46:47], v[112:113], 2, v[46:47]
	flat_load_dword v46, v[46:47]
	s_waitcnt vmcnt(0) lgkmcnt(0)
	v_mul_f32_e32 v46, s28, v46
	s_branch .LBB36_113
.LBB36_112:
	v_mov_b32_e32 v46, 0
.LBB36_113:
	v_max_f32_e32 v41, v41, v41
	v_max_f32_e32 v47, v5, v5
	v_min_f32_e32 v41, v47, v41
	v_max_f32_e32 v40, v40, v40
	v_max_f32_e32 v47, v4, v4
	v_min_f32_e32 v40, v47, v40
	;; [unrolled: 3-line block ×3, first 2 shown]
	v_max_f32_e32 v42, v42, v42
	v_max_f32_e32 v47, v6, v6
	v_pk_add_f32 v[40:41], v[80:81], v[40:41]
	v_min_f32_e32 v42, v47, v42
	v_pk_add_f32 v[40:41], v[40:41], v[42:43]
	s_nop 0
	v_add_f32_e32 v40, v40, v41
	v_add_f32_e32 v42, v40, v46
	v_lshl_add_u64 v[40:41], v[112:113], 2, v[44:45]
	global_store_dword v[40:41], v42, off
.LBB36_114:
	s_or_b64 exec, exec, s[18:19]
	v_add_u32_e32 v44, 64, v122
	v_mad_i64_i32 v[40:41], s[26:27], v44, s33, 0
	v_cmp_gt_i32_e64 s[18:19], s21, v44
	v_lshl_add_u64 v[42:43], v[40:41], 2, s[24:25]
	v_mad_i64_i32 v[40:41], s[26:27], v44, s29, 0
	v_lshl_add_u64 v[40:41], v[40:41], 2, s[22:23]
	s_and_b64 s[30:31], s[2:3], s[18:19]
	s_and_saveexec_b64 s[26:27], s[30:31]
	s_cbranch_execnz .LBB36_122
; %bb.115:
	s_or_b64 exec, exec, s[26:27]
	s_and_b64 s[30:31], s[4:5], s[18:19]
	s_and_saveexec_b64 s[26:27], s[30:31]
	s_cbranch_execnz .LBB36_126
.LBB36_116:
	s_or_b64 exec, exec, s[26:27]
	s_and_b64 s[30:31], s[6:7], s[18:19]
	s_and_saveexec_b64 s[26:27], s[30:31]
	s_cbranch_execnz .LBB36_130
.LBB36_117:
	s_or_b64 exec, exec, s[26:27]
	s_and_b64 s[30:31], s[8:9], s[18:19]
	s_and_saveexec_b64 s[26:27], s[30:31]
	s_cbranch_execnz .LBB36_134
.LBB36_118:
	s_or_b64 exec, exec, s[26:27]
	s_and_b64 s[30:31], s[10:11], s[18:19]
	s_and_saveexec_b64 s[26:27], s[30:31]
	s_cbranch_execnz .LBB36_138
.LBB36_119:
	s_or_b64 exec, exec, s[26:27]
	s_and_b64 s[30:31], s[12:13], s[18:19]
	s_and_saveexec_b64 s[26:27], s[30:31]
	s_cbranch_execnz .LBB36_142
.LBB36_120:
	s_or_b64 exec, exec, s[26:27]
	s_and_b64 s[30:31], s[14:15], s[18:19]
	s_and_saveexec_b64 s[26:27], s[30:31]
	s_cbranch_execnz .LBB36_146
.LBB36_121:
	s_or_b64 exec, exec, s[26:27]
	s_and_b64 s[26:27], s[16:17], s[18:19]
	s_and_saveexec_b64 s[18:19], s[26:27]
	s_cbranch_execnz .LBB36_150
	s_branch .LBB36_154
.LBB36_122:
	s_and_b64 vcc, exec, s[0:1]
	s_cbranch_vccnz .LBB36_124
; %bb.123:
	v_lshl_add_u64 v[44:45], v[98:99], 2, v[42:43]
	flat_load_dword v44, v[44:45]
	s_waitcnt vmcnt(0) lgkmcnt(0)
	v_mul_f32_e32 v44, s28, v44
	s_branch .LBB36_125
.LBB36_124:
	v_mov_b32_e32 v44, 0
.LBB36_125:
	v_max_f32_e32 v45, v36, v36
	v_max_f32_e32 v46, v32, v32
	v_min_f32_e32 v46, v46, v45
	v_max_f32_e32 v45, v37, v37
	v_max_f32_e32 v47, v33, v33
	v_min_f32_e32 v47, v47, v45
	v_pk_add_f32 v[46:47], v[78:79], v[46:47]
	v_max_f32_e32 v45, v38, v38
	v_max_f32_e32 v78, v34, v34
	v_min_f32_e32 v78, v78, v45
	v_max_f32_e32 v45, v39, v39
	v_max_f32_e32 v79, v35, v35
	v_min_f32_e32 v79, v79, v45
	v_pk_add_f32 v[46:47], v[46:47], v[78:79]
	s_nop 0
	v_add_f32_e32 v45, v46, v47
	v_add_f32_e32 v46, v45, v44
	v_lshl_add_u64 v[44:45], v[98:99], 2, v[40:41]
	global_store_dword v[44:45], v46, off
	s_or_b64 exec, exec, s[26:27]
	s_and_b64 s[30:31], s[4:5], s[18:19]
	s_and_saveexec_b64 s[26:27], s[30:31]
	s_cbranch_execz .LBB36_116
.LBB36_126:
	s_and_b64 vcc, exec, s[0:1]
	s_cbranch_vccnz .LBB36_128
; %bb.127:
	v_lshl_add_u64 v[44:45], v[100:101], 2, v[42:43]
	flat_load_dword v44, v[44:45]
	s_waitcnt vmcnt(0) lgkmcnt(0)
	v_mul_f32_e32 v44, s28, v44
	s_branch .LBB36_129
.LBB36_128:
	v_mov_b32_e32 v44, 0
.LBB36_129:
	v_max_f32_e32 v45, v36, v36
	v_max_f32_e32 v46, v28, v28
	v_min_f32_e32 v46, v46, v45
	v_max_f32_e32 v45, v37, v37
	v_max_f32_e32 v47, v29, v29
	v_min_f32_e32 v47, v47, v45
	v_pk_add_f32 v[46:47], v[76:77], v[46:47]
	v_max_f32_e32 v45, v38, v38
	v_max_f32_e32 v76, v30, v30
	v_min_f32_e32 v76, v76, v45
	v_max_f32_e32 v45, v39, v39
	v_max_f32_e32 v77, v31, v31
	v_min_f32_e32 v77, v77, v45
	v_pk_add_f32 v[46:47], v[46:47], v[76:77]
	s_nop 0
	v_add_f32_e32 v45, v46, v47
	v_add_f32_e32 v46, v45, v44
	v_lshl_add_u64 v[44:45], v[100:101], 2, v[40:41]
	global_store_dword v[44:45], v46, off
	s_or_b64 exec, exec, s[26:27]
	s_and_b64 s[30:31], s[6:7], s[18:19]
	s_and_saveexec_b64 s[26:27], s[30:31]
	s_cbranch_execz .LBB36_117
.LBB36_130:
	s_and_b64 vcc, exec, s[0:1]
	s_cbranch_vccnz .LBB36_132
; %bb.131:
	v_lshl_add_u64 v[44:45], v[102:103], 2, v[42:43]
	flat_load_dword v44, v[44:45]
	s_waitcnt vmcnt(0) lgkmcnt(0)
	v_mul_f32_e32 v44, s28, v44
	s_branch .LBB36_133
.LBB36_132:
	v_mov_b32_e32 v44, 0
.LBB36_133:
	v_max_f32_e32 v45, v36, v36
	v_max_f32_e32 v46, v24, v24
	v_min_f32_e32 v46, v46, v45
	v_max_f32_e32 v45, v37, v37
	v_max_f32_e32 v47, v25, v25
	v_min_f32_e32 v47, v47, v45
	v_pk_add_f32 v[46:47], v[74:75], v[46:47]
	v_max_f32_e32 v45, v38, v38
	v_max_f32_e32 v74, v26, v26
	v_min_f32_e32 v74, v74, v45
	v_max_f32_e32 v45, v39, v39
	v_max_f32_e32 v75, v27, v27
	v_min_f32_e32 v75, v75, v45
	v_pk_add_f32 v[46:47], v[46:47], v[74:75]
	s_nop 0
	v_add_f32_e32 v45, v46, v47
	v_add_f32_e32 v46, v45, v44
	v_lshl_add_u64 v[44:45], v[102:103], 2, v[40:41]
	global_store_dword v[44:45], v46, off
	s_or_b64 exec, exec, s[26:27]
	s_and_b64 s[30:31], s[8:9], s[18:19]
	s_and_saveexec_b64 s[26:27], s[30:31]
	s_cbranch_execz .LBB36_118
.LBB36_134:
	s_and_b64 vcc, exec, s[0:1]
	s_cbranch_vccnz .LBB36_136
; %bb.135:
	v_lshl_add_u64 v[44:45], v[104:105], 2, v[42:43]
	flat_load_dword v44, v[44:45]
	s_waitcnt vmcnt(0) lgkmcnt(0)
	v_mul_f32_e32 v44, s28, v44
	s_branch .LBB36_137
.LBB36_136:
	v_mov_b32_e32 v44, 0
.LBB36_137:
	v_max_f32_e32 v45, v36, v36
	v_max_f32_e32 v46, v20, v20
	v_min_f32_e32 v46, v46, v45
	v_max_f32_e32 v45, v37, v37
	v_max_f32_e32 v47, v21, v21
	v_min_f32_e32 v47, v47, v45
	v_pk_add_f32 v[46:47], v[72:73], v[46:47]
	v_max_f32_e32 v45, v38, v38
	v_max_f32_e32 v72, v22, v22
	v_min_f32_e32 v72, v72, v45
	v_max_f32_e32 v45, v39, v39
	v_max_f32_e32 v73, v23, v23
	v_min_f32_e32 v73, v73, v45
	v_pk_add_f32 v[46:47], v[46:47], v[72:73]
	s_nop 0
	v_add_f32_e32 v45, v46, v47
	v_add_f32_e32 v46, v45, v44
	v_lshl_add_u64 v[44:45], v[104:105], 2, v[40:41]
	global_store_dword v[44:45], v46, off
	s_or_b64 exec, exec, s[26:27]
	s_and_b64 s[30:31], s[10:11], s[18:19]
	s_and_saveexec_b64 s[26:27], s[30:31]
	s_cbranch_execz .LBB36_119
.LBB36_138:
	s_and_b64 vcc, exec, s[0:1]
	s_cbranch_vccnz .LBB36_140
; %bb.139:
	v_lshl_add_u64 v[44:45], v[106:107], 2, v[42:43]
	flat_load_dword v44, v[44:45]
	s_waitcnt vmcnt(0) lgkmcnt(0)
	v_mul_f32_e32 v44, s28, v44
	s_branch .LBB36_141
.LBB36_140:
	v_mov_b32_e32 v44, 0
.LBB36_141:
	v_max_f32_e32 v45, v36, v36
	v_max_f32_e32 v46, v16, v16
	v_min_f32_e32 v46, v46, v45
	v_max_f32_e32 v45, v37, v37
	v_max_f32_e32 v47, v17, v17
	v_min_f32_e32 v47, v47, v45
	v_pk_add_f32 v[46:47], v[70:71], v[46:47]
	v_max_f32_e32 v45, v38, v38
	v_max_f32_e32 v70, v18, v18
	v_min_f32_e32 v70, v70, v45
	v_max_f32_e32 v45, v39, v39
	v_max_f32_e32 v71, v19, v19
	v_min_f32_e32 v71, v71, v45
	v_pk_add_f32 v[46:47], v[46:47], v[70:71]
	s_nop 0
	v_add_f32_e32 v45, v46, v47
	v_add_f32_e32 v46, v45, v44
	v_lshl_add_u64 v[44:45], v[106:107], 2, v[40:41]
	global_store_dword v[44:45], v46, off
	s_or_b64 exec, exec, s[26:27]
	s_and_b64 s[30:31], s[12:13], s[18:19]
	s_and_saveexec_b64 s[26:27], s[30:31]
	s_cbranch_execz .LBB36_120
.LBB36_142:
	s_and_b64 vcc, exec, s[0:1]
	s_cbranch_vccnz .LBB36_144
; %bb.143:
	v_lshl_add_u64 v[44:45], v[108:109], 2, v[42:43]
	flat_load_dword v44, v[44:45]
	s_waitcnt vmcnt(0) lgkmcnt(0)
	v_mul_f32_e32 v44, s28, v44
	s_branch .LBB36_145
.LBB36_144:
	v_mov_b32_e32 v44, 0
.LBB36_145:
	v_max_f32_e32 v45, v36, v36
	v_max_f32_e32 v46, v12, v12
	v_min_f32_e32 v46, v46, v45
	v_max_f32_e32 v45, v37, v37
	v_max_f32_e32 v47, v13, v13
	v_min_f32_e32 v47, v47, v45
	v_pk_add_f32 v[46:47], v[68:69], v[46:47]
	v_max_f32_e32 v45, v38, v38
	v_max_f32_e32 v68, v14, v14
	v_min_f32_e32 v68, v68, v45
	v_max_f32_e32 v45, v39, v39
	v_max_f32_e32 v69, v15, v15
	v_min_f32_e32 v69, v69, v45
	v_pk_add_f32 v[46:47], v[46:47], v[68:69]
	s_nop 0
	v_add_f32_e32 v45, v46, v47
	v_add_f32_e32 v46, v45, v44
	v_lshl_add_u64 v[44:45], v[108:109], 2, v[40:41]
	global_store_dword v[44:45], v46, off
	s_or_b64 exec, exec, s[26:27]
	s_and_b64 s[30:31], s[14:15], s[18:19]
	s_and_saveexec_b64 s[26:27], s[30:31]
	s_cbranch_execz .LBB36_121
.LBB36_146:
	s_and_b64 vcc, exec, s[0:1]
	s_cbranch_vccnz .LBB36_148
; %bb.147:
	v_lshl_add_u64 v[44:45], v[110:111], 2, v[42:43]
	flat_load_dword v44, v[44:45]
	s_waitcnt vmcnt(0) lgkmcnt(0)
	v_mul_f32_e32 v44, s28, v44
	s_branch .LBB36_149
.LBB36_148:
	v_mov_b32_e32 v44, 0
.LBB36_149:
	v_max_f32_e32 v45, v36, v36
	v_max_f32_e32 v46, v8, v8
	v_min_f32_e32 v46, v46, v45
	v_max_f32_e32 v45, v37, v37
	v_max_f32_e32 v47, v9, v9
	v_min_f32_e32 v47, v47, v45
	v_pk_add_f32 v[46:47], v[66:67], v[46:47]
	v_max_f32_e32 v45, v38, v38
	v_max_f32_e32 v66, v10, v10
	v_min_f32_e32 v66, v66, v45
	v_max_f32_e32 v45, v39, v39
	v_max_f32_e32 v67, v11, v11
	v_min_f32_e32 v67, v67, v45
	v_pk_add_f32 v[46:47], v[46:47], v[66:67]
	s_nop 0
	v_add_f32_e32 v45, v46, v47
	v_add_f32_e32 v46, v45, v44
	v_lshl_add_u64 v[44:45], v[110:111], 2, v[40:41]
	global_store_dword v[44:45], v46, off
	s_or_b64 exec, exec, s[26:27]
	s_and_b64 s[26:27], s[16:17], s[18:19]
	s_and_saveexec_b64 s[18:19], s[26:27]
	s_cbranch_execz .LBB36_154
.LBB36_150:
	s_and_b64 vcc, exec, s[0:1]
	s_cbranch_vccnz .LBB36_152
; %bb.151:
	v_lshl_add_u64 v[42:43], v[112:113], 2, v[42:43]
	flat_load_dword v42, v[42:43]
	s_waitcnt vmcnt(0) lgkmcnt(0)
	v_mul_f32_e32 v42, s28, v42
	s_branch .LBB36_153
.LBB36_152:
	v_mov_b32_e32 v42, 0
.LBB36_153:
	v_max_f32_e32 v37, v37, v37
	v_max_f32_e32 v43, v5, v5
	v_min_f32_e32 v37, v43, v37
	v_max_f32_e32 v36, v36, v36
	v_max_f32_e32 v43, v4, v4
	v_min_f32_e32 v36, v43, v36
	;; [unrolled: 3-line block ×3, first 2 shown]
	v_max_f32_e32 v38, v38, v38
	v_max_f32_e32 v43, v6, v6
	v_pk_add_f32 v[36:37], v[64:65], v[36:37]
	v_min_f32_e32 v38, v43, v38
	v_pk_add_f32 v[36:37], v[36:37], v[38:39]
	s_nop 0
	v_add_f32_e32 v36, v36, v37
	v_add_f32_e32 v38, v36, v42
	v_lshl_add_u64 v[36:37], v[112:113], 2, v[40:41]
	global_store_dword v[36:37], v38, off
.LBB36_154:
	s_or_b64 exec, exec, s[18:19]
	v_add_u32_e32 v40, 0x60, v122
	v_cmp_gt_i32_e64 s[18:19], s21, v40
	v_mad_i64_i32 v[36:37], s[20:21], v40, s33, 0
	v_lshl_add_u64 v[38:39], v[36:37], 2, s[24:25]
	v_mad_i64_i32 v[36:37], s[20:21], v40, s29, 0
	v_lshl_add_u64 v[36:37], v[36:37], 2, s[22:23]
	s_and_b64 s[20:21], s[2:3], s[18:19]
	s_and_saveexec_b64 s[2:3], s[20:21]
	s_cbranch_execnz .LBB36_163
; %bb.155:
	s_or_b64 exec, exec, s[2:3]
	s_and_b64 s[4:5], s[4:5], s[18:19]
	s_and_saveexec_b64 s[2:3], s[4:5]
	s_cbranch_execnz .LBB36_167
.LBB36_156:
	s_or_b64 exec, exec, s[2:3]
	s_and_b64 s[4:5], s[6:7], s[18:19]
	s_and_saveexec_b64 s[2:3], s[4:5]
	s_cbranch_execnz .LBB36_171
.LBB36_157:
	s_or_b64 exec, exec, s[2:3]
	s_and_b64 s[4:5], s[8:9], s[18:19]
	s_and_saveexec_b64 s[2:3], s[4:5]
	s_cbranch_execnz .LBB36_175
.LBB36_158:
	s_or_b64 exec, exec, s[2:3]
	s_and_b64 s[4:5], s[10:11], s[18:19]
	s_and_saveexec_b64 s[2:3], s[4:5]
	s_cbranch_execnz .LBB36_179
.LBB36_159:
	s_or_b64 exec, exec, s[2:3]
	s_and_b64 s[4:5], s[12:13], s[18:19]
	s_and_saveexec_b64 s[2:3], s[4:5]
	s_cbranch_execnz .LBB36_183
.LBB36_160:
	s_or_b64 exec, exec, s[2:3]
	s_and_b64 s[4:5], s[14:15], s[18:19]
	s_and_saveexec_b64 s[2:3], s[4:5]
	s_cbranch_execnz .LBB36_187
.LBB36_161:
	s_or_b64 exec, exec, s[2:3]
	s_and_b64 s[2:3], s[16:17], s[18:19]
	s_and_saveexec_b64 s[4:5], s[2:3]
	s_cbranch_execnz .LBB36_191
.LBB36_162:
	s_endpgm
.LBB36_163:
	s_and_b64 vcc, exec, s[0:1]
	s_cbranch_vccnz .LBB36_165
; %bb.164:
	v_lshl_add_u64 v[40:41], v[98:99], 2, v[38:39]
	flat_load_dword v40, v[40:41]
	s_waitcnt vmcnt(0) lgkmcnt(0)
	v_mul_f32_e32 v40, s28, v40
	s_branch .LBB36_166
.LBB36_165:
	v_mov_b32_e32 v40, 0
.LBB36_166:
	v_max_f32_e32 v41, v1, v1
	v_max_f32_e32 v33, v33, v33
	v_min_f32_e32 v33, v33, v41
	v_max_f32_e32 v41, v0, v0
	v_max_f32_e32 v32, v32, v32
	v_min_f32_e32 v32, v32, v41
	;; [unrolled: 3-line block ×3, first 2 shown]
	v_max_f32_e32 v41, v2, v2
	v_max_f32_e32 v34, v34, v34
	v_pk_add_f32 v[32:33], v[62:63], v[32:33]
	v_min_f32_e32 v34, v34, v41
	v_pk_add_f32 v[32:33], v[32:33], v[34:35]
	s_nop 0
	v_add_f32_e32 v32, v32, v33
	v_add_f32_e32 v34, v32, v40
	v_lshl_add_u64 v[32:33], v[98:99], 2, v[36:37]
	global_store_dword v[32:33], v34, off
	s_or_b64 exec, exec, s[2:3]
	s_and_b64 s[4:5], s[4:5], s[18:19]
	s_and_saveexec_b64 s[2:3], s[4:5]
	s_cbranch_execz .LBB36_156
.LBB36_167:
	s_and_b64 vcc, exec, s[0:1]
	s_cbranch_vccnz .LBB36_169
; %bb.168:
	v_lshl_add_u64 v[32:33], v[100:101], 2, v[38:39]
	flat_load_dword v32, v[32:33]
	s_waitcnt vmcnt(0) lgkmcnt(0)
	v_mul_f32_e32 v32, s28, v32
	s_branch .LBB36_170
.LBB36_169:
	v_mov_b32_e32 v32, 0
.LBB36_170:
	v_max_f32_e32 v33, v1, v1
	v_max_f32_e32 v29, v29, v29
	v_min_f32_e32 v29, v29, v33
	v_max_f32_e32 v33, v0, v0
	v_max_f32_e32 v28, v28, v28
	v_min_f32_e32 v28, v28, v33
	;; [unrolled: 3-line block ×3, first 2 shown]
	v_max_f32_e32 v33, v2, v2
	v_max_f32_e32 v30, v30, v30
	v_pk_add_f32 v[28:29], v[60:61], v[28:29]
	v_min_f32_e32 v30, v30, v33
	v_pk_add_f32 v[28:29], v[28:29], v[30:31]
	s_nop 0
	v_add_f32_e32 v28, v28, v29
	v_add_f32_e32 v30, v28, v32
	v_lshl_add_u64 v[28:29], v[100:101], 2, v[36:37]
	global_store_dword v[28:29], v30, off
	s_or_b64 exec, exec, s[2:3]
	s_and_b64 s[4:5], s[6:7], s[18:19]
	s_and_saveexec_b64 s[2:3], s[4:5]
	s_cbranch_execz .LBB36_157
.LBB36_171:
	s_and_b64 vcc, exec, s[0:1]
	s_cbranch_vccnz .LBB36_173
; %bb.172:
	v_lshl_add_u64 v[28:29], v[102:103], 2, v[38:39]
	flat_load_dword v28, v[28:29]
	s_waitcnt vmcnt(0) lgkmcnt(0)
	v_mul_f32_e32 v28, s28, v28
	s_branch .LBB36_174
.LBB36_173:
	v_mov_b32_e32 v28, 0
.LBB36_174:
	v_max_f32_e32 v29, v1, v1
	v_max_f32_e32 v25, v25, v25
	v_min_f32_e32 v25, v25, v29
	v_max_f32_e32 v29, v0, v0
	v_max_f32_e32 v24, v24, v24
	v_min_f32_e32 v24, v24, v29
	;; [unrolled: 3-line block ×3, first 2 shown]
	v_max_f32_e32 v29, v2, v2
	v_max_f32_e32 v26, v26, v26
	v_pk_add_f32 v[24:25], v[58:59], v[24:25]
	v_min_f32_e32 v26, v26, v29
	v_pk_add_f32 v[24:25], v[24:25], v[26:27]
	s_nop 0
	v_add_f32_e32 v24, v24, v25
	v_add_f32_e32 v26, v24, v28
	v_lshl_add_u64 v[24:25], v[102:103], 2, v[36:37]
	global_store_dword v[24:25], v26, off
	s_or_b64 exec, exec, s[2:3]
	s_and_b64 s[4:5], s[8:9], s[18:19]
	s_and_saveexec_b64 s[2:3], s[4:5]
	s_cbranch_execz .LBB36_158
.LBB36_175:
	s_and_b64 vcc, exec, s[0:1]
	s_cbranch_vccnz .LBB36_177
; %bb.176:
	v_lshl_add_u64 v[24:25], v[104:105], 2, v[38:39]
	flat_load_dword v24, v[24:25]
	s_waitcnt vmcnt(0) lgkmcnt(0)
	v_mul_f32_e32 v24, s28, v24
	s_branch .LBB36_178
.LBB36_177:
	v_mov_b32_e32 v24, 0
.LBB36_178:
	v_max_f32_e32 v25, v1, v1
	v_max_f32_e32 v21, v21, v21
	v_min_f32_e32 v21, v21, v25
	v_max_f32_e32 v25, v0, v0
	v_max_f32_e32 v20, v20, v20
	v_min_f32_e32 v20, v20, v25
	;; [unrolled: 3-line block ×3, first 2 shown]
	v_max_f32_e32 v25, v2, v2
	v_max_f32_e32 v22, v22, v22
	v_pk_add_f32 v[20:21], v[56:57], v[20:21]
	v_min_f32_e32 v22, v22, v25
	v_pk_add_f32 v[20:21], v[20:21], v[22:23]
	s_nop 0
	v_add_f32_e32 v20, v20, v21
	v_add_f32_e32 v22, v20, v24
	v_lshl_add_u64 v[20:21], v[104:105], 2, v[36:37]
	global_store_dword v[20:21], v22, off
	s_or_b64 exec, exec, s[2:3]
	s_and_b64 s[4:5], s[10:11], s[18:19]
	s_and_saveexec_b64 s[2:3], s[4:5]
	s_cbranch_execz .LBB36_159
.LBB36_179:
	s_and_b64 vcc, exec, s[0:1]
	s_cbranch_vccnz .LBB36_181
; %bb.180:
	v_lshl_add_u64 v[20:21], v[106:107], 2, v[38:39]
	flat_load_dword v20, v[20:21]
	s_waitcnt vmcnt(0) lgkmcnt(0)
	v_mul_f32_e32 v20, s28, v20
	s_branch .LBB36_182
.LBB36_181:
	v_mov_b32_e32 v20, 0
.LBB36_182:
	v_max_f32_e32 v21, v1, v1
	v_max_f32_e32 v17, v17, v17
	v_min_f32_e32 v17, v17, v21
	v_max_f32_e32 v21, v0, v0
	v_max_f32_e32 v16, v16, v16
	v_min_f32_e32 v16, v16, v21
	;; [unrolled: 3-line block ×3, first 2 shown]
	v_max_f32_e32 v21, v2, v2
	v_max_f32_e32 v18, v18, v18
	v_pk_add_f32 v[16:17], v[54:55], v[16:17]
	v_min_f32_e32 v18, v18, v21
	v_pk_add_f32 v[16:17], v[16:17], v[18:19]
	s_nop 0
	v_add_f32_e32 v16, v16, v17
	v_add_f32_e32 v18, v16, v20
	v_lshl_add_u64 v[16:17], v[106:107], 2, v[36:37]
	global_store_dword v[16:17], v18, off
	s_or_b64 exec, exec, s[2:3]
	s_and_b64 s[4:5], s[12:13], s[18:19]
	s_and_saveexec_b64 s[2:3], s[4:5]
	s_cbranch_execz .LBB36_160
.LBB36_183:
	s_and_b64 vcc, exec, s[0:1]
	s_cbranch_vccnz .LBB36_185
; %bb.184:
	v_lshl_add_u64 v[16:17], v[108:109], 2, v[38:39]
	flat_load_dword v16, v[16:17]
	s_waitcnt vmcnt(0) lgkmcnt(0)
	v_mul_f32_e32 v16, s28, v16
	s_branch .LBB36_186
.LBB36_185:
	v_mov_b32_e32 v16, 0
.LBB36_186:
	v_max_f32_e32 v17, v1, v1
	v_max_f32_e32 v13, v13, v13
	v_min_f32_e32 v13, v13, v17
	v_max_f32_e32 v17, v0, v0
	v_max_f32_e32 v12, v12, v12
	v_min_f32_e32 v12, v12, v17
	;; [unrolled: 3-line block ×3, first 2 shown]
	v_max_f32_e32 v17, v2, v2
	v_max_f32_e32 v14, v14, v14
	v_pk_add_f32 v[12:13], v[52:53], v[12:13]
	v_min_f32_e32 v14, v14, v17
	v_pk_add_f32 v[12:13], v[12:13], v[14:15]
	s_nop 0
	v_add_f32_e32 v12, v12, v13
	v_add_f32_e32 v14, v12, v16
	v_lshl_add_u64 v[12:13], v[108:109], 2, v[36:37]
	global_store_dword v[12:13], v14, off
	s_or_b64 exec, exec, s[2:3]
	s_and_b64 s[4:5], s[14:15], s[18:19]
	s_and_saveexec_b64 s[2:3], s[4:5]
	s_cbranch_execz .LBB36_161
.LBB36_187:
	s_and_b64 vcc, exec, s[0:1]
	s_cbranch_vccnz .LBB36_189
; %bb.188:
	v_lshl_add_u64 v[12:13], v[110:111], 2, v[38:39]
	flat_load_dword v12, v[12:13]
	s_waitcnt vmcnt(0) lgkmcnt(0)
	v_mul_f32_e32 v12, s28, v12
	s_branch .LBB36_190
.LBB36_189:
	v_mov_b32_e32 v12, 0
.LBB36_190:
	v_max_f32_e32 v13, v1, v1
	v_max_f32_e32 v9, v9, v9
	v_min_f32_e32 v9, v9, v13
	v_max_f32_e32 v13, v0, v0
	v_max_f32_e32 v8, v8, v8
	v_min_f32_e32 v8, v8, v13
	;; [unrolled: 3-line block ×3, first 2 shown]
	v_max_f32_e32 v13, v2, v2
	v_max_f32_e32 v10, v10, v10
	v_pk_add_f32 v[8:9], v[50:51], v[8:9]
	v_min_f32_e32 v10, v10, v13
	v_pk_add_f32 v[8:9], v[8:9], v[10:11]
	s_nop 0
	v_add_f32_e32 v8, v8, v9
	v_add_f32_e32 v10, v8, v12
	v_lshl_add_u64 v[8:9], v[110:111], 2, v[36:37]
	global_store_dword v[8:9], v10, off
	s_or_b64 exec, exec, s[2:3]
	s_and_b64 s[2:3], s[16:17], s[18:19]
	s_and_saveexec_b64 s[4:5], s[2:3]
	s_cbranch_execz .LBB36_162
.LBB36_191:
	s_and_b64 vcc, exec, s[0:1]
	s_cbranch_vccnz .LBB36_193
; %bb.192:
	v_lshl_add_u64 v[8:9], v[112:113], 2, v[38:39]
	flat_load_dword v8, v[8:9]
	s_waitcnt vmcnt(0) lgkmcnt(0)
	v_mul_f32_e32 v8, s28, v8
	s_branch .LBB36_194
.LBB36_193:
	v_mov_b32_e32 v8, 0
.LBB36_194:
	v_max_f32_e32 v0, v0, v0
	v_max_f32_e32 v4, v4, v4
	;; [unrolled: 1-line block ×4, first 2 shown]
	v_min_f32_e32 v0, v4, v0
	v_max_f32_e32 v3, v3, v3
	v_max_f32_e32 v4, v7, v7
	v_min_f32_e32 v1, v5, v1
	v_min_f32_e32 v3, v4, v3
	v_max_f32_e32 v2, v2, v2
	v_max_f32_e32 v4, v6, v6
	v_pk_add_f32 v[0:1], v[48:49], v[0:1]
	v_min_f32_e32 v2, v4, v2
	v_pk_add_f32 v[0:1], v[0:1], v[2:3]
	s_nop 0
	v_add_f32_e32 v0, v0, v1
	v_add_f32_e32 v2, v0, v8
	v_lshl_add_u64 v[0:1], v[112:113], 2, v[36:37]
	global_store_dword v[0:1], v2, off
	s_endpgm
	.section	.rodata,"a",@progbits
	.p2align	6, 0x0
	.amdhsa_kernel _ZN12_GLOBAL__N_120geam_min_plus_kernelIf15HIP_vector_typeIfLj2EES2_Li8ELi32ELi64ELi128ELi4ELi4ELi64ELi4ELi64ELc84ELc78ELb0ELb1ELb0EPKfKS4_KPfEEviiiT16_PT17_ilSA_ilS8_SA_ilPT18_ili26rocblas_geam_ex_operation_
		.amdhsa_group_segment_fixed_size 6144
		.amdhsa_private_segment_fixed_size 0
		.amdhsa_kernarg_size 136
		.amdhsa_user_sgpr_count 2
		.amdhsa_user_sgpr_dispatch_ptr 0
		.amdhsa_user_sgpr_queue_ptr 0
		.amdhsa_user_sgpr_kernarg_segment_ptr 1
		.amdhsa_user_sgpr_dispatch_id 0
		.amdhsa_user_sgpr_kernarg_preload_length 0
		.amdhsa_user_sgpr_kernarg_preload_offset 0
		.amdhsa_user_sgpr_private_segment_size 0
		.amdhsa_uses_dynamic_stack 0
		.amdhsa_enable_private_segment 0
		.amdhsa_system_sgpr_workgroup_id_x 1
		.amdhsa_system_sgpr_workgroup_id_y 0
		.amdhsa_system_sgpr_workgroup_id_z 1
		.amdhsa_system_sgpr_workgroup_info 0
		.amdhsa_system_vgpr_workitem_id 1
		.amdhsa_next_free_vgpr 220
		.amdhsa_next_free_sgpr 38
		.amdhsa_accum_offset 220
		.amdhsa_reserve_vcc 1
		.amdhsa_float_round_mode_32 0
		.amdhsa_float_round_mode_16_64 0
		.amdhsa_float_denorm_mode_32 3
		.amdhsa_float_denorm_mode_16_64 3
		.amdhsa_dx10_clamp 1
		.amdhsa_ieee_mode 1
		.amdhsa_fp16_overflow 0
		.amdhsa_tg_split 0
		.amdhsa_exception_fp_ieee_invalid_op 0
		.amdhsa_exception_fp_denorm_src 0
		.amdhsa_exception_fp_ieee_div_zero 0
		.amdhsa_exception_fp_ieee_overflow 0
		.amdhsa_exception_fp_ieee_underflow 0
		.amdhsa_exception_fp_ieee_inexact 0
		.amdhsa_exception_int_div_zero 0
	.end_amdhsa_kernel
	.section	.text._ZN12_GLOBAL__N_120geam_min_plus_kernelIf15HIP_vector_typeIfLj2EES2_Li8ELi32ELi64ELi128ELi4ELi4ELi64ELi4ELi64ELc84ELc78ELb0ELb1ELb0EPKfKS4_KPfEEviiiT16_PT17_ilSA_ilS8_SA_ilPT18_ili26rocblas_geam_ex_operation_,"axG",@progbits,_ZN12_GLOBAL__N_120geam_min_plus_kernelIf15HIP_vector_typeIfLj2EES2_Li8ELi32ELi64ELi128ELi4ELi4ELi64ELi4ELi64ELc84ELc78ELb0ELb1ELb0EPKfKS4_KPfEEviiiT16_PT17_ilSA_ilS8_SA_ilPT18_ili26rocblas_geam_ex_operation_,comdat
.Lfunc_end36:
	.size	_ZN12_GLOBAL__N_120geam_min_plus_kernelIf15HIP_vector_typeIfLj2EES2_Li8ELi32ELi64ELi128ELi4ELi4ELi64ELi4ELi64ELc84ELc78ELb0ELb1ELb0EPKfKS4_KPfEEviiiT16_PT17_ilSA_ilS8_SA_ilPT18_ili26rocblas_geam_ex_operation_, .Lfunc_end36-_ZN12_GLOBAL__N_120geam_min_plus_kernelIf15HIP_vector_typeIfLj2EES2_Li8ELi32ELi64ELi128ELi4ELi4ELi64ELi4ELi64ELc84ELc78ELb0ELb1ELb0EPKfKS4_KPfEEviiiT16_PT17_ilSA_ilS8_SA_ilPT18_ili26rocblas_geam_ex_operation_
                                        ; -- End function
	.section	.AMDGPU.csdata,"",@progbits
; Kernel info:
; codeLenInByte = 11196
; NumSgprs: 44
; NumVgprs: 220
; NumAgprs: 0
; TotalNumVgprs: 220
; ScratchSize: 0
; MemoryBound: 0
; FloatMode: 240
; IeeeMode: 1
; LDSByteSize: 6144 bytes/workgroup (compile time only)
; SGPRBlocks: 5
; VGPRBlocks: 27
; NumSGPRsForWavesPerEU: 44
; NumVGPRsForWavesPerEU: 220
; AccumOffset: 220
; Occupancy: 2
; WaveLimiterHint : 1
; COMPUTE_PGM_RSRC2:SCRATCH_EN: 0
; COMPUTE_PGM_RSRC2:USER_SGPR: 2
; COMPUTE_PGM_RSRC2:TRAP_HANDLER: 0
; COMPUTE_PGM_RSRC2:TGID_X_EN: 1
; COMPUTE_PGM_RSRC2:TGID_Y_EN: 0
; COMPUTE_PGM_RSRC2:TGID_Z_EN: 1
; COMPUTE_PGM_RSRC2:TIDIG_COMP_CNT: 1
; COMPUTE_PGM_RSRC3_GFX90A:ACCUM_OFFSET: 54
; COMPUTE_PGM_RSRC3_GFX90A:TG_SPLIT: 0
	.section	.text._ZN12_GLOBAL__N_120geam_min_plus_kernelIf15HIP_vector_typeIfLj2EES2_Li8ELi32ELi64ELi128ELi4ELi4ELi64ELi4ELi64ELc84ELc78ELb1ELb1ELb0EfKPKfKPfEEviiiT16_PT17_ilSA_ilS8_SA_ilPT18_ili26rocblas_geam_ex_operation_,"axG",@progbits,_ZN12_GLOBAL__N_120geam_min_plus_kernelIf15HIP_vector_typeIfLj2EES2_Li8ELi32ELi64ELi128ELi4ELi4ELi64ELi4ELi64ELc84ELc78ELb1ELb1ELb0EfKPKfKPfEEviiiT16_PT17_ilSA_ilS8_SA_ilPT18_ili26rocblas_geam_ex_operation_,comdat
	.globl	_ZN12_GLOBAL__N_120geam_min_plus_kernelIf15HIP_vector_typeIfLj2EES2_Li8ELi32ELi64ELi128ELi4ELi4ELi64ELi4ELi64ELc84ELc78ELb1ELb1ELb0EfKPKfKPfEEviiiT16_PT17_ilSA_ilS8_SA_ilPT18_ili26rocblas_geam_ex_operation_ ; -- Begin function _ZN12_GLOBAL__N_120geam_min_plus_kernelIf15HIP_vector_typeIfLj2EES2_Li8ELi32ELi64ELi128ELi4ELi4ELi64ELi4ELi64ELc84ELc78ELb1ELb1ELb0EfKPKfKPfEEviiiT16_PT17_ilSA_ilS8_SA_ilPT18_ili26rocblas_geam_ex_operation_
	.p2align	8
	.type	_ZN12_GLOBAL__N_120geam_min_plus_kernelIf15HIP_vector_typeIfLj2EES2_Li8ELi32ELi64ELi128ELi4ELi4ELi64ELi4ELi64ELc84ELc78ELb1ELb1ELb0EfKPKfKPfEEviiiT16_PT17_ilSA_ilS8_SA_ilPT18_ili26rocblas_geam_ex_operation_,@function
_ZN12_GLOBAL__N_120geam_min_plus_kernelIf15HIP_vector_typeIfLj2EES2_Li8ELi32ELi64ELi128ELi4ELi4ELi64ELi4ELi64ELc84ELc78ELb1ELb1ELb0EfKPKfKPfEEviiiT16_PT17_ilSA_ilS8_SA_ilPT18_ili26rocblas_geam_ex_operation_: ; @_ZN12_GLOBAL__N_120geam_min_plus_kernelIf15HIP_vector_typeIfLj2EES2_Li8ELi32ELi64ELi128ELi4ELi4ELi64ELi4ELi64ELc84ELc78ELb1ELb1ELb0EfKPKfKPfEEviiiT16_PT17_ilSA_ilS8_SA_ilPT18_ili26rocblas_geam_ex_operation_
; %bb.0:
	s_load_dwordx4 s[20:23], s[0:1], 0x0
	s_load_dwordx4 s[4:7], s[0:1], 0x20
	s_mov_b32 s8, s3
	s_mov_b32 s9, 0
	s_waitcnt lgkmcnt(0)
	v_cmp_eq_f32_e64 s[10:11], s23, 0
	s_and_b64 vcc, exec, s[10:11]
	s_cbranch_vccnz .LBB37_3
; %bb.1:
	s_load_dwordx2 s[12:13], s[0:1], 0x10
	s_lshl_b64 s[14:15], s[8:9], 3
	s_waitcnt lgkmcnt(0)
	s_add_u32 s12, s12, s14
	s_addc_u32 s13, s13, s15
	s_load_dwordx2 s[12:13], s[12:13], 0x0
	s_lshl_b64 s[4:5], s[4:5], 2
	s_waitcnt lgkmcnt(0)
	s_add_u32 s14, s12, s4
	s_addc_u32 s15, s13, s5
	s_andn2_b64 vcc, exec, s[10:11]
	s_cbranch_vccnz .LBB37_4
.LBB37_2:
	s_mov_b64 s[16:17], 0
	s_cbranch_execz .LBB37_5
	s_branch .LBB37_6
.LBB37_3:
	s_mov_b64 s[14:15], 0
	s_andn2_b64 vcc, exec, s[10:11]
	s_cbranch_vccz .LBB37_2
.LBB37_4:
                                        ; implicit-def: $sgpr16_sgpr17
.LBB37_5:
	s_lshl_b64 s[10:11], s[8:9], 3
	s_add_u32 s6, s6, s10
	s_load_dwordx2 s[4:5], s[0:1], 0x38
	s_addc_u32 s7, s7, s11
	s_load_dwordx2 s[6:7], s[6:7], 0x0
	s_waitcnt lgkmcnt(0)
	s_lshl_b64 s[4:5], s[4:5], 2
	s_add_u32 s16, s6, s4
	s_addc_u32 s17, s7, s5
.LBB37_6:
	s_load_dword s28, s[0:1], 0x40
	s_load_dwordx4 s[4:7], s[0:1], 0x58
	s_waitcnt lgkmcnt(0)
	v_cmp_eq_f32_e64 s[12:13], s28, 0
	v_cmp_neq_f32_e64 s[10:11], s28, 0
	s_and_b64 vcc, exec, s[12:13]
	s_cbranch_vccnz .LBB37_8
; %bb.7:
	s_load_dwordx2 s[12:13], s[0:1], 0x48
	s_lshl_b64 s[18:19], s[8:9], 3
	s_waitcnt lgkmcnt(0)
	s_add_u32 s12, s12, s18
	s_addc_u32 s13, s13, s19
	s_load_dwordx2 s[12:13], s[12:13], 0x0
	s_lshl_b64 s[4:5], s[4:5], 2
	s_waitcnt lgkmcnt(0)
	s_add_u32 s24, s12, s4
	s_addc_u32 s25, s13, s5
	s_branch .LBB37_9
.LBB37_8:
	s_mov_b64 s[24:25], 0
.LBB37_9:
	s_lshl_b64 s[4:5], s[8:9], 3
	s_add_u32 s4, s6, s4
	s_addc_u32 s5, s7, s5
	s_add_i32 s3, s20, -1
	s_ashr_i32 s6, s3, 31
	s_lshr_b32 s6, s6, 26
	s_add_i32 s3, s3, s6
	s_ashr_i32 s6, s3, 6
	s_add_i32 s7, s6, 1
	v_cvt_f32_u32_e32 v1, s7
	v_and_b32_e32 v204, 0x3ff, v0
	v_bfe_u32 v205, v0, 10, 10
	s_load_dwordx2 s[12:13], s[4:5], 0x0
	v_rcp_iflag_f32_e32 v1, v1
	s_not_b32 s4, s6
	s_load_dword s3, s[0:1], 0x18
	v_and_b32_e32 v66, 3, v204
	v_mul_f32_e32 v0, 0x4f7ffffe, v1
	v_cvt_u32_f32_e32 v0, v0
	v_lshl_add_u32 v1, v205, 3, v204
	v_lshrrev_b32_e32 v2, 2, v1
	v_lshlrev_b32_e32 v68, 2, v66
	v_readfirstlane_b32 s5, v0
	s_mul_i32 s4, s4, s5
	s_mul_hi_u32 s4, s5, s4
	s_add_i32 s5, s5, s4
	s_mul_hi_u32 s4, s2, s5
	s_mul_i32 s5, s4, s7
	s_sub_i32 s5, s2, s5
	s_add_i32 s6, s4, 1
	s_sub_i32 s8, s5, s7
	s_cmp_ge_u32 s5, s7
	s_cselect_b32 s4, s6, s4
	s_cselect_b32 s5, s8, s5
	s_add_i32 s6, s4, 1
	s_cmp_ge_u32 s5, s7
	s_cselect_b32 s8, s6, s4
	s_mul_i32 s23, s8, s7
	s_sub_i32 s4, s2, s23
	s_lshl_b32 s26, s4, 6
	v_add_u32_e32 v6, s26, v2
	v_cmp_le_i32_e64 s[6:7], s22, v66
	v_cmp_le_i32_e32 vcc, s20, v6
	s_or_b64 s[4:5], s[6:7], vcc
	s_xor_b64 s[4:5], s[4:5], -1
                                        ; implicit-def: $vgpr0_vgpr1
	s_and_saveexec_b64 s[18:19], s[4:5]
	s_xor_b64 s[4:5], exec, s[18:19]
	s_cbranch_execz .LBB37_11
; %bb.10:
	s_waitcnt lgkmcnt(0)
	v_mad_i64_i32 v[4:5], s[18:19], v6, s3, 0
	v_mov_b32_e32 v67, 0
	v_lshl_add_u64 v[4:5], v[4:5], 2, s[14:15]
	v_mov_b32_e32 v69, v67
	v_lshl_add_u64 v[4:5], v[4:5], 0, v[68:69]
	v_mov_b64_e32 v[0:1], v[66:67]
	flat_load_dword v67, v[4:5]
.LBB37_11:
	s_andn2_saveexec_b64 s[4:5], s[4:5]
	s_cbranch_execz .LBB37_13
; %bb.12:
	s_waitcnt vmcnt(0) lgkmcnt(0)
	v_mov_b32_e32 v67, 0
	v_mov_b64_e32 v[0:1], v[66:67]
.LBB37_13:
	s_or_b64 exec, exec, s[4:5]
	s_load_dword s29, s[0:1], 0x30
	s_lshl_b32 s27, s8, 7
	v_add_u32_e32 v3, s27, v2
	v_cmp_le_i32_e64 s[8:9], s21, v3
	s_or_b64 s[4:5], s[6:7], s[8:9]
	v_lshl_add_u64 v[0:1], v[0:1], 2, s[16:17]
	s_xor_b64 s[18:19], s[4:5], -1
	v_mov_b32_e32 v8, 0
	v_mov_b32_e32 v9, 0
	s_and_saveexec_b64 s[4:5], s[18:19]
	s_cbranch_execz .LBB37_15
; %bb.14:
	s_waitcnt lgkmcnt(0)
	v_mad_i64_i32 v[4:5], s[18:19], v3, s29, 0
	v_lshl_add_u64 v[4:5], v[4:5], 2, v[0:1]
	flat_load_dword v9, v[4:5]
.LBB37_15:
	s_or_b64 exec, exec, s[4:5]
	v_add_u32_e32 v4, 64, v3
	v_cmp_le_i32_e64 s[4:5], s21, v4
	s_or_b64 s[6:7], s[6:7], s[4:5]
	s_xor_b64 s[18:19], s[6:7], -1
	s_and_saveexec_b64 s[6:7], s[18:19]
	s_cbranch_execz .LBB37_17
; %bb.16:
	s_waitcnt lgkmcnt(0)
	v_mad_i64_i32 v[10:11], s[18:19], v4, s29, 0
	v_lshl_add_u64 v[0:1], v[10:11], 2, v[0:1]
	flat_load_dword v8, v[0:1]
.LBB37_17:
	s_or_b64 exec, exec, s[6:7]
	v_or_b32_e32 v0, 4, v66
	v_cmp_le_i32_e64 s[6:7], s22, v0
	s_or_b64 s[18:19], s[6:7], vcc
	s_xor_b64 s[18:19], s[18:19], -1
                                        ; implicit-def: $vgpr5
	s_and_saveexec_b64 s[30:31], s[18:19]
	s_xor_b64 s[18:19], exec, s[30:31]
	s_cbranch_execz .LBB37_19
; %bb.18:
	s_waitcnt lgkmcnt(0)
	v_mad_i64_i32 v[6:7], s[30:31], v6, s3, 0
	v_mov_b32_e32 v1, 0
	v_lshl_add_u64 v[6:7], v[6:7], 2, s[14:15]
	v_mov_b32_e32 v69, v1
	v_lshl_add_u64 v[6:7], v[6:7], 0, v[68:69]
	flat_load_dword v5, v[6:7] offset:16
.LBB37_19:
	s_andn2_saveexec_b64 s[18:19], s[18:19]
	s_cbranch_execz .LBB37_21
; %bb.20:
	v_mov_b32_e32 v1, 0
	s_waitcnt vmcnt(0) lgkmcnt(0)
	v_mov_b32_e32 v5, v1
.LBB37_21:
	s_or_b64 exec, exec, s[18:19]
	s_or_b64 s[18:19], s[6:7], s[8:9]
	v_lshl_add_u64 v[0:1], v[0:1], 2, s[16:17]
	s_xor_b64 s[30:31], s[18:19], -1
	v_mov_b32_e32 v6, 0
	v_mov_b32_e32 v7, 0
	s_and_saveexec_b64 s[18:19], s[30:31]
	s_cbranch_execz .LBB37_23
; %bb.22:
	s_waitcnt lgkmcnt(0)
	v_mad_i64_i32 v[10:11], s[30:31], v3, s29, 0
	v_lshl_add_u64 v[10:11], v[10:11], 2, v[0:1]
	flat_load_dword v7, v[10:11]
.LBB37_23:
	s_or_b64 exec, exec, s[18:19]
	s_or_b64 s[6:7], s[6:7], s[4:5]
	s_xor_b64 s[18:19], s[6:7], -1
	s_and_saveexec_b64 s[6:7], s[18:19]
	s_cbranch_execz .LBB37_25
; %bb.24:
	s_waitcnt lgkmcnt(0)
	v_mad_i64_i32 v[10:11], s[18:19], v4, s29, 0
	v_lshl_add_u64 v[0:1], v[10:11], 2, v[0:1]
	flat_load_dword v6, v[0:1]
.LBB37_25:
	s_or_b64 exec, exec, s[6:7]
	v_lshl_or_b32 v207, v2, 4, v68
	v_lshlrev_b32_e32 v206, 4, v205
	s_waitcnt vmcnt(0) lgkmcnt(0)
	ds_write_b32 v207, v67 offset:4096
	ds_write2st64_b32 v207, v9, v8 offset1:4
	s_waitcnt lgkmcnt(0)
	s_barrier
	ds_read_b128 v[8:11], v206
	v_lshlrev_b32_e32 v67, 4, v204
	ds_read_b128 v[12:15], v67 offset:4992
	ds_read_b128 v[16:19], v206 offset:512
	ds_read_b128 v[20:23], v67 offset:4864
	ds_read_b128 v[24:27], v206 offset:1536
	ds_read_b128 v[28:31], v206 offset:1024
	s_waitcnt lgkmcnt(5)
	v_max_f32_e32 v56, v9, v9
	s_waitcnt lgkmcnt(4)
	v_max_f32_e32 v60, v13, v13
	v_max_f32_e32 v57, v8, v8
	;; [unrolled: 1-line block ×3, first 2 shown]
	ds_read_b128 v[32:35], v67 offset:4096
	ds_read_b128 v[36:39], v67 offset:4224
	v_max_f32_e32 v69, v11, v11
	v_max_f32_e32 v122, v15, v15
	;; [unrolled: 1-line block ×4, first 2 shown]
	ds_read_b128 v[8:11], v67 offset:4352
	ds_read_b128 v[12:15], v67 offset:4480
	s_waitcnt lgkmcnt(4)
	v_max_f32_e32 v62, v29, v29
	v_max_f32_e32 v63, v28, v28
	;; [unrolled: 1-line block ×4, first 2 shown]
	s_waitcnt lgkmcnt(2)
	v_max_f32_e32 v24, v36, v36
	v_max_f32_e32 v25, v37, v37
	s_waitcnt lgkmcnt(1)
	v_max_f32_e32 v28, v8, v8
	v_max_f32_e32 v29, v9, v9
	;; [unrolled: 3-line block ×3, first 2 shown]
	v_max_f32_e32 v77, v11, v11
	ds_read_b128 v[8:11], v67 offset:4608
	v_max_f32_e32 v37, v13, v13
	v_max_f32_e32 v88, v14, v14
	;; [unrolled: 1-line block ×3, first 2 shown]
	ds_read_b128 v[12:15], v67 offset:4736
	v_max_f32_e32 v58, v17, v17
	v_max_f32_e32 v59, v16, v16
	;; [unrolled: 1-line block ×4, first 2 shown]
	s_waitcnt lgkmcnt(1)
	v_max_f32_e32 v44, v8, v8
	v_max_f32_e32 v45, v9, v9
	s_waitcnt lgkmcnt(0)
	v_max_f32_e32 v52, v12, v12
	v_max_f32_e32 v53, v13, v13
	;; [unrolled: 1-line block ×4, first 2 shown]
	v_min_f32_e32 v55, v60, v56
	v_min_f32_e32 v54, v61, v57
	v_max_f32_e32 v124, v19, v19
	v_max_f32_e32 v125, v18, v18
	;; [unrolled: 1-line block ×12, first 2 shown]
	v_min_f32_e32 v0, v16, v57
	v_min_f32_e32 v1, v17, v56
	;; [unrolled: 1-line block ×42, first 2 shown]
	v_pk_add_f32 v[54:55], v[54:55], 0 op_sel_hi:[1,0]
	v_min_f32_e32 v61, v122, v69
	v_min_f32_e32 v60, v123, v112
	v_pk_add_f32 v[100:101], v[54:55], v[60:61]
	v_pk_add_f32 v[54:55], v[56:57], 0 op_sel_hi:[1,0]
	v_min_f32_e32 v57, v122, v124
	v_min_f32_e32 v56, v123, v125
	v_max_f32_e32 v72, v34, v34
	v_max_f32_e32 v73, v35, v35
	v_pk_add_f32 v[84:85], v[54:55], v[56:57]
	v_pk_add_f32 v[54:55], v[58:59], 0 op_sel_hi:[1,0]
	v_min_f32_e32 v57, v122, v126
	v_min_f32_e32 v56, v123, v127
	v_max_f32_e32 v128, v27, v27
	v_max_f32_e32 v129, v26, v26
	v_min_f32_e32 v26, v28, v63
	v_min_f32_e32 v27, v29, v62
	;; [unrolled: 1-line block ×18, first 2 shown]
	v_pk_add_f32 v[64:65], v[54:55], v[56:57]
	v_pk_add_f32 v[0:1], v[0:1], 0 op_sel_hi:[1,0]
	v_min_f32_e32 v54, v72, v112
	v_min_f32_e32 v55, v73, v69
	v_pk_add_f32 v[120:121], v[0:1], v[54:55]
	v_pk_add_f32 v[0:1], v[8:9], 0 op_sel_hi:[1,0]
	v_min_f32_e32 v8, v72, v125
	v_min_f32_e32 v9, v73, v124
	v_pk_add_f32 v[98:99], v[0:1], v[8:9]
	v_pk_add_f32 v[0:1], v[10:11], 0 op_sel_hi:[1,0]
	v_min_f32_e32 v8, v72, v127
	v_min_f32_e32 v9, v73, v126
	v_pk_add_f32 v[82:83], v[0:1], v[8:9]
	v_min_f32_e32 v1, v73, v128
	v_min_f32_e32 v0, v72, v129
	v_pk_add_f32 v[8:9], v[12:13], 0 op_sel_hi:[1,0]
	v_min_f32_e32 v102, v78, v63
	v_min_f32_e32 v103, v79, v62
	v_pk_add_f32 v[62:63], v[8:9], v[0:1]
	v_pk_add_f32 v[0:1], v[14:15], 0 op_sel_hi:[1,0]
	v_min_f32_e32 v8, v74, v112
	v_min_f32_e32 v9, v75, v69
	v_pk_add_f32 v[118:119], v[0:1], v[8:9]
	;; [unrolled: 4-line block ×4, first 2 shown]
	v_min_f32_e32 v1, v75, v128
	v_min_f32_e32 v0, v74, v129
	v_pk_add_f32 v[8:9], v[20:21], 0 op_sel_hi:[1,0]
	s_cmp_lt_i32 s22, 9
	v_pk_add_f32 v[60:61], v[8:9], v[0:1]
	v_pk_add_f32 v[0:1], v[22:23], 0 op_sel_hi:[1,0]
	v_min_f32_e32 v8, v76, v112
	v_min_f32_e32 v9, v77, v69
	v_pk_add_f32 v[116:117], v[0:1], v[8:9]
	v_pk_add_f32 v[0:1], v[24:25], 0 op_sel_hi:[1,0]
	v_min_f32_e32 v8, v76, v125
	v_min_f32_e32 v9, v77, v124
	;; [unrolled: 4-line block ×3, first 2 shown]
	v_pk_add_f32 v[78:79], v[0:1], v[8:9]
	v_min_f32_e32 v1, v77, v128
	v_min_f32_e32 v0, v76, v129
	v_pk_add_f32 v[8:9], v[28:29], 0 op_sel_hi:[1,0]
	ds_write2st64_b32 v207, v7, v6 offset0:8 offset1:12
	ds_write_b32 v207, v5 offset:5120
	v_pk_add_f32 v[58:59], v[8:9], v[0:1]
	v_pk_add_f32 v[0:1], v[30:31], 0 op_sel_hi:[1,0]
	v_min_f32_e32 v8, v88, v112
	v_min_f32_e32 v9, v89, v69
	v_pk_add_f32 v[114:115], v[0:1], v[8:9]
	v_pk_add_f32 v[0:1], v[32:33], 0 op_sel_hi:[1,0]
	v_min_f32_e32 v8, v88, v125
	v_min_f32_e32 v9, v89, v124
	;; [unrolled: 4-line block ×3, first 2 shown]
	v_pk_add_f32 v[76:77], v[0:1], v[8:9]
	v_min_f32_e32 v1, v89, v128
	v_min_f32_e32 v0, v88, v129
	v_pk_add_f32 v[8:9], v[36:37], 0 op_sel_hi:[1,0]
	s_waitcnt lgkmcnt(0)
	v_pk_add_f32 v[56:57], v[8:9], v[0:1]
	v_pk_add_f32 v[0:1], v[38:39], 0 op_sel_hi:[1,0]
	v_min_f32_e32 v8, v110, v112
	v_min_f32_e32 v9, v111, v69
	v_pk_add_f32 v[108:109], v[0:1], v[8:9]
	v_pk_add_f32 v[0:1], v[40:41], 0 op_sel_hi:[1,0]
	v_min_f32_e32 v8, v110, v125
	v_min_f32_e32 v9, v111, v124
	;; [unrolled: 4-line block ×3, first 2 shown]
	v_pk_add_f32 v[74:75], v[0:1], v[8:9]
	v_min_f32_e32 v1, v111, v128
	v_min_f32_e32 v0, v110, v129
	v_pk_add_f32 v[8:9], v[44:45], 0 op_sel_hi:[1,0]
	s_barrier
	v_pk_add_f32 v[54:55], v[8:9], v[0:1]
	v_pk_add_f32 v[0:1], v[46:47], 0 op_sel_hi:[1,0]
	v_min_f32_e32 v8, v113, v112
	v_min_f32_e32 v9, v130, v69
	v_pk_add_f32 v[110:111], v[0:1], v[8:9]
	v_pk_add_f32 v[0:1], v[48:49], 0 op_sel_hi:[1,0]
	v_min_f32_e32 v8, v113, v125
	v_min_f32_e32 v9, v130, v124
	;; [unrolled: 4-line block ×3, first 2 shown]
	v_pk_add_f32 v[72:73], v[0:1], v[8:9]
	v_min_f32_e32 v1, v130, v128
	v_min_f32_e32 v0, v113, v129
	v_pk_add_f32 v[8:9], v[52:53], 0 op_sel_hi:[1,0]
	s_nop 0
	v_pk_add_f32 v[52:53], v[8:9], v[0:1]
	v_min_f32_e32 v0, v131, v112
	v_min_f32_e32 v1, v132, v69
	v_pk_add_f32 v[8:9], v[70:71], 0 op_sel_hi:[1,0]
	s_nop 0
	;; [unrolled: 5-line block ×6, first 2 shown]
	v_pk_add_f32 v[48:49], v[8:9], v[0:1]
	s_cbranch_scc1 .LBB37_40
; %bb.26:
	v_mov_b32_e32 v0, 0x1400
	v_lshl_add_u32 v212, v204, 4, v0
	v_mov_b32_e32 v0, 0x800
	v_lshl_add_u32 v213, v205, 4, v0
	v_lshl_add_u32 v0, s2, 6, v2
	s_lshl_b32 s2, s23, 6
	v_subrev_u32_e32 v0, s2, v0
	v_mad_i64_i32 v[0:1], s[2:3], s3, v0, 0
	v_lshl_add_u64 v[102:103], v[0:1], 2, s[14:15]
	v_mad_i64_i32 v[0:1], s[2:3], s29, v3, 0
	v_lshl_add_u64 v[104:105], v[0:1], 2, s[16:17]
	v_mad_i64_i32 v[0:1], s[2:3], s29, v4, 0
	v_add_u32_e32 v208, 0x1000, v207
	v_add_u32_e32 v209, 0x1000, v67
	;; [unrolled: 1-line block ×4, first 2 shown]
	s_add_i32 s18, s22, -8
	v_mov_b32_e32 v69, 0
	v_lshl_add_u64 v[106:107], v[0:1], 2, s[16:17]
	s_mov_b32 s14, 0
	s_branch .LBB37_28
.LBB37_27:                              ;   in Loop: Header=BB37_28 Depth=1
	s_or_b64 exec, exec, s[2:3]
	v_pk_add_f32 v[40:41], v[100:101], v[40:41]
	v_pk_add_f32 v[32:33], v[64:65], v[32:33]
	;; [unrolled: 1-line block ×19, first 2 shown]
	ds_read_b128 v[0:3], v206
	ds_read_b128 v[8:11], v206 offset:512
	v_pk_add_f32 v[20:21], v[120:121], v[6:7]
	ds_read_b128 v[4:7], v209 offset:896
	v_pk_add_f32 v[44:45], v[98:99], v[44:45]
	v_pk_add_f32 v[98:99], v[58:59], v[136:137]
	;; [unrolled: 1-line block ×14, first 2 shown]
	ds_read_b128 v[12:15], v209 offset:768
	v_pk_add_f32 v[42:43], v[114:115], v[182:183]
	s_waitcnt lgkmcnt(0)
	v_max_f32_e32 v99, v5, v5
	v_max_f32_e32 v101, v4, v4
	;; [unrolled: 1-line block ×4, first 2 shown]
	v_pk_add_f32 v[24:25], v[62:63], v[24:25]
	v_pk_add_f32 v[62:63], v[118:119], v[128:129]
	;; [unrolled: 1-line block ×9, first 2 shown]
	ds_read_b128 v[84:87], v206 offset:1536
	ds_read_b128 v[88:91], v206 offset:1024
	v_min_f32_e32 v5, v99, v114
	v_min_f32_e32 v4, v101, v115
	v_pk_add_f32 v[60:61], v[62:63], v[168:169]
	v_pk_add_f32 v[62:63], v[82:83], v[166:167]
	;; [unrolled: 1-line block ×3, first 2 shown]
	ds_read_b128 v[80:83], v209
	v_pk_add_f32 v[96:97], v[116:117], v[134:135]
	v_pk_add_f32 v[94:95], v[94:95], v[132:133]
	;; [unrolled: 1-line block ×6, first 2 shown]
	ds_read_b128 v[92:95], v209 offset:128
	v_pk_add_f32 v[34:35], v[116:117], v[188:189]
	s_waitcnt lgkmcnt(0)
	v_max_f32_e32 v116, v89, v89
	v_max_f32_e32 v117, v88, v88
	v_pk_add_f32 v[118:119], v[52:53], v[154:155]
	v_pk_add_f32 v[52:53], v[96:97], v[174:175]
	v_max_f32_e32 v98, v1, v1
	v_max_f32_e32 v100, v0, v0
	v_min_f32_e32 v9, v99, v116
	v_min_f32_e32 v8, v101, v117
	v_max_f32_e32 v96, v80, v80
	v_max_f32_e32 v97, v81, v81
	v_pk_add_f32 v[8:9], v[78:79], v[8:9]
	v_min_f32_e32 v78, v96, v100
	v_min_f32_e32 v79, v97, v98
	v_pk_add_f32 v[78:79], v[72:73], v[78:79]
	v_min_f32_e32 v72, v96, v115
	v_min_f32_e32 v73, v97, v114
	;; [unrolled: 3-line block ×3, first 2 shown]
	v_max_f32_e32 v85, v85, v85
	v_max_f32_e32 v84, v84, v84
	v_pk_add_f32 v[70:71], v[24:25], v[26:27]
	v_pk_add_f32 v[88:89], v[76:77], v[72:73]
	v_min_f32_e32 v73, v97, v85
	v_min_f32_e32 v72, v96, v84
	v_max_f32_e32 v74, v92, v92
	v_max_f32_e32 v75, v93, v93
	v_pk_add_f32 v[96:97], v[70:71], v[72:73]
	v_min_f32_e32 v70, v74, v100
	v_min_f32_e32 v71, v75, v98
	v_pk_add_f32 v[60:61], v[60:61], v[70:71]
	v_min_f32_e32 v70, v74, v115
	v_min_f32_e32 v71, v75, v114
	v_pk_add_f32 v[92:93], v[62:63], v[70:71]
	ds_read_b128 v[70:73], v209 offset:256
	v_pk_add_f32 v[108:109], v[108:109], v[146:147]
	v_min_f32_e32 v62, v74, v117
	v_min_f32_e32 v63, v75, v116
	v_pk_add_f32 v[36:37], v[108:109], v[186:187]
	v_pk_add_f32 v[108:109], v[64:65], v[62:63]
	v_min_f32_e32 v63, v75, v85
	v_min_f32_e32 v62, v74, v84
	ds_read_b128 v[74:77], v209 offset:384
	s_waitcnt lgkmcnt(0)
	v_max_f32_e32 v64, v70, v70
	v_max_f32_e32 v65, v71, v71
	v_pk_add_f32 v[58:59], v[58:59], v[62:63]
	v_min_f32_e32 v62, v64, v100
	v_min_f32_e32 v63, v65, v98
	v_pk_add_f32 v[52:53], v[52:53], v[62:63]
	v_min_f32_e32 v62, v64, v115
	v_min_f32_e32 v63, v65, v114
	;; [unrolled: 3-line block ×4, first 2 shown]
	v_pk_add_f32 v[70:71], v[50:51], v[62:63]
	v_max_f32_e32 v62, v74, v74
	v_max_f32_e32 v63, v75, v75
	v_min_f32_e32 v50, v62, v100
	v_min_f32_e32 v51, v63, v98
	v_pk_add_f32 v[110:111], v[110:111], v[152:153]
	v_pk_add_f32 v[74:75], v[44:45], v[50:51]
	v_min_f32_e32 v44, v62, v115
	v_min_f32_e32 v45, v63, v114
	v_pk_add_f32 v[112:113], v[112:113], v[158:159]
	v_pk_add_f32 v[28:29], v[110:111], v[196:197]
	;; [unrolled: 1-line block ×3, first 2 shown]
	v_min_f32_e32 v44, v62, v117
	v_min_f32_e32 v45, v63, v116
	v_pk_add_f32 v[24:25], v[112:113], v[202:203]
	v_pk_add_f32 v[112:113], v[48:49], v[44:45]
	ds_read_b128 v[44:47], v209 offset:512
	v_min_f32_e32 v49, v63, v85
	v_min_f32_e32 v48, v62, v84
	v_pk_add_f32 v[42:43], v[42:43], v[48:49]
	ds_read_b128 v[48:51], v209 offset:640
	s_waitcnt lgkmcnt(0)
	v_max_f32_e32 v62, v44, v44
	v_max_f32_e32 v63, v45, v45
	v_min_f32_e32 v44, v62, v100
	v_min_f32_e32 v45, v63, v98
	v_pk_add_f32 v[36:37], v[36:37], v[44:45]
	v_min_f32_e32 v44, v62, v115
	v_min_f32_e32 v45, v63, v114
	v_pk_add_f32 v[38:39], v[38:39], v[44:45]
	;; [unrolled: 3-line block ×3, first 2 shown]
	v_min_f32_e32 v45, v63, v85
	v_min_f32_e32 v44, v62, v84
	v_max_f32_e32 v48, v48, v48
	v_max_f32_e32 v49, v49, v49
	v_pk_add_f32 v[34:35], v[34:35], v[44:45]
	v_min_f32_e32 v44, v48, v100
	v_min_f32_e32 v45, v49, v98
	v_pk_add_f32 v[28:29], v[28:29], v[44:45]
	v_min_f32_e32 v44, v48, v115
	v_min_f32_e32 v45, v49, v114
	;; [unrolled: 3-line block ×3, first 2 shown]
	v_pk_add_f32 v[26:27], v[118:119], v[198:199]
	v_pk_add_f32 v[32:33], v[32:33], v[44:45]
	v_min_f32_e32 v45, v49, v85
	v_min_f32_e32 v44, v48, v84
	v_pk_add_f32 v[26:27], v[26:27], v[44:45]
	v_max_f32_e32 v44, v12, v12
	v_max_f32_e32 v45, v13, v13
	v_min_f32_e32 v12, v44, v100
	v_min_f32_e32 v13, v45, v98
	v_pk_add_f32 v[12:13], v[24:25], v[12:13]
	v_min_f32_e32 v24, v44, v115
	v_min_f32_e32 v25, v45, v114
	v_pk_add_f32 v[22:23], v[22:23], v[24:25]
	;; [unrolled: 3-line block ×4, first 2 shown]
	v_pk_add_f32 v[20:21], v[20:21], v[24:25]
	v_min_f32_e32 v25, v99, v85
	v_min_f32_e32 v24, v101, v84
	;; [unrolled: 1-line block ×4, first 2 shown]
	v_pk_add_f32 v[16:17], v[16:17], v[24:25]
	v_max_f32_e32 v24, v3, v3
	v_max_f32_e32 v7, v7, v7
	;; [unrolled: 1-line block ×4, first 2 shown]
	v_pk_add_f32 v[0:1], v[124:125], v[0:1]
	v_min_f32_e32 v3, v7, v24
	v_min_f32_e32 v2, v6, v25
	v_pk_add_f32 v[100:101], v[0:1], v[2:3]
	v_max_f32_e32 v2, v11, v11
	v_max_f32_e32 v3, v10, v10
	v_min_f32_e32 v1, v7, v2
	v_min_f32_e32 v0, v6, v3
	v_pk_add_f32 v[84:85], v[4:5], v[0:1]
	v_max_f32_e32 v4, v91, v91
	v_max_f32_e32 v5, v90, v90
	;; [unrolled: 5-line block ×3, first 2 shown]
	v_min_f32_e32 v0, v8, v25
	v_min_f32_e32 v1, v9, v24
	v_pk_add_f32 v[120:121], v[78:79], v[0:1]
	v_min_f32_e32 v0, v8, v3
	v_min_f32_e32 v1, v9, v2
	v_pk_add_f32 v[98:99], v[80:81], v[0:1]
	v_min_f32_e32 v0, v8, v5
	v_min_f32_e32 v1, v9, v4
	v_max_f32_e32 v10, v87, v87
	v_pk_add_f32 v[82:83], v[88:89], v[0:1]
	v_min_f32_e32 v1, v9, v10
	v_max_f32_e32 v9, v86, v86
	v_min_f32_e32 v0, v8, v9
	v_max_f32_e32 v8, v94, v94
	v_max_f32_e32 v11, v95, v95
	v_pk_add_f32 v[62:63], v[96:97], v[0:1]
	v_min_f32_e32 v0, v8, v25
	v_min_f32_e32 v1, v11, v24
	v_pk_add_f32 v[118:119], v[60:61], v[0:1]
	v_min_f32_e32 v0, v8, v3
	v_min_f32_e32 v1, v11, v2
	v_pk_add_f32 v[96:97], v[92:93], v[0:1]
	v_min_f32_e32 v0, v8, v5
	v_min_f32_e32 v1, v11, v4
	v_pk_add_f32 v[80:81], v[108:109], v[0:1]
	v_min_f32_e32 v1, v11, v10
	v_min_f32_e32 v0, v8, v9
	v_max_f32_e32 v8, v72, v72
	v_max_f32_e32 v11, v73, v73
	v_pk_add_f32 v[60:61], v[58:59], v[0:1]
	v_min_f32_e32 v0, v8, v25
	v_min_f32_e32 v1, v11, v24
	v_pk_add_f32 v[116:117], v[52:53], v[0:1]
	v_min_f32_e32 v0, v8, v3
	v_min_f32_e32 v1, v11, v2
	v_pk_add_f32 v[94:95], v[54:55], v[0:1]
	v_min_f32_e32 v0, v8, v5
	v_min_f32_e32 v1, v11, v4
	v_pk_add_f32 v[78:79], v[56:57], v[0:1]
	v_min_f32_e32 v1, v11, v10
	;; [unrolled: 14-line block ×6, first 2 shown]
	v_min_f32_e32 v0, v8, v9
	v_pk_add_f32 v[50:51], v[20:21], v[0:1]
	v_min_f32_e32 v1, v7, v10
	v_min_f32_e32 v0, v6, v9
	s_add_i32 s14, s14, 8
	v_pk_add_f32 v[48:49], v[16:17], v[0:1]
	v_lshl_add_u64 v[102:103], v[102:103], 0, 32
	v_lshl_add_u64 v[104:105], v[104:105], 0, 32
	s_cmp_ge_i32 s14, s18
	v_lshl_add_u64 v[106:107], v[106:107], 0, 32
	s_waitcnt vmcnt(0)
	ds_write_b32 v210, v215
	ds_write2st64_b32 v211, v214, v216 offset1:4
	s_waitcnt lgkmcnt(0)
	s_barrier
	s_cbranch_scc1 .LBB37_40
.LBB37_28:                              ; =>This Inner Loop Header: Depth=1
	v_add_u32_e32 v128, s14, v66
	v_add_u32_e32 v0, 8, v128
	v_cmp_le_i32_e64 s[6:7], s22, v0
	s_or_b64 s[2:3], s[6:7], vcc
	s_xor_b64 s[16:17], s[2:3], -1
	v_lshl_add_u64 v[124:125], v[102:103], 0, v[68:69]
	v_mov_b32_e32 v129, 0
	s_and_saveexec_b64 s[2:3], s[16:17]
	s_cbranch_execz .LBB37_30
; %bb.29:                               ;   in Loop: Header=BB37_28 Depth=1
	flat_load_dword v129, v[124:125] offset:32
.LBB37_30:                              ;   in Loop: Header=BB37_28 Depth=1
	s_or_b64 exec, exec, s[2:3]
	s_or_b64 s[2:3], s[8:9], s[6:7]
	s_xor_b64 s[16:17], s[2:3], -1
	v_mov_b32_e32 v130, 0
	v_lshl_add_u64 v[126:127], v[104:105], 0, v[68:69]
	v_mov_b32_e32 v131, 0
	s_and_saveexec_b64 s[2:3], s[16:17]
	s_cbranch_execz .LBB37_32
; %bb.31:                               ;   in Loop: Header=BB37_28 Depth=1
	flat_load_dword v131, v[126:127] offset:32
.LBB37_32:                              ;   in Loop: Header=BB37_28 Depth=1
	s_or_b64 exec, exec, s[2:3]
	s_or_b64 s[2:3], s[4:5], s[6:7]
	s_xor_b64 s[6:7], s[2:3], -1
	v_lshl_add_u64 v[122:123], v[106:107], 0, v[68:69]
	s_and_saveexec_b64 s[2:3], s[6:7]
	s_cbranch_execz .LBB37_34
; %bb.33:                               ;   in Loop: Header=BB37_28 Depth=1
	flat_load_dword v130, v[122:123] offset:32
.LBB37_34:                              ;   in Loop: Header=BB37_28 Depth=1
	s_or_b64 exec, exec, s[2:3]
	ds_read_b128 v[40:43], v213
	ds_read_b128 v[36:39], v213 offset:512
	ds_read_b128 v[24:27], v213 offset:1536
	;; [unrolled: 1-line block ×3, first 2 shown]
	ds_read_b128 v[28:31], v212
	ds_read_b128 v[20:23], v212 offset:128
	ds_read_b128 v[16:19], v212 offset:256
	;; [unrolled: 1-line block ×7, first 2 shown]
	v_add_u32_e32 v128, 12, v128
	v_cmp_le_i32_e64 s[6:7], s22, v128
	s_or_b64 s[2:3], s[6:7], vcc
	s_xor_b64 s[16:17], s[2:3], -1
	v_mov_b32_e32 v214, 0
	v_mov_b32_e32 v215, 0
	s_waitcnt vmcnt(0) lgkmcnt(0)
	ds_write_b32 v208, v129
	ds_write2st64_b32 v207, v131, v130 offset1:4
	s_waitcnt lgkmcnt(0)
	s_barrier
	s_and_saveexec_b64 s[2:3], s[16:17]
	s_cbranch_execz .LBB37_36
; %bb.35:                               ;   in Loop: Header=BB37_28 Depth=1
	flat_load_dword v215, v[124:125] offset:48
.LBB37_36:                              ;   in Loop: Header=BB37_28 Depth=1
	s_or_b64 exec, exec, s[2:3]
	s_or_b64 s[2:3], s[8:9], s[6:7]
	s_xor_b64 s[16:17], s[2:3], -1
	s_and_saveexec_b64 s[2:3], s[16:17]
	s_cbranch_execz .LBB37_38
; %bb.37:                               ;   in Loop: Header=BB37_28 Depth=1
	flat_load_dword v214, v[126:127] offset:48
.LBB37_38:                              ;   in Loop: Header=BB37_28 Depth=1
	s_or_b64 exec, exec, s[2:3]
	v_max_f32_e32 v156, v41, v41
	v_max_f32_e32 v162, v45, v45
	;; [unrolled: 1-line block ×34, first 2 shown]
	v_min_f32_e32 v41, v162, v156
	v_min_f32_e32 v40, v164, v157
	;; [unrolled: 1-line block ×62, first 2 shown]
	v_max_f32_e32 v193, v47, v47
	v_max_f32_e32 v216, v46, v46
	;; [unrolled: 1-line block ×12, first 2 shown]
	v_min_f32_e32 v196, v6, v200
	v_min_f32_e32 v197, v7, v192
	;; [unrolled: 1-line block ×8, first 2 shown]
	v_max_f32_e32 v6, v2, v2
	v_max_f32_e32 v7, v3, v3
	s_or_b64 s[2:3], s[4:5], s[6:7]
	v_min_f32_e32 v32, v164, v165
	v_min_f32_e32 v0, v168, v165
	;; [unrolled: 1-line block ×58, first 2 shown]
	s_xor_b64 s[6:7], s[2:3], -1
	v_mov_b32_e32 v216, 0
	s_and_saveexec_b64 s[2:3], s[6:7]
	s_cbranch_execz .LBB37_27
; %bb.39:                               ;   in Loop: Header=BB37_28 Depth=1
	flat_load_dword v216, v[122:123] offset:48
	s_branch .LBB37_27
.LBB37_40:
	s_load_dwordx2 s[2:3], s[0:1], 0x70
	s_load_dword s30, s[0:1], 0x50
	s_load_dword s29, s[0:1], 0x68
	ds_read_b128 v[44:47], v206 offset:2048
	ds_read_b128 v[40:43], v206 offset:2560
	;; [unrolled: 1-line block ×12, first 2 shown]
	s_waitcnt lgkmcnt(0)
	s_lshl_b64 s[0:1], s[2:3], 2
	s_add_u32 s22, s12, s0
	v_add_u32_e32 v126, s27, v205
	s_addc_u32 s23, s13, s1
	v_mad_i64_i32 v[68:69], s[0:1], v126, s30, 0
	v_add_u32_e32 v66, s26, v204
	v_lshl_add_u64 v[124:125], v[68:69], 2, s[24:25]
	v_mad_i64_i32 v[68:69], s[0:1], v126, s29, 0
	v_cmp_gt_i32_e64 s[18:19], s21, v126
	v_lshl_add_u64 v[122:123], v[68:69], 2, s[22:23]
	v_cmp_gt_i32_e64 s[2:3], s20, v66
	v_cndmask_b32_e64 v68, 0, 1, s[10:11]
	s_and_b64 s[6:7], s[2:3], s[18:19]
	v_ashrrev_i32_e32 v67, 31, v66
	v_cmp_ne_u32_e64 s[0:1], 1, v68
	s_and_saveexec_b64 s[4:5], s[6:7]
	s_cbranch_execz .LBB37_45
; %bb.41:
	s_and_b64 vcc, exec, s[0:1]
	s_cbranch_vccnz .LBB37_43
; %bb.42:
	v_lshl_add_u64 v[68:69], v[66:67], 2, v[124:125]
	flat_load_dword v68, v[68:69]
	s_waitcnt vmcnt(0) lgkmcnt(0)
	v_mul_f32_e32 v68, s28, v68
	s_branch .LBB37_44
.LBB37_43:
	v_mov_b32_e32 v68, 0
.LBB37_44:
	v_max_f32_e32 v69, v44, v44
	v_max_f32_e32 v102, v32, v32
	v_min_f32_e32 v102, v102, v69
	v_max_f32_e32 v69, v45, v45
	v_max_f32_e32 v103, v33, v33
	v_min_f32_e32 v103, v103, v69
	;; [unrolled: 3-line block ×3, first 2 shown]
	v_max_f32_e32 v69, v47, v47
	v_max_f32_e32 v105, v35, v35
	v_pk_add_f32 v[102:103], v[120:121], v[102:103]
	v_min_f32_e32 v105, v105, v69
	v_pk_add_f32 v[102:103], v[102:103], v[104:105]
	s_nop 0
	v_add_f32_e32 v69, v102, v103
	v_add_f32_e32 v102, v69, v68
	v_lshl_add_u64 v[68:69], v[66:67], 2, v[122:123]
	global_store_dword v[68:69], v102, off
.LBB37_45:
	s_or_b64 exec, exec, s[4:5]
	v_add_u32_e32 v68, 8, v66
	v_cmp_gt_i32_e64 s[4:5], s20, v68
	s_and_b64 s[8:9], s[4:5], s[18:19]
	v_ashrrev_i32_e32 v69, 31, v68
	s_and_saveexec_b64 s[6:7], s[8:9]
	s_cbranch_execz .LBB37_50
; %bb.46:
	s_and_b64 vcc, exec, s[0:1]
	s_cbranch_vccnz .LBB37_48
; %bb.47:
	v_lshl_add_u64 v[102:103], v[68:69], 2, v[124:125]
	flat_load_dword v102, v[102:103]
	s_waitcnt vmcnt(0) lgkmcnt(0)
	v_mul_f32_e32 v102, s28, v102
	s_branch .LBB37_49
.LBB37_48:
	v_mov_b32_e32 v102, 0
.LBB37_49:
	v_max_f32_e32 v103, v44, v44
	v_max_f32_e32 v104, v28, v28
	v_min_f32_e32 v104, v104, v103
	v_max_f32_e32 v103, v45, v45
	v_max_f32_e32 v105, v29, v29
	v_min_f32_e32 v105, v105, v103
	;; [unrolled: 3-line block ×3, first 2 shown]
	v_max_f32_e32 v103, v47, v47
	v_max_f32_e32 v107, v31, v31
	v_pk_add_f32 v[104:105], v[118:119], v[104:105]
	v_min_f32_e32 v107, v107, v103
	v_pk_add_f32 v[104:105], v[104:105], v[106:107]
	s_nop 0
	v_add_f32_e32 v103, v104, v105
	v_add_f32_e32 v104, v103, v102
	v_lshl_add_u64 v[102:103], v[68:69], 2, v[122:123]
	global_store_dword v[102:103], v104, off
.LBB37_50:
	s_or_b64 exec, exec, s[6:7]
	v_add_u32_e32 v102, 16, v66
	v_cmp_gt_i32_e64 s[6:7], s20, v102
	s_and_b64 s[10:11], s[6:7], s[18:19]
	v_ashrrev_i32_e32 v103, 31, v102
	s_and_saveexec_b64 s[8:9], s[10:11]
	s_cbranch_execz .LBB37_55
; %bb.51:
	s_and_b64 vcc, exec, s[0:1]
	s_cbranch_vccnz .LBB37_53
; %bb.52:
	v_lshl_add_u64 v[104:105], v[102:103], 2, v[124:125]
	flat_load_dword v104, v[104:105]
	s_waitcnt vmcnt(0) lgkmcnt(0)
	v_mul_f32_e32 v104, s28, v104
	s_branch .LBB37_54
.LBB37_53:
	v_mov_b32_e32 v104, 0
.LBB37_54:
	v_max_f32_e32 v105, v44, v44
	v_max_f32_e32 v106, v24, v24
	v_min_f32_e32 v106, v106, v105
	v_max_f32_e32 v105, v45, v45
	v_max_f32_e32 v107, v25, v25
	v_min_f32_e32 v107, v107, v105
	v_pk_add_f32 v[106:107], v[116:117], v[106:107]
	v_max_f32_e32 v105, v46, v46
	v_max_f32_e32 v116, v26, v26
	v_min_f32_e32 v116, v116, v105
	v_max_f32_e32 v105, v47, v47
	v_max_f32_e32 v117, v27, v27
	v_min_f32_e32 v117, v117, v105
	v_pk_add_f32 v[106:107], v[106:107], v[116:117]
	s_nop 0
	v_add_f32_e32 v105, v106, v107
	v_add_f32_e32 v106, v105, v104
	v_lshl_add_u64 v[104:105], v[102:103], 2, v[122:123]
	global_store_dword v[104:105], v106, off
.LBB37_55:
	s_or_b64 exec, exec, s[8:9]
	v_add_u32_e32 v104, 24, v66
	v_cmp_gt_i32_e64 s[8:9], s20, v104
	s_and_b64 s[12:13], s[8:9], s[18:19]
	v_ashrrev_i32_e32 v105, 31, v104
	s_and_saveexec_b64 s[10:11], s[12:13]
	s_cbranch_execz .LBB37_60
; %bb.56:
	s_and_b64 vcc, exec, s[0:1]
	s_cbranch_vccnz .LBB37_58
; %bb.57:
	v_lshl_add_u64 v[106:107], v[104:105], 2, v[124:125]
	flat_load_dword v106, v[106:107]
	s_waitcnt vmcnt(0) lgkmcnt(0)
	v_mul_f32_e32 v106, s28, v106
	s_branch .LBB37_59
.LBB37_58:
	v_mov_b32_e32 v106, 0
.LBB37_59:
	v_max_f32_e32 v107, v44, v44
	v_max_f32_e32 v116, v20, v20
	v_min_f32_e32 v116, v116, v107
	v_max_f32_e32 v107, v45, v45
	v_max_f32_e32 v117, v21, v21
	v_min_f32_e32 v117, v117, v107
	v_pk_add_f32 v[114:115], v[114:115], v[116:117]
	v_max_f32_e32 v107, v46, v46
	v_max_f32_e32 v116, v22, v22
	v_min_f32_e32 v116, v116, v107
	v_max_f32_e32 v107, v47, v47
	v_max_f32_e32 v117, v23, v23
	v_min_f32_e32 v117, v117, v107
	v_pk_add_f32 v[114:115], v[114:115], v[116:117]
	s_nop 0
	v_add_f32_e32 v107, v114, v115
	v_add_f32_e32 v114, v107, v106
	v_lshl_add_u64 v[106:107], v[104:105], 2, v[122:123]
	global_store_dword v[106:107], v114, off
.LBB37_60:
	;; [unrolled: 39-line block ×6, first 2 shown]
	s_or_b64 exec, exec, s[18:19]
	v_add_u32_e32 v100, 32, v126
	v_mad_i64_i32 v[44:45], s[26:27], v100, s30, 0
	v_cmp_gt_i32_e64 s[18:19], s21, v100
	v_lshl_add_u64 v[46:47], v[44:45], 2, s[24:25]
	v_mad_i64_i32 v[44:45], s[26:27], v100, s29, 0
	v_lshl_add_u64 v[44:45], v[44:45], 2, s[22:23]
	s_and_b64 s[34:35], s[2:3], s[18:19]
	s_and_saveexec_b64 s[26:27], s[34:35]
	s_cbranch_execnz .LBB37_88
; %bb.81:
	s_or_b64 exec, exec, s[26:27]
	s_and_b64 s[34:35], s[4:5], s[18:19]
	s_and_saveexec_b64 s[26:27], s[34:35]
	s_cbranch_execnz .LBB37_92
.LBB37_82:
	s_or_b64 exec, exec, s[26:27]
	s_and_b64 s[34:35], s[6:7], s[18:19]
	s_and_saveexec_b64 s[26:27], s[34:35]
	s_cbranch_execnz .LBB37_96
.LBB37_83:
	s_or_b64 exec, exec, s[26:27]
	s_and_b64 s[34:35], s[8:9], s[18:19]
	s_and_saveexec_b64 s[26:27], s[34:35]
	s_cbranch_execnz .LBB37_100
.LBB37_84:
	s_or_b64 exec, exec, s[26:27]
	s_and_b64 s[34:35], s[10:11], s[18:19]
	s_and_saveexec_b64 s[26:27], s[34:35]
	s_cbranch_execnz .LBB37_104
.LBB37_85:
	s_or_b64 exec, exec, s[26:27]
	s_and_b64 s[34:35], s[12:13], s[18:19]
	s_and_saveexec_b64 s[26:27], s[34:35]
	s_cbranch_execnz .LBB37_108
.LBB37_86:
	s_or_b64 exec, exec, s[26:27]
	s_and_b64 s[34:35], s[14:15], s[18:19]
	s_and_saveexec_b64 s[26:27], s[34:35]
	s_cbranch_execnz .LBB37_112
.LBB37_87:
	s_or_b64 exec, exec, s[26:27]
	s_and_b64 s[26:27], s[16:17], s[18:19]
	s_and_saveexec_b64 s[18:19], s[26:27]
	s_cbranch_execnz .LBB37_116
	s_branch .LBB37_120
.LBB37_88:
	s_and_b64 vcc, exec, s[0:1]
	s_cbranch_vccnz .LBB37_90
; %bb.89:
	v_lshl_add_u64 v[100:101], v[66:67], 2, v[46:47]
	flat_load_dword v100, v[100:101]
	s_waitcnt vmcnt(0) lgkmcnt(0)
	v_mul_f32_e32 v100, s28, v100
	s_branch .LBB37_91
.LBB37_90:
	v_mov_b32_e32 v100, 0
.LBB37_91:
	v_max_f32_e32 v101, v40, v40
	v_max_f32_e32 v114, v32, v32
	v_min_f32_e32 v114, v114, v101
	v_max_f32_e32 v101, v41, v41
	v_max_f32_e32 v115, v33, v33
	v_min_f32_e32 v115, v115, v101
	v_pk_add_f32 v[98:99], v[98:99], v[114:115]
	v_max_f32_e32 v101, v42, v42
	v_max_f32_e32 v114, v34, v34
	v_min_f32_e32 v114, v114, v101
	v_max_f32_e32 v101, v43, v43
	v_max_f32_e32 v115, v35, v35
	v_min_f32_e32 v115, v115, v101
	v_pk_add_f32 v[98:99], v[98:99], v[114:115]
	s_nop 0
	v_add_f32_e32 v98, v98, v99
	v_add_f32_e32 v100, v98, v100
	v_lshl_add_u64 v[98:99], v[66:67], 2, v[44:45]
	global_store_dword v[98:99], v100, off
	s_or_b64 exec, exec, s[26:27]
	s_and_b64 s[34:35], s[4:5], s[18:19]
	s_and_saveexec_b64 s[26:27], s[34:35]
	s_cbranch_execz .LBB37_82
.LBB37_92:
	s_and_b64 vcc, exec, s[0:1]
	s_cbranch_vccnz .LBB37_94
; %bb.93:
	v_lshl_add_u64 v[98:99], v[68:69], 2, v[46:47]
	flat_load_dword v98, v[98:99]
	s_waitcnt vmcnt(0) lgkmcnt(0)
	v_mul_f32_e32 v98, s28, v98
	s_branch .LBB37_95
.LBB37_94:
	v_mov_b32_e32 v98, 0
.LBB37_95:
	v_max_f32_e32 v99, v40, v40
	v_max_f32_e32 v100, v28, v28
	v_min_f32_e32 v100, v100, v99
	v_max_f32_e32 v99, v41, v41
	v_max_f32_e32 v101, v29, v29
	v_min_f32_e32 v101, v101, v99
	v_pk_add_f32 v[96:97], v[96:97], v[100:101]
	v_max_f32_e32 v99, v42, v42
	v_max_f32_e32 v100, v30, v30
	v_min_f32_e32 v100, v100, v99
	v_max_f32_e32 v99, v43, v43
	v_max_f32_e32 v101, v31, v31
	v_min_f32_e32 v101, v101, v99
	v_pk_add_f32 v[96:97], v[96:97], v[100:101]
	s_nop 0
	v_add_f32_e32 v96, v96, v97
	v_add_f32_e32 v98, v96, v98
	v_lshl_add_u64 v[96:97], v[68:69], 2, v[44:45]
	global_store_dword v[96:97], v98, off
	s_or_b64 exec, exec, s[26:27]
	s_and_b64 s[34:35], s[6:7], s[18:19]
	s_and_saveexec_b64 s[26:27], s[34:35]
	s_cbranch_execz .LBB37_83
.LBB37_96:
	s_and_b64 vcc, exec, s[0:1]
	s_cbranch_vccnz .LBB37_98
; %bb.97:
	v_lshl_add_u64 v[96:97], v[102:103], 2, v[46:47]
	flat_load_dword v96, v[96:97]
	s_waitcnt vmcnt(0) lgkmcnt(0)
	v_mul_f32_e32 v96, s28, v96
	s_branch .LBB37_99
.LBB37_98:
	v_mov_b32_e32 v96, 0
.LBB37_99:
	v_max_f32_e32 v97, v40, v40
	v_max_f32_e32 v98, v24, v24
	v_min_f32_e32 v98, v98, v97
	v_max_f32_e32 v97, v41, v41
	v_max_f32_e32 v99, v25, v25
	v_min_f32_e32 v99, v99, v97
	v_pk_add_f32 v[94:95], v[94:95], v[98:99]
	v_max_f32_e32 v97, v42, v42
	v_max_f32_e32 v98, v26, v26
	v_min_f32_e32 v98, v98, v97
	v_max_f32_e32 v97, v43, v43
	v_max_f32_e32 v99, v27, v27
	v_min_f32_e32 v99, v99, v97
	v_pk_add_f32 v[94:95], v[94:95], v[98:99]
	s_nop 0
	v_add_f32_e32 v94, v94, v95
	v_add_f32_e32 v96, v94, v96
	v_lshl_add_u64 v[94:95], v[102:103], 2, v[44:45]
	global_store_dword v[94:95], v96, off
	s_or_b64 exec, exec, s[26:27]
	s_and_b64 s[34:35], s[8:9], s[18:19]
	s_and_saveexec_b64 s[26:27], s[34:35]
	s_cbranch_execz .LBB37_84
.LBB37_100:
	s_and_b64 vcc, exec, s[0:1]
	s_cbranch_vccnz .LBB37_102
; %bb.101:
	v_lshl_add_u64 v[94:95], v[104:105], 2, v[46:47]
	flat_load_dword v94, v[94:95]
	s_waitcnt vmcnt(0) lgkmcnt(0)
	v_mul_f32_e32 v94, s28, v94
	s_branch .LBB37_103
.LBB37_102:
	v_mov_b32_e32 v94, 0
.LBB37_103:
	v_max_f32_e32 v95, v40, v40
	v_max_f32_e32 v96, v20, v20
	v_min_f32_e32 v96, v96, v95
	v_max_f32_e32 v95, v41, v41
	v_max_f32_e32 v97, v21, v21
	v_min_f32_e32 v97, v97, v95
	v_pk_add_f32 v[92:93], v[92:93], v[96:97]
	v_max_f32_e32 v95, v42, v42
	v_max_f32_e32 v96, v22, v22
	v_min_f32_e32 v96, v96, v95
	v_max_f32_e32 v95, v43, v43
	v_max_f32_e32 v97, v23, v23
	v_min_f32_e32 v97, v97, v95
	v_pk_add_f32 v[92:93], v[92:93], v[96:97]
	s_nop 0
	v_add_f32_e32 v92, v92, v93
	v_add_f32_e32 v94, v92, v94
	v_lshl_add_u64 v[92:93], v[104:105], 2, v[44:45]
	global_store_dword v[92:93], v94, off
	s_or_b64 exec, exec, s[26:27]
	s_and_b64 s[34:35], s[10:11], s[18:19]
	s_and_saveexec_b64 s[26:27], s[34:35]
	s_cbranch_execz .LBB37_85
.LBB37_104:
	s_and_b64 vcc, exec, s[0:1]
	s_cbranch_vccnz .LBB37_106
; %bb.105:
	v_lshl_add_u64 v[92:93], v[106:107], 2, v[46:47]
	flat_load_dword v92, v[92:93]
	s_waitcnt vmcnt(0) lgkmcnt(0)
	v_mul_f32_e32 v92, s28, v92
	s_branch .LBB37_107
.LBB37_106:
	v_mov_b32_e32 v92, 0
.LBB37_107:
	v_max_f32_e32 v93, v40, v40
	v_max_f32_e32 v94, v16, v16
	v_min_f32_e32 v94, v94, v93
	v_max_f32_e32 v93, v41, v41
	v_max_f32_e32 v95, v17, v17
	v_min_f32_e32 v95, v95, v93
	v_pk_add_f32 v[90:91], v[90:91], v[94:95]
	v_max_f32_e32 v93, v42, v42
	v_max_f32_e32 v94, v18, v18
	v_min_f32_e32 v94, v94, v93
	v_max_f32_e32 v93, v43, v43
	v_max_f32_e32 v95, v19, v19
	v_min_f32_e32 v95, v95, v93
	v_pk_add_f32 v[90:91], v[90:91], v[94:95]
	s_nop 0
	v_add_f32_e32 v90, v90, v91
	v_add_f32_e32 v92, v90, v92
	v_lshl_add_u64 v[90:91], v[106:107], 2, v[44:45]
	global_store_dword v[90:91], v92, off
	s_or_b64 exec, exec, s[26:27]
	s_and_b64 s[34:35], s[12:13], s[18:19]
	s_and_saveexec_b64 s[26:27], s[34:35]
	s_cbranch_execz .LBB37_86
.LBB37_108:
	s_and_b64 vcc, exec, s[0:1]
	s_cbranch_vccnz .LBB37_110
; %bb.109:
	v_lshl_add_u64 v[90:91], v[108:109], 2, v[46:47]
	flat_load_dword v90, v[90:91]
	s_waitcnt vmcnt(0) lgkmcnt(0)
	v_mul_f32_e32 v90, s28, v90
	s_branch .LBB37_111
.LBB37_110:
	v_mov_b32_e32 v90, 0
.LBB37_111:
	v_max_f32_e32 v91, v40, v40
	v_max_f32_e32 v92, v12, v12
	v_min_f32_e32 v92, v92, v91
	v_max_f32_e32 v91, v41, v41
	v_max_f32_e32 v93, v13, v13
	v_min_f32_e32 v93, v93, v91
	v_pk_add_f32 v[88:89], v[88:89], v[92:93]
	v_max_f32_e32 v91, v42, v42
	v_max_f32_e32 v92, v14, v14
	v_min_f32_e32 v92, v92, v91
	v_max_f32_e32 v91, v43, v43
	v_max_f32_e32 v93, v15, v15
	v_min_f32_e32 v93, v93, v91
	v_pk_add_f32 v[88:89], v[88:89], v[92:93]
	s_nop 0
	v_add_f32_e32 v88, v88, v89
	v_add_f32_e32 v90, v88, v90
	v_lshl_add_u64 v[88:89], v[108:109], 2, v[44:45]
	global_store_dword v[88:89], v90, off
	s_or_b64 exec, exec, s[26:27]
	s_and_b64 s[34:35], s[14:15], s[18:19]
	s_and_saveexec_b64 s[26:27], s[34:35]
	s_cbranch_execz .LBB37_87
.LBB37_112:
	s_and_b64 vcc, exec, s[0:1]
	s_cbranch_vccnz .LBB37_114
; %bb.113:
	v_lshl_add_u64 v[88:89], v[110:111], 2, v[46:47]
	flat_load_dword v88, v[88:89]
	s_waitcnt vmcnt(0) lgkmcnt(0)
	v_mul_f32_e32 v88, s28, v88
	s_branch .LBB37_115
.LBB37_114:
	v_mov_b32_e32 v88, 0
.LBB37_115:
	v_max_f32_e32 v89, v40, v40
	v_max_f32_e32 v90, v8, v8
	v_min_f32_e32 v90, v90, v89
	v_max_f32_e32 v89, v41, v41
	v_max_f32_e32 v91, v9, v9
	v_min_f32_e32 v91, v91, v89
	v_pk_add_f32 v[86:87], v[86:87], v[90:91]
	v_max_f32_e32 v89, v42, v42
	v_max_f32_e32 v90, v10, v10
	v_min_f32_e32 v90, v90, v89
	v_max_f32_e32 v89, v43, v43
	v_max_f32_e32 v91, v11, v11
	v_min_f32_e32 v91, v91, v89
	v_pk_add_f32 v[86:87], v[86:87], v[90:91]
	s_nop 0
	v_add_f32_e32 v86, v86, v87
	v_add_f32_e32 v88, v86, v88
	v_lshl_add_u64 v[86:87], v[110:111], 2, v[44:45]
	global_store_dword v[86:87], v88, off
	s_or_b64 exec, exec, s[26:27]
	s_and_b64 s[26:27], s[16:17], s[18:19]
	s_and_saveexec_b64 s[18:19], s[26:27]
	s_cbranch_execz .LBB37_120
.LBB37_116:
	s_and_b64 vcc, exec, s[0:1]
	s_cbranch_vccnz .LBB37_118
; %bb.117:
	v_lshl_add_u64 v[46:47], v[112:113], 2, v[46:47]
	flat_load_dword v46, v[46:47]
	s_waitcnt vmcnt(0) lgkmcnt(0)
	v_mul_f32_e32 v46, s28, v46
	s_branch .LBB37_119
.LBB37_118:
	v_mov_b32_e32 v46, 0
.LBB37_119:
	v_max_f32_e32 v41, v41, v41
	v_max_f32_e32 v47, v5, v5
	v_min_f32_e32 v41, v47, v41
	v_max_f32_e32 v40, v40, v40
	v_max_f32_e32 v47, v4, v4
	v_min_f32_e32 v40, v47, v40
	;; [unrolled: 3-line block ×3, first 2 shown]
	v_max_f32_e32 v42, v42, v42
	v_max_f32_e32 v47, v6, v6
	v_pk_add_f32 v[40:41], v[84:85], v[40:41]
	v_min_f32_e32 v42, v47, v42
	v_pk_add_f32 v[40:41], v[40:41], v[42:43]
	s_nop 0
	v_add_f32_e32 v40, v40, v41
	v_add_f32_e32 v42, v40, v46
	v_lshl_add_u64 v[40:41], v[112:113], 2, v[44:45]
	global_store_dword v[40:41], v42, off
.LBB37_120:
	s_or_b64 exec, exec, s[18:19]
	v_add_u32_e32 v44, 64, v126
	v_mad_i64_i32 v[40:41], s[26:27], v44, s30, 0
	v_cmp_gt_i32_e64 s[18:19], s21, v44
	v_lshl_add_u64 v[42:43], v[40:41], 2, s[24:25]
	v_mad_i64_i32 v[40:41], s[26:27], v44, s29, 0
	v_lshl_add_u64 v[40:41], v[40:41], 2, s[22:23]
	s_and_b64 s[34:35], s[2:3], s[18:19]
	s_and_saveexec_b64 s[26:27], s[34:35]
	s_cbranch_execnz .LBB37_128
; %bb.121:
	s_or_b64 exec, exec, s[26:27]
	s_and_b64 s[34:35], s[4:5], s[18:19]
	s_and_saveexec_b64 s[26:27], s[34:35]
	s_cbranch_execnz .LBB37_132
.LBB37_122:
	s_or_b64 exec, exec, s[26:27]
	s_and_b64 s[34:35], s[6:7], s[18:19]
	s_and_saveexec_b64 s[26:27], s[34:35]
	s_cbranch_execnz .LBB37_136
.LBB37_123:
	s_or_b64 exec, exec, s[26:27]
	s_and_b64 s[34:35], s[8:9], s[18:19]
	s_and_saveexec_b64 s[26:27], s[34:35]
	s_cbranch_execnz .LBB37_140
.LBB37_124:
	s_or_b64 exec, exec, s[26:27]
	s_and_b64 s[34:35], s[10:11], s[18:19]
	s_and_saveexec_b64 s[26:27], s[34:35]
	s_cbranch_execnz .LBB37_144
.LBB37_125:
	s_or_b64 exec, exec, s[26:27]
	s_and_b64 s[34:35], s[12:13], s[18:19]
	s_and_saveexec_b64 s[26:27], s[34:35]
	s_cbranch_execnz .LBB37_148
.LBB37_126:
	s_or_b64 exec, exec, s[26:27]
	s_and_b64 s[34:35], s[14:15], s[18:19]
	s_and_saveexec_b64 s[26:27], s[34:35]
	s_cbranch_execnz .LBB37_152
.LBB37_127:
	s_or_b64 exec, exec, s[26:27]
	s_and_b64 s[26:27], s[16:17], s[18:19]
	s_and_saveexec_b64 s[18:19], s[26:27]
	s_cbranch_execnz .LBB37_156
	s_branch .LBB37_160
.LBB37_128:
	s_and_b64 vcc, exec, s[0:1]
	s_cbranch_vccnz .LBB37_130
; %bb.129:
	v_lshl_add_u64 v[44:45], v[66:67], 2, v[42:43]
	flat_load_dword v44, v[44:45]
	s_waitcnt vmcnt(0) lgkmcnt(0)
	v_mul_f32_e32 v44, s28, v44
	s_branch .LBB37_131
.LBB37_130:
	v_mov_b32_e32 v44, 0
.LBB37_131:
	v_max_f32_e32 v45, v36, v36
	v_max_f32_e32 v46, v32, v32
	v_min_f32_e32 v46, v46, v45
	v_max_f32_e32 v45, v37, v37
	v_max_f32_e32 v47, v33, v33
	v_min_f32_e32 v47, v47, v45
	v_pk_add_f32 v[46:47], v[82:83], v[46:47]
	v_max_f32_e32 v45, v38, v38
	v_max_f32_e32 v82, v34, v34
	v_min_f32_e32 v82, v82, v45
	v_max_f32_e32 v45, v39, v39
	v_max_f32_e32 v83, v35, v35
	v_min_f32_e32 v83, v83, v45
	v_pk_add_f32 v[46:47], v[46:47], v[82:83]
	s_nop 0
	v_add_f32_e32 v45, v46, v47
	v_add_f32_e32 v46, v45, v44
	v_lshl_add_u64 v[44:45], v[66:67], 2, v[40:41]
	global_store_dword v[44:45], v46, off
	s_or_b64 exec, exec, s[26:27]
	s_and_b64 s[34:35], s[4:5], s[18:19]
	s_and_saveexec_b64 s[26:27], s[34:35]
	s_cbranch_execz .LBB37_122
.LBB37_132:
	s_and_b64 vcc, exec, s[0:1]
	s_cbranch_vccnz .LBB37_134
; %bb.133:
	v_lshl_add_u64 v[44:45], v[68:69], 2, v[42:43]
	flat_load_dword v44, v[44:45]
	s_waitcnt vmcnt(0) lgkmcnt(0)
	v_mul_f32_e32 v44, s28, v44
	s_branch .LBB37_135
.LBB37_134:
	v_mov_b32_e32 v44, 0
.LBB37_135:
	v_max_f32_e32 v45, v36, v36
	v_max_f32_e32 v46, v28, v28
	v_min_f32_e32 v46, v46, v45
	v_max_f32_e32 v45, v37, v37
	v_max_f32_e32 v47, v29, v29
	v_min_f32_e32 v47, v47, v45
	v_pk_add_f32 v[46:47], v[80:81], v[46:47]
	v_max_f32_e32 v45, v38, v38
	v_max_f32_e32 v80, v30, v30
	v_min_f32_e32 v80, v80, v45
	v_max_f32_e32 v45, v39, v39
	v_max_f32_e32 v81, v31, v31
	v_min_f32_e32 v81, v81, v45
	v_pk_add_f32 v[46:47], v[46:47], v[80:81]
	s_nop 0
	v_add_f32_e32 v45, v46, v47
	v_add_f32_e32 v46, v45, v44
	v_lshl_add_u64 v[44:45], v[68:69], 2, v[40:41]
	global_store_dword v[44:45], v46, off
	s_or_b64 exec, exec, s[26:27]
	s_and_b64 s[34:35], s[6:7], s[18:19]
	s_and_saveexec_b64 s[26:27], s[34:35]
	s_cbranch_execz .LBB37_123
.LBB37_136:
	s_and_b64 vcc, exec, s[0:1]
	s_cbranch_vccnz .LBB37_138
; %bb.137:
	v_lshl_add_u64 v[44:45], v[102:103], 2, v[42:43]
	flat_load_dword v44, v[44:45]
	s_waitcnt vmcnt(0) lgkmcnt(0)
	v_mul_f32_e32 v44, s28, v44
	s_branch .LBB37_139
.LBB37_138:
	v_mov_b32_e32 v44, 0
.LBB37_139:
	v_max_f32_e32 v45, v36, v36
	v_max_f32_e32 v46, v24, v24
	v_min_f32_e32 v46, v46, v45
	v_max_f32_e32 v45, v37, v37
	v_max_f32_e32 v47, v25, v25
	v_min_f32_e32 v47, v47, v45
	v_pk_add_f32 v[46:47], v[78:79], v[46:47]
	v_max_f32_e32 v45, v38, v38
	v_max_f32_e32 v78, v26, v26
	v_min_f32_e32 v78, v78, v45
	v_max_f32_e32 v45, v39, v39
	v_max_f32_e32 v79, v27, v27
	v_min_f32_e32 v79, v79, v45
	v_pk_add_f32 v[46:47], v[46:47], v[78:79]
	s_nop 0
	v_add_f32_e32 v45, v46, v47
	v_add_f32_e32 v46, v45, v44
	v_lshl_add_u64 v[44:45], v[102:103], 2, v[40:41]
	global_store_dword v[44:45], v46, off
	s_or_b64 exec, exec, s[26:27]
	s_and_b64 s[34:35], s[8:9], s[18:19]
	s_and_saveexec_b64 s[26:27], s[34:35]
	s_cbranch_execz .LBB37_124
.LBB37_140:
	s_and_b64 vcc, exec, s[0:1]
	s_cbranch_vccnz .LBB37_142
; %bb.141:
	v_lshl_add_u64 v[44:45], v[104:105], 2, v[42:43]
	flat_load_dword v44, v[44:45]
	s_waitcnt vmcnt(0) lgkmcnt(0)
	v_mul_f32_e32 v44, s28, v44
	s_branch .LBB37_143
.LBB37_142:
	v_mov_b32_e32 v44, 0
.LBB37_143:
	v_max_f32_e32 v45, v36, v36
	v_max_f32_e32 v46, v20, v20
	v_min_f32_e32 v46, v46, v45
	v_max_f32_e32 v45, v37, v37
	v_max_f32_e32 v47, v21, v21
	v_min_f32_e32 v47, v47, v45
	v_pk_add_f32 v[46:47], v[76:77], v[46:47]
	v_max_f32_e32 v45, v38, v38
	v_max_f32_e32 v76, v22, v22
	v_min_f32_e32 v76, v76, v45
	v_max_f32_e32 v45, v39, v39
	v_max_f32_e32 v77, v23, v23
	v_min_f32_e32 v77, v77, v45
	v_pk_add_f32 v[46:47], v[46:47], v[76:77]
	s_nop 0
	v_add_f32_e32 v45, v46, v47
	v_add_f32_e32 v46, v45, v44
	v_lshl_add_u64 v[44:45], v[104:105], 2, v[40:41]
	global_store_dword v[44:45], v46, off
	s_or_b64 exec, exec, s[26:27]
	s_and_b64 s[34:35], s[10:11], s[18:19]
	s_and_saveexec_b64 s[26:27], s[34:35]
	s_cbranch_execz .LBB37_125
.LBB37_144:
	s_and_b64 vcc, exec, s[0:1]
	s_cbranch_vccnz .LBB37_146
; %bb.145:
	v_lshl_add_u64 v[44:45], v[106:107], 2, v[42:43]
	flat_load_dword v44, v[44:45]
	s_waitcnt vmcnt(0) lgkmcnt(0)
	v_mul_f32_e32 v44, s28, v44
	s_branch .LBB37_147
.LBB37_146:
	v_mov_b32_e32 v44, 0
.LBB37_147:
	v_max_f32_e32 v45, v36, v36
	v_max_f32_e32 v46, v16, v16
	v_min_f32_e32 v46, v46, v45
	v_max_f32_e32 v45, v37, v37
	v_max_f32_e32 v47, v17, v17
	v_min_f32_e32 v47, v47, v45
	v_pk_add_f32 v[46:47], v[74:75], v[46:47]
	v_max_f32_e32 v45, v38, v38
	v_max_f32_e32 v74, v18, v18
	v_min_f32_e32 v74, v74, v45
	v_max_f32_e32 v45, v39, v39
	v_max_f32_e32 v75, v19, v19
	v_min_f32_e32 v75, v75, v45
	v_pk_add_f32 v[46:47], v[46:47], v[74:75]
	s_nop 0
	v_add_f32_e32 v45, v46, v47
	v_add_f32_e32 v46, v45, v44
	v_lshl_add_u64 v[44:45], v[106:107], 2, v[40:41]
	global_store_dword v[44:45], v46, off
	s_or_b64 exec, exec, s[26:27]
	s_and_b64 s[34:35], s[12:13], s[18:19]
	s_and_saveexec_b64 s[26:27], s[34:35]
	s_cbranch_execz .LBB37_126
.LBB37_148:
	s_and_b64 vcc, exec, s[0:1]
	s_cbranch_vccnz .LBB37_150
; %bb.149:
	v_lshl_add_u64 v[44:45], v[108:109], 2, v[42:43]
	flat_load_dword v44, v[44:45]
	s_waitcnt vmcnt(0) lgkmcnt(0)
	v_mul_f32_e32 v44, s28, v44
	s_branch .LBB37_151
.LBB37_150:
	v_mov_b32_e32 v44, 0
.LBB37_151:
	v_max_f32_e32 v45, v36, v36
	v_max_f32_e32 v46, v12, v12
	v_min_f32_e32 v46, v46, v45
	v_max_f32_e32 v45, v37, v37
	v_max_f32_e32 v47, v13, v13
	v_min_f32_e32 v47, v47, v45
	v_pk_add_f32 v[46:47], v[72:73], v[46:47]
	v_max_f32_e32 v45, v38, v38
	v_max_f32_e32 v72, v14, v14
	v_min_f32_e32 v72, v72, v45
	v_max_f32_e32 v45, v39, v39
	v_max_f32_e32 v73, v15, v15
	v_min_f32_e32 v73, v73, v45
	v_pk_add_f32 v[46:47], v[46:47], v[72:73]
	s_nop 0
	v_add_f32_e32 v45, v46, v47
	v_add_f32_e32 v46, v45, v44
	v_lshl_add_u64 v[44:45], v[108:109], 2, v[40:41]
	global_store_dword v[44:45], v46, off
	s_or_b64 exec, exec, s[26:27]
	s_and_b64 s[34:35], s[14:15], s[18:19]
	s_and_saveexec_b64 s[26:27], s[34:35]
	s_cbranch_execz .LBB37_127
.LBB37_152:
	s_and_b64 vcc, exec, s[0:1]
	s_cbranch_vccnz .LBB37_154
; %bb.153:
	v_lshl_add_u64 v[44:45], v[110:111], 2, v[42:43]
	flat_load_dword v44, v[44:45]
	s_waitcnt vmcnt(0) lgkmcnt(0)
	v_mul_f32_e32 v44, s28, v44
	s_branch .LBB37_155
.LBB37_154:
	v_mov_b32_e32 v44, 0
.LBB37_155:
	v_max_f32_e32 v45, v36, v36
	v_max_f32_e32 v46, v8, v8
	v_min_f32_e32 v46, v46, v45
	v_max_f32_e32 v45, v37, v37
	v_max_f32_e32 v47, v9, v9
	v_min_f32_e32 v47, v47, v45
	v_pk_add_f32 v[46:47], v[70:71], v[46:47]
	v_max_f32_e32 v45, v38, v38
	v_max_f32_e32 v70, v10, v10
	v_min_f32_e32 v70, v70, v45
	v_max_f32_e32 v45, v39, v39
	v_max_f32_e32 v71, v11, v11
	v_min_f32_e32 v71, v71, v45
	v_pk_add_f32 v[46:47], v[46:47], v[70:71]
	s_nop 0
	v_add_f32_e32 v45, v46, v47
	v_add_f32_e32 v46, v45, v44
	v_lshl_add_u64 v[44:45], v[110:111], 2, v[40:41]
	global_store_dword v[44:45], v46, off
	s_or_b64 exec, exec, s[26:27]
	s_and_b64 s[26:27], s[16:17], s[18:19]
	s_and_saveexec_b64 s[18:19], s[26:27]
	s_cbranch_execz .LBB37_160
.LBB37_156:
	s_and_b64 vcc, exec, s[0:1]
	s_cbranch_vccnz .LBB37_158
; %bb.157:
	v_lshl_add_u64 v[42:43], v[112:113], 2, v[42:43]
	flat_load_dword v42, v[42:43]
	s_waitcnt vmcnt(0) lgkmcnt(0)
	v_mul_f32_e32 v42, s28, v42
	s_branch .LBB37_159
.LBB37_158:
	v_mov_b32_e32 v42, 0
.LBB37_159:
	v_max_f32_e32 v37, v37, v37
	v_max_f32_e32 v43, v5, v5
	v_min_f32_e32 v37, v43, v37
	v_max_f32_e32 v36, v36, v36
	v_max_f32_e32 v43, v4, v4
	v_min_f32_e32 v36, v43, v36
	;; [unrolled: 3-line block ×3, first 2 shown]
	v_max_f32_e32 v38, v38, v38
	v_max_f32_e32 v43, v6, v6
	v_pk_add_f32 v[36:37], v[64:65], v[36:37]
	v_min_f32_e32 v38, v43, v38
	v_pk_add_f32 v[36:37], v[36:37], v[38:39]
	s_nop 0
	v_add_f32_e32 v36, v36, v37
	v_add_f32_e32 v38, v36, v42
	v_lshl_add_u64 v[36:37], v[112:113], 2, v[40:41]
	global_store_dword v[36:37], v38, off
.LBB37_160:
	s_or_b64 exec, exec, s[18:19]
	v_add_u32_e32 v40, 0x60, v126
	v_cmp_gt_i32_e64 s[18:19], s21, v40
	v_mad_i64_i32 v[36:37], s[20:21], v40, s30, 0
	v_lshl_add_u64 v[38:39], v[36:37], 2, s[24:25]
	v_mad_i64_i32 v[36:37], s[20:21], v40, s29, 0
	v_lshl_add_u64 v[36:37], v[36:37], 2, s[22:23]
	s_and_b64 s[20:21], s[2:3], s[18:19]
	s_and_saveexec_b64 s[2:3], s[20:21]
	s_cbranch_execnz .LBB37_169
; %bb.161:
	s_or_b64 exec, exec, s[2:3]
	s_and_b64 s[4:5], s[4:5], s[18:19]
	s_and_saveexec_b64 s[2:3], s[4:5]
	s_cbranch_execnz .LBB37_173
.LBB37_162:
	s_or_b64 exec, exec, s[2:3]
	s_and_b64 s[4:5], s[6:7], s[18:19]
	s_and_saveexec_b64 s[2:3], s[4:5]
	s_cbranch_execnz .LBB37_177
.LBB37_163:
	s_or_b64 exec, exec, s[2:3]
	s_and_b64 s[4:5], s[8:9], s[18:19]
	s_and_saveexec_b64 s[2:3], s[4:5]
	s_cbranch_execnz .LBB37_181
.LBB37_164:
	s_or_b64 exec, exec, s[2:3]
	s_and_b64 s[4:5], s[10:11], s[18:19]
	s_and_saveexec_b64 s[2:3], s[4:5]
	s_cbranch_execnz .LBB37_185
.LBB37_165:
	s_or_b64 exec, exec, s[2:3]
	s_and_b64 s[4:5], s[12:13], s[18:19]
	s_and_saveexec_b64 s[2:3], s[4:5]
	s_cbranch_execnz .LBB37_189
.LBB37_166:
	s_or_b64 exec, exec, s[2:3]
	s_and_b64 s[4:5], s[14:15], s[18:19]
	s_and_saveexec_b64 s[2:3], s[4:5]
	s_cbranch_execnz .LBB37_193
.LBB37_167:
	s_or_b64 exec, exec, s[2:3]
	s_and_b64 s[2:3], s[16:17], s[18:19]
	s_and_saveexec_b64 s[4:5], s[2:3]
	s_cbranch_execnz .LBB37_197
.LBB37_168:
	s_endpgm
.LBB37_169:
	s_and_b64 vcc, exec, s[0:1]
	s_cbranch_vccnz .LBB37_171
; %bb.170:
	v_lshl_add_u64 v[40:41], v[66:67], 2, v[38:39]
	flat_load_dword v40, v[40:41]
	s_waitcnt vmcnt(0) lgkmcnt(0)
	v_mul_f32_e32 v40, s28, v40
	s_branch .LBB37_172
.LBB37_171:
	v_mov_b32_e32 v40, 0
.LBB37_172:
	v_max_f32_e32 v41, v1, v1
	v_max_f32_e32 v33, v33, v33
	v_min_f32_e32 v33, v33, v41
	v_max_f32_e32 v41, v0, v0
	v_max_f32_e32 v32, v32, v32
	v_min_f32_e32 v32, v32, v41
	;; [unrolled: 3-line block ×3, first 2 shown]
	v_max_f32_e32 v41, v2, v2
	v_max_f32_e32 v34, v34, v34
	v_pk_add_f32 v[32:33], v[62:63], v[32:33]
	v_min_f32_e32 v34, v34, v41
	v_pk_add_f32 v[32:33], v[32:33], v[34:35]
	s_nop 0
	v_add_f32_e32 v32, v32, v33
	v_add_f32_e32 v34, v32, v40
	v_lshl_add_u64 v[32:33], v[66:67], 2, v[36:37]
	global_store_dword v[32:33], v34, off
	s_or_b64 exec, exec, s[2:3]
	s_and_b64 s[4:5], s[4:5], s[18:19]
	s_and_saveexec_b64 s[2:3], s[4:5]
	s_cbranch_execz .LBB37_162
.LBB37_173:
	s_and_b64 vcc, exec, s[0:1]
	s_cbranch_vccnz .LBB37_175
; %bb.174:
	v_lshl_add_u64 v[32:33], v[68:69], 2, v[38:39]
	flat_load_dword v32, v[32:33]
	s_waitcnt vmcnt(0) lgkmcnt(0)
	v_mul_f32_e32 v32, s28, v32
	s_branch .LBB37_176
.LBB37_175:
	v_mov_b32_e32 v32, 0
.LBB37_176:
	v_max_f32_e32 v33, v1, v1
	v_max_f32_e32 v29, v29, v29
	v_min_f32_e32 v29, v29, v33
	v_max_f32_e32 v33, v0, v0
	v_max_f32_e32 v28, v28, v28
	v_min_f32_e32 v28, v28, v33
	v_max_f32_e32 v33, v3, v3
	v_max_f32_e32 v31, v31, v31
	v_min_f32_e32 v31, v31, v33
	v_max_f32_e32 v33, v2, v2
	v_max_f32_e32 v30, v30, v30
	v_pk_add_f32 v[28:29], v[60:61], v[28:29]
	v_min_f32_e32 v30, v30, v33
	v_pk_add_f32 v[28:29], v[28:29], v[30:31]
	s_nop 0
	v_add_f32_e32 v28, v28, v29
	v_add_f32_e32 v30, v28, v32
	v_lshl_add_u64 v[28:29], v[68:69], 2, v[36:37]
	global_store_dword v[28:29], v30, off
	s_or_b64 exec, exec, s[2:3]
	s_and_b64 s[4:5], s[6:7], s[18:19]
	s_and_saveexec_b64 s[2:3], s[4:5]
	s_cbranch_execz .LBB37_163
.LBB37_177:
	s_and_b64 vcc, exec, s[0:1]
	s_cbranch_vccnz .LBB37_179
; %bb.178:
	v_lshl_add_u64 v[28:29], v[102:103], 2, v[38:39]
	flat_load_dword v28, v[28:29]
	s_waitcnt vmcnt(0) lgkmcnt(0)
	v_mul_f32_e32 v28, s28, v28
	s_branch .LBB37_180
.LBB37_179:
	v_mov_b32_e32 v28, 0
.LBB37_180:
	v_max_f32_e32 v29, v1, v1
	v_max_f32_e32 v25, v25, v25
	v_min_f32_e32 v25, v25, v29
	v_max_f32_e32 v29, v0, v0
	v_max_f32_e32 v24, v24, v24
	v_min_f32_e32 v24, v24, v29
	;; [unrolled: 3-line block ×3, first 2 shown]
	v_max_f32_e32 v29, v2, v2
	v_max_f32_e32 v26, v26, v26
	v_pk_add_f32 v[24:25], v[58:59], v[24:25]
	v_min_f32_e32 v26, v26, v29
	v_pk_add_f32 v[24:25], v[24:25], v[26:27]
	s_nop 0
	v_add_f32_e32 v24, v24, v25
	v_add_f32_e32 v26, v24, v28
	v_lshl_add_u64 v[24:25], v[102:103], 2, v[36:37]
	global_store_dword v[24:25], v26, off
	s_or_b64 exec, exec, s[2:3]
	s_and_b64 s[4:5], s[8:9], s[18:19]
	s_and_saveexec_b64 s[2:3], s[4:5]
	s_cbranch_execz .LBB37_164
.LBB37_181:
	s_and_b64 vcc, exec, s[0:1]
	s_cbranch_vccnz .LBB37_183
; %bb.182:
	v_lshl_add_u64 v[24:25], v[104:105], 2, v[38:39]
	flat_load_dword v24, v[24:25]
	s_waitcnt vmcnt(0) lgkmcnt(0)
	v_mul_f32_e32 v24, s28, v24
	s_branch .LBB37_184
.LBB37_183:
	v_mov_b32_e32 v24, 0
.LBB37_184:
	v_max_f32_e32 v25, v1, v1
	v_max_f32_e32 v21, v21, v21
	v_min_f32_e32 v21, v21, v25
	v_max_f32_e32 v25, v0, v0
	v_max_f32_e32 v20, v20, v20
	v_min_f32_e32 v20, v20, v25
	;; [unrolled: 3-line block ×3, first 2 shown]
	v_max_f32_e32 v25, v2, v2
	v_max_f32_e32 v22, v22, v22
	v_pk_add_f32 v[20:21], v[56:57], v[20:21]
	v_min_f32_e32 v22, v22, v25
	v_pk_add_f32 v[20:21], v[20:21], v[22:23]
	s_nop 0
	v_add_f32_e32 v20, v20, v21
	v_add_f32_e32 v22, v20, v24
	v_lshl_add_u64 v[20:21], v[104:105], 2, v[36:37]
	global_store_dword v[20:21], v22, off
	s_or_b64 exec, exec, s[2:3]
	s_and_b64 s[4:5], s[10:11], s[18:19]
	s_and_saveexec_b64 s[2:3], s[4:5]
	s_cbranch_execz .LBB37_165
.LBB37_185:
	s_and_b64 vcc, exec, s[0:1]
	s_cbranch_vccnz .LBB37_187
; %bb.186:
	v_lshl_add_u64 v[20:21], v[106:107], 2, v[38:39]
	flat_load_dword v20, v[20:21]
	s_waitcnt vmcnt(0) lgkmcnt(0)
	v_mul_f32_e32 v20, s28, v20
	s_branch .LBB37_188
.LBB37_187:
	v_mov_b32_e32 v20, 0
.LBB37_188:
	v_max_f32_e32 v21, v1, v1
	v_max_f32_e32 v17, v17, v17
	v_min_f32_e32 v17, v17, v21
	v_max_f32_e32 v21, v0, v0
	v_max_f32_e32 v16, v16, v16
	v_min_f32_e32 v16, v16, v21
	;; [unrolled: 3-line block ×3, first 2 shown]
	v_max_f32_e32 v21, v2, v2
	v_max_f32_e32 v18, v18, v18
	v_pk_add_f32 v[16:17], v[54:55], v[16:17]
	v_min_f32_e32 v18, v18, v21
	v_pk_add_f32 v[16:17], v[16:17], v[18:19]
	s_nop 0
	v_add_f32_e32 v16, v16, v17
	v_add_f32_e32 v18, v16, v20
	v_lshl_add_u64 v[16:17], v[106:107], 2, v[36:37]
	global_store_dword v[16:17], v18, off
	s_or_b64 exec, exec, s[2:3]
	s_and_b64 s[4:5], s[12:13], s[18:19]
	s_and_saveexec_b64 s[2:3], s[4:5]
	s_cbranch_execz .LBB37_166
.LBB37_189:
	s_and_b64 vcc, exec, s[0:1]
	s_cbranch_vccnz .LBB37_191
; %bb.190:
	v_lshl_add_u64 v[16:17], v[108:109], 2, v[38:39]
	flat_load_dword v16, v[16:17]
	s_waitcnt vmcnt(0) lgkmcnt(0)
	v_mul_f32_e32 v16, s28, v16
	s_branch .LBB37_192
.LBB37_191:
	v_mov_b32_e32 v16, 0
.LBB37_192:
	v_max_f32_e32 v17, v1, v1
	v_max_f32_e32 v13, v13, v13
	v_min_f32_e32 v13, v13, v17
	v_max_f32_e32 v17, v0, v0
	v_max_f32_e32 v12, v12, v12
	v_min_f32_e32 v12, v12, v17
	;; [unrolled: 3-line block ×3, first 2 shown]
	v_max_f32_e32 v17, v2, v2
	v_max_f32_e32 v14, v14, v14
	v_pk_add_f32 v[12:13], v[52:53], v[12:13]
	v_min_f32_e32 v14, v14, v17
	v_pk_add_f32 v[12:13], v[12:13], v[14:15]
	s_nop 0
	v_add_f32_e32 v12, v12, v13
	v_add_f32_e32 v14, v12, v16
	v_lshl_add_u64 v[12:13], v[108:109], 2, v[36:37]
	global_store_dword v[12:13], v14, off
	s_or_b64 exec, exec, s[2:3]
	s_and_b64 s[4:5], s[14:15], s[18:19]
	s_and_saveexec_b64 s[2:3], s[4:5]
	s_cbranch_execz .LBB37_167
.LBB37_193:
	s_and_b64 vcc, exec, s[0:1]
	s_cbranch_vccnz .LBB37_195
; %bb.194:
	v_lshl_add_u64 v[12:13], v[110:111], 2, v[38:39]
	flat_load_dword v12, v[12:13]
	s_waitcnt vmcnt(0) lgkmcnt(0)
	v_mul_f32_e32 v12, s28, v12
	s_branch .LBB37_196
.LBB37_195:
	v_mov_b32_e32 v12, 0
.LBB37_196:
	v_max_f32_e32 v13, v1, v1
	v_max_f32_e32 v9, v9, v9
	v_min_f32_e32 v9, v9, v13
	v_max_f32_e32 v13, v0, v0
	v_max_f32_e32 v8, v8, v8
	v_min_f32_e32 v8, v8, v13
	;; [unrolled: 3-line block ×3, first 2 shown]
	v_max_f32_e32 v13, v2, v2
	v_max_f32_e32 v10, v10, v10
	v_pk_add_f32 v[8:9], v[50:51], v[8:9]
	v_min_f32_e32 v10, v10, v13
	v_pk_add_f32 v[8:9], v[8:9], v[10:11]
	s_nop 0
	v_add_f32_e32 v8, v8, v9
	v_add_f32_e32 v10, v8, v12
	v_lshl_add_u64 v[8:9], v[110:111], 2, v[36:37]
	global_store_dword v[8:9], v10, off
	s_or_b64 exec, exec, s[2:3]
	s_and_b64 s[2:3], s[16:17], s[18:19]
	s_and_saveexec_b64 s[4:5], s[2:3]
	s_cbranch_execz .LBB37_168
.LBB37_197:
	s_and_b64 vcc, exec, s[0:1]
	s_cbranch_vccnz .LBB37_199
; %bb.198:
	v_lshl_add_u64 v[8:9], v[112:113], 2, v[38:39]
	flat_load_dword v8, v[8:9]
	s_waitcnt vmcnt(0) lgkmcnt(0)
	v_mul_f32_e32 v8, s28, v8
	s_branch .LBB37_200
.LBB37_199:
	v_mov_b32_e32 v8, 0
.LBB37_200:
	v_max_f32_e32 v0, v0, v0
	v_max_f32_e32 v4, v4, v4
	;; [unrolled: 1-line block ×4, first 2 shown]
	v_min_f32_e32 v0, v4, v0
	v_max_f32_e32 v3, v3, v3
	v_max_f32_e32 v4, v7, v7
	v_min_f32_e32 v1, v5, v1
	v_min_f32_e32 v3, v4, v3
	v_max_f32_e32 v2, v2, v2
	v_max_f32_e32 v4, v6, v6
	v_pk_add_f32 v[0:1], v[48:49], v[0:1]
	v_min_f32_e32 v2, v4, v2
	v_pk_add_f32 v[0:1], v[0:1], v[2:3]
	s_nop 0
	v_add_f32_e32 v0, v0, v1
	v_add_f32_e32 v2, v0, v8
	v_lshl_add_u64 v[0:1], v[112:113], 2, v[36:37]
	global_store_dword v[0:1], v2, off
	s_endpgm
	.section	.rodata,"a",@progbits
	.p2align	6, 0x0
	.amdhsa_kernel _ZN12_GLOBAL__N_120geam_min_plus_kernelIf15HIP_vector_typeIfLj2EES2_Li8ELi32ELi64ELi128ELi4ELi4ELi64ELi4ELi64ELc84ELc78ELb1ELb1ELb0EfKPKfKPfEEviiiT16_PT17_ilSA_ilS8_SA_ilPT18_ili26rocblas_geam_ex_operation_
		.amdhsa_group_segment_fixed_size 6144
		.amdhsa_private_segment_fixed_size 0
		.amdhsa_kernarg_size 128
		.amdhsa_user_sgpr_count 2
		.amdhsa_user_sgpr_dispatch_ptr 0
		.amdhsa_user_sgpr_queue_ptr 0
		.amdhsa_user_sgpr_kernarg_segment_ptr 1
		.amdhsa_user_sgpr_dispatch_id 0
		.amdhsa_user_sgpr_kernarg_preload_length 0
		.amdhsa_user_sgpr_kernarg_preload_offset 0
		.amdhsa_user_sgpr_private_segment_size 0
		.amdhsa_uses_dynamic_stack 0
		.amdhsa_enable_private_segment 0
		.amdhsa_system_sgpr_workgroup_id_x 1
		.amdhsa_system_sgpr_workgroup_id_y 0
		.amdhsa_system_sgpr_workgroup_id_z 1
		.amdhsa_system_sgpr_workgroup_info 0
		.amdhsa_system_vgpr_workitem_id 1
		.amdhsa_next_free_vgpr 222
		.amdhsa_next_free_sgpr 36
		.amdhsa_accum_offset 224
		.amdhsa_reserve_vcc 1
		.amdhsa_float_round_mode_32 0
		.amdhsa_float_round_mode_16_64 0
		.amdhsa_float_denorm_mode_32 3
		.amdhsa_float_denorm_mode_16_64 3
		.amdhsa_dx10_clamp 1
		.amdhsa_ieee_mode 1
		.amdhsa_fp16_overflow 0
		.amdhsa_tg_split 0
		.amdhsa_exception_fp_ieee_invalid_op 0
		.amdhsa_exception_fp_denorm_src 0
		.amdhsa_exception_fp_ieee_div_zero 0
		.amdhsa_exception_fp_ieee_overflow 0
		.amdhsa_exception_fp_ieee_underflow 0
		.amdhsa_exception_fp_ieee_inexact 0
		.amdhsa_exception_int_div_zero 0
	.end_amdhsa_kernel
	.section	.text._ZN12_GLOBAL__N_120geam_min_plus_kernelIf15HIP_vector_typeIfLj2EES2_Li8ELi32ELi64ELi128ELi4ELi4ELi64ELi4ELi64ELc84ELc78ELb1ELb1ELb0EfKPKfKPfEEviiiT16_PT17_ilSA_ilS8_SA_ilPT18_ili26rocblas_geam_ex_operation_,"axG",@progbits,_ZN12_GLOBAL__N_120geam_min_plus_kernelIf15HIP_vector_typeIfLj2EES2_Li8ELi32ELi64ELi128ELi4ELi4ELi64ELi4ELi64ELc84ELc78ELb1ELb1ELb0EfKPKfKPfEEviiiT16_PT17_ilSA_ilS8_SA_ilPT18_ili26rocblas_geam_ex_operation_,comdat
.Lfunc_end37:
	.size	_ZN12_GLOBAL__N_120geam_min_plus_kernelIf15HIP_vector_typeIfLj2EES2_Li8ELi32ELi64ELi128ELi4ELi4ELi64ELi4ELi64ELc84ELc78ELb1ELb1ELb0EfKPKfKPfEEviiiT16_PT17_ilSA_ilS8_SA_ilPT18_ili26rocblas_geam_ex_operation_, .Lfunc_end37-_ZN12_GLOBAL__N_120geam_min_plus_kernelIf15HIP_vector_typeIfLj2EES2_Li8ELi32ELi64ELi128ELi4ELi4ELi64ELi4ELi64ELc84ELc78ELb1ELb1ELb0EfKPKfKPfEEviiiT16_PT17_ilSA_ilS8_SA_ilPT18_ili26rocblas_geam_ex_operation_
                                        ; -- End function
	.section	.AMDGPU.csdata,"",@progbits
; Kernel info:
; codeLenInByte = 11032
; NumSgprs: 42
; NumVgprs: 222
; NumAgprs: 0
; TotalNumVgprs: 222
; ScratchSize: 0
; MemoryBound: 0
; FloatMode: 240
; IeeeMode: 1
; LDSByteSize: 6144 bytes/workgroup (compile time only)
; SGPRBlocks: 5
; VGPRBlocks: 27
; NumSGPRsForWavesPerEU: 42
; NumVGPRsForWavesPerEU: 222
; AccumOffset: 224
; Occupancy: 2
; WaveLimiterHint : 1
; COMPUTE_PGM_RSRC2:SCRATCH_EN: 0
; COMPUTE_PGM_RSRC2:USER_SGPR: 2
; COMPUTE_PGM_RSRC2:TRAP_HANDLER: 0
; COMPUTE_PGM_RSRC2:TGID_X_EN: 1
; COMPUTE_PGM_RSRC2:TGID_Y_EN: 0
; COMPUTE_PGM_RSRC2:TGID_Z_EN: 1
; COMPUTE_PGM_RSRC2:TIDIG_COMP_CNT: 1
; COMPUTE_PGM_RSRC3_GFX90A:ACCUM_OFFSET: 55
; COMPUTE_PGM_RSRC3_GFX90A:TG_SPLIT: 0
	.section	.text._ZN12_GLOBAL__N_120geam_min_plus_kernelIf15HIP_vector_typeIfLj2EES2_Li8ELi32ELi64ELi128ELi4ELi4ELi64ELi4ELi64ELc84ELc78ELb0ELb1ELb0EfKPKfKPfEEviiiT16_PT17_ilSA_ilS8_SA_ilPT18_ili26rocblas_geam_ex_operation_,"axG",@progbits,_ZN12_GLOBAL__N_120geam_min_plus_kernelIf15HIP_vector_typeIfLj2EES2_Li8ELi32ELi64ELi128ELi4ELi4ELi64ELi4ELi64ELc84ELc78ELb0ELb1ELb0EfKPKfKPfEEviiiT16_PT17_ilSA_ilS8_SA_ilPT18_ili26rocblas_geam_ex_operation_,comdat
	.globl	_ZN12_GLOBAL__N_120geam_min_plus_kernelIf15HIP_vector_typeIfLj2EES2_Li8ELi32ELi64ELi128ELi4ELi4ELi64ELi4ELi64ELc84ELc78ELb0ELb1ELb0EfKPKfKPfEEviiiT16_PT17_ilSA_ilS8_SA_ilPT18_ili26rocblas_geam_ex_operation_ ; -- Begin function _ZN12_GLOBAL__N_120geam_min_plus_kernelIf15HIP_vector_typeIfLj2EES2_Li8ELi32ELi64ELi128ELi4ELi4ELi64ELi4ELi64ELc84ELc78ELb0ELb1ELb0EfKPKfKPfEEviiiT16_PT17_ilSA_ilS8_SA_ilPT18_ili26rocblas_geam_ex_operation_
	.p2align	8
	.type	_ZN12_GLOBAL__N_120geam_min_plus_kernelIf15HIP_vector_typeIfLj2EES2_Li8ELi32ELi64ELi128ELi4ELi4ELi64ELi4ELi64ELc84ELc78ELb0ELb1ELb0EfKPKfKPfEEviiiT16_PT17_ilSA_ilS8_SA_ilPT18_ili26rocblas_geam_ex_operation_,@function
_ZN12_GLOBAL__N_120geam_min_plus_kernelIf15HIP_vector_typeIfLj2EES2_Li8ELi32ELi64ELi128ELi4ELi4ELi64ELi4ELi64ELc84ELc78ELb0ELb1ELb0EfKPKfKPfEEviiiT16_PT17_ilSA_ilS8_SA_ilPT18_ili26rocblas_geam_ex_operation_: ; @_ZN12_GLOBAL__N_120geam_min_plus_kernelIf15HIP_vector_typeIfLj2EES2_Li8ELi32ELi64ELi128ELi4ELi4ELi64ELi4ELi64ELc84ELc78ELb0ELb1ELb0EfKPKfKPfEEviiiT16_PT17_ilSA_ilS8_SA_ilPT18_ili26rocblas_geam_ex_operation_
; %bb.0:
	s_load_dwordx4 s[20:23], s[0:1], 0x0
	s_load_dwordx4 s[4:7], s[0:1], 0x20
	s_mov_b32 s12, s3
	s_mov_b32 s13, 0
	s_waitcnt lgkmcnt(0)
	v_cmp_eq_f32_e64 s[8:9], s23, 0
	v_cmp_neq_f32_e64 s[10:11], s23, 0
	s_and_b64 vcc, exec, s[8:9]
	s_cbranch_vccnz .LBB38_3
; %bb.1:
	s_load_dwordx2 s[14:15], s[0:1], 0x10
	s_lshl_b64 s[16:17], s[12:13], 3
	s_waitcnt lgkmcnt(0)
	s_add_u32 s14, s14, s16
	s_addc_u32 s15, s15, s17
	s_load_dwordx2 s[14:15], s[14:15], 0x0
	s_lshl_b64 s[4:5], s[4:5], 2
	s_waitcnt lgkmcnt(0)
	s_add_u32 s18, s14, s4
	s_addc_u32 s19, s15, s5
	s_andn2_b64 vcc, exec, s[8:9]
	s_cbranch_vccnz .LBB38_4
.LBB38_2:
	s_mov_b64 s[14:15], 0
	s_cbranch_execz .LBB38_5
	s_branch .LBB38_6
.LBB38_3:
	s_mov_b64 s[18:19], 0
	s_andn2_b64 vcc, exec, s[8:9]
	s_cbranch_vccz .LBB38_2
.LBB38_4:
                                        ; implicit-def: $sgpr14_sgpr15
.LBB38_5:
	s_lshl_b64 s[8:9], s[12:13], 3
	s_add_u32 s6, s6, s8
	s_load_dwordx2 s[4:5], s[0:1], 0x38
	s_addc_u32 s7, s7, s9
	s_load_dwordx2 s[6:7], s[6:7], 0x0
	s_waitcnt lgkmcnt(0)
	s_lshl_b64 s[4:5], s[4:5], 2
	s_add_u32 s14, s6, s4
	s_addc_u32 s15, s7, s5
.LBB38_6:
	s_load_dword s28, s[0:1], 0x40
	s_load_dwordx4 s[4:7], s[0:1], 0x58
	s_waitcnt lgkmcnt(0)
	v_cmp_eq_f32_e64 s[16:17], s28, 0
	v_cmp_neq_f32_e64 s[8:9], s28, 0
	s_and_b64 vcc, exec, s[16:17]
	s_cbranch_vccnz .LBB38_8
; %bb.7:
	s_load_dwordx2 s[16:17], s[0:1], 0x48
	s_lshl_b64 s[24:25], s[12:13], 3
	s_waitcnt lgkmcnt(0)
	s_add_u32 s16, s16, s24
	s_addc_u32 s17, s17, s25
	s_load_dwordx2 s[16:17], s[16:17], 0x0
	s_lshl_b64 s[4:5], s[4:5], 2
	s_waitcnt lgkmcnt(0)
	s_add_u32 s24, s16, s4
	s_addc_u32 s25, s17, s5
	s_branch .LBB38_9
.LBB38_8:
	s_mov_b64 s[24:25], 0
.LBB38_9:
	s_lshl_b64 s[4:5], s[12:13], 3
	s_add_u32 s4, s6, s4
	s_addc_u32 s5, s7, s5
	s_add_i32 s3, s20, -1
	s_ashr_i32 s6, s3, 31
	s_lshr_b32 s6, s6, 26
	s_add_i32 s3, s3, s6
	s_ashr_i32 s6, s3, 6
	s_add_i32 s7, s6, 1
	v_cvt_f32_u32_e32 v1, s7
	v_and_b32_e32 v200, 0x3ff, v0
	v_bfe_u32 v201, v0, 10, 10
	s_load_dwordx2 s[12:13], s[4:5], 0x0
	v_rcp_iflag_f32_e32 v1, v1
	s_not_b32 s4, s6
	s_load_dword s3, s[0:1], 0x18
	v_and_b32_e32 v202, 3, v200
	v_mul_f32_e32 v0, 0x4f7ffffe, v1
	v_cvt_u32_f32_e32 v0, v0
	v_lshl_add_u32 v1, v201, 3, v200
	v_lshrrev_b32_e32 v4, 2, v1
	v_mov_b32_e32 v9, 0
	v_readfirstlane_b32 s5, v0
	s_mul_i32 s4, s4, s5
	s_mul_hi_u32 s4, s5, s4
	s_add_i32 s5, s5, s4
	s_mul_hi_u32 s4, s2, s5
	s_mul_i32 s5, s4, s7
	s_sub_i32 s5, s2, s5
	s_add_i32 s6, s4, 1
	s_sub_i32 s16, s5, s7
	s_cmp_ge_u32 s5, s7
	s_cselect_b32 s4, s6, s4
	s_cselect_b32 s5, s16, s5
	s_add_i32 s6, s4, 1
	s_cmp_ge_u32 s5, s7
	s_cselect_b32 s6, s6, s4
	s_mul_i32 s33, s6, s7
	s_sub_i32 s4, s2, s33
	s_lshl_b32 s29, s4, 6
	v_add_u32_e32 v7, s29, v4
	v_cmp_gt_i32_e64 s[4:5], s22, v202
	v_cmp_gt_i32_e32 vcc, s20, v7
	s_and_b64 s[4:5], s[4:5], vcc
	s_and_b64 s[16:17], s[10:11], s[4:5]
	v_lshlrev_b32_e32 v0, 2, v202
	v_mov_b32_e32 v10, 0
	s_and_saveexec_b64 s[4:5], s[16:17]
	s_cbranch_execz .LBB38_11
; %bb.10:
	s_waitcnt lgkmcnt(0)
	v_mad_i64_i32 v[2:3], s[16:17], v7, s3, 0
	v_lshl_add_u64 v[2:3], v[2:3], 2, s[18:19]
	v_mov_b32_e32 v1, 0
	v_lshl_add_u64 v[2:3], v[2:3], 0, v[0:1]
	flat_load_dword v1, v[2:3]
	s_waitcnt vmcnt(0) lgkmcnt(0)
	v_mul_f32_e32 v10, s23, v1
.LBB38_11:
	s_or_b64 exec, exec, s[4:5]
	s_lshl_b32 s30, s6, 7
	s_load_dword s34, s[0:1], 0x30
	v_add_u32_e32 v5, s30, v4
	s_add_i32 s31, s22, -1
	v_cmp_le_i32_e64 s[6:7], s21, v5
	s_xor_b64 s[26:27], s[10:11], -1
	v_cmp_le_i32_e64 s[4:5], s22, v202
	v_min_i32_e32 v2, s31, v202
	s_or_b64 s[16:17], s[6:7], s[26:27]
	v_ashrrev_i32_e32 v3, 31, v2
	s_or_b64 s[6:7], s[4:5], s[16:17]
	v_lshl_add_u64 v[2:3], v[2:3], 2, s[14:15]
	s_xor_b64 s[36:37], s[6:7], -1
	s_and_saveexec_b64 s[6:7], s[36:37]
	s_cbranch_execz .LBB38_13
; %bb.12:
	s_waitcnt lgkmcnt(0)
	v_mad_i64_i32 v[8:9], s[36:37], v5, s34, 0
	v_lshl_add_u64 v[8:9], v[8:9], 2, v[2:3]
	flat_load_dword v1, v[8:9]
	s_waitcnt vmcnt(0) lgkmcnt(0)
	v_mul_f32_e32 v9, s23, v1
.LBB38_13:
	s_or_b64 exec, exec, s[6:7]
	v_add_u32_e32 v6, 64, v5
	v_cmp_le_i32_e64 s[6:7], s21, v6
	s_or_b64 s[6:7], s[6:7], s[26:27]
	s_or_b64 s[4:5], s[4:5], s[6:7]
	s_xor_b64 s[26:27], s[4:5], -1
	v_mov_b32_e32 v1, 0
	v_mov_b32_e32 v11, 0
	s_and_saveexec_b64 s[4:5], s[26:27]
	s_cbranch_execz .LBB38_15
; %bb.14:
	s_waitcnt lgkmcnt(0)
	v_mad_i64_i32 v[12:13], s[26:27], v6, s34, 0
	v_lshl_add_u64 v[2:3], v[12:13], 2, v[2:3]
	flat_load_dword v2, v[2:3]
	s_waitcnt vmcnt(0) lgkmcnt(0)
	v_mul_f32_e32 v11, s23, v2
.LBB38_15:
	s_or_b64 exec, exec, s[4:5]
	v_or_b32_e32 v2, 4, v202
	v_cmp_gt_i32_e64 s[4:5], s22, v2
	s_and_b64 s[4:5], s[4:5], vcc
	s_and_b64 s[26:27], s[10:11], s[4:5]
	s_and_saveexec_b64 s[4:5], s[26:27]
	s_cbranch_execz .LBB38_17
; %bb.16:
	s_waitcnt lgkmcnt(0)
	v_mad_i64_i32 v[12:13], s[26:27], v7, s3, 0
	v_lshl_add_u64 v[12:13], v[12:13], 2, s[18:19]
	v_mov_b32_e32 v1, 0
	v_lshl_add_u64 v[12:13], v[12:13], 0, v[0:1]
	flat_load_dword v1, v[12:13] offset:16
	s_waitcnt vmcnt(0) lgkmcnt(0)
	v_mul_f32_e32 v1, s23, v1
.LBB38_17:
	s_or_b64 exec, exec, s[4:5]
	v_cmp_le_i32_e64 s[4:5], s22, v2
	v_min_i32_e32 v2, s31, v2
	v_ashrrev_i32_e32 v3, 31, v2
	s_or_b64 s[26:27], s[4:5], s[16:17]
	v_lshl_add_u64 v[2:3], v[2:3], 2, s[14:15]
	s_xor_b64 s[36:37], s[26:27], -1
	v_mov_b32_e32 v7, 0
	v_mov_b32_e32 v8, 0
	s_and_saveexec_b64 s[26:27], s[36:37]
	s_cbranch_execz .LBB38_19
; %bb.18:
	s_waitcnt lgkmcnt(0)
	v_mad_i64_i32 v[12:13], s[36:37], v5, s34, 0
	v_lshl_add_u64 v[12:13], v[12:13], 2, v[2:3]
	flat_load_dword v8, v[12:13]
	s_waitcnt vmcnt(0) lgkmcnt(0)
	v_mul_f32_e32 v8, s23, v8
.LBB38_19:
	s_or_b64 exec, exec, s[26:27]
	s_or_b64 s[4:5], s[4:5], s[6:7]
	s_xor_b64 s[26:27], s[4:5], -1
	s_and_saveexec_b64 s[4:5], s[26:27]
	s_cbranch_execz .LBB38_21
; %bb.20:
	s_waitcnt lgkmcnt(0)
	v_mad_i64_i32 v[12:13], s[26:27], v6, s34, 0
	v_lshl_add_u64 v[2:3], v[12:13], 2, v[2:3]
	flat_load_dword v2, v[2:3]
	s_waitcnt vmcnt(0) lgkmcnt(0)
	v_mul_f32_e32 v7, s23, v2
.LBB38_21:
	s_or_b64 exec, exec, s[4:5]
	v_lshl_or_b32 v205, v4, 4, v0
	v_lshlrev_b32_e32 v204, 4, v201
	ds_write_b32 v205, v10 offset:4096
	ds_write2st64_b32 v205, v9, v11 offset1:4
	s_waitcnt lgkmcnt(0)
	s_barrier
	ds_read_b128 v[10:13], v204
	v_lshlrev_b32_e32 v203, 4, v200
	ds_read_b128 v[14:17], v203 offset:4992
	ds_read_b128 v[18:21], v204 offset:512
	;; [unrolled: 1-line block ×5, first 2 shown]
	s_waitcnt lgkmcnt(5)
	v_max_f32_e32 v9, v11, v11
	v_max_f32_e32 v56, v10, v10
	;; [unrolled: 1-line block ×4, first 2 shown]
	ds_read_b128 v[10:13], v203 offset:4352
	s_waitcnt lgkmcnt(5)
	v_max_f32_e32 v60, v15, v15
	v_max_f32_e32 v61, v14, v14
	s_waitcnt lgkmcnt(4)
	v_max_f32_e32 v58, v19, v19
	v_max_f32_e32 v59, v18, v18
	;; [unrolled: 1-line block ×4, first 2 shown]
	ds_read_b128 v[14:17], v203 offset:4480
	v_max_f32_e32 v122, v21, v21
	v_max_f32_e32 v123, v20, v20
	s_waitcnt lgkmcnt(2)
	v_max_f32_e32 v124, v33, v33
	v_max_f32_e32 v125, v32, v32
	s_waitcnt lgkmcnt(1)
	v_max_f32_e32 v32, v10, v10
	v_max_f32_e32 v33, v11, v11
	;; [unrolled: 1-line block ×3, first 2 shown]
	ds_read_b128 v[18:21], v203 offset:4608
	v_max_f32_e32 v73, v13, v13
	ds_read_b128 v[10:13], v203 offset:4736
	ds_read_b128 v[34:37], v203 offset:4096
	;; [unrolled: 1-line block ×3, first 2 shown]
	v_max_f32_e32 v62, v31, v31
	v_max_f32_e32 v63, v30, v30
	;; [unrolled: 1-line block ×4, first 2 shown]
	s_waitcnt lgkmcnt(2)
	v_max_f32_e32 v54, v10, v10
	v_max_f32_e32 v55, v11, v11
	s_waitcnt lgkmcnt(1)
	v_max_f32_e32 v30, v34, v34
	v_max_f32_e32 v31, v35, v35
	;; [unrolled: 3-line block ×3, first 2 shown]
	v_max_f32_e32 v38, v14, v14
	v_max_f32_e32 v39, v15, v15
	;; [unrolled: 1-line block ×6, first 2 shown]
	v_min_f32_e32 v48, v54, v56
	v_min_f32_e32 v49, v55, v9
	;; [unrolled: 1-line block ×10, first 2 shown]
	v_max_f32_e32 v127, v28, v28
	v_max_f32_e32 v70, v40, v40
	v_max_f32_e32 v84, v16, v16
	v_max_f32_e32 v85, v17, v17
	v_max_f32_e32 v110, v20, v20
	v_max_f32_e32 v111, v21, v21
	v_max_f32_e32 v128, v12, v12
	v_max_f32_e32 v130, v24, v24
	v_min_f32_e32 v2, v30, v56
	v_min_f32_e32 v10, v30, v59
	;; [unrolled: 1-line block ×33, first 2 shown]
	v_pk_add_f32 v[54:55], v[54:55], 0 op_sel_hi:[1,0]
	v_min_f32_e32 v61, v120, v112
	v_min_f32_e32 v60, v121, v113
	v_pk_add_f32 v[96:97], v[54:55], v[60:61]
	v_pk_add_f32 v[54:55], v[56:57], 0 op_sel_hi:[1,0]
	v_min_f32_e32 v57, v120, v122
	v_min_f32_e32 v56, v121, v123
	v_max_f32_e32 v68, v36, v36
	v_max_f32_e32 v69, v37, v37
	v_min_f32_e32 v3, v31, v9
	v_pk_add_f32 v[80:81], v[54:55], v[56:57]
	v_pk_add_f32 v[54:55], v[58:59], 0 op_sel_hi:[1,0]
	v_min_f32_e32 v57, v120, v124
	v_min_f32_e32 v56, v121, v125
	v_max_f32_e32 v126, v29, v29
	v_max_f32_e32 v71, v41, v41
	;; [unrolled: 1-line block ×4, first 2 shown]
	v_min_f32_e32 v13, v31, v62
	v_min_f32_e32 v15, v31, v64
	;; [unrolled: 1-line block ×17, first 2 shown]
	v_pk_add_f32 v[64:65], v[54:55], v[56:57]
	v_pk_add_f32 v[2:3], v[2:3], 0 op_sel_hi:[1,0]
	v_min_f32_e32 v54, v68, v113
	v_min_f32_e32 v55, v69, v112
	v_pk_add_f32 v[116:117], v[2:3], v[54:55]
	v_pk_add_f32 v[2:3], v[10:11], 0 op_sel_hi:[1,0]
	v_min_f32_e32 v10, v68, v123
	v_min_f32_e32 v11, v69, v122
	;; [unrolled: 4-line block ×3, first 2 shown]
	v_pk_add_f32 v[78:79], v[2:3], v[10:11]
	v_min_f32_e32 v3, v69, v126
	v_min_f32_e32 v2, v68, v127
	v_pk_add_f32 v[10:11], v[14:15], 0 op_sel_hi:[1,0]
	v_min_f32_e32 v100, v74, v63
	v_min_f32_e32 v101, v75, v62
	v_pk_add_f32 v[62:63], v[10:11], v[2:3]
	v_pk_add_f32 v[2:3], v[16:17], 0 op_sel_hi:[1,0]
	v_min_f32_e32 v10, v70, v113
	v_min_f32_e32 v11, v71, v112
	v_pk_add_f32 v[114:115], v[2:3], v[10:11]
	;; [unrolled: 4-line block ×4, first 2 shown]
	v_min_f32_e32 v3, v71, v126
	v_min_f32_e32 v2, v70, v127
	v_pk_add_f32 v[10:11], v[22:23], 0 op_sel_hi:[1,0]
	v_min_f32_e32 v83, v75, v9
	v_pk_add_f32 v[60:61], v[10:11], v[2:3]
	v_pk_add_f32 v[2:3], v[24:25], 0 op_sel_hi:[1,0]
	v_min_f32_e32 v10, v72, v113
	v_min_f32_e32 v11, v73, v112
	v_pk_add_f32 v[104:105], v[2:3], v[10:11]
	v_pk_add_f32 v[2:3], v[26:27], 0 op_sel_hi:[1,0]
	v_min_f32_e32 v10, v72, v123
	;; [unrolled: 4-line block ×3, first 2 shown]
	v_min_f32_e32 v11, v73, v124
	v_pk_add_f32 v[74:75], v[2:3], v[10:11]
	v_min_f32_e32 v3, v73, v126
	v_min_f32_e32 v2, v72, v127
	v_pk_add_f32 v[10:11], v[30:31], 0 op_sel_hi:[1,0]
	s_cmp_lt_i32 s22, 9
	v_pk_add_f32 v[58:59], v[10:11], v[2:3]
	v_pk_add_f32 v[2:3], v[32:33], 0 op_sel_hi:[1,0]
	v_min_f32_e32 v10, v84, v113
	v_min_f32_e32 v11, v85, v112
	v_pk_add_f32 v[106:107], v[2:3], v[10:11]
	v_pk_add_f32 v[2:3], v[34:35], 0 op_sel_hi:[1,0]
	v_min_f32_e32 v10, v84, v123
	v_min_f32_e32 v11, v85, v122
	;; [unrolled: 4-line block ×3, first 2 shown]
	v_pk_add_f32 v[72:73], v[2:3], v[10:11]
	v_min_f32_e32 v3, v85, v126
	v_min_f32_e32 v2, v84, v127
	v_pk_add_f32 v[10:11], v[38:39], 0 op_sel_hi:[1,0]
	ds_write2st64_b32 v205, v8, v7 offset0:8 offset1:12
	ds_write_b32 v205, v1 offset:5120
	v_pk_add_f32 v[56:57], v[10:11], v[2:3]
	v_pk_add_f32 v[2:3], v[40:41], 0 op_sel_hi:[1,0]
	v_min_f32_e32 v10, v110, v113
	v_min_f32_e32 v11, v111, v112
	v_pk_add_f32 v[108:109], v[2:3], v[10:11]
	v_pk_add_f32 v[2:3], v[42:43], 0 op_sel_hi:[1,0]
	v_min_f32_e32 v10, v110, v123
	v_min_f32_e32 v11, v111, v122
	;; [unrolled: 4-line block ×3, first 2 shown]
	v_pk_add_f32 v[70:71], v[2:3], v[10:11]
	v_min_f32_e32 v3, v111, v126
	v_min_f32_e32 v2, v110, v127
	v_pk_add_f32 v[10:11], v[46:47], 0 op_sel_hi:[1,0]
	s_waitcnt lgkmcnt(0)
	v_pk_add_f32 v[54:55], v[10:11], v[2:3]
	v_pk_add_f32 v[2:3], v[48:49], 0 op_sel_hi:[1,0]
	v_min_f32_e32 v10, v128, v113
	v_min_f32_e32 v11, v129, v112
	v_pk_add_f32 v[110:111], v[2:3], v[10:11]
	v_pk_add_f32 v[2:3], v[50:51], 0 op_sel_hi:[1,0]
	v_min_f32_e32 v10, v128, v123
	v_min_f32_e32 v11, v129, v122
	;; [unrolled: 4-line block ×3, first 2 shown]
	v_pk_add_f32 v[68:69], v[2:3], v[10:11]
	v_min_f32_e32 v3, v129, v126
	v_min_f32_e32 v2, v128, v127
	v_pk_add_f32 v[10:11], v[66:67], 0 op_sel_hi:[1,0]
	s_barrier
	v_pk_add_f32 v[52:53], v[10:11], v[2:3]
	v_min_f32_e32 v2, v130, v113
	v_min_f32_e32 v3, v131, v112
	v_pk_add_f32 v[10:11], v[82:83], 0 op_sel_hi:[1,0]
	s_nop 0
	v_pk_add_f32 v[112:113], v[10:11], v[2:3]
	v_min_f32_e32 v2, v130, v123
	v_min_f32_e32 v3, v131, v122
	v_pk_add_f32 v[10:11], v[98:99], 0 op_sel_hi:[1,0]
	s_nop 0
	;; [unrolled: 5-line block ×5, first 2 shown]
	v_pk_add_f32 v[48:49], v[10:11], v[2:3]
	s_cbranch_scc1 .LBB38_36
; %bb.22:
	v_mov_b32_e32 v1, 0x1400
	v_lshl_add_u32 v210, v200, 4, v1
	v_mov_b32_e32 v1, 0x800
	v_lshl_add_u32 v211, v201, 4, v1
	v_lshl_add_u32 v1, s2, 6, v4
	s_lshl_b32 s2, s33, 6
	v_subrev_u32_e32 v1, s2, v1
	v_mad_i64_i32 v[2:3], s[2:3], s3, v1, 0
	v_mov_b32_e32 v1, 0
	v_lshl_add_u64 v[0:1], v[2:3], 2, v[0:1]
	v_lshl_add_u64 v[0:1], v[0:1], 0, s[18:19]
	v_add_u32_e32 v206, 0x1000, v205
	v_add_u32_e32 v207, 0x1000, v203
	;; [unrolled: 1-line block ×4, first 2 shown]
	s_add_i32 s26, s22, -8
	v_mad_i64_i32 v[98:99], s[4:5], v5, s34, 0
	v_mad_i64_i32 v[100:101], s[4:5], v6, s34, 0
	v_lshl_add_u64 v[102:103], v[0:1], 0, 48
	s_mov_b32 s18, 0
	s_branch .LBB38_24
.LBB38_23:                              ;   in Loop: Header=BB38_24 Depth=1
	s_or_b64 exec, exec, s[2:3]
	v_pk_add_f32 v[40:41], v[96:97], v[40:41]
	v_pk_add_f32 v[32:33], v[64:65], v[32:33]
	;; [unrolled: 1-line block ×21, first 2 shown]
	ds_read_b128 v[0:3], v204
	ds_read_b128 v[8:11], v204 offset:512
	v_pk_add_f32 v[20:21], v[116:117], v[6:7]
	ds_read_b128 v[4:7], v207 offset:896
	v_pk_add_f32 v[44:45], v[94:95], v[44:45]
	v_pk_add_f32 v[94:95], v[58:59], v[132:133]
	;; [unrolled: 1-line block ×18, first 2 shown]
	ds_read_b128 v[12:15], v207 offset:768
	s_waitcnt lgkmcnt(1)
	v_max_f32_e32 v93, v5, v5
	v_max_f32_e32 v95, v4, v4
	;; [unrolled: 1-line block ×4, first 2 shown]
	v_pk_add_f32 v[76:77], v[36:37], v[38:39]
	v_pk_add_f32 v[72:73], v[28:29], v[30:31]
	;; [unrolled: 1-line block ×6, first 2 shown]
	ds_read_b128 v[80:83], v204 offset:1536
	ds_read_b128 v[84:87], v204 offset:1024
	v_min_f32_e32 v5, v93, v96
	v_min_f32_e32 v4, v95, v97
	v_pk_add_f32 v[60:61], v[62:63], v[164:165]
	v_pk_add_f32 v[62:63], v[78:79], v[162:163]
	;; [unrolled: 1-line block ×3, first 2 shown]
	ds_read_b128 v[76:79], v207
	v_pk_add_f32 v[112:113], v[112:113], v[154:155]
	v_pk_add_f32 v[90:91], v[90:91], v[128:129]
	;; [unrolled: 1-line block ×5, first 2 shown]
	s_waitcnt lgkmcnt(1)
	v_max_f32_e32 v112, v85, v85
	v_max_f32_e32 v113, v84, v84
	v_pk_add_f32 v[106:107], v[108:109], v[142:143]
	v_pk_add_f32 v[108:109], v[54:55], v[144:145]
	;; [unrolled: 1-line block ×4, first 2 shown]
	ds_read_b128 v[88:91], v207 offset:128
	v_max_f32_e32 v92, v1, v1
	v_max_f32_e32 v94, v0, v0
	v_min_f32_e32 v9, v93, v112
	v_min_f32_e32 v8, v95, v113
	s_waitcnt lgkmcnt(1)
	v_max_f32_e32 v84, v76, v76
	v_max_f32_e32 v85, v77, v77
	v_pk_add_f32 v[8:9], v[74:75], v[8:9]
	v_min_f32_e32 v74, v84, v94
	v_min_f32_e32 v75, v85, v92
	v_pk_add_f32 v[74:75], v[68:69], v[74:75]
	v_min_f32_e32 v68, v84, v97
	v_min_f32_e32 v69, v85, v96
	;; [unrolled: 3-line block ×3, first 2 shown]
	v_max_f32_e32 v81, v81, v81
	v_max_f32_e32 v80, v80, v80
	v_pk_add_f32 v[72:73], v[72:73], v[68:69]
	v_min_f32_e32 v69, v85, v81
	v_min_f32_e32 v68, v84, v80
	v_pk_add_f32 v[84:85], v[66:67], v[68:69]
	s_waitcnt lgkmcnt(0)
	v_max_f32_e32 v68, v88, v88
	v_max_f32_e32 v69, v89, v89
	v_min_f32_e32 v66, v68, v94
	v_min_f32_e32 v67, v69, v92
	v_pk_add_f32 v[60:61], v[60:61], v[66:67]
	v_min_f32_e32 v66, v68, v97
	v_min_f32_e32 v67, v69, v96
	v_pk_add_f32 v[88:89], v[62:63], v[66:67]
	;; [unrolled: 3-line block ×3, first 2 shown]
	v_pk_add_f32 v[104:105], v[64:65], v[62:63]
	ds_read_b128 v[64:67], v207 offset:256
	v_min_f32_e32 v63, v69, v81
	v_min_f32_e32 v62, v68, v80
	ds_read_b128 v[68:71], v207 offset:384
	v_pk_add_f32 v[58:59], v[58:59], v[62:63]
	s_waitcnt lgkmcnt(1)
	v_max_f32_e32 v64, v64, v64
	v_max_f32_e32 v65, v65, v65
	v_min_f32_e32 v62, v64, v94
	v_min_f32_e32 v63, v65, v92
	v_pk_add_f32 v[52:53], v[52:53], v[62:63]
	v_min_f32_e32 v62, v64, v97
	v_min_f32_e32 v63, v65, v96
	v_pk_add_f32 v[54:55], v[54:55], v[62:63]
	v_min_f32_e32 v62, v64, v113
	v_min_f32_e32 v63, v65, v112
	v_pk_add_f32 v[56:57], v[56:57], v[62:63]
	v_min_f32_e32 v63, v65, v81
	v_min_f32_e32 v62, v64, v80
	v_pk_add_f32 v[36:37], v[106:107], v[182:183]
	v_pk_add_f32 v[106:107], v[50:51], v[62:63]
	s_waitcnt lgkmcnt(0)
	v_max_f32_e32 v62, v68, v68
	v_max_f32_e32 v63, v69, v69
	v_min_f32_e32 v50, v62, v94
	v_min_f32_e32 v51, v63, v92
	v_pk_add_f32 v[68:69], v[44:45], v[50:51]
	v_min_f32_e32 v44, v62, v97
	v_min_f32_e32 v45, v63, v96
	v_pk_add_f32 v[110:111], v[110:111], v[148:149]
	v_pk_add_f32 v[34:35], v[108:109], v[184:185]
	;; [unrolled: 1-line block ×3, first 2 shown]
	v_min_f32_e32 v44, v62, v113
	v_min_f32_e32 v45, v63, v112
	v_pk_add_f32 v[28:29], v[110:111], v[192:193]
	v_pk_add_f32 v[110:111], v[48:49], v[44:45]
	ds_read_b128 v[44:47], v207 offset:512
	v_min_f32_e32 v49, v63, v81
	v_min_f32_e32 v48, v62, v80
	v_pk_add_f32 v[42:43], v[42:43], v[48:49]
	ds_read_b128 v[48:51], v207 offset:640
	s_waitcnt lgkmcnt(1)
	v_max_f32_e32 v62, v44, v44
	v_max_f32_e32 v63, v45, v45
	v_min_f32_e32 v44, v62, v94
	v_min_f32_e32 v45, v63, v92
	v_pk_add_f32 v[36:37], v[36:37], v[44:45]
	v_min_f32_e32 v44, v62, v97
	v_min_f32_e32 v45, v63, v96
	v_pk_add_f32 v[38:39], v[38:39], v[44:45]
	;; [unrolled: 3-line block ×3, first 2 shown]
	v_min_f32_e32 v45, v63, v81
	v_min_f32_e32 v44, v62, v80
	s_waitcnt lgkmcnt(0)
	v_max_f32_e32 v48, v48, v48
	v_max_f32_e32 v49, v49, v49
	v_pk_add_f32 v[34:35], v[34:35], v[44:45]
	v_min_f32_e32 v44, v48, v94
	v_min_f32_e32 v45, v49, v92
	v_pk_add_f32 v[28:29], v[28:29], v[44:45]
	v_min_f32_e32 v44, v48, v97
	v_min_f32_e32 v45, v49, v96
	;; [unrolled: 3-line block ×3, first 2 shown]
	v_pk_add_f32 v[26:27], v[114:115], v[194:195]
	v_pk_add_f32 v[32:33], v[32:33], v[44:45]
	v_min_f32_e32 v45, v49, v81
	v_min_f32_e32 v44, v48, v80
	v_pk_add_f32 v[26:27], v[26:27], v[44:45]
	v_max_f32_e32 v44, v12, v12
	v_max_f32_e32 v45, v13, v13
	v_min_f32_e32 v12, v44, v94
	v_min_f32_e32 v13, v45, v92
	v_pk_add_f32 v[12:13], v[24:25], v[12:13]
	v_min_f32_e32 v24, v44, v97
	v_min_f32_e32 v25, v45, v96
	v_pk_add_f32 v[22:23], v[22:23], v[24:25]
	;; [unrolled: 3-line block ×4, first 2 shown]
	v_pk_add_f32 v[20:21], v[20:21], v[24:25]
	v_min_f32_e32 v25, v93, v81
	v_min_f32_e32 v24, v95, v80
	;; [unrolled: 1-line block ×4, first 2 shown]
	v_pk_add_f32 v[16:17], v[16:17], v[24:25]
	v_max_f32_e32 v24, v3, v3
	v_max_f32_e32 v7, v7, v7
	v_max_f32_e32 v25, v2, v2
	v_max_f32_e32 v6, v6, v6
	v_pk_add_f32 v[0:1], v[120:121], v[0:1]
	v_min_f32_e32 v3, v7, v24
	v_min_f32_e32 v2, v6, v25
	v_pk_add_f32 v[96:97], v[0:1], v[2:3]
	v_max_f32_e32 v2, v11, v11
	v_max_f32_e32 v3, v10, v10
	v_min_f32_e32 v1, v7, v2
	v_min_f32_e32 v0, v6, v3
	v_pk_add_f32 v[80:81], v[4:5], v[0:1]
	v_max_f32_e32 v4, v87, v87
	v_max_f32_e32 v5, v86, v86
	v_min_f32_e32 v1, v7, v4
	v_min_f32_e32 v0, v6, v5
	v_pk_add_f32 v[64:65], v[8:9], v[0:1]
	v_max_f32_e32 v8, v78, v78
	v_max_f32_e32 v9, v79, v79
	v_min_f32_e32 v0, v8, v25
	v_min_f32_e32 v1, v9, v24
	v_pk_add_f32 v[116:117], v[74:75], v[0:1]
	v_min_f32_e32 v0, v8, v3
	v_min_f32_e32 v1, v9, v2
	v_pk_add_f32 v[94:95], v[76:77], v[0:1]
	v_min_f32_e32 v0, v8, v5
	v_min_f32_e32 v1, v9, v4
	v_max_f32_e32 v10, v83, v83
	v_pk_add_f32 v[78:79], v[72:73], v[0:1]
	v_min_f32_e32 v1, v9, v10
	v_max_f32_e32 v9, v82, v82
	v_min_f32_e32 v0, v8, v9
	v_max_f32_e32 v8, v90, v90
	v_max_f32_e32 v11, v91, v91
	v_pk_add_f32 v[62:63], v[84:85], v[0:1]
	v_min_f32_e32 v0, v8, v25
	v_min_f32_e32 v1, v11, v24
	v_pk_add_f32 v[114:115], v[60:61], v[0:1]
	v_min_f32_e32 v0, v8, v3
	v_min_f32_e32 v1, v11, v2
	v_pk_add_f32 v[92:93], v[88:89], v[0:1]
	v_min_f32_e32 v0, v8, v5
	v_min_f32_e32 v1, v11, v4
	v_pk_add_f32 v[76:77], v[104:105], v[0:1]
	v_min_f32_e32 v1, v11, v10
	v_min_f32_e32 v0, v8, v9
	v_max_f32_e32 v8, v66, v66
	v_max_f32_e32 v11, v67, v67
	v_pk_add_f32 v[60:61], v[58:59], v[0:1]
	v_min_f32_e32 v0, v8, v25
	v_min_f32_e32 v1, v11, v24
	v_pk_add_f32 v[104:105], v[52:53], v[0:1]
	v_min_f32_e32 v0, v8, v3
	v_min_f32_e32 v1, v11, v2
	v_pk_add_f32 v[90:91], v[54:55], v[0:1]
	v_min_f32_e32 v0, v8, v5
	v_min_f32_e32 v1, v11, v4
	v_pk_add_f32 v[74:75], v[56:57], v[0:1]
	v_min_f32_e32 v1, v11, v10
	;; [unrolled: 14-line block ×6, first 2 shown]
	v_min_f32_e32 v0, v8, v9
	v_pk_add_f32 v[50:51], v[20:21], v[0:1]
	v_min_f32_e32 v1, v7, v10
	v_min_f32_e32 v0, v6, v9
	s_add_i32 s18, s18, 8
	v_pk_add_f32 v[48:49], v[16:17], v[0:1]
	s_cmp_ge_i32 s18, s26
	v_lshl_add_u64 v[102:103], v[102:103], 0, 32
	ds_write_b32 v208, v213
	ds_write2st64_b32 v209, v212, v214 offset1:4
	s_waitcnt lgkmcnt(0)
	s_barrier
	s_cbranch_scc1 .LBB38_36
.LBB38_24:                              ; =>This Inner Loop Header: Depth=1
	v_add_u32_e32 v118, s18, v202
	v_add_u32_e32 v0, 8, v118
	v_cmp_gt_i32_e64 s[2:3], s22, v0
	s_and_b64 s[2:3], s[2:3], vcc
	s_and_b64 s[2:3], s[10:11], s[2:3]
	v_mov_b32_e32 v119, 0
	s_and_saveexec_b64 s[4:5], s[2:3]
	s_cbranch_execz .LBB38_26
; %bb.25:                               ;   in Loop: Header=BB38_24 Depth=1
	v_add_co_u32_e64 v2, s[2:3], -16, v102
	s_nop 1
	v_addc_co_u32_e64 v3, s[2:3], -1, v103, s[2:3]
	flat_load_dword v1, v[2:3]
	s_waitcnt vmcnt(0) lgkmcnt(0)
	v_mul_f32_e32 v119, s23, v1
.LBB38_26:                              ;   in Loop: Header=BB38_24 Depth=1
	s_or_b64 exec, exec, s[4:5]
	v_cmp_le_i32_e64 s[2:3], s22, v0
	v_min_i32_e32 v0, s31, v0
	v_ashrrev_i32_e32 v1, 31, v0
	s_or_b64 s[4:5], s[16:17], s[2:3]
	v_lshl_add_u64 v[0:1], v[0:1], 2, s[14:15]
	s_xor_b64 s[34:35], s[4:5], -1
	v_mov_b32_e32 v120, 0
	v_mov_b32_e32 v121, 0
	s_and_saveexec_b64 s[4:5], s[34:35]
	s_cbranch_execz .LBB38_28
; %bb.27:                               ;   in Loop: Header=BB38_24 Depth=1
	v_lshl_add_u64 v[2:3], v[98:99], 2, v[0:1]
	flat_load_dword v2, v[2:3]
	s_waitcnt vmcnt(0) lgkmcnt(0)
	v_mul_f32_e32 v121, s23, v2
.LBB38_28:                              ;   in Loop: Header=BB38_24 Depth=1
	s_or_b64 exec, exec, s[4:5]
	s_or_b64 s[2:3], s[6:7], s[2:3]
	s_xor_b64 s[4:5], s[2:3], -1
	s_and_saveexec_b64 s[2:3], s[4:5]
	s_cbranch_execz .LBB38_30
; %bb.29:                               ;   in Loop: Header=BB38_24 Depth=1
	v_lshl_add_u64 v[0:1], v[100:101], 2, v[0:1]
	flat_load_dword v0, v[0:1]
	s_waitcnt vmcnt(0) lgkmcnt(0)
	v_mul_f32_e32 v120, s23, v0
.LBB38_30:                              ;   in Loop: Header=BB38_24 Depth=1
	s_or_b64 exec, exec, s[2:3]
	ds_read_b128 v[40:43], v211
	ds_read_b128 v[36:39], v211 offset:512
	ds_read_b128 v[24:27], v211 offset:1536
	;; [unrolled: 1-line block ×3, first 2 shown]
	ds_read_b128 v[28:31], v210
	ds_read_b128 v[20:23], v210 offset:128
	ds_read_b128 v[16:19], v210 offset:256
	;; [unrolled: 1-line block ×7, first 2 shown]
	v_add_u32_e32 v118, 12, v118
	v_cmp_gt_i32_e64 s[2:3], s22, v118
	s_and_b64 s[2:3], s[2:3], vcc
	s_and_b64 s[4:5], s[10:11], s[2:3]
	v_mov_b32_e32 v212, 0
	v_mov_b32_e32 v213, 0
	ds_write_b32 v206, v119
	ds_write2st64_b32 v205, v121, v120 offset1:4
	s_waitcnt lgkmcnt(0)
	s_barrier
	s_and_saveexec_b64 s[2:3], s[4:5]
	s_cbranch_execz .LBB38_32
; %bb.31:                               ;   in Loop: Header=BB38_24 Depth=1
	flat_load_dword v119, v[102:103]
	s_waitcnt vmcnt(0) lgkmcnt(0)
	v_mul_f32_e32 v213, s23, v119
.LBB38_32:                              ;   in Loop: Header=BB38_24 Depth=1
	s_or_b64 exec, exec, s[2:3]
	v_cmp_le_i32_e64 s[2:3], s22, v118
	v_min_i32_e32 v118, s31, v118
	v_ashrrev_i32_e32 v119, 31, v118
	s_or_b64 s[4:5], s[16:17], s[2:3]
	v_lshl_add_u64 v[118:119], v[118:119], 2, s[14:15]
	s_xor_b64 s[34:35], s[4:5], -1
	s_and_saveexec_b64 s[4:5], s[34:35]
	s_cbranch_execz .LBB38_34
; %bb.33:                               ;   in Loop: Header=BB38_24 Depth=1
	v_lshl_add_u64 v[120:121], v[98:99], 2, v[118:119]
	flat_load_dword v120, v[120:121]
	s_waitcnt vmcnt(0) lgkmcnt(0)
	v_mul_f32_e32 v212, s23, v120
.LBB38_34:                              ;   in Loop: Header=BB38_24 Depth=1
	s_or_b64 exec, exec, s[4:5]
	v_max_f32_e32 v152, v41, v41
	v_max_f32_e32 v158, v45, v45
	v_max_f32_e32 v153, v40, v40
	v_max_f32_e32 v160, v44, v44
	v_max_f32_e32 v156, v37, v37
	v_max_f32_e32 v157, v36, v36
	v_max_f32_e32 v159, v33, v33
	v_max_f32_e32 v161, v32, v32
	v_max_f32_e32 v122, v28, v28
	v_max_f32_e32 v123, v29, v29
	v_max_f32_e32 v162, v25, v25
	v_max_f32_e32 v163, v24, v24
	v_max_f32_e32 v126, v20, v20
	v_max_f32_e32 v127, v21, v21
	v_max_f32_e32 v132, v16, v16
	v_max_f32_e32 v133, v17, v17
	v_max_f32_e32 v138, v12, v12
	v_max_f32_e32 v139, v13, v13
	v_max_f32_e32 v144, v8, v8
	v_max_f32_e32 v145, v9, v9
	v_max_f32_e32 v150, v4, v4
	v_max_f32_e32 v151, v5, v5
	v_max_f32_e32 v164, v0, v0
	v_max_f32_e32 v165, v1, v1
	v_max_f32_e32 v188, v43, v43
	v_max_f32_e32 v196, v42, v42
	v_max_f32_e32 v197, v39, v39
	v_max_f32_e32 v215, v38, v38
	v_max_f32_e32 v216, v35, v35
	v_max_f32_e32 v217, v34, v34
	v_max_f32_e32 v218, v27, v27
	v_max_f32_e32 v219, v26, v26
	v_max_f32_e32 v6, v6, v6
	v_max_f32_e32 v7, v7, v7
	v_min_f32_e32 v41, v158, v152
	v_min_f32_e32 v40, v160, v153
	;; [unrolled: 1-line block ×62, first 2 shown]
	v_max_f32_e32 v189, v47, v47
	v_max_f32_e32 v214, v46, v46
	;; [unrolled: 1-line block ×12, first 2 shown]
	v_min_f32_e32 v192, v6, v196
	v_min_f32_e32 v193, v7, v188
	v_min_f32_e32 v190, v6, v215
	v_min_f32_e32 v191, v7, v197
	v_min_f32_e32 v186, v6, v217
	v_min_f32_e32 v187, v7, v216
	v_min_f32_e32 v195, v7, v218
	v_min_f32_e32 v194, v6, v219
	v_max_f32_e32 v6, v2, v2
	v_max_f32_e32 v7, v3, v3
	s_or_b64 s[2:3], s[6:7], s[2:3]
	v_min_f32_e32 v32, v160, v161
	v_min_f32_e32 v0, v164, v161
	;; [unrolled: 1-line block ×58, first 2 shown]
	s_xor_b64 s[4:5], s[2:3], -1
	v_mov_b32_e32 v214, 0
	s_and_saveexec_b64 s[2:3], s[4:5]
	s_cbranch_execz .LBB38_23
; %bb.35:                               ;   in Loop: Header=BB38_24 Depth=1
	v_lshl_add_u64 v[118:119], v[100:101], 2, v[118:119]
	flat_load_dword v118, v[118:119]
	s_waitcnt vmcnt(0) lgkmcnt(0)
	v_mul_f32_e32 v214, s23, v118
	s_branch .LBB38_23
.LBB38_36:
	s_load_dwordx2 s[2:3], s[0:1], 0x70
	s_load_dword s33, s[0:1], 0x50
	s_load_dword s31, s[0:1], 0x68
	ds_read_b128 v[44:47], v204 offset:2048
	ds_read_b128 v[40:43], v204 offset:2560
	;; [unrolled: 1-line block ×12, first 2 shown]
	s_waitcnt lgkmcnt(0)
	s_lshl_b64 s[0:1], s[2:3], 2
	s_add_u32 s22, s12, s0
	v_add_u32_e32 v122, s30, v201
	s_addc_u32 s23, s13, s1
	v_mad_i64_i32 v[100:101], s[0:1], v122, s33, 0
	v_add_u32_e32 v98, s29, v200
	v_lshl_add_u64 v[120:121], v[100:101], 2, s[24:25]
	v_mad_i64_i32 v[100:101], s[0:1], v122, s31, 0
	v_cmp_gt_i32_e64 s[18:19], s21, v122
	v_lshl_add_u64 v[118:119], v[100:101], 2, s[22:23]
	v_cmp_gt_i32_e64 s[2:3], s20, v98
	v_cndmask_b32_e64 v100, 0, 1, s[8:9]
	s_and_b64 s[6:7], s[2:3], s[18:19]
	v_ashrrev_i32_e32 v99, 31, v98
	v_cmp_ne_u32_e64 s[0:1], 1, v100
	s_and_saveexec_b64 s[4:5], s[6:7]
	s_cbranch_execz .LBB38_41
; %bb.37:
	s_and_b64 vcc, exec, s[0:1]
	s_cbranch_vccnz .LBB38_39
; %bb.38:
	v_lshl_add_u64 v[100:101], v[98:99], 2, v[120:121]
	flat_load_dword v100, v[100:101]
	s_waitcnt vmcnt(0) lgkmcnt(0)
	v_mul_f32_e32 v100, s28, v100
	s_branch .LBB38_40
.LBB38_39:
	v_mov_b32_e32 v100, 0
.LBB38_40:
	v_max_f32_e32 v101, v44, v44
	v_max_f32_e32 v102, v32, v32
	v_min_f32_e32 v102, v102, v101
	v_max_f32_e32 v101, v45, v45
	v_max_f32_e32 v103, v33, v33
	v_min_f32_e32 v103, v103, v101
	v_pk_add_f32 v[102:103], v[116:117], v[102:103]
	v_max_f32_e32 v101, v46, v46
	v_max_f32_e32 v116, v34, v34
	v_min_f32_e32 v116, v116, v101
	v_max_f32_e32 v101, v47, v47
	v_max_f32_e32 v117, v35, v35
	v_min_f32_e32 v117, v117, v101
	v_pk_add_f32 v[102:103], v[102:103], v[116:117]
	s_nop 0
	v_add_f32_e32 v101, v102, v103
	v_add_f32_e32 v102, v101, v100
	v_lshl_add_u64 v[100:101], v[98:99], 2, v[118:119]
	global_store_dword v[100:101], v102, off
.LBB38_41:
	s_or_b64 exec, exec, s[4:5]
	v_add_u32_e32 v100, 8, v98
	v_cmp_gt_i32_e64 s[4:5], s20, v100
	s_and_b64 s[8:9], s[4:5], s[18:19]
	v_ashrrev_i32_e32 v101, 31, v100
	s_and_saveexec_b64 s[6:7], s[8:9]
	s_cbranch_execz .LBB38_46
; %bb.42:
	s_and_b64 vcc, exec, s[0:1]
	s_cbranch_vccnz .LBB38_44
; %bb.43:
	v_lshl_add_u64 v[102:103], v[100:101], 2, v[120:121]
	flat_load_dword v102, v[102:103]
	s_waitcnt vmcnt(0) lgkmcnt(0)
	v_mul_f32_e32 v102, s28, v102
	s_branch .LBB38_45
.LBB38_44:
	v_mov_b32_e32 v102, 0
.LBB38_45:
	v_max_f32_e32 v103, v44, v44
	v_max_f32_e32 v116, v28, v28
	v_min_f32_e32 v116, v116, v103
	v_max_f32_e32 v103, v45, v45
	v_max_f32_e32 v117, v29, v29
	v_min_f32_e32 v117, v117, v103
	v_pk_add_f32 v[114:115], v[114:115], v[116:117]
	v_max_f32_e32 v103, v46, v46
	v_max_f32_e32 v116, v30, v30
	v_min_f32_e32 v116, v116, v103
	v_max_f32_e32 v103, v47, v47
	v_max_f32_e32 v117, v31, v31
	v_min_f32_e32 v117, v117, v103
	v_pk_add_f32 v[114:115], v[114:115], v[116:117]
	s_nop 0
	v_add_f32_e32 v103, v114, v115
	v_add_f32_e32 v114, v103, v102
	v_lshl_add_u64 v[102:103], v[100:101], 2, v[118:119]
	global_store_dword v[102:103], v114, off
.LBB38_46:
	s_or_b64 exec, exec, s[6:7]
	v_add_u32_e32 v102, 16, v98
	v_cmp_gt_i32_e64 s[6:7], s20, v102
	s_and_b64 s[10:11], s[6:7], s[18:19]
	v_ashrrev_i32_e32 v103, 31, v102
	;; [unrolled: 39-line block ×7, first 2 shown]
	s_and_saveexec_b64 s[18:19], s[26:27]
	s_cbranch_execz .LBB38_76
; %bb.72:
	s_and_b64 vcc, exec, s[0:1]
	s_cbranch_vccnz .LBB38_74
; %bb.73:
	v_lshl_add_u64 v[114:115], v[112:113], 2, v[120:121]
	flat_load_dword v114, v[114:115]
	s_waitcnt vmcnt(0) lgkmcnt(0)
	v_mul_f32_e32 v114, s28, v114
	s_branch .LBB38_75
.LBB38_74:
	v_mov_b32_e32 v114, 0
.LBB38_75:
	v_max_f32_e32 v45, v45, v45
	v_max_f32_e32 v115, v5, v5
	v_min_f32_e32 v45, v115, v45
	v_max_f32_e32 v44, v44, v44
	v_max_f32_e32 v115, v4, v4
	v_min_f32_e32 v44, v115, v44
	v_pk_add_f32 v[44:45], v[96:97], v[44:45]
	v_max_f32_e32 v47, v47, v47
	v_max_f32_e32 v96, v7, v7
	v_min_f32_e32 v47, v96, v47
	v_max_f32_e32 v46, v46, v46
	v_max_f32_e32 v96, v6, v6
	v_min_f32_e32 v46, v96, v46
	v_pk_add_f32 v[44:45], v[44:45], v[46:47]
	s_nop 0
	v_add_f32_e32 v44, v44, v45
	v_add_f32_e32 v46, v44, v114
	v_lshl_add_u64 v[44:45], v[112:113], 2, v[118:119]
	global_store_dword v[44:45], v46, off
.LBB38_76:
	s_or_b64 exec, exec, s[18:19]
	v_add_u32_e32 v96, 32, v122
	v_mad_i64_i32 v[44:45], s[26:27], v96, s33, 0
	v_cmp_gt_i32_e64 s[18:19], s21, v96
	v_lshl_add_u64 v[46:47], v[44:45], 2, s[24:25]
	v_mad_i64_i32 v[44:45], s[26:27], v96, s31, 0
	v_lshl_add_u64 v[44:45], v[44:45], 2, s[22:23]
	s_and_b64 s[34:35], s[2:3], s[18:19]
	s_and_saveexec_b64 s[26:27], s[34:35]
	s_cbranch_execnz .LBB38_84
; %bb.77:
	s_or_b64 exec, exec, s[26:27]
	s_and_b64 s[34:35], s[4:5], s[18:19]
	s_and_saveexec_b64 s[26:27], s[34:35]
	s_cbranch_execnz .LBB38_88
.LBB38_78:
	s_or_b64 exec, exec, s[26:27]
	s_and_b64 s[34:35], s[6:7], s[18:19]
	s_and_saveexec_b64 s[26:27], s[34:35]
	s_cbranch_execnz .LBB38_92
.LBB38_79:
	s_or_b64 exec, exec, s[26:27]
	s_and_b64 s[34:35], s[8:9], s[18:19]
	s_and_saveexec_b64 s[26:27], s[34:35]
	s_cbranch_execnz .LBB38_96
.LBB38_80:
	s_or_b64 exec, exec, s[26:27]
	s_and_b64 s[34:35], s[10:11], s[18:19]
	s_and_saveexec_b64 s[26:27], s[34:35]
	s_cbranch_execnz .LBB38_100
.LBB38_81:
	s_or_b64 exec, exec, s[26:27]
	s_and_b64 s[34:35], s[12:13], s[18:19]
	s_and_saveexec_b64 s[26:27], s[34:35]
	s_cbranch_execnz .LBB38_104
.LBB38_82:
	s_or_b64 exec, exec, s[26:27]
	s_and_b64 s[34:35], s[14:15], s[18:19]
	s_and_saveexec_b64 s[26:27], s[34:35]
	s_cbranch_execnz .LBB38_108
.LBB38_83:
	s_or_b64 exec, exec, s[26:27]
	s_and_b64 s[26:27], s[16:17], s[18:19]
	s_and_saveexec_b64 s[18:19], s[26:27]
	s_cbranch_execnz .LBB38_112
	s_branch .LBB38_116
.LBB38_84:
	s_and_b64 vcc, exec, s[0:1]
	s_cbranch_vccnz .LBB38_86
; %bb.85:
	v_lshl_add_u64 v[96:97], v[98:99], 2, v[46:47]
	flat_load_dword v96, v[96:97]
	s_waitcnt vmcnt(0) lgkmcnt(0)
	v_mul_f32_e32 v96, s28, v96
	s_branch .LBB38_87
.LBB38_86:
	v_mov_b32_e32 v96, 0
.LBB38_87:
	v_max_f32_e32 v97, v40, v40
	v_max_f32_e32 v114, v32, v32
	v_min_f32_e32 v114, v114, v97
	v_max_f32_e32 v97, v41, v41
	v_max_f32_e32 v115, v33, v33
	v_min_f32_e32 v115, v115, v97
	v_pk_add_f32 v[94:95], v[94:95], v[114:115]
	v_max_f32_e32 v97, v42, v42
	v_max_f32_e32 v114, v34, v34
	v_min_f32_e32 v114, v114, v97
	v_max_f32_e32 v97, v43, v43
	v_max_f32_e32 v115, v35, v35
	v_min_f32_e32 v115, v115, v97
	v_pk_add_f32 v[94:95], v[94:95], v[114:115]
	s_nop 0
	v_add_f32_e32 v94, v94, v95
	v_add_f32_e32 v96, v94, v96
	v_lshl_add_u64 v[94:95], v[98:99], 2, v[44:45]
	global_store_dword v[94:95], v96, off
	s_or_b64 exec, exec, s[26:27]
	s_and_b64 s[34:35], s[4:5], s[18:19]
	s_and_saveexec_b64 s[26:27], s[34:35]
	s_cbranch_execz .LBB38_78
.LBB38_88:
	s_and_b64 vcc, exec, s[0:1]
	s_cbranch_vccnz .LBB38_90
; %bb.89:
	v_lshl_add_u64 v[94:95], v[100:101], 2, v[46:47]
	flat_load_dword v94, v[94:95]
	s_waitcnt vmcnt(0) lgkmcnt(0)
	v_mul_f32_e32 v94, s28, v94
	s_branch .LBB38_91
.LBB38_90:
	v_mov_b32_e32 v94, 0
.LBB38_91:
	v_max_f32_e32 v95, v40, v40
	v_max_f32_e32 v96, v28, v28
	v_min_f32_e32 v96, v96, v95
	v_max_f32_e32 v95, v41, v41
	v_max_f32_e32 v97, v29, v29
	v_min_f32_e32 v97, v97, v95
	v_pk_add_f32 v[92:93], v[92:93], v[96:97]
	v_max_f32_e32 v95, v42, v42
	v_max_f32_e32 v96, v30, v30
	v_min_f32_e32 v96, v96, v95
	v_max_f32_e32 v95, v43, v43
	v_max_f32_e32 v97, v31, v31
	v_min_f32_e32 v97, v97, v95
	v_pk_add_f32 v[92:93], v[92:93], v[96:97]
	s_nop 0
	v_add_f32_e32 v92, v92, v93
	v_add_f32_e32 v94, v92, v94
	v_lshl_add_u64 v[92:93], v[100:101], 2, v[44:45]
	global_store_dword v[92:93], v94, off
	s_or_b64 exec, exec, s[26:27]
	s_and_b64 s[34:35], s[6:7], s[18:19]
	s_and_saveexec_b64 s[26:27], s[34:35]
	s_cbranch_execz .LBB38_79
.LBB38_92:
	s_and_b64 vcc, exec, s[0:1]
	s_cbranch_vccnz .LBB38_94
; %bb.93:
	v_lshl_add_u64 v[92:93], v[102:103], 2, v[46:47]
	flat_load_dword v92, v[92:93]
	s_waitcnt vmcnt(0) lgkmcnt(0)
	v_mul_f32_e32 v92, s28, v92
	s_branch .LBB38_95
.LBB38_94:
	v_mov_b32_e32 v92, 0
.LBB38_95:
	v_max_f32_e32 v93, v40, v40
	v_max_f32_e32 v94, v24, v24
	v_min_f32_e32 v94, v94, v93
	v_max_f32_e32 v93, v41, v41
	v_max_f32_e32 v95, v25, v25
	v_min_f32_e32 v95, v95, v93
	v_pk_add_f32 v[90:91], v[90:91], v[94:95]
	v_max_f32_e32 v93, v42, v42
	v_max_f32_e32 v94, v26, v26
	v_min_f32_e32 v94, v94, v93
	v_max_f32_e32 v93, v43, v43
	v_max_f32_e32 v95, v27, v27
	v_min_f32_e32 v95, v95, v93
	v_pk_add_f32 v[90:91], v[90:91], v[94:95]
	s_nop 0
	v_add_f32_e32 v90, v90, v91
	v_add_f32_e32 v92, v90, v92
	v_lshl_add_u64 v[90:91], v[102:103], 2, v[44:45]
	global_store_dword v[90:91], v92, off
	s_or_b64 exec, exec, s[26:27]
	s_and_b64 s[34:35], s[8:9], s[18:19]
	s_and_saveexec_b64 s[26:27], s[34:35]
	s_cbranch_execz .LBB38_80
.LBB38_96:
	s_and_b64 vcc, exec, s[0:1]
	s_cbranch_vccnz .LBB38_98
; %bb.97:
	v_lshl_add_u64 v[90:91], v[104:105], 2, v[46:47]
	flat_load_dword v90, v[90:91]
	s_waitcnt vmcnt(0) lgkmcnt(0)
	v_mul_f32_e32 v90, s28, v90
	s_branch .LBB38_99
.LBB38_98:
	v_mov_b32_e32 v90, 0
.LBB38_99:
	v_max_f32_e32 v91, v40, v40
	v_max_f32_e32 v92, v20, v20
	v_min_f32_e32 v92, v92, v91
	v_max_f32_e32 v91, v41, v41
	v_max_f32_e32 v93, v21, v21
	v_min_f32_e32 v93, v93, v91
	v_pk_add_f32 v[88:89], v[88:89], v[92:93]
	v_max_f32_e32 v91, v42, v42
	v_max_f32_e32 v92, v22, v22
	v_min_f32_e32 v92, v92, v91
	v_max_f32_e32 v91, v43, v43
	v_max_f32_e32 v93, v23, v23
	v_min_f32_e32 v93, v93, v91
	v_pk_add_f32 v[88:89], v[88:89], v[92:93]
	s_nop 0
	v_add_f32_e32 v88, v88, v89
	v_add_f32_e32 v90, v88, v90
	v_lshl_add_u64 v[88:89], v[104:105], 2, v[44:45]
	global_store_dword v[88:89], v90, off
	s_or_b64 exec, exec, s[26:27]
	s_and_b64 s[34:35], s[10:11], s[18:19]
	s_and_saveexec_b64 s[26:27], s[34:35]
	s_cbranch_execz .LBB38_81
.LBB38_100:
	s_and_b64 vcc, exec, s[0:1]
	s_cbranch_vccnz .LBB38_102
; %bb.101:
	v_lshl_add_u64 v[88:89], v[106:107], 2, v[46:47]
	flat_load_dword v88, v[88:89]
	s_waitcnt vmcnt(0) lgkmcnt(0)
	v_mul_f32_e32 v88, s28, v88
	s_branch .LBB38_103
.LBB38_102:
	v_mov_b32_e32 v88, 0
.LBB38_103:
	v_max_f32_e32 v89, v40, v40
	v_max_f32_e32 v90, v16, v16
	v_min_f32_e32 v90, v90, v89
	v_max_f32_e32 v89, v41, v41
	v_max_f32_e32 v91, v17, v17
	v_min_f32_e32 v91, v91, v89
	v_pk_add_f32 v[86:87], v[86:87], v[90:91]
	v_max_f32_e32 v89, v42, v42
	v_max_f32_e32 v90, v18, v18
	v_min_f32_e32 v90, v90, v89
	v_max_f32_e32 v89, v43, v43
	v_max_f32_e32 v91, v19, v19
	v_min_f32_e32 v91, v91, v89
	v_pk_add_f32 v[86:87], v[86:87], v[90:91]
	s_nop 0
	v_add_f32_e32 v86, v86, v87
	v_add_f32_e32 v88, v86, v88
	v_lshl_add_u64 v[86:87], v[106:107], 2, v[44:45]
	global_store_dword v[86:87], v88, off
	s_or_b64 exec, exec, s[26:27]
	s_and_b64 s[34:35], s[12:13], s[18:19]
	s_and_saveexec_b64 s[26:27], s[34:35]
	s_cbranch_execz .LBB38_82
.LBB38_104:
	s_and_b64 vcc, exec, s[0:1]
	s_cbranch_vccnz .LBB38_106
; %bb.105:
	v_lshl_add_u64 v[86:87], v[108:109], 2, v[46:47]
	flat_load_dword v86, v[86:87]
	s_waitcnt vmcnt(0) lgkmcnt(0)
	v_mul_f32_e32 v86, s28, v86
	s_branch .LBB38_107
.LBB38_106:
	v_mov_b32_e32 v86, 0
.LBB38_107:
	v_max_f32_e32 v87, v40, v40
	v_max_f32_e32 v88, v12, v12
	v_min_f32_e32 v88, v88, v87
	v_max_f32_e32 v87, v41, v41
	v_max_f32_e32 v89, v13, v13
	v_min_f32_e32 v89, v89, v87
	v_pk_add_f32 v[84:85], v[84:85], v[88:89]
	v_max_f32_e32 v87, v42, v42
	v_max_f32_e32 v88, v14, v14
	v_min_f32_e32 v88, v88, v87
	v_max_f32_e32 v87, v43, v43
	v_max_f32_e32 v89, v15, v15
	v_min_f32_e32 v89, v89, v87
	v_pk_add_f32 v[84:85], v[84:85], v[88:89]
	s_nop 0
	v_add_f32_e32 v84, v84, v85
	v_add_f32_e32 v86, v84, v86
	v_lshl_add_u64 v[84:85], v[108:109], 2, v[44:45]
	global_store_dword v[84:85], v86, off
	s_or_b64 exec, exec, s[26:27]
	s_and_b64 s[34:35], s[14:15], s[18:19]
	s_and_saveexec_b64 s[26:27], s[34:35]
	s_cbranch_execz .LBB38_83
.LBB38_108:
	s_and_b64 vcc, exec, s[0:1]
	s_cbranch_vccnz .LBB38_110
; %bb.109:
	v_lshl_add_u64 v[84:85], v[110:111], 2, v[46:47]
	flat_load_dword v84, v[84:85]
	s_waitcnt vmcnt(0) lgkmcnt(0)
	v_mul_f32_e32 v84, s28, v84
	s_branch .LBB38_111
.LBB38_110:
	v_mov_b32_e32 v84, 0
.LBB38_111:
	v_max_f32_e32 v85, v40, v40
	v_max_f32_e32 v86, v8, v8
	v_min_f32_e32 v86, v86, v85
	v_max_f32_e32 v85, v41, v41
	v_max_f32_e32 v87, v9, v9
	v_min_f32_e32 v87, v87, v85
	v_pk_add_f32 v[82:83], v[82:83], v[86:87]
	v_max_f32_e32 v85, v42, v42
	v_max_f32_e32 v86, v10, v10
	v_min_f32_e32 v86, v86, v85
	v_max_f32_e32 v85, v43, v43
	v_max_f32_e32 v87, v11, v11
	v_min_f32_e32 v87, v87, v85
	v_pk_add_f32 v[82:83], v[82:83], v[86:87]
	s_nop 0
	v_add_f32_e32 v82, v82, v83
	v_add_f32_e32 v84, v82, v84
	v_lshl_add_u64 v[82:83], v[110:111], 2, v[44:45]
	global_store_dword v[82:83], v84, off
	s_or_b64 exec, exec, s[26:27]
	s_and_b64 s[26:27], s[16:17], s[18:19]
	s_and_saveexec_b64 s[18:19], s[26:27]
	s_cbranch_execz .LBB38_116
.LBB38_112:
	s_and_b64 vcc, exec, s[0:1]
	s_cbranch_vccnz .LBB38_114
; %bb.113:
	v_lshl_add_u64 v[46:47], v[112:113], 2, v[46:47]
	flat_load_dword v46, v[46:47]
	s_waitcnt vmcnt(0) lgkmcnt(0)
	v_mul_f32_e32 v46, s28, v46
	s_branch .LBB38_115
.LBB38_114:
	v_mov_b32_e32 v46, 0
.LBB38_115:
	v_max_f32_e32 v41, v41, v41
	v_max_f32_e32 v47, v5, v5
	v_min_f32_e32 v41, v47, v41
	v_max_f32_e32 v40, v40, v40
	v_max_f32_e32 v47, v4, v4
	v_min_f32_e32 v40, v47, v40
	;; [unrolled: 3-line block ×3, first 2 shown]
	v_max_f32_e32 v42, v42, v42
	v_max_f32_e32 v47, v6, v6
	v_pk_add_f32 v[40:41], v[80:81], v[40:41]
	v_min_f32_e32 v42, v47, v42
	v_pk_add_f32 v[40:41], v[40:41], v[42:43]
	s_nop 0
	v_add_f32_e32 v40, v40, v41
	v_add_f32_e32 v42, v40, v46
	v_lshl_add_u64 v[40:41], v[112:113], 2, v[44:45]
	global_store_dword v[40:41], v42, off
.LBB38_116:
	s_or_b64 exec, exec, s[18:19]
	v_add_u32_e32 v44, 64, v122
	v_mad_i64_i32 v[40:41], s[26:27], v44, s33, 0
	v_cmp_gt_i32_e64 s[18:19], s21, v44
	v_lshl_add_u64 v[42:43], v[40:41], 2, s[24:25]
	v_mad_i64_i32 v[40:41], s[26:27], v44, s31, 0
	v_lshl_add_u64 v[40:41], v[40:41], 2, s[22:23]
	s_and_b64 s[34:35], s[2:3], s[18:19]
	s_and_saveexec_b64 s[26:27], s[34:35]
	s_cbranch_execnz .LBB38_124
; %bb.117:
	s_or_b64 exec, exec, s[26:27]
	s_and_b64 s[34:35], s[4:5], s[18:19]
	s_and_saveexec_b64 s[26:27], s[34:35]
	s_cbranch_execnz .LBB38_128
.LBB38_118:
	s_or_b64 exec, exec, s[26:27]
	s_and_b64 s[34:35], s[6:7], s[18:19]
	s_and_saveexec_b64 s[26:27], s[34:35]
	s_cbranch_execnz .LBB38_132
.LBB38_119:
	s_or_b64 exec, exec, s[26:27]
	s_and_b64 s[34:35], s[8:9], s[18:19]
	s_and_saveexec_b64 s[26:27], s[34:35]
	s_cbranch_execnz .LBB38_136
.LBB38_120:
	s_or_b64 exec, exec, s[26:27]
	s_and_b64 s[34:35], s[10:11], s[18:19]
	s_and_saveexec_b64 s[26:27], s[34:35]
	s_cbranch_execnz .LBB38_140
.LBB38_121:
	s_or_b64 exec, exec, s[26:27]
	s_and_b64 s[34:35], s[12:13], s[18:19]
	s_and_saveexec_b64 s[26:27], s[34:35]
	s_cbranch_execnz .LBB38_144
.LBB38_122:
	s_or_b64 exec, exec, s[26:27]
	s_and_b64 s[34:35], s[14:15], s[18:19]
	s_and_saveexec_b64 s[26:27], s[34:35]
	s_cbranch_execnz .LBB38_148
.LBB38_123:
	s_or_b64 exec, exec, s[26:27]
	s_and_b64 s[26:27], s[16:17], s[18:19]
	s_and_saveexec_b64 s[18:19], s[26:27]
	s_cbranch_execnz .LBB38_152
	s_branch .LBB38_156
.LBB38_124:
	s_and_b64 vcc, exec, s[0:1]
	s_cbranch_vccnz .LBB38_126
; %bb.125:
	v_lshl_add_u64 v[44:45], v[98:99], 2, v[42:43]
	flat_load_dword v44, v[44:45]
	s_waitcnt vmcnt(0) lgkmcnt(0)
	v_mul_f32_e32 v44, s28, v44
	s_branch .LBB38_127
.LBB38_126:
	v_mov_b32_e32 v44, 0
.LBB38_127:
	v_max_f32_e32 v45, v36, v36
	v_max_f32_e32 v46, v32, v32
	v_min_f32_e32 v46, v46, v45
	v_max_f32_e32 v45, v37, v37
	v_max_f32_e32 v47, v33, v33
	v_min_f32_e32 v47, v47, v45
	v_pk_add_f32 v[46:47], v[78:79], v[46:47]
	v_max_f32_e32 v45, v38, v38
	v_max_f32_e32 v78, v34, v34
	v_min_f32_e32 v78, v78, v45
	v_max_f32_e32 v45, v39, v39
	v_max_f32_e32 v79, v35, v35
	v_min_f32_e32 v79, v79, v45
	v_pk_add_f32 v[46:47], v[46:47], v[78:79]
	s_nop 0
	v_add_f32_e32 v45, v46, v47
	v_add_f32_e32 v46, v45, v44
	v_lshl_add_u64 v[44:45], v[98:99], 2, v[40:41]
	global_store_dword v[44:45], v46, off
	s_or_b64 exec, exec, s[26:27]
	s_and_b64 s[34:35], s[4:5], s[18:19]
	s_and_saveexec_b64 s[26:27], s[34:35]
	s_cbranch_execz .LBB38_118
.LBB38_128:
	s_and_b64 vcc, exec, s[0:1]
	s_cbranch_vccnz .LBB38_130
; %bb.129:
	v_lshl_add_u64 v[44:45], v[100:101], 2, v[42:43]
	flat_load_dword v44, v[44:45]
	s_waitcnt vmcnt(0) lgkmcnt(0)
	v_mul_f32_e32 v44, s28, v44
	s_branch .LBB38_131
.LBB38_130:
	v_mov_b32_e32 v44, 0
.LBB38_131:
	v_max_f32_e32 v45, v36, v36
	v_max_f32_e32 v46, v28, v28
	v_min_f32_e32 v46, v46, v45
	v_max_f32_e32 v45, v37, v37
	v_max_f32_e32 v47, v29, v29
	v_min_f32_e32 v47, v47, v45
	v_pk_add_f32 v[46:47], v[76:77], v[46:47]
	v_max_f32_e32 v45, v38, v38
	v_max_f32_e32 v76, v30, v30
	v_min_f32_e32 v76, v76, v45
	v_max_f32_e32 v45, v39, v39
	v_max_f32_e32 v77, v31, v31
	v_min_f32_e32 v77, v77, v45
	v_pk_add_f32 v[46:47], v[46:47], v[76:77]
	s_nop 0
	v_add_f32_e32 v45, v46, v47
	v_add_f32_e32 v46, v45, v44
	v_lshl_add_u64 v[44:45], v[100:101], 2, v[40:41]
	global_store_dword v[44:45], v46, off
	s_or_b64 exec, exec, s[26:27]
	s_and_b64 s[34:35], s[6:7], s[18:19]
	s_and_saveexec_b64 s[26:27], s[34:35]
	s_cbranch_execz .LBB38_119
.LBB38_132:
	s_and_b64 vcc, exec, s[0:1]
	s_cbranch_vccnz .LBB38_134
; %bb.133:
	v_lshl_add_u64 v[44:45], v[102:103], 2, v[42:43]
	flat_load_dword v44, v[44:45]
	s_waitcnt vmcnt(0) lgkmcnt(0)
	v_mul_f32_e32 v44, s28, v44
	s_branch .LBB38_135
.LBB38_134:
	v_mov_b32_e32 v44, 0
.LBB38_135:
	v_max_f32_e32 v45, v36, v36
	v_max_f32_e32 v46, v24, v24
	v_min_f32_e32 v46, v46, v45
	v_max_f32_e32 v45, v37, v37
	v_max_f32_e32 v47, v25, v25
	v_min_f32_e32 v47, v47, v45
	v_pk_add_f32 v[46:47], v[74:75], v[46:47]
	v_max_f32_e32 v45, v38, v38
	v_max_f32_e32 v74, v26, v26
	v_min_f32_e32 v74, v74, v45
	v_max_f32_e32 v45, v39, v39
	v_max_f32_e32 v75, v27, v27
	v_min_f32_e32 v75, v75, v45
	v_pk_add_f32 v[46:47], v[46:47], v[74:75]
	s_nop 0
	v_add_f32_e32 v45, v46, v47
	v_add_f32_e32 v46, v45, v44
	v_lshl_add_u64 v[44:45], v[102:103], 2, v[40:41]
	global_store_dword v[44:45], v46, off
	s_or_b64 exec, exec, s[26:27]
	s_and_b64 s[34:35], s[8:9], s[18:19]
	s_and_saveexec_b64 s[26:27], s[34:35]
	s_cbranch_execz .LBB38_120
.LBB38_136:
	s_and_b64 vcc, exec, s[0:1]
	s_cbranch_vccnz .LBB38_138
; %bb.137:
	v_lshl_add_u64 v[44:45], v[104:105], 2, v[42:43]
	flat_load_dword v44, v[44:45]
	s_waitcnt vmcnt(0) lgkmcnt(0)
	v_mul_f32_e32 v44, s28, v44
	s_branch .LBB38_139
.LBB38_138:
	v_mov_b32_e32 v44, 0
.LBB38_139:
	v_max_f32_e32 v45, v36, v36
	v_max_f32_e32 v46, v20, v20
	v_min_f32_e32 v46, v46, v45
	v_max_f32_e32 v45, v37, v37
	v_max_f32_e32 v47, v21, v21
	v_min_f32_e32 v47, v47, v45
	v_pk_add_f32 v[46:47], v[72:73], v[46:47]
	v_max_f32_e32 v45, v38, v38
	v_max_f32_e32 v72, v22, v22
	v_min_f32_e32 v72, v72, v45
	v_max_f32_e32 v45, v39, v39
	v_max_f32_e32 v73, v23, v23
	v_min_f32_e32 v73, v73, v45
	v_pk_add_f32 v[46:47], v[46:47], v[72:73]
	s_nop 0
	v_add_f32_e32 v45, v46, v47
	v_add_f32_e32 v46, v45, v44
	v_lshl_add_u64 v[44:45], v[104:105], 2, v[40:41]
	global_store_dword v[44:45], v46, off
	s_or_b64 exec, exec, s[26:27]
	s_and_b64 s[34:35], s[10:11], s[18:19]
	s_and_saveexec_b64 s[26:27], s[34:35]
	s_cbranch_execz .LBB38_121
.LBB38_140:
	s_and_b64 vcc, exec, s[0:1]
	s_cbranch_vccnz .LBB38_142
; %bb.141:
	v_lshl_add_u64 v[44:45], v[106:107], 2, v[42:43]
	flat_load_dword v44, v[44:45]
	s_waitcnt vmcnt(0) lgkmcnt(0)
	v_mul_f32_e32 v44, s28, v44
	s_branch .LBB38_143
.LBB38_142:
	v_mov_b32_e32 v44, 0
.LBB38_143:
	v_max_f32_e32 v45, v36, v36
	v_max_f32_e32 v46, v16, v16
	v_min_f32_e32 v46, v46, v45
	v_max_f32_e32 v45, v37, v37
	v_max_f32_e32 v47, v17, v17
	v_min_f32_e32 v47, v47, v45
	v_pk_add_f32 v[46:47], v[70:71], v[46:47]
	v_max_f32_e32 v45, v38, v38
	v_max_f32_e32 v70, v18, v18
	v_min_f32_e32 v70, v70, v45
	v_max_f32_e32 v45, v39, v39
	v_max_f32_e32 v71, v19, v19
	v_min_f32_e32 v71, v71, v45
	v_pk_add_f32 v[46:47], v[46:47], v[70:71]
	s_nop 0
	v_add_f32_e32 v45, v46, v47
	v_add_f32_e32 v46, v45, v44
	v_lshl_add_u64 v[44:45], v[106:107], 2, v[40:41]
	global_store_dword v[44:45], v46, off
	s_or_b64 exec, exec, s[26:27]
	s_and_b64 s[34:35], s[12:13], s[18:19]
	s_and_saveexec_b64 s[26:27], s[34:35]
	s_cbranch_execz .LBB38_122
.LBB38_144:
	s_and_b64 vcc, exec, s[0:1]
	s_cbranch_vccnz .LBB38_146
; %bb.145:
	v_lshl_add_u64 v[44:45], v[108:109], 2, v[42:43]
	flat_load_dword v44, v[44:45]
	s_waitcnt vmcnt(0) lgkmcnt(0)
	v_mul_f32_e32 v44, s28, v44
	s_branch .LBB38_147
.LBB38_146:
	v_mov_b32_e32 v44, 0
.LBB38_147:
	v_max_f32_e32 v45, v36, v36
	v_max_f32_e32 v46, v12, v12
	v_min_f32_e32 v46, v46, v45
	v_max_f32_e32 v45, v37, v37
	v_max_f32_e32 v47, v13, v13
	v_min_f32_e32 v47, v47, v45
	v_pk_add_f32 v[46:47], v[68:69], v[46:47]
	v_max_f32_e32 v45, v38, v38
	v_max_f32_e32 v68, v14, v14
	v_min_f32_e32 v68, v68, v45
	v_max_f32_e32 v45, v39, v39
	v_max_f32_e32 v69, v15, v15
	v_min_f32_e32 v69, v69, v45
	v_pk_add_f32 v[46:47], v[46:47], v[68:69]
	s_nop 0
	v_add_f32_e32 v45, v46, v47
	v_add_f32_e32 v46, v45, v44
	v_lshl_add_u64 v[44:45], v[108:109], 2, v[40:41]
	global_store_dword v[44:45], v46, off
	s_or_b64 exec, exec, s[26:27]
	s_and_b64 s[34:35], s[14:15], s[18:19]
	s_and_saveexec_b64 s[26:27], s[34:35]
	s_cbranch_execz .LBB38_123
.LBB38_148:
	s_and_b64 vcc, exec, s[0:1]
	s_cbranch_vccnz .LBB38_150
; %bb.149:
	v_lshl_add_u64 v[44:45], v[110:111], 2, v[42:43]
	flat_load_dword v44, v[44:45]
	s_waitcnt vmcnt(0) lgkmcnt(0)
	v_mul_f32_e32 v44, s28, v44
	s_branch .LBB38_151
.LBB38_150:
	v_mov_b32_e32 v44, 0
.LBB38_151:
	v_max_f32_e32 v45, v36, v36
	v_max_f32_e32 v46, v8, v8
	v_min_f32_e32 v46, v46, v45
	v_max_f32_e32 v45, v37, v37
	v_max_f32_e32 v47, v9, v9
	v_min_f32_e32 v47, v47, v45
	v_pk_add_f32 v[46:47], v[66:67], v[46:47]
	v_max_f32_e32 v45, v38, v38
	v_max_f32_e32 v66, v10, v10
	v_min_f32_e32 v66, v66, v45
	v_max_f32_e32 v45, v39, v39
	v_max_f32_e32 v67, v11, v11
	v_min_f32_e32 v67, v67, v45
	v_pk_add_f32 v[46:47], v[46:47], v[66:67]
	s_nop 0
	v_add_f32_e32 v45, v46, v47
	v_add_f32_e32 v46, v45, v44
	v_lshl_add_u64 v[44:45], v[110:111], 2, v[40:41]
	global_store_dword v[44:45], v46, off
	s_or_b64 exec, exec, s[26:27]
	s_and_b64 s[26:27], s[16:17], s[18:19]
	s_and_saveexec_b64 s[18:19], s[26:27]
	s_cbranch_execz .LBB38_156
.LBB38_152:
	s_and_b64 vcc, exec, s[0:1]
	s_cbranch_vccnz .LBB38_154
; %bb.153:
	v_lshl_add_u64 v[42:43], v[112:113], 2, v[42:43]
	flat_load_dword v42, v[42:43]
	s_waitcnt vmcnt(0) lgkmcnt(0)
	v_mul_f32_e32 v42, s28, v42
	s_branch .LBB38_155
.LBB38_154:
	v_mov_b32_e32 v42, 0
.LBB38_155:
	v_max_f32_e32 v37, v37, v37
	v_max_f32_e32 v43, v5, v5
	v_min_f32_e32 v37, v43, v37
	v_max_f32_e32 v36, v36, v36
	v_max_f32_e32 v43, v4, v4
	v_min_f32_e32 v36, v43, v36
	;; [unrolled: 3-line block ×3, first 2 shown]
	v_max_f32_e32 v38, v38, v38
	v_max_f32_e32 v43, v6, v6
	v_pk_add_f32 v[36:37], v[64:65], v[36:37]
	v_min_f32_e32 v38, v43, v38
	v_pk_add_f32 v[36:37], v[36:37], v[38:39]
	s_nop 0
	v_add_f32_e32 v36, v36, v37
	v_add_f32_e32 v38, v36, v42
	v_lshl_add_u64 v[36:37], v[112:113], 2, v[40:41]
	global_store_dword v[36:37], v38, off
.LBB38_156:
	s_or_b64 exec, exec, s[18:19]
	v_add_u32_e32 v40, 0x60, v122
	v_cmp_gt_i32_e64 s[18:19], s21, v40
	v_mad_i64_i32 v[36:37], s[20:21], v40, s33, 0
	v_lshl_add_u64 v[38:39], v[36:37], 2, s[24:25]
	v_mad_i64_i32 v[36:37], s[20:21], v40, s31, 0
	v_lshl_add_u64 v[36:37], v[36:37], 2, s[22:23]
	s_and_b64 s[20:21], s[2:3], s[18:19]
	s_and_saveexec_b64 s[2:3], s[20:21]
	s_cbranch_execnz .LBB38_165
; %bb.157:
	s_or_b64 exec, exec, s[2:3]
	s_and_b64 s[4:5], s[4:5], s[18:19]
	s_and_saveexec_b64 s[2:3], s[4:5]
	s_cbranch_execnz .LBB38_169
.LBB38_158:
	s_or_b64 exec, exec, s[2:3]
	s_and_b64 s[4:5], s[6:7], s[18:19]
	s_and_saveexec_b64 s[2:3], s[4:5]
	s_cbranch_execnz .LBB38_173
.LBB38_159:
	s_or_b64 exec, exec, s[2:3]
	s_and_b64 s[4:5], s[8:9], s[18:19]
	s_and_saveexec_b64 s[2:3], s[4:5]
	s_cbranch_execnz .LBB38_177
.LBB38_160:
	s_or_b64 exec, exec, s[2:3]
	s_and_b64 s[4:5], s[10:11], s[18:19]
	s_and_saveexec_b64 s[2:3], s[4:5]
	s_cbranch_execnz .LBB38_181
.LBB38_161:
	s_or_b64 exec, exec, s[2:3]
	s_and_b64 s[4:5], s[12:13], s[18:19]
	s_and_saveexec_b64 s[2:3], s[4:5]
	s_cbranch_execnz .LBB38_185
.LBB38_162:
	s_or_b64 exec, exec, s[2:3]
	s_and_b64 s[4:5], s[14:15], s[18:19]
	s_and_saveexec_b64 s[2:3], s[4:5]
	s_cbranch_execnz .LBB38_189
.LBB38_163:
	s_or_b64 exec, exec, s[2:3]
	s_and_b64 s[2:3], s[16:17], s[18:19]
	s_and_saveexec_b64 s[4:5], s[2:3]
	s_cbranch_execnz .LBB38_193
.LBB38_164:
	s_endpgm
.LBB38_165:
	s_and_b64 vcc, exec, s[0:1]
	s_cbranch_vccnz .LBB38_167
; %bb.166:
	v_lshl_add_u64 v[40:41], v[98:99], 2, v[38:39]
	flat_load_dword v40, v[40:41]
	s_waitcnt vmcnt(0) lgkmcnt(0)
	v_mul_f32_e32 v40, s28, v40
	s_branch .LBB38_168
.LBB38_167:
	v_mov_b32_e32 v40, 0
.LBB38_168:
	v_max_f32_e32 v41, v1, v1
	v_max_f32_e32 v33, v33, v33
	v_min_f32_e32 v33, v33, v41
	v_max_f32_e32 v41, v0, v0
	v_max_f32_e32 v32, v32, v32
	v_min_f32_e32 v32, v32, v41
	;; [unrolled: 3-line block ×3, first 2 shown]
	v_max_f32_e32 v41, v2, v2
	v_max_f32_e32 v34, v34, v34
	v_pk_add_f32 v[32:33], v[62:63], v[32:33]
	v_min_f32_e32 v34, v34, v41
	v_pk_add_f32 v[32:33], v[32:33], v[34:35]
	s_nop 0
	v_add_f32_e32 v32, v32, v33
	v_add_f32_e32 v34, v32, v40
	v_lshl_add_u64 v[32:33], v[98:99], 2, v[36:37]
	global_store_dword v[32:33], v34, off
	s_or_b64 exec, exec, s[2:3]
	s_and_b64 s[4:5], s[4:5], s[18:19]
	s_and_saveexec_b64 s[2:3], s[4:5]
	s_cbranch_execz .LBB38_158
.LBB38_169:
	s_and_b64 vcc, exec, s[0:1]
	s_cbranch_vccnz .LBB38_171
; %bb.170:
	v_lshl_add_u64 v[32:33], v[100:101], 2, v[38:39]
	flat_load_dword v32, v[32:33]
	s_waitcnt vmcnt(0) lgkmcnt(0)
	v_mul_f32_e32 v32, s28, v32
	s_branch .LBB38_172
.LBB38_171:
	v_mov_b32_e32 v32, 0
.LBB38_172:
	v_max_f32_e32 v33, v1, v1
	v_max_f32_e32 v29, v29, v29
	v_min_f32_e32 v29, v29, v33
	v_max_f32_e32 v33, v0, v0
	v_max_f32_e32 v28, v28, v28
	v_min_f32_e32 v28, v28, v33
	;; [unrolled: 3-line block ×3, first 2 shown]
	v_max_f32_e32 v33, v2, v2
	v_max_f32_e32 v30, v30, v30
	v_pk_add_f32 v[28:29], v[60:61], v[28:29]
	v_min_f32_e32 v30, v30, v33
	v_pk_add_f32 v[28:29], v[28:29], v[30:31]
	s_nop 0
	v_add_f32_e32 v28, v28, v29
	v_add_f32_e32 v30, v28, v32
	v_lshl_add_u64 v[28:29], v[100:101], 2, v[36:37]
	global_store_dword v[28:29], v30, off
	s_or_b64 exec, exec, s[2:3]
	s_and_b64 s[4:5], s[6:7], s[18:19]
	s_and_saveexec_b64 s[2:3], s[4:5]
	s_cbranch_execz .LBB38_159
.LBB38_173:
	s_and_b64 vcc, exec, s[0:1]
	s_cbranch_vccnz .LBB38_175
; %bb.174:
	v_lshl_add_u64 v[28:29], v[102:103], 2, v[38:39]
	flat_load_dword v28, v[28:29]
	s_waitcnt vmcnt(0) lgkmcnt(0)
	v_mul_f32_e32 v28, s28, v28
	s_branch .LBB38_176
.LBB38_175:
	v_mov_b32_e32 v28, 0
.LBB38_176:
	v_max_f32_e32 v29, v1, v1
	v_max_f32_e32 v25, v25, v25
	v_min_f32_e32 v25, v25, v29
	v_max_f32_e32 v29, v0, v0
	v_max_f32_e32 v24, v24, v24
	v_min_f32_e32 v24, v24, v29
	;; [unrolled: 3-line block ×3, first 2 shown]
	v_max_f32_e32 v29, v2, v2
	v_max_f32_e32 v26, v26, v26
	v_pk_add_f32 v[24:25], v[58:59], v[24:25]
	v_min_f32_e32 v26, v26, v29
	v_pk_add_f32 v[24:25], v[24:25], v[26:27]
	s_nop 0
	v_add_f32_e32 v24, v24, v25
	v_add_f32_e32 v26, v24, v28
	v_lshl_add_u64 v[24:25], v[102:103], 2, v[36:37]
	global_store_dword v[24:25], v26, off
	s_or_b64 exec, exec, s[2:3]
	s_and_b64 s[4:5], s[8:9], s[18:19]
	s_and_saveexec_b64 s[2:3], s[4:5]
	s_cbranch_execz .LBB38_160
.LBB38_177:
	s_and_b64 vcc, exec, s[0:1]
	s_cbranch_vccnz .LBB38_179
; %bb.178:
	v_lshl_add_u64 v[24:25], v[104:105], 2, v[38:39]
	flat_load_dword v24, v[24:25]
	s_waitcnt vmcnt(0) lgkmcnt(0)
	v_mul_f32_e32 v24, s28, v24
	s_branch .LBB38_180
.LBB38_179:
	v_mov_b32_e32 v24, 0
.LBB38_180:
	v_max_f32_e32 v25, v1, v1
	v_max_f32_e32 v21, v21, v21
	v_min_f32_e32 v21, v21, v25
	v_max_f32_e32 v25, v0, v0
	v_max_f32_e32 v20, v20, v20
	v_min_f32_e32 v20, v20, v25
	;; [unrolled: 3-line block ×3, first 2 shown]
	v_max_f32_e32 v25, v2, v2
	v_max_f32_e32 v22, v22, v22
	v_pk_add_f32 v[20:21], v[56:57], v[20:21]
	v_min_f32_e32 v22, v22, v25
	v_pk_add_f32 v[20:21], v[20:21], v[22:23]
	s_nop 0
	v_add_f32_e32 v20, v20, v21
	v_add_f32_e32 v22, v20, v24
	v_lshl_add_u64 v[20:21], v[104:105], 2, v[36:37]
	global_store_dword v[20:21], v22, off
	s_or_b64 exec, exec, s[2:3]
	s_and_b64 s[4:5], s[10:11], s[18:19]
	s_and_saveexec_b64 s[2:3], s[4:5]
	s_cbranch_execz .LBB38_161
.LBB38_181:
	s_and_b64 vcc, exec, s[0:1]
	s_cbranch_vccnz .LBB38_183
; %bb.182:
	v_lshl_add_u64 v[20:21], v[106:107], 2, v[38:39]
	flat_load_dword v20, v[20:21]
	s_waitcnt vmcnt(0) lgkmcnt(0)
	v_mul_f32_e32 v20, s28, v20
	s_branch .LBB38_184
.LBB38_183:
	v_mov_b32_e32 v20, 0
.LBB38_184:
	v_max_f32_e32 v21, v1, v1
	v_max_f32_e32 v17, v17, v17
	v_min_f32_e32 v17, v17, v21
	v_max_f32_e32 v21, v0, v0
	v_max_f32_e32 v16, v16, v16
	v_min_f32_e32 v16, v16, v21
	;; [unrolled: 3-line block ×3, first 2 shown]
	v_max_f32_e32 v21, v2, v2
	v_max_f32_e32 v18, v18, v18
	v_pk_add_f32 v[16:17], v[54:55], v[16:17]
	v_min_f32_e32 v18, v18, v21
	v_pk_add_f32 v[16:17], v[16:17], v[18:19]
	s_nop 0
	v_add_f32_e32 v16, v16, v17
	v_add_f32_e32 v18, v16, v20
	v_lshl_add_u64 v[16:17], v[106:107], 2, v[36:37]
	global_store_dword v[16:17], v18, off
	s_or_b64 exec, exec, s[2:3]
	s_and_b64 s[4:5], s[12:13], s[18:19]
	s_and_saveexec_b64 s[2:3], s[4:5]
	s_cbranch_execz .LBB38_162
.LBB38_185:
	s_and_b64 vcc, exec, s[0:1]
	s_cbranch_vccnz .LBB38_187
; %bb.186:
	v_lshl_add_u64 v[16:17], v[108:109], 2, v[38:39]
	flat_load_dword v16, v[16:17]
	s_waitcnt vmcnt(0) lgkmcnt(0)
	v_mul_f32_e32 v16, s28, v16
	s_branch .LBB38_188
.LBB38_187:
	v_mov_b32_e32 v16, 0
.LBB38_188:
	v_max_f32_e32 v17, v1, v1
	v_max_f32_e32 v13, v13, v13
	v_min_f32_e32 v13, v13, v17
	v_max_f32_e32 v17, v0, v0
	v_max_f32_e32 v12, v12, v12
	v_min_f32_e32 v12, v12, v17
	;; [unrolled: 3-line block ×3, first 2 shown]
	v_max_f32_e32 v17, v2, v2
	v_max_f32_e32 v14, v14, v14
	v_pk_add_f32 v[12:13], v[52:53], v[12:13]
	v_min_f32_e32 v14, v14, v17
	v_pk_add_f32 v[12:13], v[12:13], v[14:15]
	s_nop 0
	v_add_f32_e32 v12, v12, v13
	v_add_f32_e32 v14, v12, v16
	v_lshl_add_u64 v[12:13], v[108:109], 2, v[36:37]
	global_store_dword v[12:13], v14, off
	s_or_b64 exec, exec, s[2:3]
	s_and_b64 s[4:5], s[14:15], s[18:19]
	s_and_saveexec_b64 s[2:3], s[4:5]
	s_cbranch_execz .LBB38_163
.LBB38_189:
	s_and_b64 vcc, exec, s[0:1]
	s_cbranch_vccnz .LBB38_191
; %bb.190:
	v_lshl_add_u64 v[12:13], v[110:111], 2, v[38:39]
	flat_load_dword v12, v[12:13]
	s_waitcnt vmcnt(0) lgkmcnt(0)
	v_mul_f32_e32 v12, s28, v12
	s_branch .LBB38_192
.LBB38_191:
	v_mov_b32_e32 v12, 0
.LBB38_192:
	v_max_f32_e32 v13, v1, v1
	v_max_f32_e32 v9, v9, v9
	v_min_f32_e32 v9, v9, v13
	v_max_f32_e32 v13, v0, v0
	v_max_f32_e32 v8, v8, v8
	v_min_f32_e32 v8, v8, v13
	;; [unrolled: 3-line block ×3, first 2 shown]
	v_max_f32_e32 v13, v2, v2
	v_max_f32_e32 v10, v10, v10
	v_pk_add_f32 v[8:9], v[50:51], v[8:9]
	v_min_f32_e32 v10, v10, v13
	v_pk_add_f32 v[8:9], v[8:9], v[10:11]
	s_nop 0
	v_add_f32_e32 v8, v8, v9
	v_add_f32_e32 v10, v8, v12
	v_lshl_add_u64 v[8:9], v[110:111], 2, v[36:37]
	global_store_dword v[8:9], v10, off
	s_or_b64 exec, exec, s[2:3]
	s_and_b64 s[2:3], s[16:17], s[18:19]
	s_and_saveexec_b64 s[4:5], s[2:3]
	s_cbranch_execz .LBB38_164
.LBB38_193:
	s_and_b64 vcc, exec, s[0:1]
	s_cbranch_vccnz .LBB38_195
; %bb.194:
	v_lshl_add_u64 v[8:9], v[112:113], 2, v[38:39]
	flat_load_dword v8, v[8:9]
	s_waitcnt vmcnt(0) lgkmcnt(0)
	v_mul_f32_e32 v8, s28, v8
	s_branch .LBB38_196
.LBB38_195:
	v_mov_b32_e32 v8, 0
.LBB38_196:
	v_max_f32_e32 v0, v0, v0
	v_max_f32_e32 v4, v4, v4
	;; [unrolled: 1-line block ×4, first 2 shown]
	v_min_f32_e32 v0, v4, v0
	v_max_f32_e32 v3, v3, v3
	v_max_f32_e32 v4, v7, v7
	v_min_f32_e32 v1, v5, v1
	v_min_f32_e32 v3, v4, v3
	v_max_f32_e32 v2, v2, v2
	v_max_f32_e32 v4, v6, v6
	v_pk_add_f32 v[0:1], v[48:49], v[0:1]
	v_min_f32_e32 v2, v4, v2
	v_pk_add_f32 v[0:1], v[0:1], v[2:3]
	s_nop 0
	v_add_f32_e32 v0, v0, v1
	v_add_f32_e32 v2, v0, v8
	v_lshl_add_u64 v[0:1], v[112:113], 2, v[36:37]
	global_store_dword v[0:1], v2, off
	s_endpgm
	.section	.rodata,"a",@progbits
	.p2align	6, 0x0
	.amdhsa_kernel _ZN12_GLOBAL__N_120geam_min_plus_kernelIf15HIP_vector_typeIfLj2EES2_Li8ELi32ELi64ELi128ELi4ELi4ELi64ELi4ELi64ELc84ELc78ELb0ELb1ELb0EfKPKfKPfEEviiiT16_PT17_ilSA_ilS8_SA_ilPT18_ili26rocblas_geam_ex_operation_
		.amdhsa_group_segment_fixed_size 6144
		.amdhsa_private_segment_fixed_size 0
		.amdhsa_kernarg_size 128
		.amdhsa_user_sgpr_count 2
		.amdhsa_user_sgpr_dispatch_ptr 0
		.amdhsa_user_sgpr_queue_ptr 0
		.amdhsa_user_sgpr_kernarg_segment_ptr 1
		.amdhsa_user_sgpr_dispatch_id 0
		.amdhsa_user_sgpr_kernarg_preload_length 0
		.amdhsa_user_sgpr_kernarg_preload_offset 0
		.amdhsa_user_sgpr_private_segment_size 0
		.amdhsa_uses_dynamic_stack 0
		.amdhsa_enable_private_segment 0
		.amdhsa_system_sgpr_workgroup_id_x 1
		.amdhsa_system_sgpr_workgroup_id_y 0
		.amdhsa_system_sgpr_workgroup_id_z 1
		.amdhsa_system_sgpr_workgroup_info 0
		.amdhsa_system_vgpr_workitem_id 1
		.amdhsa_next_free_vgpr 220
		.amdhsa_next_free_sgpr 38
		.amdhsa_accum_offset 220
		.amdhsa_reserve_vcc 1
		.amdhsa_float_round_mode_32 0
		.amdhsa_float_round_mode_16_64 0
		.amdhsa_float_denorm_mode_32 3
		.amdhsa_float_denorm_mode_16_64 3
		.amdhsa_dx10_clamp 1
		.amdhsa_ieee_mode 1
		.amdhsa_fp16_overflow 0
		.amdhsa_tg_split 0
		.amdhsa_exception_fp_ieee_invalid_op 0
		.amdhsa_exception_fp_denorm_src 0
		.amdhsa_exception_fp_ieee_div_zero 0
		.amdhsa_exception_fp_ieee_overflow 0
		.amdhsa_exception_fp_ieee_underflow 0
		.amdhsa_exception_fp_ieee_inexact 0
		.amdhsa_exception_int_div_zero 0
	.end_amdhsa_kernel
	.section	.text._ZN12_GLOBAL__N_120geam_min_plus_kernelIf15HIP_vector_typeIfLj2EES2_Li8ELi32ELi64ELi128ELi4ELi4ELi64ELi4ELi64ELc84ELc78ELb0ELb1ELb0EfKPKfKPfEEviiiT16_PT17_ilSA_ilS8_SA_ilPT18_ili26rocblas_geam_ex_operation_,"axG",@progbits,_ZN12_GLOBAL__N_120geam_min_plus_kernelIf15HIP_vector_typeIfLj2EES2_Li8ELi32ELi64ELi128ELi4ELi4ELi64ELi4ELi64ELc84ELc78ELb0ELb1ELb0EfKPKfKPfEEviiiT16_PT17_ilSA_ilS8_SA_ilPT18_ili26rocblas_geam_ex_operation_,comdat
.Lfunc_end38:
	.size	_ZN12_GLOBAL__N_120geam_min_plus_kernelIf15HIP_vector_typeIfLj2EES2_Li8ELi32ELi64ELi128ELi4ELi4ELi64ELi4ELi64ELc84ELc78ELb0ELb1ELb0EfKPKfKPfEEviiiT16_PT17_ilSA_ilS8_SA_ilPT18_ili26rocblas_geam_ex_operation_, .Lfunc_end38-_ZN12_GLOBAL__N_120geam_min_plus_kernelIf15HIP_vector_typeIfLj2EES2_Li8ELi32ELi64ELi128ELi4ELi4ELi64ELi4ELi64ELc84ELc78ELb0ELb1ELb0EfKPKfKPfEEviiiT16_PT17_ilSA_ilS8_SA_ilPT18_ili26rocblas_geam_ex_operation_
                                        ; -- End function
	.section	.AMDGPU.csdata,"",@progbits
; Kernel info:
; codeLenInByte = 11192
; NumSgprs: 44
; NumVgprs: 220
; NumAgprs: 0
; TotalNumVgprs: 220
; ScratchSize: 0
; MemoryBound: 0
; FloatMode: 240
; IeeeMode: 1
; LDSByteSize: 6144 bytes/workgroup (compile time only)
; SGPRBlocks: 5
; VGPRBlocks: 27
; NumSGPRsForWavesPerEU: 44
; NumVGPRsForWavesPerEU: 220
; AccumOffset: 220
; Occupancy: 2
; WaveLimiterHint : 1
; COMPUTE_PGM_RSRC2:SCRATCH_EN: 0
; COMPUTE_PGM_RSRC2:USER_SGPR: 2
; COMPUTE_PGM_RSRC2:TRAP_HANDLER: 0
; COMPUTE_PGM_RSRC2:TGID_X_EN: 1
; COMPUTE_PGM_RSRC2:TGID_Y_EN: 0
; COMPUTE_PGM_RSRC2:TGID_Z_EN: 1
; COMPUTE_PGM_RSRC2:TIDIG_COMP_CNT: 1
; COMPUTE_PGM_RSRC3_GFX90A:ACCUM_OFFSET: 54
; COMPUTE_PGM_RSRC3_GFX90A:TG_SPLIT: 0
	.section	.text._ZN12_GLOBAL__N_120geam_min_plus_kernelIf15HIP_vector_typeIfLj2EES2_Li8ELi32ELi64ELi128ELi4ELi64ELi4ELi64ELi4ELc78ELc84ELb0ELb0ELb0EPKfKS4_KPfEEviiiT16_PT17_ilSA_ilS8_SA_ilPT18_ili26rocblas_geam_ex_operation_,"axG",@progbits,_ZN12_GLOBAL__N_120geam_min_plus_kernelIf15HIP_vector_typeIfLj2EES2_Li8ELi32ELi64ELi128ELi4ELi64ELi4ELi64ELi4ELc78ELc84ELb0ELb0ELb0EPKfKS4_KPfEEviiiT16_PT17_ilSA_ilS8_SA_ilPT18_ili26rocblas_geam_ex_operation_,comdat
	.globl	_ZN12_GLOBAL__N_120geam_min_plus_kernelIf15HIP_vector_typeIfLj2EES2_Li8ELi32ELi64ELi128ELi4ELi64ELi4ELi64ELi4ELc78ELc84ELb0ELb0ELb0EPKfKS4_KPfEEviiiT16_PT17_ilSA_ilS8_SA_ilPT18_ili26rocblas_geam_ex_operation_ ; -- Begin function _ZN12_GLOBAL__N_120geam_min_plus_kernelIf15HIP_vector_typeIfLj2EES2_Li8ELi32ELi64ELi128ELi4ELi64ELi4ELi64ELi4ELc78ELc84ELb0ELb0ELb0EPKfKS4_KPfEEviiiT16_PT17_ilSA_ilS8_SA_ilPT18_ili26rocblas_geam_ex_operation_
	.p2align	8
	.type	_ZN12_GLOBAL__N_120geam_min_plus_kernelIf15HIP_vector_typeIfLj2EES2_Li8ELi32ELi64ELi128ELi4ELi64ELi4ELi64ELi4ELc78ELc84ELb0ELb0ELb0EPKfKS4_KPfEEviiiT16_PT17_ilSA_ilS8_SA_ilPT18_ili26rocblas_geam_ex_operation_,@function
_ZN12_GLOBAL__N_120geam_min_plus_kernelIf15HIP_vector_typeIfLj2EES2_Li8ELi32ELi64ELi128ELi4ELi64ELi4ELi64ELi4ELc78ELc84ELb0ELb0ELb0EPKfKS4_KPfEEviiiT16_PT17_ilSA_ilS8_SA_ilPT18_ili26rocblas_geam_ex_operation_: ; @_ZN12_GLOBAL__N_120geam_min_plus_kernelIf15HIP_vector_typeIfLj2EES2_Li8ELi32ELi64ELi128ELi4ELi64ELi4ELi64ELi4ELc78ELc84ELb0ELb0ELb0EPKfKS4_KPfEEviiiT16_PT17_ilSA_ilS8_SA_ilPT18_ili26rocblas_geam_ex_operation_
; %bb.0:
	s_load_dwordx4 s[12:15], s[0:1], 0x10
	s_load_dwordx4 s[4:7], s[0:1], 0x28
	s_mov_b32 s22, s3
	s_mov_b32 s23, 0
	s_lshl_b64 s[16:17], s[22:23], 2
	s_waitcnt lgkmcnt(0)
	s_add_u32 s18, s12, s16
	s_load_dwordx4 s[8:11], s[0:1], 0x40
	s_addc_u32 s19, s13, s17
	s_load_dword s12, s[18:19], 0x0
	s_load_dwordx2 s[20:21], s[0:1], 0x50
	s_mov_b64 s[18:19], 0
	s_waitcnt lgkmcnt(0)
	s_add_u32 s10, s10, s16
	s_addc_u32 s11, s11, s17
	v_cmp_eq_f32_e64 s[16:17], s12, 0
	v_cmp_neq_f32_e64 s[24:25], s12, 0
	s_and_b64 vcc, exec, s[16:17]
	s_mov_b64 s[16:17], 0
	s_cbranch_vccnz .LBB39_2
; %bb.1:
	s_lshl_b64 s[16:17], s[22:23], 3
	s_add_u32 s14, s14, s16
	s_addc_u32 s15, s15, s17
	s_load_dwordx2 s[14:15], s[14:15], 0x0
	s_lshl_b64 s[4:5], s[4:5], 2
	s_waitcnt lgkmcnt(0)
	s_add_u32 s16, s14, s4
	s_addc_u32 s17, s15, s5
.LBB39_2:
	s_load_dword s26, s[10:11], 0x0
	v_cndmask_b32_e64 v1, 0, 1, s[24:25]
	v_cmp_ne_u32_e64 s[4:5], 1, v1
	s_andn2_b64 vcc, exec, s[24:25]
	s_cbranch_vccnz .LBB39_4
; %bb.3:
	s_lshl_b64 s[10:11], s[22:23], 3
	s_add_u32 s6, s6, s10
	s_addc_u32 s7, s7, s11
	s_load_dwordx2 s[6:7], s[6:7], 0x0
	s_lshl_b64 s[8:9], s[8:9], 2
	s_waitcnt lgkmcnt(0)
	s_add_u32 s18, s6, s8
	s_addc_u32 s19, s7, s9
.LBB39_4:
	s_load_dwordx4 s[8:11], s[0:1], 0x60
	s_waitcnt lgkmcnt(0)
	v_cmp_eq_f32_e64 s[6:7], s26, 0
	s_and_b64 s[6:7], exec, s[6:7]
	s_mov_b64 vcc, s[6:7]
	s_cbranch_vccnz .LBB39_6
; %bb.5:
	s_lshl_b64 s[14:15], s[22:23], 3
	s_add_u32 s14, s20, s14
	s_addc_u32 s15, s21, s15
	s_load_dwordx2 s[14:15], s[14:15], 0x0
	s_lshl_b64 s[8:9], s[8:9], 2
	s_waitcnt lgkmcnt(0)
	s_add_u32 s8, s14, s8
	s_addc_u32 s9, s15, s9
	s_branch .LBB39_7
.LBB39_6:
	s_mov_b64 s[8:9], 0
.LBB39_7:
	s_load_dword s20, s[0:1], 0x20
	s_load_dword s3, s[0:1], 0x0
	s_lshl_b64 s[14:15], s[22:23], 3
	v_and_b32_e32 v206, 0x3ff, v0
	v_bfe_u32 v207, v0, 10, 10
	s_waitcnt lgkmcnt(0)
	s_ashr_i32 s21, s20, 31
	s_add_u32 s10, s10, s14
	s_addc_u32 s11, s11, s15
	s_add_i32 s3, s3, -1
	s_ashr_i32 s13, s3, 31
	s_lshr_b32 s13, s13, 26
	s_add_i32 s3, s3, s13
	s_ashr_i32 s3, s3, 6
	s_add_i32 s14, s3, 1
	v_cvt_f32_u32_e32 v1, s14
	s_not_b32 s3, s3
	v_lshl_add_u32 v0, v207, 3, v206
	v_and_b32_e32 v7, 63, v0
	v_rcp_iflag_f32_e32 v1, v1
	v_lshrrev_b32_e32 v6, 6, v0
	v_mul_f32_e32 v1, 0x4f7ffffe, v1
	v_cvt_u32_f32_e32 v1, v1
	s_nop 0
	v_readfirstlane_b32 s13, v1
	s_mul_i32 s3, s3, s13
	s_mul_hi_u32 s3, s13, s3
	s_add_i32 s13, s13, s3
	s_mul_hi_u32 s3, s2, s13
	s_mul_i32 s13, s3, s14
	s_sub_i32 s13, s2, s13
	s_add_i32 s15, s3, 1
	s_sub_i32 s22, s13, s14
	s_cmp_ge_u32 s13, s14
	s_cselect_b32 s3, s15, s3
	s_cselect_b32 s13, s22, s13
	s_add_i32 s15, s3, 1
	s_cmp_ge_u32 s13, s14
	s_cselect_b32 s13, s15, s3
	s_mul_i32 s3, s13, s14
	s_sub_i32 s14, s2, s3
	s_lshl_b32 s24, s14, 6
	v_or_b32_e32 v0, s24, v7
	s_and_b64 vcc, exec, s[4:5]
	v_ashrrev_i32_e32 v1, 31, v0
	s_cbranch_vccnz .LBB39_9
; %bb.8:
	v_mad_i64_i32 v[2:3], s[14:15], s20, v6, 0
	v_lshl_add_u64 v[2:3], v[2:3], 2, s[16:17]
	v_lshl_add_u64 v[2:3], v[0:1], 2, v[2:3]
	flat_load_dword v2, v[2:3]
	s_waitcnt vmcnt(0) lgkmcnt(0)
	v_mul_f32_e32 v9, s12, v2
	s_branch .LBB39_10
.LBB39_9:
	v_mov_b32_e32 v9, 0
.LBB39_10:
	s_load_dword s22, s[0:1], 0x38
	s_lshl_b32 s25, s13, 7
	v_or_b32_e32 v4, s25, v7
	s_and_b64 vcc, exec, s[4:5]
	v_ashrrev_i32_e32 v5, 31, v4
	s_waitcnt lgkmcnt(0)
	s_ashr_i32 s23, s22, 31
	s_cbranch_vccnz .LBB39_14
; %bb.11:
	v_mad_i64_i32 v[2:3], s[14:15], s22, v6, 0
	v_lshl_add_u64 v[2:3], v[2:3], 2, s[18:19]
	v_lshl_add_u64 v[2:3], v[4:5], 2, v[2:3]
	flat_load_dword v10, v[2:3]
	flat_load_dword v11, v[2:3] offset:256
	s_waitcnt vmcnt(0) lgkmcnt(0)
	v_pk_mul_f32 v[2:3], s[12:13], v[10:11] op_sel_hi:[0,1]
	s_and_b64 vcc, exec, s[4:5]
	v_add_u32_e32 v10, 4, v6
	s_cbranch_vccnz .LBB39_15
.LBB39_12:
	v_mad_i64_i32 v[12:13], s[14:15], s20, v10, 0
	v_lshl_add_u64 v[12:13], v[12:13], 2, s[16:17]
	v_lshl_add_u64 v[0:1], v[0:1], 2, v[12:13]
	flat_load_dword v0, v[0:1]
	s_waitcnt vmcnt(0) lgkmcnt(0)
	v_mul_f32_e32 v8, s12, v0
	s_and_b64 vcc, exec, s[4:5]
	s_cbranch_vccnz .LBB39_16
.LBB39_13:
	v_mad_i64_i32 v[0:1], s[14:15], s22, v10, 0
	v_lshl_add_u64 v[0:1], v[0:1], 2, s[18:19]
	v_lshl_add_u64 v[0:1], v[4:5], 2, v[0:1]
	flat_load_dword v4, v[0:1]
	flat_load_dword v5, v[0:1] offset:256
	s_waitcnt vmcnt(0) lgkmcnt(0)
	v_pk_mul_f32 v[0:1], s[12:13], v[4:5] op_sel_hi:[0,1]
	s_branch .LBB39_17
.LBB39_14:
	v_mov_b32_e32 v2, 0
	v_mov_b32_e32 v3, 0
	s_and_b64 vcc, exec, s[4:5]
	v_add_u32_e32 v10, 4, v6
	s_cbranch_vccz .LBB39_12
.LBB39_15:
	v_mov_b32_e32 v8, 0
	s_and_b64 vcc, exec, s[4:5]
	s_cbranch_vccz .LBB39_13
.LBB39_16:
	v_mov_b32_e32 v0, 0
	v_mov_b32_e32 v1, 0
.LBB39_17:
	v_lshlrev_b32_e32 v4, 2, v6
	v_lshl_add_u32 v210, v7, 4, v4
	v_lshlrev_b32_e32 v209, 4, v207
	s_load_dwordx2 s[10:11], s[10:11], 0x0
	ds_write_b32 v210, v9 offset:4096
	ds_write2st64_b32 v210, v2, v3 offset1:4
	s_waitcnt lgkmcnt(0)
	s_barrier
	ds_read_b128 v[2:5], v209
	v_lshlrev_b32_e32 v208, 4, v206
	ds_read_b128 v[10:13], v208 offset:4992
	ds_read_b128 v[14:17], v209 offset:512
	;; [unrolled: 1-line block ×5, first 2 shown]
	s_waitcnt lgkmcnt(5)
	v_max_f32_e32 v9, v3, v3
	v_max_f32_e32 v52, v2, v2
	ds_read_b128 v[30:33], v208 offset:4096
	ds_read_b128 v[34:37], v208 offset:4224
	v_max_f32_e32 v104, v5, v5
	v_max_f32_e32 v106, v4, v4
	ds_read_b128 v[2:5], v208 offset:4352
	s_waitcnt lgkmcnt(7)
	v_max_f32_e32 v56, v11, v11
	v_max_f32_e32 v57, v10, v10
	s_waitcnt lgkmcnt(6)
	v_max_f32_e32 v54, v15, v15
	v_max_f32_e32 v55, v14, v14
	s_waitcnt lgkmcnt(3)
	v_max_f32_e32 v59, v26, v26
	s_waitcnt lgkmcnt(2)
	v_max_f32_e32 v26, v30, v30
	v_max_f32_e32 v105, v13, v13
	;; [unrolled: 1-line block ×3, first 2 shown]
	ds_read_b128 v[10:13], v208 offset:4480
	v_max_f32_e32 v108, v17, v17
	v_max_f32_e32 v109, v16, v16
	s_waitcnt lgkmcnt(1)
	v_max_f32_e32 v30, v2, v2
	v_max_f32_e32 v125, v28, v28
	v_max_f32_e32 v28, v3, v3
	v_max_f32_e32 v72, v4, v4
	ds_read_b128 v[14:17], v208 offset:4608
	v_max_f32_e32 v73, v5, v5
	ds_read_b128 v[2:5], v208 offset:4736
	v_max_f32_e32 v58, v27, v27
	v_max_f32_e32 v60, v23, v23
	;; [unrolled: 1-line block ×4, first 2 shown]
	s_waitcnt lgkmcnt(0)
	v_max_f32_e32 v50, v2, v2
	v_max_f32_e32 v51, v3, v3
	;; [unrolled: 1-line block ×10, first 2 shown]
	v_min_f32_e32 v46, v50, v52
	v_min_f32_e32 v47, v51, v9
	;; [unrolled: 1-line block ×10, first 2 shown]
	v_max_f32_e32 v124, v29, v29
	v_max_f32_e32 v66, v32, v32
	;; [unrolled: 1-line block ×14, first 2 shown]
	v_min_f32_e32 v2, v26, v52
	v_min_f32_e32 v3, v27, v9
	;; [unrolled: 1-line block ×41, first 2 shown]
	v_pk_add_f32 v[50:51], v[50:51], 0 op_sel_hi:[1,0]
	v_min_f32_e32 v57, v105, v104
	v_min_f32_e32 v56, v107, v106
	v_pk_add_f32 v[88:89], v[56:57], v[50:51]
	v_pk_add_f32 v[50:51], v[52:53], 0 op_sel_hi:[1,0]
	v_min_f32_e32 v53, v105, v108
	v_min_f32_e32 v52, v107, v109
	v_pk_add_f32 v[74:75], v[52:53], v[50:51]
	v_pk_add_f32 v[50:51], v[54:55], 0 op_sel_hi:[1,0]
	v_min_f32_e32 v53, v105, v124
	v_min_f32_e32 v52, v107, v125
	v_max_f32_e32 v69, v37, v37
	v_min_f32_e32 v31, v39, v9
	v_min_f32_e32 v35, v39, v58
	;; [unrolled: 1-line block ×10, first 2 shown]
	v_pk_add_f32 v[60:61], v[52:53], v[50:51]
	v_pk_add_f32 v[2:3], v[2:3], 0 op_sel_hi:[1,0]
	v_min_f32_e32 v50, v66, v106
	v_min_f32_e32 v51, v67, v104
	v_pk_add_f32 v[122:123], v[50:51], v[2:3]
	v_pk_add_f32 v[2:3], v[4:5], 0 op_sel_hi:[1,0]
	v_min_f32_e32 v4, v66, v109
	v_min_f32_e32 v5, v67, v108
	;; [unrolled: 4-line block ×3, first 2 shown]
	v_min_f32_e32 v81, v71, v9
	v_min_f32_e32 v98, v70, v59
	;; [unrolled: 1-line block ×3, first 2 shown]
	v_pk_add_f32 v[70:71], v[4:5], v[2:3]
	v_min_f32_e32 v3, v67, v126
	v_min_f32_e32 v2, v66, v127
	v_pk_add_f32 v[4:5], v[12:13], 0 op_sel_hi:[1,0]
	s_load_dword s27, s[0:1], 0x8
	v_pk_add_f32 v[56:57], v[2:3], v[4:5]
	v_pk_add_f32 v[2:3], v[14:15], 0 op_sel_hi:[1,0]
	v_min_f32_e32 v4, v68, v106
	v_min_f32_e32 v5, v69, v104
	v_pk_add_f32 v[120:121], v[4:5], v[2:3]
	v_pk_add_f32 v[2:3], v[16:17], 0 op_sel_hi:[1,0]
	v_min_f32_e32 v4, v68, v109
	v_min_f32_e32 v5, v69, v108
	;; [unrolled: 4-line block ×3, first 2 shown]
	v_pk_add_f32 v[66:67], v[4:5], v[2:3]
	v_min_f32_e32 v3, v69, v126
	v_min_f32_e32 v2, v68, v127
	v_pk_add_f32 v[4:5], v[20:21], 0 op_sel_hi:[1,0]
	s_waitcnt lgkmcnt(0)
	s_cmp_lt_i32 s27, 9
	v_pk_add_f32 v[50:51], v[2:3], v[4:5]
	v_pk_add_f32 v[2:3], v[22:23], 0 op_sel_hi:[1,0]
	v_min_f32_e32 v4, v72, v106
	v_min_f32_e32 v5, v73, v104
	v_pk_add_f32 v[118:119], v[4:5], v[2:3]
	v_pk_add_f32 v[2:3], v[24:25], 0 op_sel_hi:[1,0]
	v_min_f32_e32 v4, v72, v109
	v_min_f32_e32 v5, v73, v108
	;; [unrolled: 4-line block ×3, first 2 shown]
	v_pk_add_f32 v[68:69], v[4:5], v[2:3]
	v_min_f32_e32 v3, v73, v126
	v_min_f32_e32 v2, v72, v127
	v_pk_add_f32 v[4:5], v[28:29], 0 op_sel_hi:[1,0]
	ds_write2st64_b32 v210, v0, v1 offset0:8 offset1:12
	ds_write_b32 v210, v8 offset:5120
	v_pk_add_f32 v[52:53], v[2:3], v[4:5]
	v_pk_add_f32 v[2:3], v[30:31], 0 op_sel_hi:[1,0]
	v_min_f32_e32 v4, v76, v106
	v_min_f32_e32 v5, v77, v104
	v_pk_add_f32 v[116:117], v[4:5], v[2:3]
	v_pk_add_f32 v[2:3], v[32:33], 0 op_sel_hi:[1,0]
	v_min_f32_e32 v4, v76, v109
	v_min_f32_e32 v5, v77, v108
	;; [unrolled: 4-line block ×3, first 2 shown]
	v_pk_add_f32 v[72:73], v[4:5], v[2:3]
	v_min_f32_e32 v3, v77, v126
	v_min_f32_e32 v2, v76, v127
	v_pk_add_f32 v[4:5], v[36:37], 0 op_sel_hi:[1,0]
	s_waitcnt lgkmcnt(0)
	v_pk_add_f32 v[54:55], v[2:3], v[4:5]
	v_pk_add_f32 v[2:3], v[38:39], 0 op_sel_hi:[1,0]
	v_min_f32_e32 v4, v78, v106
	v_min_f32_e32 v5, v79, v104
	v_pk_add_f32 v[114:115], v[4:5], v[2:3]
	v_pk_add_f32 v[2:3], v[40:41], 0 op_sel_hi:[1,0]
	v_min_f32_e32 v4, v78, v109
	v_min_f32_e32 v5, v79, v108
	;; [unrolled: 4-line block ×3, first 2 shown]
	v_pk_add_f32 v[76:77], v[4:5], v[2:3]
	v_min_f32_e32 v3, v79, v126
	v_min_f32_e32 v2, v78, v127
	v_pk_add_f32 v[4:5], v[44:45], 0 op_sel_hi:[1,0]
	s_barrier
	v_pk_add_f32 v[58:59], v[2:3], v[4:5]
	v_pk_add_f32 v[2:3], v[46:47], 0 op_sel_hi:[1,0]
	v_min_f32_e32 v4, v110, v106
	v_min_f32_e32 v5, v111, v104
	v_pk_add_f32 v[112:113], v[4:5], v[2:3]
	v_pk_add_f32 v[2:3], v[48:49], 0 op_sel_hi:[1,0]
	v_min_f32_e32 v4, v110, v109
	v_min_f32_e32 v5, v111, v108
	;; [unrolled: 4-line block ×3, first 2 shown]
	v_pk_add_f32 v[78:79], v[4:5], v[2:3]
	v_min_f32_e32 v3, v111, v126
	v_min_f32_e32 v2, v110, v127
	v_pk_add_f32 v[4:5], v[64:65], 0 op_sel_hi:[1,0]
	s_nop 0
	v_pk_add_f32 v[62:63], v[2:3], v[4:5]
	v_min_f32_e32 v2, v128, v106
	v_min_f32_e32 v3, v129, v104
	v_pk_add_f32 v[4:5], v[80:81], 0 op_sel_hi:[1,0]
	s_nop 0
	v_pk_add_f32 v[110:111], v[2:3], v[4:5]
	v_min_f32_e32 v2, v128, v109
	v_min_f32_e32 v3, v129, v108
	v_pk_add_f32 v[4:5], v[96:97], 0 op_sel_hi:[1,0]
	s_nop 0
	v_pk_add_f32 v[96:97], v[2:3], v[4:5]
	v_min_f32_e32 v2, v128, v125
	v_min_f32_e32 v3, v129, v124
	v_pk_add_f32 v[4:5], v[98:99], 0 op_sel_hi:[1,0]
	s_nop 0
	v_pk_add_f32 v[80:81], v[2:3], v[4:5]
	v_min_f32_e32 v3, v129, v126
	v_min_f32_e32 v2, v128, v127
	v_pk_add_f32 v[4:5], v[100:101], 0 op_sel_hi:[1,0]
	s_nop 0
	v_pk_add_f32 v[64:65], v[2:3], v[4:5]
	v_min_f32_e32 v3, v105, v126
	v_min_f32_e32 v2, v107, v127
	v_pk_add_f32 v[4:5], v[102:103], 0 op_sel_hi:[1,0]
	s_nop 0
	v_pk_add_f32 v[48:49], v[2:3], v[4:5]
	s_cbranch_scc1 .LBB39_31
; %bb.18:
	v_mov_b32_e32 v0, 0x1400
	v_lshl_add_u32 v215, v206, 4, v0
	v_mov_b32_e32 v0, 0x800
	v_add_u32_e32 v2, 12, v6
	v_lshl_add_u32 v216, v207, 4, v0
	v_mad_i64_i32 v[0:1], s[14:15], v2, s22, 0
	v_lshlrev_b64 v[98:99], 2, v[0:1]
	v_add_u32_e32 v0, s25, v7
	v_ashrrev_i32_e32 v1, 31, v0
	v_lshl_add_u64 v[100:101], v[0:1], 2, s[18:19]
	v_mad_i64_i32 v[0:1], s[18:19], v2, s20, 0
	v_lshlrev_b64 v[102:103], 2, v[0:1]
	v_lshl_or_b32 v0, s2, 6, v7
	s_lshl_b32 s2, s3, 6
	v_subrev_u32_e32 v0, s2, v0
	v_ashrrev_i32_e32 v1, 31, v0
	v_add_u32_e32 v2, 8, v6
	v_lshl_add_u64 v[104:105], v[0:1], 2, s[16:17]
	v_mad_i64_i32 v[0:1], s[16:17], v2, s22, 0
	v_lshlrev_b64 v[106:107], 2, v[0:1]
	v_mad_i64_i32 v[0:1], s[16:17], v2, s20, 0
	v_or_b32_e32 v211, 0x1000, v210
	v_add_u32_e32 v212, 0x1000, v208
	v_add_u32_e32 v213, 0x1400, v210
	v_or_b32_e32 v214, 0x800, v210
	s_add_i32 s27, s27, -8
	s_mov_b32 s13, s12
	s_lshl_b64 s[14:15], s[22:23], 5
	s_lshl_b64 s[2:3], s[20:21], 5
	v_lshlrev_b64 v[108:109], 2, v[0:1]
	s_mov_b32 s16, 0
	s_branch .LBB39_21
.LBB39_19:                              ;   in Loop: Header=BB39_21 Depth=1
	v_lshl_add_u64 v[16:17], v[100:101], 0, v[98:99]
	flat_load_dword v218, v[16:17]
	flat_load_dword v219, v[16:17] offset:256
	s_waitcnt vmcnt(0) lgkmcnt(0)
	v_pk_mul_f32 v[16:17], s[12:13], v[218:219]
.LBB39_20:                              ;   in Loop: Header=BB39_21 Depth=1
	v_pk_add_f32 v[40:41], v[40:41], v[88:89]
	v_pk_add_f32 v[32:33], v[32:33], v[60:61]
	;; [unrolled: 1-line block ×32, first 2 shown]
	ds_read_b128 v[0:3], v209
	ds_read_b128 v[8:11], v209 offset:512
	v_pk_add_f32 v[22:23], v[6:7], v[80:81]
	ds_read_b128 v[4:7], v212 offset:896
	ds_read_b128 v[12:15], v212 offset:768
	;; [unrolled: 1-line block ×4, first 2 shown]
	v_pk_add_f32 v[88:89], v[132:133], v[68:69]
	v_pk_add_f32 v[90:91], v[140:141], v[90:91]
	;; [unrolled: 1-line block ×6, first 2 shown]
	ds_read_b128 v[88:91], v212
	v_pk_add_f32 v[36:37], v[36:37], v[74:75]
	v_pk_add_f32 v[116:117], v[142:143], v[116:117]
	;; [unrolled: 1-line block ×9, first 2 shown]
	s_waitcnt lgkmcnt(4)
	v_max_f32_e32 v117, v5, v5
	v_max_f32_e32 v119, v4, v4
	;; [unrolled: 1-line block ×4, first 2 shown]
	s_waitcnt lgkmcnt(1)
	v_max_f32_e32 v122, v85, v85
	v_max_f32_e32 v123, v84, v84
	v_min_f32_e32 v5, v117, v120
	v_min_f32_e32 v4, v119, v121
	;; [unrolled: 1-line block ×4, first 2 shown]
	v_max_f32_e32 v116, v1, v1
	v_max_f32_e32 v118, v0, v0
	v_pk_add_f32 v[4:5], v[4:5], v[78:79]
	v_pk_add_f32 v[8:9], v[8:9], v[76:77]
	ds_read_b128 v[76:79], v212 offset:128
	s_waitcnt lgkmcnt(1)
	v_max_f32_e32 v88, v88, v88
	v_max_f32_e32 v89, v89, v89
	v_min_f32_e32 v84, v88, v118
	v_min_f32_e32 v85, v89, v116
	v_pk_add_f32 v[92:93], v[146:147], v[92:93]
	v_pk_add_f32 v[84:85], v[84:85], v[70:71]
	v_min_f32_e32 v70, v88, v121
	v_min_f32_e32 v71, v89, v120
	v_pk_add_f32 v[94:95], v[152:153], v[94:95]
	v_pk_add_f32 v[40:41], v[186:187], v[92:93]
	;; [unrolled: 1-line block ×3, first 2 shown]
	v_min_f32_e32 v70, v88, v123
	v_min_f32_e32 v71, v89, v122
	v_pk_add_f32 v[32:33], v[196:197], v[94:95]
	v_pk_add_f32 v[94:95], v[70:71], v[74:75]
	v_max_f32_e32 v74, v81, v81
	v_max_f32_e32 v75, v80, v80
	v_pk_add_f32 v[68:69], v[26:27], v[24:25]
	v_min_f32_e32 v71, v89, v74
	v_min_f32_e32 v70, v88, v75
	s_waitcnt lgkmcnt(0)
	v_max_f32_e32 v72, v76, v76
	v_max_f32_e32 v73, v77, v77
	v_pk_add_f32 v[68:69], v[70:71], v[68:69]
	v_min_f32_e32 v70, v72, v118
	v_min_f32_e32 v71, v73, v116
	v_pk_add_f32 v[76:77], v[70:71], v[62:63]
	v_min_f32_e32 v62, v72, v121
	v_min_f32_e32 v63, v73, v120
	;; [unrolled: 3-line block ×3, first 2 shown]
	v_pk_add_f32 v[66:67], v[62:63], v[66:67]
	ds_read_b128 v[62:65], v212 offset:256
	v_pk_add_f32 v[96:97], v[158:159], v[96:97]
	v_min_f32_e32 v71, v73, v74
	v_min_f32_e32 v70, v72, v75
	v_pk_add_f32 v[24:25], v[202:203], v[96:97]
	v_pk_add_f32 v[96:97], v[70:71], v[60:61]
	ds_read_b128 v[70:73], v212 offset:384
	s_waitcnt lgkmcnt(1)
	v_max_f32_e32 v62, v62, v62
	v_max_f32_e32 v63, v63, v63
	v_min_f32_e32 v60, v62, v118
	v_min_f32_e32 v61, v63, v116
	v_pk_add_f32 v[110:111], v[160:161], v[110:111]
	v_pk_add_f32 v[54:55], v[60:61], v[54:55]
	v_min_f32_e32 v60, v62, v121
	v_min_f32_e32 v61, v63, v120
	v_pk_add_f32 v[52:53], v[138:139], v[52:53]
	v_pk_add_f32 v[26:27], v[204:205], v[110:111]
	;; [unrolled: 1-line block ×3, first 2 shown]
	v_min_f32_e32 v56, v62, v123
	v_min_f32_e32 v57, v63, v122
	v_pk_add_f32 v[52:53], v[178:179], v[52:53]
	v_pk_add_f32 v[58:59], v[56:57], v[58:59]
	v_min_f32_e32 v57, v63, v74
	v_min_f32_e32 v56, v62, v75
	s_waitcnt lgkmcnt(0)
	v_max_f32_e32 v60, v70, v70
	v_max_f32_e32 v61, v71, v71
	v_pk_add_f32 v[112:113], v[154:155], v[112:113]
	v_pk_add_f32 v[52:53], v[56:57], v[52:53]
	v_min_f32_e32 v56, v60, v118
	v_min_f32_e32 v57, v61, v116
	v_pk_add_f32 v[114:115], v[148:149], v[114:115]
	v_pk_add_f32 v[30:31], v[198:199], v[112:113]
	;; [unrolled: 1-line block ×3, first 2 shown]
	v_min_f32_e32 v46, v60, v121
	v_min_f32_e32 v47, v61, v120
	v_pk_add_f32 v[38:39], v[188:189], v[114:115]
	v_pk_add_f32 v[114:115], v[46:47], v[48:49]
	v_min_f32_e32 v46, v60, v123
	v_min_f32_e32 v47, v61, v122
	v_pk_add_f32 v[18:19], v[194:195], v[124:125]
	v_pk_add_f32 v[124:125], v[46:47], v[50:51]
	ds_read_b128 v[46:49], v212 offset:512
	v_min_f32_e32 v51, v61, v74
	v_min_f32_e32 v50, v60, v75
	ds_read_b128 v[60:63], v212 offset:640
	v_pk_add_f32 v[44:45], v[50:51], v[44:45]
	s_waitcnt lgkmcnt(1)
	v_max_f32_e32 v50, v46, v46
	v_max_f32_e32 v51, v47, v47
	v_min_f32_e32 v46, v50, v118
	v_min_f32_e32 v47, v51, v116
	v_pk_add_f32 v[38:39], v[46:47], v[38:39]
	v_min_f32_e32 v46, v50, v121
	v_min_f32_e32 v47, v51, v120
	v_pk_add_f32 v[40:41], v[46:47], v[40:41]
	;; [unrolled: 3-line block ×3, first 2 shown]
	v_min_f32_e32 v47, v51, v74
	v_min_f32_e32 v46, v50, v75
	s_waitcnt lgkmcnt(0)
	v_max_f32_e32 v50, v60, v60
	v_max_f32_e32 v51, v61, v61
	v_pk_add_f32 v[36:37], v[46:47], v[36:37]
	v_min_f32_e32 v46, v50, v118
	v_min_f32_e32 v47, v51, v116
	v_pk_add_f32 v[30:31], v[46:47], v[30:31]
	v_min_f32_e32 v46, v50, v121
	v_min_f32_e32 v47, v51, v120
	;; [unrolled: 3-line block ×4, first 2 shown]
	v_pk_add_f32 v[28:29], v[46:47], v[28:29]
	v_max_f32_e32 v46, v12, v12
	v_max_f32_e32 v47, v13, v13
	v_min_f32_e32 v12, v46, v118
	v_min_f32_e32 v13, v47, v116
	v_pk_add_f32 v[12:13], v[12:13], v[26:27]
	v_min_f32_e32 v26, v46, v121
	v_min_f32_e32 v27, v47, v120
	v_pk_add_f32 v[24:25], v[26:27], v[24:25]
	;; [unrolled: 3-line block ×4, first 2 shown]
	v_min_f32_e32 v27, v117, v74
	v_min_f32_e32 v26, v119, v75
	;; [unrolled: 1-line block ×4, first 2 shown]
	v_pk_add_f32 v[18:19], v[26:27], v[18:19]
	v_max_f32_e32 v26, v3, v3
	v_max_f32_e32 v7, v7, v7
	;; [unrolled: 1-line block ×4, first 2 shown]
	v_pk_add_f32 v[0:1], v[0:1], v[126:127]
	v_min_f32_e32 v3, v7, v26
	v_min_f32_e32 v2, v6, v27
	v_pk_add_f32 v[88:89], v[2:3], v[0:1]
	v_max_f32_e32 v2, v11, v11
	v_max_f32_e32 v3, v10, v10
	v_min_f32_e32 v1, v7, v2
	v_min_f32_e32 v0, v6, v3
	v_pk_add_f32 v[74:75], v[0:1], v[4:5]
	v_max_f32_e32 v4, v87, v87
	v_max_f32_e32 v5, v86, v86
	;; [unrolled: 5-line block ×3, first 2 shown]
	v_min_f32_e32 v0, v8, v27
	v_min_f32_e32 v1, v9, v26
	v_pk_add_f32 v[122:123], v[0:1], v[84:85]
	v_min_f32_e32 v0, v8, v3
	v_min_f32_e32 v1, v9, v2
	v_pk_add_f32 v[86:87], v[0:1], v[92:93]
	v_min_f32_e32 v0, v8, v5
	v_min_f32_e32 v1, v9, v4
	v_max_f32_e32 v10, v83, v83
	v_pk_add_f32 v[70:71], v[0:1], v[94:95]
	v_min_f32_e32 v1, v9, v10
	v_max_f32_e32 v9, v82, v82
	v_min_f32_e32 v0, v8, v9
	v_max_f32_e32 v8, v78, v78
	v_max_f32_e32 v11, v79, v79
	v_pk_add_f32 v[56:57], v[0:1], v[68:69]
	v_min_f32_e32 v0, v8, v27
	v_min_f32_e32 v1, v11, v26
	v_pk_add_f32 v[120:121], v[0:1], v[76:77]
	v_min_f32_e32 v0, v8, v3
	v_min_f32_e32 v1, v11, v2
	v_pk_add_f32 v[82:83], v[0:1], v[80:81]
	v_min_f32_e32 v0, v8, v5
	v_min_f32_e32 v1, v11, v4
	v_pk_add_f32 v[66:67], v[0:1], v[66:67]
	v_min_f32_e32 v1, v11, v10
	v_min_f32_e32 v0, v8, v9
	v_max_f32_e32 v8, v64, v64
	v_max_f32_e32 v11, v65, v65
	v_pk_add_f32 v[50:51], v[0:1], v[96:97]
	v_min_f32_e32 v0, v8, v27
	v_min_f32_e32 v1, v11, v26
	v_pk_add_f32 v[118:119], v[0:1], v[54:55]
	v_min_f32_e32 v0, v8, v3
	v_min_f32_e32 v1, v11, v2
	v_pk_add_f32 v[84:85], v[0:1], v[110:111]
	v_min_f32_e32 v0, v8, v5
	v_min_f32_e32 v1, v11, v4
	v_pk_add_f32 v[68:69], v[0:1], v[58:59]
	v_min_f32_e32 v1, v11, v10
	;; [unrolled: 14-line block ×6, first 2 shown]
	v_min_f32_e32 v0, v8, v9
	v_pk_add_f32 v[64:65], v[0:1], v[22:23]
	v_min_f32_e32 v1, v7, v10
	v_min_f32_e32 v0, v6, v9
	s_add_i32 s16, s16, 8
	v_pk_add_f32 v[48:49], v[0:1], v[18:19]
	v_lshl_add_u64 v[100:101], v[100:101], 0, s[14:15]
	s_cmp_ge_i32 s16, s27
	v_lshl_add_u64 v[104:105], v[104:105], 0, s[2:3]
	ds_write_b32 v213, v217
	ds_write2st64_b32 v214, v16, v17 offset1:4
	s_waitcnt lgkmcnt(0)
	s_barrier
	s_cbranch_scc1 .LBB39_31
.LBB39_21:                              ; =>This Inner Loop Header: Depth=1
	s_and_b64 vcc, exec, s[4:5]
	s_cbranch_vccnz .LBB39_24
; %bb.22:                               ;   in Loop: Header=BB39_21 Depth=1
	v_lshl_add_u64 v[0:1], v[104:105], 0, v[108:109]
	flat_load_dword v0, v[0:1]
	s_waitcnt vmcnt(0) lgkmcnt(0)
	v_mul_f32_e32 v126, s12, v0
	s_and_b64 vcc, exec, s[4:5]
	s_cbranch_vccnz .LBB39_25
.LBB39_23:                              ;   in Loop: Header=BB39_21 Depth=1
	v_lshl_add_u64 v[0:1], v[100:101], 0, v[106:107]
	flat_load_dword v2, v[0:1]
	flat_load_dword v3, v[0:1] offset:256
	s_waitcnt vmcnt(0) lgkmcnt(0)
	v_pk_mul_f32 v[124:125], s[12:13], v[2:3]
	s_branch .LBB39_26
.LBB39_24:                              ;   in Loop: Header=BB39_21 Depth=1
	v_mov_b32_e32 v126, 0
	s_and_b64 vcc, exec, s[4:5]
	s_cbranch_vccz .LBB39_23
.LBB39_25:                              ;   in Loop: Header=BB39_21 Depth=1
	v_mov_b32_e32 v124, 0
	v_mov_b32_e32 v125, 0
.LBB39_26:                              ;   in Loop: Header=BB39_21 Depth=1
	ds_read_b128 v[40:43], v216
	ds_read_b128 v[36:39], v216 offset:512
	ds_read_b128 v[24:27], v216 offset:1536
	;; [unrolled: 1-line block ×3, first 2 shown]
	ds_read_b128 v[28:31], v215
	ds_read_b128 v[20:23], v215 offset:128
	ds_read_b128 v[16:19], v215 offset:256
	;; [unrolled: 1-line block ×7, first 2 shown]
	s_and_b64 vcc, exec, s[4:5]
	ds_write_b32 v211, v126
	ds_write2st64_b32 v210, v124, v125 offset1:4
	s_waitcnt lgkmcnt(0)
	s_barrier
	s_cbranch_vccnz .LBB39_28
; %bb.27:                               ;   in Loop: Header=BB39_21 Depth=1
	v_lshl_add_u64 v[124:125], v[104:105], 0, v[102:103]
	flat_load_dword v124, v[124:125]
	s_waitcnt vmcnt(0) lgkmcnt(0)
	v_mul_f32_e32 v217, s12, v124
	s_branch .LBB39_29
.LBB39_28:                              ;   in Loop: Header=BB39_21 Depth=1
	v_mov_b32_e32 v217, 0
.LBB39_29:                              ;   in Loop: Header=BB39_21 Depth=1
	v_max_f32_e32 v158, v41, v41
	v_max_f32_e32 v159, v40, v40
	;; [unrolled: 1-line block ×10, first 2 shown]
	v_min_f32_e32 v136, v16, v159
	v_min_f32_e32 v137, v17, v158
	v_min_f32_e32 v134, v16, v163
	v_min_f32_e32 v135, v17, v162
	v_min_f32_e32 v132, v16, v167
	v_min_f32_e32 v133, v17, v165
	v_min_f32_e32 v139, v17, v168
	v_min_f32_e32 v138, v16, v169
	v_max_f32_e32 v16, v12, v12
	v_max_f32_e32 v17, v13, v13
	v_min_f32_e32 v142, v16, v159
	v_min_f32_e32 v143, v17, v158
	v_min_f32_e32 v140, v16, v163
	v_min_f32_e32 v141, v17, v162
	v_min_f32_e32 v12, v16, v167
	v_min_f32_e32 v13, v17, v165
	v_min_f32_e32 v145, v17, v168
	v_min_f32_e32 v144, v16, v169
	v_max_f32_e32 v16, v8, v8
	v_max_f32_e32 v17, v9, v9
	v_min_f32_e32 v148, v16, v159
	v_min_f32_e32 v149, v17, v158
	v_min_f32_e32 v146, v16, v163
	v_min_f32_e32 v147, v17, v162
	v_min_f32_e32 v8, v16, v167
	v_min_f32_e32 v9, v17, v165
	v_min_f32_e32 v151, v17, v168
	v_min_f32_e32 v150, v16, v169
	v_max_f32_e32 v16, v4, v4
	v_max_f32_e32 v17, v5, v5
	v_max_f32_e32 v164, v45, v45
	v_max_f32_e32 v166, v44, v44
	;; [unrolled: 1-line block ×6, first 2 shown]
	v_min_f32_e32 v154, v16, v159
	v_min_f32_e32 v155, v17, v158
	v_min_f32_e32 v152, v16, v163
	v_min_f32_e32 v153, v17, v162
	v_min_f32_e32 v4, v16, v167
	v_min_f32_e32 v5, v17, v165
	v_min_f32_e32 v157, v17, v168
	v_min_f32_e32 v156, v16, v169
	v_max_f32_e32 v16, v0, v0
	v_max_f32_e32 v17, v1, v1
	v_min_f32_e32 v41, v164, v158
	v_min_f32_e32 v40, v166, v159
	;; [unrolled: 1-line block ×17, first 2 shown]
	v_max_f32_e32 v16, v43, v43
	v_max_f32_e32 v194, v42, v42
	;; [unrolled: 1-line block ×10, first 2 shown]
	v_min_f32_e32 v36, v166, v163
	v_min_f32_e32 v33, v164, v165
	;; [unrolled: 1-line block ×14, first 2 shown]
	v_max_f32_e32 v17, v47, v47
	v_max_f32_e32 v218, v46, v46
	;; [unrolled: 1-line block ×12, first 2 shown]
	v_min_f32_e32 v198, v6, v194
	v_min_f32_e32 v199, v7, v16
	;; [unrolled: 1-line block ×8, first 2 shown]
	v_max_f32_e32 v6, v2, v2
	v_max_f32_e32 v7, v3, v3
	v_min_f32_e32 v32, v166, v167
	v_min_f32_e32 v43, v17, v16
	;; [unrolled: 1-line block ×56, first 2 shown]
	s_and_b64 vcc, exec, s[4:5]
	v_min_f32_e32 v194, v218, v222
	s_cbranch_vccz .LBB39_19
; %bb.30:                               ;   in Loop: Header=BB39_21 Depth=1
	v_mov_b32_e32 v16, 0
	v_mov_b32_e32 v17, 0
	s_branch .LBB39_20
.LBB39_31:
	s_load_dword s12, s[0:1], 0x58
	ds_read_b128 v[40:43], v209 offset:2048
	ds_read_b128 v[44:47], v208 offset:5120
	v_add_u32_e32 v102, s25, v207
	v_cmp_neq_f32_e64 s[4:5], s26, 0
	v_add_u32_e32 v98, s24, v206
	s_waitcnt lgkmcnt(0)
	v_mad_i64_i32 v[0:1], s[2:3], v102, s12, 0
	v_ashrrev_i32_e32 v99, 31, v98
	v_lshl_add_u64 v[100:101], v[0:1], 2, s[8:9]
	s_and_b64 vcc, exec, s[4:5]
	v_mov_b32_e32 v105, 0
	v_mov_b32_e32 v104, 0
	s_cbranch_vccz .LBB39_33
; %bb.32:
	v_lshl_add_u64 v[0:1], v[98:99], 2, v[100:101]
	flat_load_dword v0, v[0:1]
	s_waitcnt vmcnt(0) lgkmcnt(0)
	v_mul_f32_e32 v104, s26, v0
.LBB39_33:
	ds_read_b128 v[12:15], v208 offset:6016
	ds_read_b128 v[0:3], v209 offset:3584
	;; [unrolled: 1-line block ×6, first 2 shown]
	s_load_dword s13, s[0:1], 0x70
	s_load_dwordx2 s[2:3], s[0:1], 0x78
	v_max_f32_e32 v124, v40, v40
	v_max_f32_e32 v44, v44, v44
	;; [unrolled: 1-line block ×4, first 2 shown]
	ds_read_b128 v[28:31], v208 offset:5504
	ds_read_b128 v[24:27], v208 offset:5632
	;; [unrolled: 1-line block ×4, first 2 shown]
	v_min_f32_e32 v40, v44, v124
	v_min_f32_e32 v41, v103, v125
	v_pk_add_f32 v[40:41], v[40:41], v[122:123]
	v_max_f32_e32 v122, v42, v42
	v_max_f32_e32 v45, v46, v46
	;; [unrolled: 1-line block ×4, first 2 shown]
	s_waitcnt lgkmcnt(0)
	s_lshl_b64 s[0:1], s[2:3], 2
	v_min_f32_e32 v42, v45, v122
	v_min_f32_e32 v43, v46, v123
	s_add_u32 s2, s10, s0
	v_pk_add_f32 v[106:107], v[42:43], v[40:41]
	s_addc_u32 s3, s11, s1
	v_mad_i64_i32 v[42:43], s[0:1], v102, s13, 0
	v_add_f32_e32 v47, v106, v107
	v_add_u32_e32 v40, 8, v98
	v_lshl_add_u64 v[42:43], v[42:43], 2, s[2:3]
	v_add_f32_e32 v47, v47, v104
	v_cndmask_b32_e64 v104, 0, 1, s[4:5]
	v_ashrrev_i32_e32 v41, 31, v40
	v_lshl_add_u64 v[106:107], v[98:99], 2, v[42:43]
	v_cmp_ne_u32_e64 s[0:1], 1, v104
	s_andn2_b64 vcc, exec, s[4:5]
	global_store_dword v[106:107], v47, off
	s_cbranch_vccnz .LBB39_35
; %bb.34:
	v_lshl_add_u64 v[104:105], v[40:41], 2, v[100:101]
	flat_load_dword v47, v[104:105]
	s_waitcnt vmcnt(0) lgkmcnt(0)
	v_mul_f32_e32 v105, s26, v47
.LBB39_35:
	v_max_f32_e32 v47, v36, v36
	v_max_f32_e32 v104, v37, v37
	v_min_f32_e32 v36, v47, v124
	v_min_f32_e32 v37, v104, v125
	v_max_f32_e32 v38, v38, v38
	v_max_f32_e32 v39, v39, v39
	v_pk_add_f32 v[36:37], v[36:37], v[120:121]
	v_min_f32_e32 v106, v38, v122
	v_min_f32_e32 v107, v39, v123
	v_pk_add_f32 v[36:37], v[106:107], v[36:37]
	s_and_b64 vcc, exec, s[0:1]
	v_add_f32_e32 v106, v36, v37
	v_add_u32_e32 v36, 16, v98
	v_add_f32_e32 v105, v106, v105
	v_lshl_add_u64 v[106:107], v[40:41], 2, v[42:43]
	v_ashrrev_i32_e32 v37, 31, v36
	global_store_dword v[106:107], v105, off
	v_mov_b32_e32 v109, 0
	v_mov_b32_e32 v107, 0
	s_cbranch_vccnz .LBB39_37
; %bb.36:
	v_lshl_add_u64 v[106:107], v[36:37], 2, v[100:101]
	flat_load_dword v105, v[106:107]
	s_waitcnt vmcnt(0) lgkmcnt(0)
	v_mul_f32_e32 v107, s26, v105
.LBB39_37:
	v_max_f32_e32 v105, v32, v32
	v_max_f32_e32 v106, v33, v33
	v_min_f32_e32 v32, v105, v124
	v_min_f32_e32 v33, v106, v125
	v_max_f32_e32 v34, v34, v34
	v_max_f32_e32 v35, v35, v35
	v_pk_add_f32 v[32:33], v[32:33], v[118:119]
	v_min_f32_e32 v118, v34, v122
	v_min_f32_e32 v119, v35, v123
	v_pk_add_f32 v[32:33], v[118:119], v[32:33]
	v_lshl_add_u64 v[118:119], v[36:37], 2, v[42:43]
	v_add_f32_e32 v108, v32, v33
	v_add_u32_e32 v32, 24, v98
	v_ashrrev_i32_e32 v33, 31, v32
	v_add_f32_e32 v107, v108, v107
	s_and_b64 vcc, exec, s[0:1]
	global_store_dword v[118:119], v107, off
	s_cbranch_vccnz .LBB39_39
; %bb.38:
	v_lshl_add_u64 v[108:109], v[32:33], 2, v[100:101]
	flat_load_dword v107, v[108:109]
	s_waitcnt vmcnt(0) lgkmcnt(0)
	v_mul_f32_e32 v109, s26, v107
.LBB39_39:
	v_max_f32_e32 v107, v28, v28
	v_max_f32_e32 v108, v29, v29
	v_min_f32_e32 v28, v107, v124
	v_min_f32_e32 v29, v108, v125
	v_max_f32_e32 v30, v30, v30
	v_max_f32_e32 v31, v31, v31
	v_pk_add_f32 v[28:29], v[28:29], v[116:117]
	v_min_f32_e32 v116, v30, v122
	v_min_f32_e32 v117, v31, v123
	v_pk_add_f32 v[28:29], v[116:117], v[28:29]
	s_and_b64 vcc, exec, s[0:1]
	v_add_f32_e32 v116, v28, v29
	v_add_u32_e32 v28, 32, v98
	v_add_f32_e32 v109, v116, v109
	v_lshl_add_u64 v[116:117], v[32:33], 2, v[42:43]
	v_ashrrev_i32_e32 v29, 31, v28
	global_store_dword v[116:117], v109, off
	v_mov_b32_e32 v117, 0
	v_mov_b32_e32 v118, 0
	s_cbranch_vccnz .LBB39_41
; %bb.40:
	v_lshl_add_u64 v[118:119], v[28:29], 2, v[100:101]
	flat_load_dword v109, v[118:119]
	s_waitcnt vmcnt(0) lgkmcnt(0)
	v_mul_f32_e32 v118, s26, v109
.LBB39_41:
	v_max_f32_e32 v109, v24, v24
	v_max_f32_e32 v116, v25, v25
	v_min_f32_e32 v24, v109, v124
	v_min_f32_e32 v25, v116, v125
	v_max_f32_e32 v26, v26, v26
	v_max_f32_e32 v27, v27, v27
	v_pk_add_f32 v[24:25], v[24:25], v[114:115]
	v_min_f32_e32 v114, v26, v122
	v_min_f32_e32 v115, v27, v123
	v_pk_add_f32 v[24:25], v[114:115], v[24:25]
	s_and_b64 vcc, exec, s[0:1]
	v_add_f32_e32 v114, v24, v25
	v_add_u32_e32 v24, 40, v98
	v_ashrrev_i32_e32 v25, 31, v24
	v_add_f32_e32 v118, v114, v118
	v_lshl_add_u64 v[114:115], v[28:29], 2, v[42:43]
	global_store_dword v[114:115], v118, off
	s_cbranch_vccnz .LBB39_43
; %bb.42:
	v_lshl_add_u64 v[114:115], v[24:25], 2, v[100:101]
	flat_load_dword v114, v[114:115]
	s_waitcnt vmcnt(0) lgkmcnt(0)
	v_mul_f32_e32 v117, s26, v114
.LBB39_43:
	v_max_f32_e32 v114, v20, v20
	v_max_f32_e32 v115, v21, v21
	v_min_f32_e32 v20, v114, v124
	v_min_f32_e32 v21, v115, v125
	v_max_f32_e32 v22, v22, v22
	v_max_f32_e32 v23, v23, v23
	v_pk_add_f32 v[20:21], v[20:21], v[112:113]
	v_min_f32_e32 v112, v22, v122
	v_min_f32_e32 v113, v23, v123
	v_pk_add_f32 v[20:21], v[112:113], v[20:21]
	s_and_b64 vcc, exec, s[0:1]
	v_add_f32_e32 v112, v20, v21
	v_add_u32_e32 v20, 48, v98
	v_add_f32_e32 v117, v112, v117
	v_lshl_add_u64 v[112:113], v[24:25], 2, v[42:43]
	v_ashrrev_i32_e32 v21, 31, v20
	global_store_dword v[112:113], v117, off
	v_mov_b32_e32 v117, 0
	v_mov_b32_e32 v118, 0
	s_cbranch_vccnz .LBB39_45
; %bb.44:
	v_lshl_add_u64 v[112:113], v[20:21], 2, v[100:101]
	flat_load_dword v112, v[112:113]
	s_waitcnt vmcnt(0) lgkmcnt(0)
	v_mul_f32_e32 v118, s26, v112
.LBB39_45:
	v_max_f32_e32 v112, v16, v16
	v_max_f32_e32 v113, v17, v17
	v_min_f32_e32 v16, v112, v124
	v_min_f32_e32 v17, v113, v125
	v_pk_add_f32 v[16:17], v[16:17], v[110:111]
	v_max_f32_e32 v110, v18, v18
	v_max_f32_e32 v111, v19, v19
	v_min_f32_e32 v18, v110, v122
	v_min_f32_e32 v19, v111, v123
	v_pk_add_f32 v[16:17], v[18:19], v[16:17]
	s_and_b64 vcc, exec, s[0:1]
	v_add_f32_e32 v18, v16, v17
	v_add_u32_e32 v16, 56, v98
	v_ashrrev_i32_e32 v17, 31, v16
	v_add_f32_e32 v118, v18, v118
	v_lshl_add_u64 v[18:19], v[20:21], 2, v[42:43]
	global_store_dword v[18:19], v118, off
	s_cbranch_vccnz .LBB39_47
; %bb.46:
	v_lshl_add_u64 v[18:19], v[16:17], 2, v[100:101]
	flat_load_dword v18, v[18:19]
	s_waitcnt vmcnt(0) lgkmcnt(0)
	v_mul_f32_e32 v117, s26, v18
.LBB39_47:
	v_max_f32_e32 v18, v13, v13
	v_max_f32_e32 v19, v12, v12
	v_min_f32_e32 v13, v18, v125
	v_min_f32_e32 v12, v19, v124
	v_max_f32_e32 v15, v15, v15
	v_max_f32_e32 v14, v14, v14
	v_pk_add_f32 v[12:13], v[12:13], v[88:89]
	v_min_f32_e32 v89, v15, v123
	v_min_f32_e32 v88, v14, v122
	v_pk_add_f32 v[12:13], v[88:89], v[12:13]
	v_add_u32_e32 v89, 32, v102
	v_add_f32_e32 v12, v12, v13
	v_add_f32_e32 v88, v12, v117
	v_lshl_add_u64 v[12:13], v[16:17], 2, v[42:43]
	global_store_dword v[12:13], v88, off
	v_mad_i64_i32 v[12:13], s[4:5], v89, s12, 0
	v_lshl_add_u64 v[12:13], v[12:13], 2, s[8:9]
	s_and_b64 vcc, exec, s[0:1]
	v_mov_b32_e32 v88, 0
	v_mov_b32_e32 v100, 0
	s_cbranch_vccnz .LBB39_49
; %bb.48:
	v_lshl_add_u64 v[42:43], v[98:99], 2, v[12:13]
	flat_load_dword v42, v[42:43]
	s_waitcnt vmcnt(0) lgkmcnt(0)
	v_mul_f32_e32 v100, s26, v42
.LBB39_49:
	v_max_f32_e32 v42, v8, v8
	v_max_f32_e32 v43, v9, v9
	v_min_f32_e32 v8, v44, v42
	v_min_f32_e32 v9, v103, v43
	v_max_f32_e32 v10, v10, v10
	v_max_f32_e32 v11, v11, v11
	v_pk_add_f32 v[8:9], v[8:9], v[86:87]
	v_min_f32_e32 v86, v45, v10
	v_min_f32_e32 v87, v46, v11
	v_pk_add_f32 v[86:87], v[86:87], v[8:9]
	v_mad_i64_i32 v[8:9], s[4:5], v89, s13, 0
	v_lshl_add_u64 v[8:9], v[8:9], 2, s[2:3]
	v_add_f32_e32 v86, v86, v87
	v_add_f32_e32 v89, v86, v100
	v_lshl_add_u64 v[86:87], v[98:99], 2, v[8:9]
	s_and_b64 vcc, exec, s[0:1]
	global_store_dword v[86:87], v89, off
	s_cbranch_vccnz .LBB39_51
; %bb.50:
	v_lshl_add_u64 v[86:87], v[40:41], 2, v[12:13]
	flat_load_dword v86, v[86:87]
	s_waitcnt vmcnt(0) lgkmcnt(0)
	v_mul_f32_e32 v88, s26, v86
.LBB39_51:
	v_min_f32_e32 v86, v47, v42
	v_min_f32_e32 v87, v104, v43
	v_pk_add_f32 v[82:83], v[86:87], v[82:83]
	v_min_f32_e32 v86, v38, v10
	v_min_f32_e32 v87, v39, v11
	v_pk_add_f32 v[82:83], v[86:87], v[82:83]
	s_and_b64 vcc, exec, s[0:1]
	v_add_f32_e32 v82, v82, v83
	v_add_f32_e32 v86, v82, v88
	v_lshl_add_u64 v[82:83], v[40:41], 2, v[8:9]
	global_store_dword v[82:83], v86, off
	v_mov_b32_e32 v82, 0
	v_mov_b32_e32 v83, 0
	s_cbranch_vccnz .LBB39_53
; %bb.52:
	v_lshl_add_u64 v[86:87], v[36:37], 2, v[12:13]
	flat_load_dword v83, v[86:87]
	s_waitcnt vmcnt(0) lgkmcnt(0)
	v_mul_f32_e32 v83, s26, v83
.LBB39_53:
	v_min_f32_e32 v86, v105, v42
	v_min_f32_e32 v87, v106, v43
	v_pk_add_f32 v[84:85], v[86:87], v[84:85]
	v_min_f32_e32 v86, v34, v10
	v_min_f32_e32 v87, v35, v11
	v_pk_add_f32 v[84:85], v[86:87], v[84:85]
	s_and_b64 vcc, exec, s[0:1]
	v_add_f32_e32 v84, v84, v85
	v_add_f32_e32 v83, v84, v83
	v_lshl_add_u64 v[84:85], v[36:37], 2, v[8:9]
	global_store_dword v[84:85], v83, off
	s_cbranch_vccnz .LBB39_55
; %bb.54:
	v_lshl_add_u64 v[82:83], v[32:33], 2, v[12:13]
	flat_load_dword v82, v[82:83]
	s_waitcnt vmcnt(0) lgkmcnt(0)
	v_mul_f32_e32 v82, s26, v82
.LBB39_55:
	v_min_f32_e32 v84, v107, v42
	v_min_f32_e32 v85, v108, v43
	v_pk_add_f32 v[84:85], v[84:85], v[90:91]
	v_min_f32_e32 v86, v30, v10
	v_min_f32_e32 v87, v31, v11
	v_pk_add_f32 v[84:85], v[86:87], v[84:85]
	s_and_b64 vcc, exec, s[0:1]
	v_add_f32_e32 v83, v84, v85
	v_add_f32_e32 v84, v83, v82
	v_lshl_add_u64 v[82:83], v[32:33], 2, v[8:9]
	global_store_dword v[82:83], v84, off
	v_mov_b32_e32 v82, 0
	v_mov_b32_e32 v83, 0
	s_cbranch_vccnz .LBB39_57
; %bb.56:
	v_lshl_add_u64 v[84:85], v[28:29], 2, v[12:13]
	flat_load_dword v83, v[84:85]
	s_waitcnt vmcnt(0) lgkmcnt(0)
	v_mul_f32_e32 v83, s26, v83
.LBB39_57:
	v_min_f32_e32 v84, v109, v42
	v_min_f32_e32 v85, v116, v43
	v_pk_add_f32 v[84:85], v[84:85], v[92:93]
	v_min_f32_e32 v86, v26, v10
	v_min_f32_e32 v87, v27, v11
	v_pk_add_f32 v[84:85], v[86:87], v[84:85]
	s_and_b64 vcc, exec, s[0:1]
	v_add_f32_e32 v84, v84, v85
	v_add_f32_e32 v83, v84, v83
	v_lshl_add_u64 v[84:85], v[28:29], 2, v[8:9]
	;; [unrolled: 38-line block ×3, first 2 shown]
	global_store_dword v[84:85], v83, off
	s_cbranch_vccnz .LBB39_63
; %bb.62:
	v_lshl_add_u64 v[12:13], v[16:17], 2, v[12:13]
	flat_load_dword v12, v[12:13]
	s_waitcnt vmcnt(0) lgkmcnt(0)
	v_mul_f32_e32 v82, s26, v12
.LBB39_63:
	v_min_f32_e32 v13, v18, v43
	v_min_f32_e32 v12, v19, v42
	v_pk_add_f32 v[12:13], v[12:13], v[74:75]
	v_min_f32_e32 v11, v15, v11
	v_min_f32_e32 v10, v14, v10
	v_pk_add_f32 v[10:11], v[10:11], v[12:13]
	v_lshl_add_u64 v[8:9], v[16:17], 2, v[8:9]
	v_add_f32_e32 v10, v10, v11
	v_add_f32_e32 v10, v10, v82
	v_add_u32_e32 v13, 64, v102
	global_store_dword v[8:9], v10, off
	v_mad_i64_i32 v[8:9], s[4:5], v13, s12, 0
	v_lshl_add_u64 v[8:9], v[8:9], 2, s[8:9]
	s_and_b64 vcc, exec, s[0:1]
	v_mov_b32_e32 v12, 0
	v_mov_b32_e32 v42, 0
	s_cbranch_vccnz .LBB39_65
; %bb.64:
	v_lshl_add_u64 v[10:11], v[98:99], 2, v[8:9]
	flat_load_dword v10, v[10:11]
	s_waitcnt vmcnt(0) lgkmcnt(0)
	v_mul_f32_e32 v42, s26, v10
.LBB39_65:
	v_max_f32_e32 v10, v4, v4
	v_max_f32_e32 v11, v5, v5
	v_min_f32_e32 v4, v44, v10
	v_min_f32_e32 v5, v103, v11
	v_max_f32_e32 v6, v6, v6
	v_max_f32_e32 v7, v7, v7
	v_pk_add_f32 v[4:5], v[4:5], v[70:71]
	v_min_f32_e32 v70, v45, v6
	v_min_f32_e32 v71, v46, v7
	v_pk_add_f32 v[70:71], v[70:71], v[4:5]
	v_mad_i64_i32 v[4:5], s[4:5], v13, s13, 0
	v_lshl_add_u64 v[4:5], v[4:5], 2, s[2:3]
	v_add_f32_e32 v13, v70, v71
	v_add_f32_e32 v13, v13, v42
	v_lshl_add_u64 v[42:43], v[98:99], 2, v[4:5]
	s_and_b64 vcc, exec, s[0:1]
	global_store_dword v[42:43], v13, off
	s_cbranch_vccnz .LBB39_67
; %bb.66:
	v_lshl_add_u64 v[12:13], v[40:41], 2, v[8:9]
	flat_load_dword v12, v[12:13]
	s_waitcnt vmcnt(0) lgkmcnt(0)
	v_mul_f32_e32 v12, s26, v12
.LBB39_67:
	v_min_f32_e32 v42, v47, v10
	v_min_f32_e32 v43, v104, v11
	v_pk_add_f32 v[42:43], v[42:43], v[66:67]
	v_min_f32_e32 v66, v38, v6
	v_min_f32_e32 v67, v39, v7
	v_pk_add_f32 v[42:43], v[66:67], v[42:43]
	s_and_b64 vcc, exec, s[0:1]
	v_add_f32_e32 v13, v42, v43
	v_add_f32_e32 v42, v13, v12
	v_lshl_add_u64 v[12:13], v[40:41], 2, v[4:5]
	global_store_dword v[12:13], v42, off
	v_mov_b32_e32 v12, 0
	v_mov_b32_e32 v13, 0
	s_cbranch_vccnz .LBB39_69
; %bb.68:
	v_lshl_add_u64 v[42:43], v[36:37], 2, v[8:9]
	flat_load_dword v13, v[42:43]
	s_waitcnt vmcnt(0) lgkmcnt(0)
	v_mul_f32_e32 v13, s26, v13
.LBB39_69:
	v_min_f32_e32 v42, v105, v10
	v_min_f32_e32 v43, v106, v11
	v_pk_add_f32 v[42:43], v[42:43], v[68:69]
	v_min_f32_e32 v66, v34, v6
	v_min_f32_e32 v67, v35, v7
	v_pk_add_f32 v[42:43], v[66:67], v[42:43]
	s_and_b64 vcc, exec, s[0:1]
	v_add_f32_e32 v42, v42, v43
	v_add_f32_e32 v13, v42, v13
	v_lshl_add_u64 v[42:43], v[36:37], 2, v[4:5]
	global_store_dword v[42:43], v13, off
	s_cbranch_vccnz .LBB39_71
; %bb.70:
	v_lshl_add_u64 v[12:13], v[32:33], 2, v[8:9]
	flat_load_dword v12, v[12:13]
	s_waitcnt vmcnt(0) lgkmcnt(0)
	v_mul_f32_e32 v12, s26, v12
.LBB39_71:
	v_min_f32_e32 v42, v107, v10
	v_min_f32_e32 v43, v108, v11
	v_pk_add_f32 v[42:43], v[42:43], v[72:73]
	v_min_f32_e32 v66, v30, v6
	v_min_f32_e32 v67, v31, v7
	v_pk_add_f32 v[42:43], v[66:67], v[42:43]
	s_and_b64 vcc, exec, s[0:1]
	v_add_f32_e32 v13, v42, v43
	v_add_f32_e32 v42, v13, v12
	v_lshl_add_u64 v[12:13], v[32:33], 2, v[4:5]
	global_store_dword v[12:13], v42, off
	v_mov_b32_e32 v12, 0
	v_mov_b32_e32 v13, 0
	s_cbranch_vccnz .LBB39_73
; %bb.72:
	v_lshl_add_u64 v[42:43], v[28:29], 2, v[8:9]
	flat_load_dword v13, v[42:43]
	s_waitcnt vmcnt(0) lgkmcnt(0)
	v_mul_f32_e32 v13, s26, v13
.LBB39_73:
	v_min_f32_e32 v42, v109, v10
	v_min_f32_e32 v43, v116, v11
	v_pk_add_f32 v[42:43], v[42:43], v[76:77]
	v_min_f32_e32 v66, v26, v6
	v_min_f32_e32 v67, v27, v7
	v_pk_add_f32 v[42:43], v[66:67], v[42:43]
	s_and_b64 vcc, exec, s[0:1]
	v_add_f32_e32 v42, v42, v43
	v_add_f32_e32 v13, v42, v13
	v_lshl_add_u64 v[42:43], v[28:29], 2, v[4:5]
	global_store_dword v[42:43], v13, off
	s_cbranch_vccnz .LBB39_75
; %bb.74:
	v_lshl_add_u64 v[12:13], v[24:25], 2, v[8:9]
	flat_load_dword v12, v[12:13]
	s_waitcnt vmcnt(0) lgkmcnt(0)
	v_mul_f32_e32 v12, s26, v12
.LBB39_75:
	v_min_f32_e32 v42, v114, v10
	v_min_f32_e32 v43, v115, v11
	v_pk_add_f32 v[42:43], v[42:43], v[78:79]
	v_min_f32_e32 v66, v22, v6
	v_min_f32_e32 v67, v23, v7
	v_pk_add_f32 v[42:43], v[66:67], v[42:43]
	s_and_b64 vcc, exec, s[0:1]
	v_add_f32_e32 v13, v42, v43
	v_add_f32_e32 v42, v13, v12
	v_lshl_add_u64 v[12:13], v[24:25], 2, v[4:5]
	global_store_dword v[12:13], v42, off
	v_mov_b32_e32 v12, 0
	v_mov_b32_e32 v13, 0
	s_cbranch_vccnz .LBB39_77
; %bb.76:
	v_lshl_add_u64 v[42:43], v[20:21], 2, v[8:9]
	flat_load_dword v13, v[42:43]
	s_waitcnt vmcnt(0) lgkmcnt(0)
	v_mul_f32_e32 v13, s26, v13
.LBB39_77:
	v_min_f32_e32 v42, v112, v10
	v_min_f32_e32 v43, v113, v11
	v_pk_add_f32 v[42:43], v[42:43], v[80:81]
	v_min_f32_e32 v66, v110, v6
	v_min_f32_e32 v67, v111, v7
	v_pk_add_f32 v[42:43], v[66:67], v[42:43]
	s_and_b64 vcc, exec, s[0:1]
	v_add_f32_e32 v42, v42, v43
	v_add_f32_e32 v13, v42, v13
	v_lshl_add_u64 v[42:43], v[20:21], 2, v[4:5]
	global_store_dword v[42:43], v13, off
	s_cbranch_vccnz .LBB39_79
; %bb.78:
	v_lshl_add_u64 v[8:9], v[16:17], 2, v[8:9]
	flat_load_dword v8, v[8:9]
	s_waitcnt vmcnt(0) lgkmcnt(0)
	v_mul_f32_e32 v12, s26, v8
.LBB39_79:
	v_min_f32_e32 v9, v18, v11
	v_min_f32_e32 v8, v19, v10
	v_pk_add_f32 v[8:9], v[8:9], v[60:61]
	v_min_f32_e32 v7, v15, v7
	v_min_f32_e32 v6, v14, v6
	v_pk_add_f32 v[6:7], v[6:7], v[8:9]
	v_lshl_add_u64 v[4:5], v[16:17], 2, v[4:5]
	v_add_f32_e32 v6, v6, v7
	v_add_f32_e32 v6, v6, v12
	v_add_u32_e32 v9, 0x60, v102
	global_store_dword v[4:5], v6, off
	v_mad_i64_i32 v[4:5], s[4:5], v9, s12, 0
	v_lshl_add_u64 v[4:5], v[4:5], 2, s[8:9]
	s_and_b64 vcc, exec, s[0:1]
	v_mov_b32_e32 v8, 0
	v_mov_b32_e32 v10, 0
	s_cbranch_vccnz .LBB39_81
; %bb.80:
	v_lshl_add_u64 v[6:7], v[98:99], 2, v[4:5]
	flat_load_dword v6, v[6:7]
	s_waitcnt vmcnt(0) lgkmcnt(0)
	v_mul_f32_e32 v10, s26, v6
.LBB39_81:
	v_max_f32_e32 v6, v1, v1
	v_max_f32_e32 v7, v0, v0
	v_min_f32_e32 v1, v103, v6
	v_min_f32_e32 v0, v44, v7
	v_max_f32_e32 v3, v3, v3
	v_max_f32_e32 v2, v2, v2
	v_pk_add_f32 v[0:1], v[0:1], v[56:57]
	v_min_f32_e32 v13, v46, v3
	v_min_f32_e32 v12, v45, v2
	v_pk_add_f32 v[12:13], v[12:13], v[0:1]
	v_mad_i64_i32 v[0:1], s[4:5], v9, s13, 0
	v_lshl_add_u64 v[0:1], v[0:1], 2, s[2:3]
	v_add_f32_e32 v9, v12, v13
	v_add_f32_e32 v9, v9, v10
	v_lshl_add_u64 v[10:11], v[98:99], 2, v[0:1]
	s_and_b64 vcc, exec, s[0:1]
	global_store_dword v[10:11], v9, off
	s_cbranch_vccnz .LBB39_83
; %bb.82:
	v_lshl_add_u64 v[8:9], v[40:41], 2, v[4:5]
	flat_load_dword v8, v[8:9]
	s_waitcnt vmcnt(0) lgkmcnt(0)
	v_mul_f32_e32 v8, s26, v8
.LBB39_83:
	v_min_f32_e32 v11, v104, v6
	v_min_f32_e32 v10, v47, v7
	v_pk_add_f32 v[10:11], v[10:11], v[50:51]
	v_min_f32_e32 v13, v39, v3
	v_min_f32_e32 v12, v38, v2
	v_pk_add_f32 v[10:11], v[12:13], v[10:11]
	s_and_b64 vcc, exec, s[0:1]
	v_add_f32_e32 v9, v10, v11
	v_add_f32_e32 v10, v9, v8
	v_lshl_add_u64 v[8:9], v[40:41], 2, v[0:1]
	global_store_dword v[8:9], v10, off
	v_mov_b32_e32 v8, 0
	v_mov_b32_e32 v9, 0
	s_cbranch_vccnz .LBB39_85
; %bb.84:
	v_lshl_add_u64 v[10:11], v[36:37], 2, v[4:5]
	flat_load_dword v9, v[10:11]
	s_waitcnt vmcnt(0) lgkmcnt(0)
	v_mul_f32_e32 v9, s26, v9
.LBB39_85:
	v_min_f32_e32 v11, v106, v6
	v_min_f32_e32 v10, v105, v7
	v_pk_add_f32 v[10:11], v[10:11], v[52:53]
	v_min_f32_e32 v13, v35, v3
	v_min_f32_e32 v12, v34, v2
	v_pk_add_f32 v[10:11], v[12:13], v[10:11]
	s_and_b64 vcc, exec, s[0:1]
	v_add_f32_e32 v10, v10, v11
	v_add_f32_e32 v9, v10, v9
	v_lshl_add_u64 v[10:11], v[36:37], 2, v[0:1]
	global_store_dword v[10:11], v9, off
	s_cbranch_vccnz .LBB39_87
; %bb.86:
	v_lshl_add_u64 v[8:9], v[32:33], 2, v[4:5]
	flat_load_dword v8, v[8:9]
	s_waitcnt vmcnt(0) lgkmcnt(0)
	v_mul_f32_e32 v8, s26, v8
.LBB39_87:
	v_min_f32_e32 v11, v108, v6
	v_min_f32_e32 v10, v107, v7
	v_pk_add_f32 v[10:11], v[10:11], v[54:55]
	v_min_f32_e32 v13, v31, v3
	v_min_f32_e32 v12, v30, v2
	v_pk_add_f32 v[10:11], v[12:13], v[10:11]
	s_and_b64 vcc, exec, s[0:1]
	v_add_f32_e32 v9, v10, v11
	v_add_f32_e32 v10, v9, v8
	v_lshl_add_u64 v[8:9], v[32:33], 2, v[0:1]
	global_store_dword v[8:9], v10, off
	v_mov_b32_e32 v8, 0
	v_mov_b32_e32 v9, 0
	s_cbranch_vccnz .LBB39_89
; %bb.88:
	v_lshl_add_u64 v[10:11], v[28:29], 2, v[4:5]
	flat_load_dword v9, v[10:11]
	s_waitcnt vmcnt(0) lgkmcnt(0)
	v_mul_f32_e32 v9, s26, v9
.LBB39_89:
	v_min_f32_e32 v11, v116, v6
	v_min_f32_e32 v10, v109, v7
	v_pk_add_f32 v[10:11], v[10:11], v[58:59]
	v_min_f32_e32 v13, v27, v3
	v_min_f32_e32 v12, v26, v2
	v_pk_add_f32 v[10:11], v[12:13], v[10:11]
	s_and_b64 vcc, exec, s[0:1]
	v_add_f32_e32 v10, v10, v11
	v_add_f32_e32 v9, v10, v9
	v_lshl_add_u64 v[10:11], v[28:29], 2, v[0:1]
	global_store_dword v[10:11], v9, off
	s_cbranch_vccnz .LBB39_91
; %bb.90:
	v_lshl_add_u64 v[8:9], v[24:25], 2, v[4:5]
	flat_load_dword v8, v[8:9]
	s_waitcnt vmcnt(0) lgkmcnt(0)
	v_mul_f32_e32 v8, s26, v8
.LBB39_91:
	v_min_f32_e32 v11, v115, v6
	v_min_f32_e32 v10, v114, v7
	v_pk_add_f32 v[10:11], v[10:11], v[62:63]
	v_min_f32_e32 v13, v23, v3
	v_min_f32_e32 v12, v22, v2
	v_pk_add_f32 v[10:11], v[12:13], v[10:11]
	v_min_f32_e32 v13, v111, v3
	v_add_f32_e32 v9, v10, v11
	v_min_f32_e32 v11, v113, v6
	v_min_f32_e32 v10, v112, v7
	v_pk_add_f32 v[10:11], v[10:11], v[64:65]
	v_min_f32_e32 v12, v110, v2
	v_pk_add_f32 v[10:11], v[12:13], v[10:11]
	v_add_f32_e32 v12, v9, v8
	v_lshl_add_u64 v[8:9], v[24:25], 2, v[0:1]
	global_store_dword v[8:9], v12, off
	v_add_f32_e32 v8, v10, v11
	s_mov_b64 vcc, s[6:7]
	s_cbranch_vccz .LBB39_94
; %bb.92:
	v_add_f32_e32 v9, 0, v8
	v_lshl_add_u64 v[10:11], v[20:21], 2, v[0:1]
	s_mov_b32 s2, 0
	global_store_dword v[10:11], v9, off
	s_cbranch_execz .LBB39_95
; %bb.93:
	v_mov_b32_e32 v4, s2
	s_branch .LBB39_96
.LBB39_94:
                                        ; implicit-def: $sgpr2
.LBB39_95:
	v_lshlrev_b64 v[10:11], 2, v[20:21]
	v_lshl_add_u64 v[12:13], v[4:5], 0, v[10:11]
	flat_load_dword v9, v[12:13]
	v_lshl_add_u64 v[10:11], v[0:1], 0, v[10:11]
	v_lshl_add_u64 v[4:5], v[16:17], 2, v[4:5]
	s_waitcnt vmcnt(0) lgkmcnt(0)
	v_fmac_f32_e32 v8, s26, v9
	global_store_dword v[10:11], v8, off
	flat_load_dword v4, v[4:5]
	s_waitcnt vmcnt(0) lgkmcnt(0)
	v_mul_f32_e32 v4, s26, v4
.LBB39_96:
	v_min_f32_e32 v9, v18, v6
	v_min_f32_e32 v8, v19, v7
	v_min_f32_e32 v3, v15, v3
	v_min_f32_e32 v2, v14, v2
	v_pk_add_f32 v[6:7], v[8:9], v[48:49]
	v_lshl_add_u64 v[0:1], v[16:17], 2, v[0:1]
	v_pk_add_f32 v[2:3], v[2:3], v[6:7]
	s_nop 0
	v_add_f32_e32 v2, v2, v3
	v_add_f32_e32 v2, v2, v4
	global_store_dword v[0:1], v2, off
	s_endpgm
	.section	.rodata,"a",@progbits
	.p2align	6, 0x0
	.amdhsa_kernel _ZN12_GLOBAL__N_120geam_min_plus_kernelIf15HIP_vector_typeIfLj2EES2_Li8ELi32ELi64ELi128ELi4ELi64ELi4ELi64ELi4ELc78ELc84ELb0ELb0ELb0EPKfKS4_KPfEEviiiT16_PT17_ilSA_ilS8_SA_ilPT18_ili26rocblas_geam_ex_operation_
		.amdhsa_group_segment_fixed_size 6144
		.amdhsa_private_segment_fixed_size 0
		.amdhsa_kernarg_size 136
		.amdhsa_user_sgpr_count 2
		.amdhsa_user_sgpr_dispatch_ptr 0
		.amdhsa_user_sgpr_queue_ptr 0
		.amdhsa_user_sgpr_kernarg_segment_ptr 1
		.amdhsa_user_sgpr_dispatch_id 0
		.amdhsa_user_sgpr_kernarg_preload_length 0
		.amdhsa_user_sgpr_kernarg_preload_offset 0
		.amdhsa_user_sgpr_private_segment_size 0
		.amdhsa_uses_dynamic_stack 0
		.amdhsa_enable_private_segment 0
		.amdhsa_system_sgpr_workgroup_id_x 1
		.amdhsa_system_sgpr_workgroup_id_y 0
		.amdhsa_system_sgpr_workgroup_id_z 1
		.amdhsa_system_sgpr_workgroup_info 0
		.amdhsa_system_vgpr_workitem_id 1
		.amdhsa_next_free_vgpr 223
		.amdhsa_next_free_sgpr 28
		.amdhsa_accum_offset 224
		.amdhsa_reserve_vcc 1
		.amdhsa_float_round_mode_32 0
		.amdhsa_float_round_mode_16_64 0
		.amdhsa_float_denorm_mode_32 3
		.amdhsa_float_denorm_mode_16_64 3
		.amdhsa_dx10_clamp 1
		.amdhsa_ieee_mode 1
		.amdhsa_fp16_overflow 0
		.amdhsa_tg_split 0
		.amdhsa_exception_fp_ieee_invalid_op 0
		.amdhsa_exception_fp_denorm_src 0
		.amdhsa_exception_fp_ieee_div_zero 0
		.amdhsa_exception_fp_ieee_overflow 0
		.amdhsa_exception_fp_ieee_underflow 0
		.amdhsa_exception_fp_ieee_inexact 0
		.amdhsa_exception_int_div_zero 0
	.end_amdhsa_kernel
	.section	.text._ZN12_GLOBAL__N_120geam_min_plus_kernelIf15HIP_vector_typeIfLj2EES2_Li8ELi32ELi64ELi128ELi4ELi64ELi4ELi64ELi4ELc78ELc84ELb0ELb0ELb0EPKfKS4_KPfEEviiiT16_PT17_ilSA_ilS8_SA_ilPT18_ili26rocblas_geam_ex_operation_,"axG",@progbits,_ZN12_GLOBAL__N_120geam_min_plus_kernelIf15HIP_vector_typeIfLj2EES2_Li8ELi32ELi64ELi128ELi4ELi64ELi4ELi64ELi4ELc78ELc84ELb0ELb0ELb0EPKfKS4_KPfEEviiiT16_PT17_ilSA_ilS8_SA_ilPT18_ili26rocblas_geam_ex_operation_,comdat
.Lfunc_end39:
	.size	_ZN12_GLOBAL__N_120geam_min_plus_kernelIf15HIP_vector_typeIfLj2EES2_Li8ELi32ELi64ELi128ELi4ELi64ELi4ELi64ELi4ELc78ELc84ELb0ELb0ELb0EPKfKS4_KPfEEviiiT16_PT17_ilSA_ilS8_SA_ilPT18_ili26rocblas_geam_ex_operation_, .Lfunc_end39-_ZN12_GLOBAL__N_120geam_min_plus_kernelIf15HIP_vector_typeIfLj2EES2_Li8ELi32ELi64ELi128ELi4ELi64ELi4ELi64ELi4ELc78ELc84ELb0ELb0ELb0EPKfKS4_KPfEEviiiT16_PT17_ilSA_ilS8_SA_ilPT18_ili26rocblas_geam_ex_operation_
                                        ; -- End function
	.section	.AMDGPU.csdata,"",@progbits
; Kernel info:
; codeLenInByte = 8924
; NumSgprs: 34
; NumVgprs: 223
; NumAgprs: 0
; TotalNumVgprs: 223
; ScratchSize: 0
; MemoryBound: 0
; FloatMode: 240
; IeeeMode: 1
; LDSByteSize: 6144 bytes/workgroup (compile time only)
; SGPRBlocks: 4
; VGPRBlocks: 27
; NumSGPRsForWavesPerEU: 34
; NumVGPRsForWavesPerEU: 223
; AccumOffset: 224
; Occupancy: 2
; WaveLimiterHint : 1
; COMPUTE_PGM_RSRC2:SCRATCH_EN: 0
; COMPUTE_PGM_RSRC2:USER_SGPR: 2
; COMPUTE_PGM_RSRC2:TRAP_HANDLER: 0
; COMPUTE_PGM_RSRC2:TGID_X_EN: 1
; COMPUTE_PGM_RSRC2:TGID_Y_EN: 0
; COMPUTE_PGM_RSRC2:TGID_Z_EN: 1
; COMPUTE_PGM_RSRC2:TIDIG_COMP_CNT: 1
; COMPUTE_PGM_RSRC3_GFX90A:ACCUM_OFFSET: 55
; COMPUTE_PGM_RSRC3_GFX90A:TG_SPLIT: 0
	.section	.text._ZN12_GLOBAL__N_120geam_min_plus_kernelIf15HIP_vector_typeIfLj2EES2_Li8ELi32ELi64ELi128ELi4ELi64ELi4ELi64ELi4ELc78ELc84ELb1ELb0ELb0EfKPKfKPfEEviiiT16_PT17_ilSA_ilS8_SA_ilPT18_ili26rocblas_geam_ex_operation_,"axG",@progbits,_ZN12_GLOBAL__N_120geam_min_plus_kernelIf15HIP_vector_typeIfLj2EES2_Li8ELi32ELi64ELi128ELi4ELi64ELi4ELi64ELi4ELc78ELc84ELb1ELb0ELb0EfKPKfKPfEEviiiT16_PT17_ilSA_ilS8_SA_ilPT18_ili26rocblas_geam_ex_operation_,comdat
	.globl	_ZN12_GLOBAL__N_120geam_min_plus_kernelIf15HIP_vector_typeIfLj2EES2_Li8ELi32ELi64ELi128ELi4ELi64ELi4ELi64ELi4ELc78ELc84ELb1ELb0ELb0EfKPKfKPfEEviiiT16_PT17_ilSA_ilS8_SA_ilPT18_ili26rocblas_geam_ex_operation_ ; -- Begin function _ZN12_GLOBAL__N_120geam_min_plus_kernelIf15HIP_vector_typeIfLj2EES2_Li8ELi32ELi64ELi128ELi4ELi64ELi4ELi64ELi4ELc78ELc84ELb1ELb0ELb0EfKPKfKPfEEviiiT16_PT17_ilSA_ilS8_SA_ilPT18_ili26rocblas_geam_ex_operation_
	.p2align	8
	.type	_ZN12_GLOBAL__N_120geam_min_plus_kernelIf15HIP_vector_typeIfLj2EES2_Li8ELi32ELi64ELi128ELi4ELi64ELi4ELi64ELi4ELc78ELc84ELb1ELb0ELb0EfKPKfKPfEEviiiT16_PT17_ilSA_ilS8_SA_ilPT18_ili26rocblas_geam_ex_operation_,@function
_ZN12_GLOBAL__N_120geam_min_plus_kernelIf15HIP_vector_typeIfLj2EES2_Li8ELi32ELi64ELi128ELi4ELi64ELi4ELi64ELi4ELc78ELc84ELb1ELb0ELb0EfKPKfKPfEEviiiT16_PT17_ilSA_ilS8_SA_ilPT18_ili26rocblas_geam_ex_operation_: ; @_ZN12_GLOBAL__N_120geam_min_plus_kernelIf15HIP_vector_typeIfLj2EES2_Li8ELi32ELi64ELi128ELi4ELi64ELi4ELi64ELi4ELc78ELc84ELb1ELb0ELb0EfKPKfKPfEEviiiT16_PT17_ilSA_ilS8_SA_ilPT18_ili26rocblas_geam_ex_operation_
; %bb.0:
	s_load_dwordx2 s[12:13], s[0:1], 0x8
	s_load_dwordx4 s[4:7], s[0:1], 0x20
	s_mov_b32 s18, s3
	s_mov_b32 s19, 0
	s_waitcnt lgkmcnt(0)
	v_cmp_eq_f32_e64 s[8:9], s13, 0
	s_and_b64 vcc, exec, s[8:9]
	s_cbranch_vccnz .LBB40_3
; %bb.1:
	s_load_dwordx2 s[10:11], s[0:1], 0x10
	s_lshl_b64 s[14:15], s[18:19], 3
	s_waitcnt lgkmcnt(0)
	s_add_u32 s10, s10, s14
	s_addc_u32 s11, s11, s15
	s_load_dwordx2 s[10:11], s[10:11], 0x0
	s_lshl_b64 s[4:5], s[4:5], 2
	s_waitcnt lgkmcnt(0)
	s_add_u32 s14, s10, s4
	s_addc_u32 s15, s11, s5
	s_andn2_b64 vcc, exec, s[8:9]
	s_cbranch_vccnz .LBB40_4
.LBB40_2:
	s_mov_b64 s[16:17], 0
	s_cbranch_execz .LBB40_5
	s_branch .LBB40_6
.LBB40_3:
	s_mov_b64 s[14:15], 0
	s_andn2_b64 vcc, exec, s[8:9]
	s_cbranch_vccz .LBB40_2
.LBB40_4:
                                        ; implicit-def: $sgpr16_sgpr17
.LBB40_5:
	s_lshl_b64 s[8:9], s[18:19], 3
	s_add_u32 s6, s6, s8
	s_load_dwordx2 s[4:5], s[0:1], 0x38
	s_addc_u32 s7, s7, s9
	s_load_dwordx2 s[6:7], s[6:7], 0x0
	s_waitcnt lgkmcnt(0)
	s_lshl_b64 s[4:5], s[4:5], 2
	s_add_u32 s16, s6, s4
	s_addc_u32 s17, s7, s5
.LBB40_6:
	s_load_dword s13, s[0:1], 0x40
	s_load_dwordx4 s[8:11], s[0:1], 0x58
	s_waitcnt lgkmcnt(0)
	v_cmp_eq_f32_e64 s[4:5], s13, 0
	s_and_b64 s[4:5], exec, s[4:5]
	s_mov_b64 vcc, s[4:5]
	s_cbranch_vccnz .LBB40_8
; %bb.7:
	s_load_dwordx2 s[6:7], s[0:1], 0x48
	s_lshl_b64 s[20:21], s[18:19], 3
	s_waitcnt lgkmcnt(0)
	s_add_u32 s6, s6, s20
	s_addc_u32 s7, s7, s21
	s_load_dwordx2 s[6:7], s[6:7], 0x0
	s_lshl_b64 s[8:9], s[8:9], 2
	s_waitcnt lgkmcnt(0)
	s_add_u32 s6, s6, s8
	s_addc_u32 s7, s7, s9
	s_branch .LBB40_9
.LBB40_8:
	s_mov_b64 s[6:7], 0
.LBB40_9:
	s_load_dword s3, s[0:1], 0x0
	s_lshl_b64 s[8:9], s[18:19], 3
	s_add_u32 s8, s10, s8
	s_addc_u32 s9, s11, s9
	s_load_dword s20, s[0:1], 0x18
	s_load_dword s18, s[0:1], 0x30
	s_waitcnt lgkmcnt(0)
	s_add_i32 s3, s3, -1
	s_ashr_i32 s10, s3, 31
	s_lshr_b32 s10, s10, 26
	s_add_i32 s3, s3, s10
	s_ashr_i32 s3, s3, 6
	s_add_i32 s10, s3, 1
	v_cvt_f32_u32_e32 v1, s10
	s_not_b32 s3, s3
	v_and_b32_e32 v132, 0x3ff, v0
	v_bfe_u32 v133, v0, 10, 10
	v_rcp_iflag_f32_e32 v1, v1
	v_lshl_add_u32 v0, v133, 3, v132
	v_and_b32_e32 v8, 63, v0
	v_lshrrev_b32_e32 v32, 6, v0
	v_mul_f32_e32 v1, 0x4f7ffffe, v1
	v_cvt_u32_f32_e32 v1, v1
	v_lshlrev_b32_e32 v135, 4, v133
	v_lshlrev_b32_e32 v134, 4, v132
	v_readfirstlane_b32 s11, v1
	s_mul_i32 s3, s3, s11
	s_mul_hi_u32 s3, s11, s3
	s_add_i32 s11, s11, s3
	s_mul_hi_u32 s3, s2, s11
	s_mul_i32 s11, s3, s10
	s_sub_i32 s11, s2, s11
	s_add_i32 s19, s3, 1
	s_sub_i32 s21, s11, s10
	s_cmp_ge_u32 s11, s10
	s_cselect_b32 s3, s19, s3
	s_cselect_b32 s11, s21, s11
	s_add_i32 s19, s3, 1
	s_cmp_ge_u32 s11, s10
	s_cselect_b32 s3, s19, s3
	s_mul_i32 s10, s3, s10
	s_sub_i32 s2, s2, s10
	s_lshl_b32 s23, s3, 7
	s_lshl_b32 s22, s2, 6
	v_or_b32_e32 v30, s23, v8
	v_or_b32_e32 v28, s22, v8
	v_mad_i64_i32 v[4:5], s[2:3], s18, v32, 0
	v_ashrrev_i32_e32 v31, 31, v30
	v_mad_i64_i32 v[0:1], s[2:3], s20, v32, 0
	v_ashrrev_i32_e32 v29, 31, v28
	v_lshl_add_u64 v[4:5], v[4:5], 2, s[16:17]
	v_lshlrev_b64 v[6:7], 2, v[30:31]
	v_lshl_add_u64 v[0:1], v[0:1], 2, s[14:15]
	v_lshlrev_b64 v[2:3], 2, v[28:29]
	v_lshl_add_u64 v[4:5], v[4:5], 0, v[6:7]
	v_lshl_add_u64 v[0:1], v[0:1], 0, v[2:3]
	flat_load_dword v9, v[4:5]
	flat_load_dword v10, v[4:5] offset:256
	flat_load_dword v11, v[0:1]
	v_add_u32_e32 v4, 4, v32
	v_lshlrev_b32_e32 v0, 2, v32
	s_load_dwordx2 s[2:3], s[8:9], 0x0
	v_lshl_add_u32 v136, v8, 4, v0
	v_mad_i64_i32 v[0:1], s[8:9], s20, v4, 0
	v_mad_i64_i32 v[4:5], s[8:9], s18, v4, 0
	v_lshl_add_u64 v[4:5], v[4:5], 2, s[16:17]
	v_lshl_add_u64 v[0:1], v[0:1], 2, s[14:15]
	;; [unrolled: 1-line block ×3, first 2 shown]
	flat_load_dword v33, v[4:5]
	flat_load_dword v34, v[4:5] offset:256
	v_lshl_add_u64 v[0:1], v[0:1], 0, v[2:3]
	flat_load_dword v35, v[0:1]
	s_cmp_lt_i32 s12, 9
	s_waitcnt vmcnt(0) lgkmcnt(0)
	ds_write2st64_b32 v136, v9, v10 offset1:4
	ds_write_b32 v136, v11 offset:4096
	s_waitcnt lgkmcnt(0)
	s_barrier
	ds_read_b128 v[4:7], v135
	ds_read_b128 v[8:11], v135 offset:512
	ds_read_b128 v[0:3], v135 offset:1536
	;; [unrolled: 1-line block ×11, first 2 shown]
	s_waitcnt lgkmcnt(11)
	v_max_f32_e32 v56, v5, v5
	s_waitcnt lgkmcnt(3)
	v_max_f32_e32 v57, v41, v41
	v_max_f32_e32 v58, v4, v4
	;; [unrolled: 1-line block ×13, first 2 shown]
	s_waitcnt lgkmcnt(1)
	v_max_f32_e32 v48, v48, v48
	v_max_f32_e32 v49, v49, v49
	;; [unrolled: 1-line block ×4, first 2 shown]
	s_waitcnt lgkmcnt(0)
	v_max_f32_e32 v50, v52, v52
	v_max_f32_e32 v51, v53, v53
	;; [unrolled: 1-line block ×24, first 2 shown]
	v_min_f32_e32 v16, v24, v58
	v_min_f32_e32 v17, v25, v56
	;; [unrolled: 1-line block ×34, first 2 shown]
	v_max_f32_e32 v122, v11, v11
	v_max_f32_e32 v123, v10, v10
	v_max_f32_e32 v113, v55, v55
	v_min_f32_e32 v1, v7, v56
	v_min_f32_e32 v9, v15, v56
	;; [unrolled: 1-line block ×7, first 2 shown]
	v_pk_add_f32 v[50:51], v[50:51], 0 op_sel_hi:[1,0]
	v_min_f32_e32 v57, v120, v110
	v_min_f32_e32 v56, v121, v111
	v_max_f32_e32 v112, v54, v54
	v_min_f32_e32 v54, v59, v65
	v_pk_add_f32 v[82:83], v[56:57], v[50:51]
	v_pk_add_f32 v[50:51], v[52:53], 0 op_sel_hi:[1,0]
	v_min_f32_e32 v53, v120, v122
	v_min_f32_e32 v52, v121, v123
	;; [unrolled: 1-line block ×10, first 2 shown]
	v_pk_add_f32 v[68:69], v[52:53], v[50:51]
	v_pk_add_f32 v[50:51], v[54:55], 0 op_sel_hi:[1,0]
	v_min_f32_e32 v53, v120, v124
	v_min_f32_e32 v52, v121, v125
	v_max_f32_e32 v126, v3, v3
	v_max_f32_e32 v127, v2, v2
	v_min_f32_e32 v2, v6, v61
	v_min_f32_e32 v3, v7, v60
	v_pk_add_f32 v[52:53], v[52:53], v[50:51]
	v_pk_add_f32 v[0:1], v[0:1], 0 op_sel_hi:[1,0]
	v_min_f32_e32 v50, v70, v111
	v_min_f32_e32 v51, v71, v110
	v_min_f32_e32 v4, v6, v65
	v_min_f32_e32 v5, v7, v64
	v_pk_add_f32 v[94:95], v[50:51], v[0:1]
	v_pk_add_f32 v[0:1], v[2:3], 0 op_sel_hi:[1,0]
	v_min_f32_e32 v2, v70, v123
	v_min_f32_e32 v3, v71, v122
	;; [unrolled: 6-line block ×3, first 2 shown]
	v_min_f32_e32 v8, v14, v58
	v_min_f32_e32 v10, v14, v61
	v_min_f32_e32 v11, v15, v60
	v_min_f32_e32 v12, v14, v65
	v_min_f32_e32 v13, v15, v64
	v_min_f32_e32 v15, v15, v66
	v_min_f32_e32 v14, v14, v67
	v_min_f32_e32 v118, v59, v67
	v_pk_add_f32 v[66:67], v[2:3], v[0:1]
	v_min_f32_e32 v1, v71, v126
	v_min_f32_e32 v0, v70, v127
	v_pk_add_f32 v[2:3], v[6:7], 0 op_sel_hi:[1,0]
	ds_write2st64_b32 v136, v33, v34 offset0:8 offset1:12
	ds_write_b32 v136, v35 offset:5120
	v_pk_add_f32 v[56:57], v[0:1], v[2:3]
	v_pk_add_f32 v[0:1], v[8:9], 0 op_sel_hi:[1,0]
	v_min_f32_e32 v2, v72, v111
	v_min_f32_e32 v3, v73, v110
	v_pk_add_f32 v[92:93], v[2:3], v[0:1]
	v_pk_add_f32 v[0:1], v[10:11], 0 op_sel_hi:[1,0]
	v_min_f32_e32 v2, v72, v123
	v_min_f32_e32 v3, v73, v122
	;; [unrolled: 4-line block ×3, first 2 shown]
	v_pk_add_f32 v[64:65], v[2:3], v[0:1]
	v_min_f32_e32 v1, v73, v126
	v_min_f32_e32 v0, v72, v127
	v_pk_add_f32 v[2:3], v[14:15], 0 op_sel_hi:[1,0]
	s_waitcnt lgkmcnt(0)
	v_pk_add_f32 v[50:51], v[0:1], v[2:3]
	v_pk_add_f32 v[0:1], v[16:17], 0 op_sel_hi:[1,0]
	v_min_f32_e32 v2, v74, v111
	v_min_f32_e32 v3, v75, v110
	v_pk_add_f32 v[96:97], v[2:3], v[0:1]
	v_pk_add_f32 v[0:1], v[18:19], 0 op_sel_hi:[1,0]
	v_min_f32_e32 v2, v74, v123
	v_min_f32_e32 v3, v75, v122
	;; [unrolled: 4-line block ×3, first 2 shown]
	v_pk_add_f32 v[70:71], v[2:3], v[0:1]
	v_min_f32_e32 v1, v75, v126
	v_min_f32_e32 v0, v74, v127
	v_pk_add_f32 v[2:3], v[22:23], 0 op_sel_hi:[1,0]
	s_barrier
	v_pk_add_f32 v[54:55], v[0:1], v[2:3]
	v_pk_add_f32 v[0:1], v[24:25], 0 op_sel_hi:[1,0]
	v_min_f32_e32 v2, v88, v111
	v_min_f32_e32 v3, v89, v110
	v_pk_add_f32 v[98:99], v[2:3], v[0:1]
	v_pk_add_f32 v[0:1], v[26:27], 0 op_sel_hi:[1,0]
	v_min_f32_e32 v2, v88, v123
	v_min_f32_e32 v3, v89, v122
	v_pk_add_f32 v[86:87], v[2:3], v[0:1]
	v_pk_add_f32 v[0:1], v[36:37], 0 op_sel_hi:[1,0]
	v_min_f32_e32 v2, v88, v125
	v_min_f32_e32 v3, v89, v124
	v_pk_add_f32 v[72:73], v[2:3], v[0:1]
	v_min_f32_e32 v1, v89, v126
	v_min_f32_e32 v0, v88, v127
	v_pk_add_f32 v[2:3], v[38:39], 0 op_sel_hi:[1,0]
	s_nop 0
	v_pk_add_f32 v[58:59], v[0:1], v[2:3]
	v_pk_add_f32 v[0:1], v[40:41], 0 op_sel_hi:[1,0]
	v_min_f32_e32 v2, v90, v111
	v_min_f32_e32 v3, v91, v110
	v_pk_add_f32 v[100:101], v[2:3], v[0:1]
	v_pk_add_f32 v[0:1], v[42:43], 0 op_sel_hi:[1,0]
	v_min_f32_e32 v2, v90, v123
	v_min_f32_e32 v3, v91, v122
	v_pk_add_f32 v[88:89], v[2:3], v[0:1]
	v_pk_add_f32 v[0:1], v[44:45], 0 op_sel_hi:[1,0]
	v_min_f32_e32 v2, v90, v125
	v_min_f32_e32 v3, v91, v124
	v_pk_add_f32 v[74:75], v[2:3], v[0:1]
	v_min_f32_e32 v1, v91, v126
	v_min_f32_e32 v0, v90, v127
	v_pk_add_f32 v[2:3], v[46:47], 0 op_sel_hi:[1,0]
	s_nop 0
	;; [unrolled: 17-line block ×3, first 2 shown]
	v_pk_add_f32 v[62:63], v[0:1], v[2:3]
	v_min_f32_e32 v0, v128, v111
	v_min_f32_e32 v1, v129, v110
	v_pk_add_f32 v[2:3], v[106:107], 0 op_sel_hi:[1,0]
	s_nop 0
	v_pk_add_f32 v[112:113], v[0:1], v[2:3]
	v_min_f32_e32 v0, v128, v123
	v_min_f32_e32 v1, v129, v122
	v_pk_add_f32 v[2:3], v[108:109], 0 op_sel_hi:[1,0]
	s_nop 0
	;; [unrolled: 5-line block ×5, first 2 shown]
	v_pk_add_f32 v[104:105], v[0:1], v[2:3]
	s_cbranch_scc1 .LBB40_12
; %bb.10:
	v_mov_b32_e32 v0, 0x1400
	v_lshl_add_u32 v141, v132, 4, v0
	v_mov_b32_e32 v0, 0x800
	v_add_u32_e32 v2, 8, v32
	v_lshl_add_u32 v142, v133, 4, v0
	v_mad_i64_i32 v[0:1], s[8:9], v2, s18, 0
	v_add_u32_e32 v3, 12, v32
	v_lshlrev_b64 v[42:43], 2, v[0:1]
	v_mad_i64_i32 v[0:1], s[10:11], v3, s20, 0
	v_lshl_add_u64 v[38:39], v[28:29], 2, s[14:15]
	v_lshlrev_b64 v[44:45], 2, v[0:1]
	v_mad_i64_i32 v[0:1], s[14:15], v2, s20, 0
	s_ashr_i32 s21, s20, 31
	s_ashr_i32 s19, s18, 31
	v_lshlrev_b64 v[46:47], 2, v[0:1]
	v_mad_i64_i32 v[0:1], s[14:15], v3, s18, 0
	v_or_b32_e32 v137, 0x1000, v136
	v_add_u32_e32 v138, 0x1000, v134
	v_add_u32_e32 v139, 0x1400, v136
	v_or_b32_e32 v140, 0x800, v136
	s_add_i32 s12, s12, -8
	v_lshl_add_u64 v[40:41], v[30:31], 2, s[16:17]
	s_lshl_b64 s[8:9], s[18:19], 5
	s_lshl_b64 s[10:11], s[20:21], 5
	v_lshlrev_b64 v[48:49], 2, v[0:1]
	s_mov_b32 s14, 0
.LBB40_11:                              ; =>This Inner Loop Header: Depth=1
	v_lshl_add_u64 v[0:1], v[38:39], 0, v[46:47]
	flat_load_dword v145, v[0:1]
	v_lshl_add_u64 v[0:1], v[40:41], 0, v[42:43]
	flat_load_dword v143, v[0:1]
	flat_load_dword v144, v[0:1] offset:256
	ds_read_b128 v[16:19], v141 offset:896
	ds_read_b128 v[8:11], v142 offset:1536
	ds_read_b128 v[22:25], v142
	ds_read_b128 v[30:33], v141
	ds_read_b128 v[34:37], v141 offset:128
	ds_read_b128 v[26:29], v142 offset:1024
	s_waitcnt lgkmcnt(0)
	v_max_f32_e32 v147, v17, v17
	v_max_f32_e32 v146, v23, v23
	;; [unrolled: 1-line block ×3, first 2 shown]
	ds_read_b128 v[20:23], v142 offset:512
	v_max_f32_e32 v149, v16, v16
	v_min_f32_e32 v1, v147, v146
	v_min_f32_e32 v0, v149, v148
	v_pk_add_f32 v[114:115], v[0:1], v[82:83]
	s_waitcnt lgkmcnt(0)
	v_max_f32_e32 v150, v21, v21
	v_max_f32_e32 v151, v20, v20
	v_min_f32_e32 v1, v147, v150
	v_min_f32_e32 v0, v149, v151
	v_max_f32_e32 v152, v27, v27
	v_max_f32_e32 v153, v26, v26
	v_pk_add_f32 v[116:117], v[0:1], v[68:69]
	v_min_f32_e32 v1, v147, v152
	v_min_f32_e32 v0, v149, v153
	v_max_f32_e32 v2, v30, v30
	v_max_f32_e32 v3, v31, v31
	v_pk_add_f32 v[118:119], v[0:1], v[52:53]
	v_min_f32_e32 v0, v2, v148
	v_min_f32_e32 v1, v3, v146
	v_pk_add_f32 v[120:121], v[0:1], v[94:95]
	v_min_f32_e32 v0, v2, v151
	v_min_f32_e32 v1, v3, v150
	;; [unrolled: 3-line block ×3, first 2 shown]
	v_max_f32_e32 v52, v9, v9
	v_max_f32_e32 v154, v8, v8
	ds_read_b128 v[14:17], v141 offset:256
	ds_read_b128 v[6:9], v141 offset:512
	v_pk_add_f32 v[124:125], v[0:1], v[66:67]
	v_min_f32_e32 v1, v3, v52
	v_min_f32_e32 v0, v2, v154
	v_max_f32_e32 v2, v34, v34
	v_max_f32_e32 v3, v35, v35
	v_pk_add_f32 v[94:95], v[0:1], v[56:57]
	v_min_f32_e32 v0, v2, v148
	v_min_f32_e32 v1, v3, v146
	v_pk_add_f32 v[92:93], v[0:1], v[92:93]
	v_min_f32_e32 v0, v2, v151
	v_min_f32_e32 v1, v3, v150
	;; [unrolled: 3-line block ×4, first 2 shown]
	s_waitcnt lgkmcnt(0)
	v_max_f32_e32 v2, v14, v14
	v_max_f32_e32 v3, v15, v15
	ds_read_b128 v[12:15], v141 offset:384
	v_pk_add_f32 v[130:131], v[0:1], v[50:51]
	v_min_f32_e32 v0, v2, v148
	v_min_f32_e32 v1, v3, v146
	v_pk_add_f32 v[78:79], v[0:1], v[96:97]
	v_min_f32_e32 v0, v2, v151
	v_min_f32_e32 v1, v3, v150
	;; [unrolled: 3-line block ×4, first 2 shown]
	s_waitcnt lgkmcnt(0)
	v_max_f32_e32 v2, v12, v12
	v_max_f32_e32 v3, v13, v13
	v_pk_add_f32 v[84:85], v[0:1], v[54:55]
	v_min_f32_e32 v0, v2, v148
	v_min_f32_e32 v1, v3, v146
	v_pk_add_f32 v[64:65], v[0:1], v[98:99]
	v_min_f32_e32 v0, v2, v151
	v_min_f32_e32 v1, v3, v150
	;; [unrolled: 3-line block ×4, first 2 shown]
	v_max_f32_e32 v2, v6, v6
	v_max_f32_e32 v3, v7, v7
	v_pk_add_f32 v[70:71], v[0:1], v[58:59]
	v_min_f32_e32 v0, v2, v148
	v_min_f32_e32 v1, v3, v146
	v_pk_add_f32 v[54:55], v[0:1], v[100:101]
	v_min_f32_e32 v0, v2, v151
	v_min_f32_e32 v1, v3, v150
	;; [unrolled: 3-line block ×4, first 2 shown]
	v_pk_add_f32 v[60:61], v[0:1], v[60:61]
	ds_read_b128 v[0:3], v141 offset:640
	v_min_f32_e32 v53, v147, v52
	v_max_f32_e32 v96, v19, v19
	v_max_f32_e32 v97, v18, v18
	;; [unrolled: 1-line block ×3, first 2 shown]
	s_waitcnt lgkmcnt(0)
	v_max_f32_e32 v6, v0, v0
	v_max_f32_e32 v7, v1, v1
	v_min_f32_e32 v4, v6, v151
	v_min_f32_e32 v5, v7, v150
	v_pk_add_f32 v[12:13], v[4:5], v[90:91]
	v_min_f32_e32 v4, v6, v153
	v_min_f32_e32 v5, v7, v152
	v_pk_add_f32 v[20:21], v[4:5], v[76:77]
	v_min_f32_e32 v5, v7, v52
	v_min_f32_e32 v4, v6, v154
	;; [unrolled: 1-line block ×4, first 2 shown]
	v_pk_add_f32 v[26:27], v[4:5], v[62:63]
	ds_read_b128 v[4:7], v141 offset:768
	v_min_f32_e32 v22, v97, v147
	v_max_f32_e32 v29, v29, v29
	v_max_f32_e32 v28, v28, v28
	;; [unrolled: 1-line block ×3, first 2 shown]
	s_waitcnt lgkmcnt(0)
	v_max_f32_e32 v51, v5, v5
	v_min_f32_e32 v5, v51, v146
	v_max_f32_e32 v146, v23, v23
	v_min_f32_e32 v23, v96, v146
	v_max_f32_e32 v24, v24, v24
	v_pk_add_f32 v[62:63], v[22:23], v[116:117]
	v_min_f32_e32 v23, v96, v29
	v_min_f32_e32 v22, v97, v28
	v_max_f32_e32 v86, v32, v32
	v_max_f32_e32 v87, v33, v33
	v_pk_add_f32 v[72:73], v[22:23], v[118:119]
	v_min_f32_e32 v22, v86, v24
	v_min_f32_e32 v23, v87, v25
	v_pk_add_f32 v[32:33], v[22:23], v[120:121]
	v_min_f32_e32 v22, v86, v147
	v_min_f32_e32 v23, v87, v146
	v_pk_add_f32 v[74:75], v[22:23], v[122:123]
	v_min_f32_e32 v22, v86, v28
	v_min_f32_e32 v23, v87, v29
	v_pk_add_f32 v[76:77], v[22:23], v[124:125]
	v_max_f32_e32 v22, v11, v11
	v_max_f32_e32 v23, v10, v10
	v_min_f32_e32 v11, v87, v22
	v_min_f32_e32 v10, v86, v23
	v_pk_add_f32 v[86:87], v[10:11], v[94:95]
	v_max_f32_e32 v94, v36, v36
	v_max_f32_e32 v95, v37, v37
	v_min_f32_e32 v10, v94, v24
	v_min_f32_e32 v11, v95, v25
	v_pk_add_f32 v[36:37], v[10:11], v[92:93]
	v_min_f32_e32 v10, v94, v147
	v_min_f32_e32 v11, v95, v146
	v_pk_add_f32 v[88:89], v[10:11], v[126:127]
	v_min_f32_e32 v10, v94, v28
	v_min_f32_e32 v11, v95, v29
	v_pk_add_f32 v[90:91], v[10:11], v[128:129]
	v_min_f32_e32 v11, v95, v22
	v_min_f32_e32 v10, v94, v23
	v_max_f32_e32 v16, v16, v16
	v_max_f32_e32 v17, v17, v17
	v_pk_add_f32 v[94:95], v[10:11], v[130:131]
	v_min_f32_e32 v10, v16, v24
	v_min_f32_e32 v11, v17, v25
	v_pk_add_f32 v[98:99], v[10:11], v[78:79]
	v_min_f32_e32 v10, v16, v147
	v_min_f32_e32 v11, v17, v146
	;; [unrolled: 3-line block ×4, first 2 shown]
	v_max_f32_e32 v14, v14, v14
	v_max_f32_e32 v15, v15, v15
	v_pk_add_f32 v[0:1], v[0:1], v[102:103]
	v_max_f32_e32 v50, v4, v4
	v_min_f32_e32 v31, v51, v150
	v_min_f32_e32 v35, v51, v152
	;; [unrolled: 1-line block ×4, first 2 shown]
	v_pk_add_f32 v[102:103], v[10:11], v[84:85]
	v_min_f32_e32 v10, v14, v24
	v_min_f32_e32 v11, v15, v25
	;; [unrolled: 1-line block ×6, first 2 shown]
	v_pk_add_f32 v[52:53], v[52:53], v[104:105]
	v_pk_add_f32 v[104:105], v[10:11], v[64:65]
	v_min_f32_e32 v10, v14, v147
	v_min_f32_e32 v11, v15, v146
	v_pk_add_f32 v[50:51], v[50:51], v[106:107]
	v_pk_add_f32 v[106:107], v[10:11], v[66:67]
	v_min_f32_e32 v10, v14, v28
	v_min_f32_e32 v11, v15, v29
	;; [unrolled: 4-line block ×3, first 2 shown]
	v_pk_add_f32 v[30:31], v[30:31], v[110:111]
	v_pk_add_f32 v[110:111], v[10:11], v[70:71]
	v_max_f32_e32 v10, v8, v8
	v_max_f32_e32 v11, v9, v9
	v_min_f32_e32 v8, v10, v24
	v_min_f32_e32 v9, v11, v25
	v_pk_add_f32 v[4:5], v[4:5], v[112:113]
	v_min_f32_e32 v19, v96, v25
	v_min_f32_e32 v18, v97, v24
	v_pk_add_f32 v[112:113], v[8:9], v[54:55]
	;; [unrolled: 3-line block ×3, first 2 shown]
	v_pk_add_f32 v[114:115], v[8:9], v[56:57]
	v_min_f32_e32 v8, v10, v28
	v_min_f32_e32 v9, v11, v29
	v_pk_add_f32 v[116:117], v[8:9], v[58:59]
	v_min_f32_e32 v9, v11, v22
	v_min_f32_e32 v8, v10, v23
	v_pk_add_f32 v[118:119], v[8:9], v[60:61]
	v_max_f32_e32 v8, v2, v2
	v_max_f32_e32 v9, v3, v3
	v_min_f32_e32 v2, v8, v24
	v_min_f32_e32 v3, v9, v25
	v_pk_add_f32 v[0:1], v[2:3], v[0:1]
	v_min_f32_e32 v2, v8, v147
	v_min_f32_e32 v3, v9, v146
	v_pk_add_f32 v[120:121], v[2:3], v[12:13]
	;; [unrolled: 3-line block ×3, first 2 shown]
	v_min_f32_e32 v3, v9, v22
	v_min_f32_e32 v2, v8, v23
	v_max_f32_e32 v6, v6, v6
	v_max_f32_e32 v7, v7, v7
	v_pk_add_f32 v[124:125], v[2:3], v[26:27]
	v_min_f32_e32 v2, v6, v24
	v_min_f32_e32 v3, v7, v25
	v_pk_add_f32 v[130:131], v[2:3], v[4:5]
	v_min_f32_e32 v2, v6, v147
	v_min_f32_e32 v3, v7, v146
	;; [unrolled: 3-line block ×5, first 2 shown]
	v_pk_add_f32 v[150:151], v[2:3], v[52:53]
	v_lshl_add_u64 v[2:3], v[38:39], 0, v[44:45]
	s_waitcnt vmcnt(0)
	ds_write_b32 v137, v145
	ds_write2st64_b32 v136, v143, v144 offset1:4
	s_waitcnt lgkmcnt(0)
	s_barrier
	flat_load_dword v126, v[2:3]
	v_lshl_add_u64 v[2:3], v[40:41], 0, v[48:49]
	flat_load_dword v127, v[2:3]
	flat_load_dword v128, v[2:3] offset:256
	ds_read_b128 v[20:23], v138 offset:896
	ds_read_b128 v[10:13], v135 offset:1536
	ds_read_b128 v[26:29], v135
	s_add_i32 s14, s14, 8
	v_lshl_add_u64 v[40:41], v[40:41], 0, s[8:9]
	s_waitcnt lgkmcnt(0)
	v_max_f32_e32 v143, v21, v21
	v_max_f32_e32 v145, v20, v20
	;; [unrolled: 1-line block ×4, first 2 shown]
	v_min_f32_e32 v3, v143, v129
	v_min_f32_e32 v2, v145, v144
	v_pk_add_f32 v[80:81], v[2:3], v[18:19]
	ds_read_b128 v[24:27], v135 offset:512
	ds_read_b128 v[18:21], v135 offset:1024
	v_max_f32_e32 v154, v11, v11
	v_max_f32_e32 v155, v10, v10
	ds_read_b128 v[8:11], v138 offset:256
	s_waitcnt lgkmcnt(0)
	v_max_f32_e32 v25, v25, v25
	v_max_f32_e32 v152, v19, v19
	;; [unrolled: 1-line block ×3, first 2 shown]
	ds_read_b128 v[16:19], v138
	v_max_f32_e32 v24, v24, v24
	v_min_f32_e32 v3, v143, v25
	v_min_f32_e32 v2, v145, v24
	v_pk_add_f32 v[68:69], v[2:3], v[62:63]
	s_waitcnt lgkmcnt(0)
	v_max_f32_e32 v4, v16, v16
	v_max_f32_e32 v5, v17, v17
	ds_read_b128 v[14:17], v138 offset:128
	v_min_f32_e32 v3, v143, v152
	v_min_f32_e32 v2, v145, v153
	v_pk_add_f32 v[52:53], v[2:3], v[72:73]
	v_min_f32_e32 v2, v4, v144
	v_min_f32_e32 v3, v5, v129
	v_pk_add_f32 v[66:67], v[2:3], v[32:33]
	;; [unrolled: 3-line block ×4, first 2 shown]
	v_min_f32_e32 v3, v5, v154
	v_min_f32_e32 v2, v4, v155
	s_waitcnt lgkmcnt(0)
	v_max_f32_e32 v4, v14, v14
	v_max_f32_e32 v5, v15, v15
	v_pk_add_f32 v[56:57], v[2:3], v[86:87]
	v_min_f32_e32 v2, v4, v144
	v_min_f32_e32 v3, v5, v129
	v_pk_add_f32 v[50:51], v[2:3], v[36:37]
	v_min_f32_e32 v2, v4, v24
	v_min_f32_e32 v3, v5, v25
	v_pk_add_f32 v[64:65], v[2:3], v[88:89]
	v_min_f32_e32 v2, v4, v153
	v_min_f32_e32 v3, v5, v152
	v_pk_add_f32 v[84:85], v[2:3], v[90:91]
	v_min_f32_e32 v3, v5, v154
	v_min_f32_e32 v2, v4, v155
	v_max_f32_e32 v4, v8, v8
	v_max_f32_e32 v5, v9, v9
	ds_read_b128 v[6:9], v138 offset:384
	v_pk_add_f32 v[96:97], v[2:3], v[94:95]
	v_min_f32_e32 v2, v4, v144
	v_min_f32_e32 v3, v5, v129
	v_pk_add_f32 v[54:55], v[2:3], v[98:99]
	v_min_f32_e32 v2, v4, v24
	v_min_f32_e32 v3, v5, v25
	;; [unrolled: 3-line block ×4, first 2 shown]
	v_max_f32_e32 v29, v29, v29
	v_max_f32_e32 v23, v23, v23
	;; [unrolled: 1-line block ×4, first 2 shown]
	v_pk_add_f32 v[98:99], v[2:3], v[102:103]
	s_waitcnt lgkmcnt(0)
	v_max_f32_e32 v4, v6, v6
	v_max_f32_e32 v5, v7, v7
	v_min_f32_e32 v83, v23, v29
	v_min_f32_e32 v82, v22, v28
	v_max_f32_e32 v27, v27, v27
	v_max_f32_e32 v26, v26, v26
	;; [unrolled: 1-line block ×4, first 2 shown]
	v_min_f32_e32 v2, v4, v144
	v_min_f32_e32 v3, v5, v129
	v_pk_add_f32 v[82:83], v[82:83], v[80:81]
	v_min_f32_e32 v81, v23, v27
	v_min_f32_e32 v80, v22, v26
	v_max_f32_e32 v21, v21, v21
	v_max_f32_e32 v20, v20, v20
	v_min_f32_e32 v18, v102, v28
	v_min_f32_e32 v19, v103, v29
	v_pk_add_f32 v[58:59], v[2:3], v[104:105]
	v_min_f32_e32 v2, v4, v24
	v_min_f32_e32 v3, v5, v25
	v_pk_add_f32 v[68:69], v[80:81], v[68:69]
	v_min_f32_e32 v81, v23, v21
	v_min_f32_e32 v80, v22, v20
	v_pk_add_f32 v[94:95], v[18:19], v[66:67]
	v_min_f32_e32 v18, v102, v26
	v_min_f32_e32 v19, v103, v27
	v_pk_add_f32 v[72:73], v[2:3], v[106:107]
	v_min_f32_e32 v2, v4, v153
	v_min_f32_e32 v3, v5, v152
	v_pk_add_f32 v[52:53], v[80:81], v[52:53]
	v_pk_add_f32 v[80:81], v[18:19], v[78:79]
	v_min_f32_e32 v18, v102, v20
	v_min_f32_e32 v19, v103, v21
	v_max_f32_e32 v13, v13, v13
	v_max_f32_e32 v12, v12, v12
	v_pk_add_f32 v[88:89], v[2:3], v[108:109]
	v_min_f32_e32 v3, v5, v154
	v_min_f32_e32 v2, v4, v155
	ds_read_b128 v[4:7], v138 offset:512
	v_pk_add_f32 v[66:67], v[18:19], v[92:93]
	v_min_f32_e32 v19, v103, v13
	v_min_f32_e32 v18, v102, v12
	v_pk_add_f32 v[56:57], v[18:19], v[56:57]
	v_max_f32_e32 v18, v16, v16
	v_max_f32_e32 v19, v17, v17
	v_min_f32_e32 v16, v18, v28
	v_min_f32_e32 v17, v19, v29
	v_pk_add_f32 v[92:93], v[16:17], v[50:51]
	v_min_f32_e32 v16, v18, v26
	v_min_f32_e32 v17, v19, v27
	v_pk_add_f32 v[78:79], v[16:17], v[64:65]
	v_min_f32_e32 v16, v18, v20
	v_min_f32_e32 v17, v19, v21
	s_waitcnt lgkmcnt(0)
	v_max_f32_e32 v4, v4, v4
	v_max_f32_e32 v5, v5, v5
	v_pk_add_f32 v[64:65], v[16:17], v[84:85]
	v_min_f32_e32 v17, v19, v13
	v_min_f32_e32 v16, v18, v12
	v_pk_add_f32 v[100:101], v[2:3], v[110:111]
	v_min_f32_e32 v2, v4, v144
	v_min_f32_e32 v3, v5, v129
	v_pk_add_f32 v[50:51], v[16:17], v[96:97]
	v_max_f32_e32 v16, v10, v10
	v_max_f32_e32 v17, v11, v11
	v_pk_add_f32 v[60:61], v[2:3], v[112:113]
	v_min_f32_e32 v2, v4, v24
	v_min_f32_e32 v3, v5, v25
	;; [unrolled: 1-line block ×4, first 2 shown]
	v_pk_add_f32 v[74:75], v[2:3], v[114:115]
	v_min_f32_e32 v2, v4, v153
	v_min_f32_e32 v3, v5, v152
	v_pk_add_f32 v[96:97], v[10:11], v[54:55]
	v_min_f32_e32 v10, v16, v26
	v_min_f32_e32 v11, v17, v27
	;; [unrolled: 3-line block ×4, first 2 shown]
	v_pk_add_f32 v[90:91], v[2:3], v[118:119]
	ds_read_b128 v[2:5], v138 offset:640
	v_pk_add_f32 v[70:71], v[10:11], v[86:87]
	v_min_f32_e32 v11, v17, v13
	v_min_f32_e32 v10, v16, v12
	v_pk_add_f32 v[54:55], v[10:11], v[98:99]
	v_max_f32_e32 v10, v8, v8
	v_max_f32_e32 v11, v9, v9
	v_min_f32_e32 v8, v10, v28
	v_min_f32_e32 v9, v11, v29
	v_pk_add_f32 v[98:99], v[8:9], v[58:59]
	v_min_f32_e32 v8, v10, v26
	v_min_f32_e32 v9, v11, v27
	v_pk_add_f32 v[86:87], v[8:9], v[72:73]
	v_min_f32_e32 v8, v10, v20
	v_min_f32_e32 v9, v11, v21
	s_waitcnt lgkmcnt(0)
	v_max_f32_e32 v14, v2, v2
	v_max_f32_e32 v15, v3, v3
	v_pk_add_f32 v[72:73], v[8:9], v[88:89]
	v_min_f32_e32 v9, v11, v13
	v_min_f32_e32 v8, v10, v12
	;; [unrolled: 1-line block ×4, first 2 shown]
	v_pk_add_f32 v[58:59], v[8:9], v[100:101]
	v_max_f32_e32 v8, v6, v6
	v_max_f32_e32 v9, v7, v7
	v_pk_add_f32 v[34:35], v[2:3], v[0:1]
	v_min_f32_e32 v0, v14, v24
	v_min_f32_e32 v1, v15, v25
	;; [unrolled: 1-line block ×4, first 2 shown]
	v_pk_add_f32 v[36:37], v[0:1], v[120:121]
	v_min_f32_e32 v0, v14, v153
	v_min_f32_e32 v1, v15, v152
	v_pk_add_f32 v[100:101], v[6:7], v[60:61]
	v_min_f32_e32 v6, v8, v26
	v_min_f32_e32 v7, v9, v27
	;; [unrolled: 3-line block ×4, first 2 shown]
	v_pk_add_f32 v[104:105], v[0:1], v[124:125]
	ds_read_b128 v[0:3], v138 offset:768
	v_pk_add_f32 v[74:75], v[6:7], v[76:77]
	v_min_f32_e32 v7, v9, v13
	v_min_f32_e32 v6, v8, v12
	v_pk_add_f32 v[60:61], v[6:7], v[90:91]
	v_max_f32_e32 v6, v4, v4
	v_max_f32_e32 v7, v5, v5
	v_min_f32_e32 v4, v6, v28
	v_min_f32_e32 v5, v7, v29
	v_pk_add_f32 v[102:103], v[4:5], v[34:35]
	v_min_f32_e32 v4, v6, v26
	v_min_f32_e32 v5, v7, v27
	v_pk_add_f32 v[90:91], v[4:5], v[36:37]
	v_min_f32_e32 v4, v6, v20
	v_min_f32_e32 v5, v7, v21
	s_waitcnt lgkmcnt(0)
	v_max_f32_e32 v14, v0, v0
	v_max_f32_e32 v15, v1, v1
	v_pk_add_f32 v[76:77], v[4:5], v[62:63]
	v_min_f32_e32 v5, v7, v13
	v_min_f32_e32 v4, v6, v12
	;; [unrolled: 1-line block ×4, first 2 shown]
	v_pk_add_f32 v[62:63], v[4:5], v[104:105]
	v_max_f32_e32 v4, v2, v2
	v_max_f32_e32 v5, v3, v3
	v_pk_add_f32 v[32:33], v[0:1], v[130:131]
	v_min_f32_e32 v0, v14, v24
	v_min_f32_e32 v1, v15, v25
	;; [unrolled: 1-line block ×4, first 2 shown]
	v_pk_add_f32 v[30:31], v[0:1], v[30:31]
	v_min_f32_e32 v0, v14, v153
	v_min_f32_e32 v1, v15, v152
	v_pk_add_f32 v[112:113], v[2:3], v[32:33]
	v_min_f32_e32 v2, v4, v26
	v_min_f32_e32 v3, v5, v27
	;; [unrolled: 3-line block ×6, first 2 shown]
	v_pk_add_f32 v[0:1], v[0:1], v[150:151]
	v_pk_add_f32 v[106:107], v[2:3], v[14:15]
	v_min_f32_e32 v3, v23, v13
	v_min_f32_e32 v2, v22, v12
	v_pk_add_f32 v[104:105], v[2:3], v[0:1]
	v_lshl_add_u64 v[38:39], v[38:39], 0, s[10:11]
	s_cmp_ge_i32 s14, s12
	s_waitcnt vmcnt(0)
	ds_write_b32 v139, v126
	ds_write2st64_b32 v140, v127, v128 offset1:4
	s_waitcnt lgkmcnt(0)
	s_barrier
	s_cbranch_scc0 .LBB40_11
.LBB40_12:
	s_load_dword s10, s[0:1], 0x50
	ds_read_b128 v[40:43], v135 offset:2048
	ds_read_b128 v[44:47], v134 offset:5120
	v_add_u32_e32 v116, s23, v133
	v_cmp_neq_f32_e64 s[8:9], s13, 0
	v_add_u32_e32 v48, s22, v132
	s_waitcnt lgkmcnt(0)
	v_mad_i64_i32 v[0:1], s[14:15], v116, s10, 0
	v_ashrrev_i32_e32 v49, 31, v48
	v_lshl_add_u64 v[114:115], v[0:1], 2, s[6:7]
	s_and_b64 vcc, exec, s[8:9]
	v_mov_b32_e32 v122, 0
	v_mov_b32_e32 v123, 0
	s_cbranch_vccz .LBB40_14
; %bb.13:
	v_lshl_add_u64 v[0:1], v[48:49], 2, v[114:115]
	flat_load_dword v0, v[0:1]
	s_waitcnt vmcnt(0) lgkmcnt(0)
	v_mul_f32_e32 v123, s13, v0
.LBB40_14:
	ds_read_b128 v[12:15], v134 offset:6016
	ds_read_b128 v[0:3], v135 offset:3584
	;; [unrolled: 1-line block ×6, first 2 shown]
	s_load_dword s11, s[0:1], 0x68
	s_load_dwordx2 s[14:15], s[0:1], 0x70
	ds_read_b128 v[28:31], v134 offset:5504
	ds_read_b128 v[24:27], v134 offset:5632
	;; [unrolled: 1-line block ×4, first 2 shown]
	v_max_f32_e32 v118, v40, v40
	v_max_f32_e32 v44, v44, v44
	;; [unrolled: 1-line block ×4, first 2 shown]
	v_min_f32_e32 v40, v44, v118
	v_min_f32_e32 v41, v117, v120
	v_max_f32_e32 v119, v42, v42
	v_max_f32_e32 v45, v46, v46
	;; [unrolled: 1-line block ×4, first 2 shown]
	s_waitcnt lgkmcnt(0)
	s_lshl_b64 s[0:1], s[14:15], 2
	v_pk_add_f32 v[40:41], v[40:41], v[94:95]
	v_min_f32_e32 v42, v45, v119
	v_min_f32_e32 v43, v46, v121
	s_add_u32 s2, s2, s0
	v_pk_add_f32 v[94:95], v[42:43], v[40:41]
	s_addc_u32 s3, s3, s1
	v_mad_i64_i32 v[42:43], s[0:1], v116, s11, 0
	v_add_f32_e32 v47, v94, v95
	v_add_u32_e32 v40, 8, v48
	v_lshl_add_u64 v[42:43], v[42:43], 2, s[2:3]
	v_add_f32_e32 v47, v47, v123
	v_cndmask_b32_e64 v123, 0, 1, s[8:9]
	v_ashrrev_i32_e32 v41, 31, v40
	v_lshl_add_u64 v[94:95], v[48:49], 2, v[42:43]
	v_cmp_ne_u32_e64 s[0:1], 1, v123
	s_andn2_b64 vcc, exec, s[8:9]
	global_store_dword v[94:95], v47, off
	s_cbranch_vccnz .LBB40_16
; %bb.15:
	v_lshl_add_u64 v[94:95], v[40:41], 2, v[114:115]
	flat_load_dword v47, v[94:95]
	s_waitcnt vmcnt(0) lgkmcnt(0)
	v_mul_f32_e32 v122, s13, v47
.LBB40_16:
	v_max_f32_e32 v47, v36, v36
	v_max_f32_e32 v94, v37, v37
	v_min_f32_e32 v36, v47, v118
	v_min_f32_e32 v37, v94, v120
	v_max_f32_e32 v38, v38, v38
	v_max_f32_e32 v39, v39, v39
	v_pk_add_f32 v[36:37], v[36:37], v[92:93]
	v_min_f32_e32 v92, v38, v119
	v_min_f32_e32 v93, v39, v121
	v_pk_add_f32 v[36:37], v[92:93], v[36:37]
	s_and_b64 vcc, exec, s[0:1]
	v_add_f32_e32 v92, v36, v37
	v_add_u32_e32 v36, 16, v48
	v_add_f32_e32 v95, v92, v122
	v_lshl_add_u64 v[92:93], v[40:41], 2, v[42:43]
	v_ashrrev_i32_e32 v37, 31, v36
	global_store_dword v[92:93], v95, off
	v_mov_b32_e32 v122, 0
	v_mov_b32_e32 v95, 0
	s_cbranch_vccnz .LBB40_18
; %bb.17:
	v_lshl_add_u64 v[92:93], v[36:37], 2, v[114:115]
	flat_load_dword v92, v[92:93]
	s_waitcnt vmcnt(0) lgkmcnt(0)
	v_mul_f32_e32 v95, s13, v92
.LBB40_18:
	v_max_f32_e32 v92, v32, v32
	v_max_f32_e32 v93, v33, v33
	v_min_f32_e32 v32, v92, v118
	v_min_f32_e32 v33, v93, v120
	v_max_f32_e32 v34, v34, v34
	v_max_f32_e32 v35, v35, v35
	v_pk_add_f32 v[32:33], v[32:33], v[96:97]
	v_min_f32_e32 v96, v34, v119
	v_min_f32_e32 v97, v35, v121
	v_pk_add_f32 v[32:33], v[96:97], v[32:33]
	s_and_b64 vcc, exec, s[0:1]
	v_add_f32_e32 v96, v32, v33
	v_add_u32_e32 v32, 24, v48
	v_ashrrev_i32_e32 v33, 31, v32
	v_add_f32_e32 v95, v96, v95
	v_lshl_add_u64 v[96:97], v[36:37], 2, v[42:43]
	global_store_dword v[96:97], v95, off
	s_cbranch_vccnz .LBB40_20
; %bb.19:
	v_lshl_add_u64 v[96:97], v[32:33], 2, v[114:115]
	flat_load_dword v95, v[96:97]
	s_waitcnt vmcnt(0) lgkmcnt(0)
	v_mul_f32_e32 v122, s13, v95
.LBB40_20:
	v_max_f32_e32 v95, v28, v28
	v_max_f32_e32 v96, v29, v29
	v_min_f32_e32 v28, v95, v118
	v_min_f32_e32 v29, v96, v120
	v_max_f32_e32 v30, v30, v30
	v_max_f32_e32 v31, v31, v31
	v_pk_add_f32 v[28:29], v[28:29], v[98:99]
	v_min_f32_e32 v98, v30, v119
	v_min_f32_e32 v99, v31, v121
	v_pk_add_f32 v[28:29], v[98:99], v[28:29]
	v_lshl_add_u64 v[98:99], v[32:33], 2, v[42:43]
	v_add_f32_e32 v97, v28, v29
	v_add_u32_e32 v28, 32, v48
	v_add_f32_e32 v97, v97, v122
	v_ashrrev_i32_e32 v29, 31, v28
	global_store_dword v[98:99], v97, off
	s_and_b64 vcc, exec, s[0:1]
	v_mov_b32_e32 v122, 0
	v_mov_b32_e32 v99, 0
	s_cbranch_vccnz .LBB40_22
; %bb.21:
	v_lshl_add_u64 v[98:99], v[28:29], 2, v[114:115]
	flat_load_dword v97, v[98:99]
	s_waitcnt vmcnt(0) lgkmcnt(0)
	v_mul_f32_e32 v99, s13, v97
.LBB40_22:
	v_max_f32_e32 v97, v24, v24
	v_max_f32_e32 v98, v25, v25
	v_min_f32_e32 v24, v97, v118
	v_min_f32_e32 v25, v98, v120
	v_max_f32_e32 v26, v26, v26
	v_max_f32_e32 v27, v27, v27
	v_pk_add_f32 v[24:25], v[24:25], v[100:101]
	v_min_f32_e32 v100, v26, v119
	v_min_f32_e32 v101, v27, v121
	v_pk_add_f32 v[24:25], v[100:101], v[24:25]
	s_and_b64 vcc, exec, s[0:1]
	v_add_f32_e32 v100, v24, v25
	v_add_u32_e32 v24, 40, v48
	v_ashrrev_i32_e32 v25, 31, v24
	v_add_f32_e32 v99, v100, v99
	v_lshl_add_u64 v[100:101], v[28:29], 2, v[42:43]
	global_store_dword v[100:101], v99, off
	s_cbranch_vccnz .LBB40_24
; %bb.23:
	v_lshl_add_u64 v[100:101], v[24:25], 2, v[114:115]
	flat_load_dword v99, v[100:101]
	s_waitcnt vmcnt(0) lgkmcnt(0)
	v_mul_f32_e32 v122, s13, v99
.LBB40_24:
	v_max_f32_e32 v99, v20, v20
	v_max_f32_e32 v100, v21, v21
	v_min_f32_e32 v20, v99, v118
	v_min_f32_e32 v21, v100, v120
	v_max_f32_e32 v22, v22, v22
	v_max_f32_e32 v23, v23, v23
	v_pk_add_f32 v[20:21], v[20:21], v[102:103]
	v_min_f32_e32 v102, v22, v119
	v_min_f32_e32 v103, v23, v121
	v_pk_add_f32 v[20:21], v[102:103], v[20:21]
	v_lshl_add_u64 v[102:103], v[24:25], 2, v[42:43]
	v_add_f32_e32 v101, v20, v21
	v_add_u32_e32 v20, 48, v48
	v_ashrrev_i32_e32 v21, 31, v20
	v_add_f32_e32 v101, v101, v122
	s_and_b64 vcc, exec, s[0:1]
	v_mov_b32_e32 v122, 0
	v_mov_b32_e32 v123, 0
	global_store_dword v[102:103], v101, off
	s_cbranch_vccnz .LBB40_26
; %bb.25:
	v_lshl_add_u64 v[102:103], v[20:21], 2, v[114:115]
	flat_load_dword v101, v[102:103]
	s_waitcnt vmcnt(0) lgkmcnt(0)
	v_mul_f32_e32 v123, s13, v101
.LBB40_26:
	v_max_f32_e32 v101, v16, v16
	v_max_f32_e32 v103, v17, v17
	v_min_f32_e32 v16, v101, v118
	v_min_f32_e32 v17, v103, v120
	v_pk_add_f32 v[16:17], v[16:17], v[112:113]
	v_max_f32_e32 v102, v18, v18
	v_max_f32_e32 v112, v19, v19
	v_min_f32_e32 v18, v102, v119
	v_min_f32_e32 v19, v112, v121
	v_pk_add_f32 v[16:17], v[18:19], v[16:17]
	s_and_b64 vcc, exec, s[0:1]
	v_add_f32_e32 v18, v16, v17
	v_add_u32_e32 v16, 56, v48
	v_ashrrev_i32_e32 v17, 31, v16
	v_add_f32_e32 v113, v18, v123
	v_lshl_add_u64 v[18:19], v[20:21], 2, v[42:43]
	global_store_dword v[18:19], v113, off
	s_cbranch_vccnz .LBB40_28
; %bb.27:
	v_lshl_add_u64 v[18:19], v[16:17], 2, v[114:115]
	flat_load_dword v18, v[18:19]
	s_waitcnt vmcnt(0) lgkmcnt(0)
	v_mul_f32_e32 v122, s13, v18
.LBB40_28:
	v_max_f32_e32 v18, v13, v13
	v_max_f32_e32 v19, v12, v12
	v_min_f32_e32 v13, v18, v120
	v_min_f32_e32 v12, v19, v118
	v_max_f32_e32 v15, v15, v15
	v_max_f32_e32 v14, v14, v14
	v_pk_add_f32 v[12:13], v[12:13], v[82:83]
	v_min_f32_e32 v83, v15, v121
	v_min_f32_e32 v82, v14, v119
	v_pk_add_f32 v[12:13], v[82:83], v[12:13]
	v_add_u32_e32 v83, 32, v116
	v_add_f32_e32 v12, v12, v13
	v_add_f32_e32 v82, v12, v122
	v_lshl_add_u64 v[12:13], v[16:17], 2, v[42:43]
	global_store_dword v[12:13], v82, off
	v_mad_i64_i32 v[12:13], s[8:9], v83, s10, 0
	v_lshl_add_u64 v[12:13], v[12:13], 2, s[6:7]
	s_and_b64 vcc, exec, s[0:1]
	v_mov_b32_e32 v82, 0
	v_mov_b32_e32 v113, 0
	s_cbranch_vccnz .LBB40_30
; %bb.29:
	v_lshl_add_u64 v[42:43], v[48:49], 2, v[12:13]
	flat_load_dword v42, v[42:43]
	s_waitcnt vmcnt(0) lgkmcnt(0)
	v_mul_f32_e32 v113, s13, v42
.LBB40_30:
	v_max_f32_e32 v42, v8, v8
	v_max_f32_e32 v43, v9, v9
	v_min_f32_e32 v8, v44, v42
	v_min_f32_e32 v9, v117, v43
	v_max_f32_e32 v10, v10, v10
	v_max_f32_e32 v11, v11, v11
	v_pk_add_f32 v[8:9], v[8:9], v[80:81]
	v_min_f32_e32 v80, v45, v10
	v_min_f32_e32 v81, v46, v11
	v_pk_add_f32 v[80:81], v[80:81], v[8:9]
	v_mad_i64_i32 v[8:9], s[8:9], v83, s11, 0
	v_lshl_add_u64 v[8:9], v[8:9], 2, s[2:3]
	v_add_f32_e32 v80, v80, v81
	v_add_f32_e32 v83, v80, v113
	v_lshl_add_u64 v[80:81], v[48:49], 2, v[8:9]
	s_and_b64 vcc, exec, s[0:1]
	global_store_dword v[80:81], v83, off
	s_cbranch_vccnz .LBB40_32
; %bb.31:
	v_lshl_add_u64 v[80:81], v[40:41], 2, v[12:13]
	flat_load_dword v80, v[80:81]
	s_waitcnt vmcnt(0) lgkmcnt(0)
	v_mul_f32_e32 v82, s13, v80
.LBB40_32:
	v_min_f32_e32 v80, v47, v42
	v_min_f32_e32 v81, v94, v43
	v_pk_add_f32 v[78:79], v[80:81], v[78:79]
	v_min_f32_e32 v80, v38, v10
	v_min_f32_e32 v81, v39, v11
	v_pk_add_f32 v[78:79], v[80:81], v[78:79]
	s_and_b64 vcc, exec, s[0:1]
	v_add_f32_e32 v78, v78, v79
	v_add_f32_e32 v80, v78, v82
	v_lshl_add_u64 v[78:79], v[40:41], 2, v[8:9]
	global_store_dword v[78:79], v80, off
	v_mov_b32_e32 v78, 0
	v_mov_b32_e32 v79, 0
	s_cbranch_vccnz .LBB40_34
; %bb.33:
	v_lshl_add_u64 v[80:81], v[36:37], 2, v[12:13]
	flat_load_dword v79, v[80:81]
	s_waitcnt vmcnt(0) lgkmcnt(0)
	v_mul_f32_e32 v79, s13, v79
.LBB40_34:
	v_min_f32_e32 v80, v92, v42
	v_min_f32_e32 v81, v93, v43
	v_pk_add_f32 v[80:81], v[80:81], v[84:85]
	v_min_f32_e32 v82, v34, v10
	v_min_f32_e32 v83, v35, v11
	v_pk_add_f32 v[80:81], v[82:83], v[80:81]
	s_and_b64 vcc, exec, s[0:1]
	v_add_f32_e32 v80, v80, v81
	v_add_f32_e32 v79, v80, v79
	v_lshl_add_u64 v[80:81], v[36:37], 2, v[8:9]
	global_store_dword v[80:81], v79, off
	s_cbranch_vccnz .LBB40_36
; %bb.35:
	v_lshl_add_u64 v[78:79], v[32:33], 2, v[12:13]
	flat_load_dword v78, v[78:79]
	s_waitcnt vmcnt(0) lgkmcnt(0)
	v_mul_f32_e32 v78, s13, v78
.LBB40_36:
	v_min_f32_e32 v80, v95, v42
	v_min_f32_e32 v81, v96, v43
	v_pk_add_f32 v[80:81], v[80:81], v[86:87]
	v_min_f32_e32 v82, v30, v10
	v_min_f32_e32 v83, v31, v11
	v_pk_add_f32 v[80:81], v[82:83], v[80:81]
	s_and_b64 vcc, exec, s[0:1]
	v_add_f32_e32 v79, v80, v81
	v_add_f32_e32 v80, v79, v78
	v_lshl_add_u64 v[78:79], v[32:33], 2, v[8:9]
	global_store_dword v[78:79], v80, off
	v_mov_b32_e32 v78, 0
	v_mov_b32_e32 v79, 0
	s_cbranch_vccnz .LBB40_38
; %bb.37:
	v_lshl_add_u64 v[80:81], v[28:29], 2, v[12:13]
	flat_load_dword v79, v[80:81]
	s_waitcnt vmcnt(0) lgkmcnt(0)
	v_mul_f32_e32 v79, s13, v79
.LBB40_38:
	v_min_f32_e32 v80, v97, v42
	v_min_f32_e32 v81, v98, v43
	v_pk_add_f32 v[80:81], v[80:81], v[88:89]
	v_min_f32_e32 v82, v26, v10
	v_min_f32_e32 v83, v27, v11
	v_pk_add_f32 v[80:81], v[82:83], v[80:81]
	s_and_b64 vcc, exec, s[0:1]
	v_add_f32_e32 v80, v80, v81
	v_add_f32_e32 v79, v80, v79
	v_lshl_add_u64 v[80:81], v[28:29], 2, v[8:9]
	global_store_dword v[80:81], v79, off
	s_cbranch_vccnz .LBB40_40
; %bb.39:
	v_lshl_add_u64 v[78:79], v[24:25], 2, v[12:13]
	flat_load_dword v78, v[78:79]
	s_waitcnt vmcnt(0) lgkmcnt(0)
	v_mul_f32_e32 v78, s13, v78
.LBB40_40:
	v_min_f32_e32 v80, v99, v42
	v_min_f32_e32 v81, v100, v43
	v_pk_add_f32 v[80:81], v[80:81], v[90:91]
	v_min_f32_e32 v82, v22, v10
	v_min_f32_e32 v83, v23, v11
	v_pk_add_f32 v[80:81], v[82:83], v[80:81]
	s_and_b64 vcc, exec, s[0:1]
	v_add_f32_e32 v79, v80, v81
	v_add_f32_e32 v80, v79, v78
	v_lshl_add_u64 v[78:79], v[24:25], 2, v[8:9]
	global_store_dword v[78:79], v80, off
	v_mov_b32_e32 v78, 0
	v_mov_b32_e32 v79, 0
	s_cbranch_vccnz .LBB40_42
; %bb.41:
	v_lshl_add_u64 v[80:81], v[20:21], 2, v[12:13]
	flat_load_dword v79, v[80:81]
	s_waitcnt vmcnt(0) lgkmcnt(0)
	v_mul_f32_e32 v79, s13, v79
.LBB40_42:
	v_min_f32_e32 v80, v101, v42
	v_min_f32_e32 v81, v103, v43
	v_pk_add_f32 v[80:81], v[80:81], v[110:111]
	v_min_f32_e32 v82, v102, v10
	v_min_f32_e32 v83, v112, v11
	v_pk_add_f32 v[80:81], v[82:83], v[80:81]
	s_and_b64 vcc, exec, s[0:1]
	v_add_f32_e32 v80, v80, v81
	v_add_f32_e32 v79, v80, v79
	v_lshl_add_u64 v[80:81], v[20:21], 2, v[8:9]
	global_store_dword v[80:81], v79, off
	s_cbranch_vccnz .LBB40_44
; %bb.43:
	v_lshl_add_u64 v[12:13], v[16:17], 2, v[12:13]
	flat_load_dword v12, v[12:13]
	s_waitcnt vmcnt(0) lgkmcnt(0)
	v_mul_f32_e32 v78, s13, v12
.LBB40_44:
	v_min_f32_e32 v13, v18, v43
	v_min_f32_e32 v12, v19, v42
	v_pk_add_f32 v[12:13], v[12:13], v[68:69]
	v_min_f32_e32 v11, v15, v11
	v_min_f32_e32 v10, v14, v10
	v_pk_add_f32 v[10:11], v[10:11], v[12:13]
	v_lshl_add_u64 v[8:9], v[16:17], 2, v[8:9]
	v_add_f32_e32 v10, v10, v11
	v_add_f32_e32 v10, v10, v78
	v_add_u32_e32 v13, 64, v116
	global_store_dword v[8:9], v10, off
	v_mad_i64_i32 v[8:9], s[8:9], v13, s10, 0
	v_lshl_add_u64 v[8:9], v[8:9], 2, s[6:7]
	s_and_b64 vcc, exec, s[0:1]
	v_mov_b32_e32 v12, 0
	v_mov_b32_e32 v42, 0
	s_cbranch_vccnz .LBB40_46
; %bb.45:
	v_lshl_add_u64 v[10:11], v[48:49], 2, v[8:9]
	flat_load_dword v10, v[10:11]
	s_waitcnt vmcnt(0) lgkmcnt(0)
	v_mul_f32_e32 v42, s13, v10
.LBB40_46:
	v_max_f32_e32 v10, v4, v4
	v_max_f32_e32 v11, v5, v5
	v_min_f32_e32 v4, v44, v10
	v_min_f32_e32 v5, v117, v11
	v_max_f32_e32 v6, v6, v6
	v_max_f32_e32 v7, v7, v7
	v_pk_add_f32 v[4:5], v[4:5], v[66:67]
	v_min_f32_e32 v66, v45, v6
	v_min_f32_e32 v67, v46, v7
	v_pk_add_f32 v[66:67], v[66:67], v[4:5]
	v_mad_i64_i32 v[4:5], s[8:9], v13, s11, 0
	v_lshl_add_u64 v[4:5], v[4:5], 2, s[2:3]
	v_add_f32_e32 v13, v66, v67
	v_add_f32_e32 v13, v13, v42
	v_lshl_add_u64 v[42:43], v[48:49], 2, v[4:5]
	s_and_b64 vcc, exec, s[0:1]
	global_store_dword v[42:43], v13, off
	s_cbranch_vccnz .LBB40_48
; %bb.47:
	v_lshl_add_u64 v[12:13], v[40:41], 2, v[8:9]
	flat_load_dword v12, v[12:13]
	s_waitcnt vmcnt(0) lgkmcnt(0)
	v_mul_f32_e32 v12, s13, v12
.LBB40_48:
	v_min_f32_e32 v42, v47, v10
	v_min_f32_e32 v43, v94, v11
	v_pk_add_f32 v[42:43], v[42:43], v[64:65]
	v_min_f32_e32 v64, v38, v6
	v_min_f32_e32 v65, v39, v7
	v_pk_add_f32 v[42:43], v[64:65], v[42:43]
	s_and_b64 vcc, exec, s[0:1]
	v_add_f32_e32 v13, v42, v43
	v_add_f32_e32 v42, v13, v12
	v_lshl_add_u64 v[12:13], v[40:41], 2, v[4:5]
	global_store_dword v[12:13], v42, off
	v_mov_b32_e32 v12, 0
	v_mov_b32_e32 v13, 0
	s_cbranch_vccnz .LBB40_50
; %bb.49:
	v_lshl_add_u64 v[42:43], v[36:37], 2, v[8:9]
	flat_load_dword v13, v[42:43]
	s_waitcnt vmcnt(0) lgkmcnt(0)
	v_mul_f32_e32 v13, s13, v13
.LBB40_50:
	v_min_f32_e32 v42, v92, v10
	v_min_f32_e32 v43, v93, v11
	v_pk_add_f32 v[42:43], v[42:43], v[70:71]
	v_min_f32_e32 v64, v34, v6
	v_min_f32_e32 v65, v35, v7
	v_pk_add_f32 v[42:43], v[64:65], v[42:43]
	s_and_b64 vcc, exec, s[0:1]
	v_add_f32_e32 v42, v42, v43
	v_add_f32_e32 v13, v42, v13
	v_lshl_add_u64 v[42:43], v[36:37], 2, v[4:5]
	global_store_dword v[42:43], v13, off
	s_cbranch_vccnz .LBB40_52
; %bb.51:
	v_lshl_add_u64 v[12:13], v[32:33], 2, v[8:9]
	flat_load_dword v12, v[12:13]
	s_waitcnt vmcnt(0) lgkmcnt(0)
	v_mul_f32_e32 v12, s13, v12
.LBB40_52:
	v_min_f32_e32 v42, v95, v10
	v_min_f32_e32 v43, v96, v11
	v_pk_add_f32 v[42:43], v[42:43], v[72:73]
	v_min_f32_e32 v64, v30, v6
	v_min_f32_e32 v65, v31, v7
	v_pk_add_f32 v[42:43], v[64:65], v[42:43]
	s_and_b64 vcc, exec, s[0:1]
	v_add_f32_e32 v13, v42, v43
	v_add_f32_e32 v42, v13, v12
	v_lshl_add_u64 v[12:13], v[32:33], 2, v[4:5]
	global_store_dword v[12:13], v42, off
	v_mov_b32_e32 v12, 0
	v_mov_b32_e32 v13, 0
	s_cbranch_vccnz .LBB40_54
; %bb.53:
	v_lshl_add_u64 v[42:43], v[28:29], 2, v[8:9]
	flat_load_dword v13, v[42:43]
	s_waitcnt vmcnt(0) lgkmcnt(0)
	v_mul_f32_e32 v13, s13, v13
.LBB40_54:
	v_min_f32_e32 v42, v97, v10
	v_min_f32_e32 v43, v98, v11
	v_pk_add_f32 v[42:43], v[42:43], v[74:75]
	v_min_f32_e32 v64, v26, v6
	v_min_f32_e32 v65, v27, v7
	v_pk_add_f32 v[42:43], v[64:65], v[42:43]
	s_and_b64 vcc, exec, s[0:1]
	v_add_f32_e32 v42, v42, v43
	v_add_f32_e32 v13, v42, v13
	v_lshl_add_u64 v[42:43], v[28:29], 2, v[4:5]
	;; [unrolled: 38-line block ×3, first 2 shown]
	global_store_dword v[42:43], v13, off
	s_cbranch_vccnz .LBB40_60
; %bb.59:
	v_lshl_add_u64 v[8:9], v[16:17], 2, v[8:9]
	flat_load_dword v8, v[8:9]
	s_waitcnt vmcnt(0) lgkmcnt(0)
	v_mul_f32_e32 v12, s13, v8
.LBB40_60:
	v_min_f32_e32 v9, v18, v11
	v_min_f32_e32 v8, v19, v10
	v_pk_add_f32 v[8:9], v[8:9], v[52:53]
	v_min_f32_e32 v7, v15, v7
	v_min_f32_e32 v6, v14, v6
	v_pk_add_f32 v[6:7], v[6:7], v[8:9]
	v_lshl_add_u64 v[4:5], v[16:17], 2, v[4:5]
	v_add_f32_e32 v6, v6, v7
	v_add_f32_e32 v6, v6, v12
	v_add_u32_e32 v9, 0x60, v116
	global_store_dword v[4:5], v6, off
	v_mad_i64_i32 v[4:5], s[8:9], v9, s10, 0
	v_lshl_add_u64 v[4:5], v[4:5], 2, s[6:7]
	s_and_b64 vcc, exec, s[0:1]
	v_mov_b32_e32 v8, 0
	v_mov_b32_e32 v10, 0
	s_cbranch_vccnz .LBB40_62
; %bb.61:
	v_lshl_add_u64 v[6:7], v[48:49], 2, v[4:5]
	flat_load_dword v6, v[6:7]
	s_waitcnt vmcnt(0) lgkmcnt(0)
	v_mul_f32_e32 v10, s13, v6
.LBB40_62:
	v_max_f32_e32 v6, v1, v1
	v_max_f32_e32 v7, v0, v0
	v_min_f32_e32 v1, v117, v6
	v_min_f32_e32 v0, v44, v7
	v_max_f32_e32 v3, v3, v3
	v_max_f32_e32 v2, v2, v2
	v_pk_add_f32 v[0:1], v[0:1], v[56:57]
	v_min_f32_e32 v13, v46, v3
	v_min_f32_e32 v12, v45, v2
	v_pk_add_f32 v[12:13], v[12:13], v[0:1]
	v_mad_i64_i32 v[0:1], s[6:7], v9, s11, 0
	v_lshl_add_u64 v[0:1], v[0:1], 2, s[2:3]
	v_add_f32_e32 v9, v12, v13
	v_add_f32_e32 v9, v9, v10
	v_lshl_add_u64 v[10:11], v[48:49], 2, v[0:1]
	s_and_b64 vcc, exec, s[0:1]
	global_store_dword v[10:11], v9, off
	s_cbranch_vccnz .LBB40_64
; %bb.63:
	v_lshl_add_u64 v[8:9], v[40:41], 2, v[4:5]
	flat_load_dword v8, v[8:9]
	s_waitcnt vmcnt(0) lgkmcnt(0)
	v_mul_f32_e32 v8, s13, v8
.LBB40_64:
	v_min_f32_e32 v11, v94, v6
	v_min_f32_e32 v10, v47, v7
	v_pk_add_f32 v[10:11], v[10:11], v[50:51]
	v_min_f32_e32 v13, v39, v3
	v_min_f32_e32 v12, v38, v2
	v_pk_add_f32 v[10:11], v[12:13], v[10:11]
	s_and_b64 vcc, exec, s[0:1]
	v_add_f32_e32 v9, v10, v11
	v_add_f32_e32 v10, v9, v8
	v_lshl_add_u64 v[8:9], v[40:41], 2, v[0:1]
	global_store_dword v[8:9], v10, off
	v_mov_b32_e32 v8, 0
	v_mov_b32_e32 v9, 0
	s_cbranch_vccnz .LBB40_66
; %bb.65:
	v_lshl_add_u64 v[10:11], v[36:37], 2, v[4:5]
	flat_load_dword v9, v[10:11]
	s_waitcnt vmcnt(0) lgkmcnt(0)
	v_mul_f32_e32 v9, s13, v9
.LBB40_66:
	v_min_f32_e32 v11, v93, v6
	v_min_f32_e32 v10, v92, v7
	v_pk_add_f32 v[10:11], v[10:11], v[54:55]
	v_min_f32_e32 v13, v35, v3
	v_min_f32_e32 v12, v34, v2
	v_pk_add_f32 v[10:11], v[12:13], v[10:11]
	s_and_b64 vcc, exec, s[0:1]
	v_add_f32_e32 v10, v10, v11
	v_add_f32_e32 v9, v10, v9
	v_lshl_add_u64 v[10:11], v[36:37], 2, v[0:1]
	global_store_dword v[10:11], v9, off
	s_cbranch_vccnz .LBB40_68
; %bb.67:
	v_lshl_add_u64 v[8:9], v[32:33], 2, v[4:5]
	flat_load_dword v8, v[8:9]
	s_waitcnt vmcnt(0) lgkmcnt(0)
	v_mul_f32_e32 v8, s13, v8
.LBB40_68:
	v_min_f32_e32 v11, v96, v6
	v_min_f32_e32 v10, v95, v7
	v_pk_add_f32 v[10:11], v[10:11], v[58:59]
	v_min_f32_e32 v13, v31, v3
	v_min_f32_e32 v12, v30, v2
	v_pk_add_f32 v[10:11], v[12:13], v[10:11]
	s_and_b64 vcc, exec, s[0:1]
	v_add_f32_e32 v9, v10, v11
	v_add_f32_e32 v10, v9, v8
	v_lshl_add_u64 v[8:9], v[32:33], 2, v[0:1]
	global_store_dword v[8:9], v10, off
	v_mov_b32_e32 v8, 0
	v_mov_b32_e32 v9, 0
	s_cbranch_vccnz .LBB40_70
; %bb.69:
	v_lshl_add_u64 v[10:11], v[28:29], 2, v[4:5]
	flat_load_dword v9, v[10:11]
	s_waitcnt vmcnt(0) lgkmcnt(0)
	v_mul_f32_e32 v9, s13, v9
.LBB40_70:
	v_min_f32_e32 v11, v98, v6
	v_min_f32_e32 v10, v97, v7
	v_pk_add_f32 v[10:11], v[10:11], v[60:61]
	v_min_f32_e32 v13, v27, v3
	v_min_f32_e32 v12, v26, v2
	v_pk_add_f32 v[10:11], v[12:13], v[10:11]
	s_and_b64 vcc, exec, s[0:1]
	v_add_f32_e32 v10, v10, v11
	v_add_f32_e32 v9, v10, v9
	v_lshl_add_u64 v[10:11], v[28:29], 2, v[0:1]
	global_store_dword v[10:11], v9, off
	s_cbranch_vccnz .LBB40_72
; %bb.71:
	v_lshl_add_u64 v[8:9], v[24:25], 2, v[4:5]
	flat_load_dword v8, v[8:9]
	s_waitcnt vmcnt(0) lgkmcnt(0)
	v_mul_f32_e32 v8, s13, v8
.LBB40_72:
	v_min_f32_e32 v11, v100, v6
	v_min_f32_e32 v10, v99, v7
	v_pk_add_f32 v[10:11], v[10:11], v[62:63]
	v_min_f32_e32 v13, v23, v3
	v_min_f32_e32 v12, v22, v2
	v_pk_add_f32 v[10:11], v[12:13], v[10:11]
	v_min_f32_e32 v13, v112, v3
	v_add_f32_e32 v9, v10, v11
	v_min_f32_e32 v11, v103, v6
	v_min_f32_e32 v10, v101, v7
	v_pk_add_f32 v[10:11], v[10:11], v[106:107]
	v_min_f32_e32 v12, v102, v2
	v_pk_add_f32 v[10:11], v[12:13], v[10:11]
	v_add_f32_e32 v12, v9, v8
	v_lshl_add_u64 v[8:9], v[24:25], 2, v[0:1]
	global_store_dword v[8:9], v12, off
	v_add_f32_e32 v8, v10, v11
	s_mov_b64 vcc, s[4:5]
	s_cbranch_vccz .LBB40_75
; %bb.73:
	v_add_f32_e32 v9, 0, v8
	v_lshl_add_u64 v[10:11], v[20:21], 2, v[0:1]
	s_mov_b32 s2, 0
	global_store_dword v[10:11], v9, off
	s_cbranch_execz .LBB40_76
; %bb.74:
	v_mov_b32_e32 v4, s2
	s_branch .LBB40_77
.LBB40_75:
                                        ; implicit-def: $sgpr2
.LBB40_76:
	v_lshlrev_b64 v[10:11], 2, v[20:21]
	v_lshl_add_u64 v[12:13], v[4:5], 0, v[10:11]
	flat_load_dword v9, v[12:13]
	v_lshl_add_u64 v[10:11], v[0:1], 0, v[10:11]
	v_lshl_add_u64 v[4:5], v[16:17], 2, v[4:5]
	s_waitcnt vmcnt(0) lgkmcnt(0)
	v_fmac_f32_e32 v8, s13, v9
	global_store_dword v[10:11], v8, off
	flat_load_dword v4, v[4:5]
	s_waitcnt vmcnt(0) lgkmcnt(0)
	v_mul_f32_e32 v4, s13, v4
.LBB40_77:
	v_min_f32_e32 v9, v18, v6
	v_min_f32_e32 v8, v19, v7
	;; [unrolled: 1-line block ×4, first 2 shown]
	v_pk_add_f32 v[6:7], v[8:9], v[104:105]
	v_lshl_add_u64 v[0:1], v[16:17], 2, v[0:1]
	v_pk_add_f32 v[2:3], v[2:3], v[6:7]
	s_nop 0
	v_add_f32_e32 v2, v2, v3
	v_add_f32_e32 v2, v2, v4
	global_store_dword v[0:1], v2, off
	s_endpgm
	.section	.rodata,"a",@progbits
	.p2align	6, 0x0
	.amdhsa_kernel _ZN12_GLOBAL__N_120geam_min_plus_kernelIf15HIP_vector_typeIfLj2EES2_Li8ELi32ELi64ELi128ELi4ELi64ELi4ELi64ELi4ELc78ELc84ELb1ELb0ELb0EfKPKfKPfEEviiiT16_PT17_ilSA_ilS8_SA_ilPT18_ili26rocblas_geam_ex_operation_
		.amdhsa_group_segment_fixed_size 6144
		.amdhsa_private_segment_fixed_size 0
		.amdhsa_kernarg_size 128
		.amdhsa_user_sgpr_count 2
		.amdhsa_user_sgpr_dispatch_ptr 0
		.amdhsa_user_sgpr_queue_ptr 0
		.amdhsa_user_sgpr_kernarg_segment_ptr 1
		.amdhsa_user_sgpr_dispatch_id 0
		.amdhsa_user_sgpr_kernarg_preload_length 0
		.amdhsa_user_sgpr_kernarg_preload_offset 0
		.amdhsa_user_sgpr_private_segment_size 0
		.amdhsa_uses_dynamic_stack 0
		.amdhsa_enable_private_segment 0
		.amdhsa_system_sgpr_workgroup_id_x 1
		.amdhsa_system_sgpr_workgroup_id_y 0
		.amdhsa_system_sgpr_workgroup_id_z 1
		.amdhsa_system_sgpr_workgroup_info 0
		.amdhsa_system_vgpr_workitem_id 1
		.amdhsa_next_free_vgpr 156
		.amdhsa_next_free_sgpr 24
		.amdhsa_accum_offset 156
		.amdhsa_reserve_vcc 1
		.amdhsa_float_round_mode_32 0
		.amdhsa_float_round_mode_16_64 0
		.amdhsa_float_denorm_mode_32 3
		.amdhsa_float_denorm_mode_16_64 3
		.amdhsa_dx10_clamp 1
		.amdhsa_ieee_mode 1
		.amdhsa_fp16_overflow 0
		.amdhsa_tg_split 0
		.amdhsa_exception_fp_ieee_invalid_op 0
		.amdhsa_exception_fp_denorm_src 0
		.amdhsa_exception_fp_ieee_div_zero 0
		.amdhsa_exception_fp_ieee_overflow 0
		.amdhsa_exception_fp_ieee_underflow 0
		.amdhsa_exception_fp_ieee_inexact 0
		.amdhsa_exception_int_div_zero 0
	.end_amdhsa_kernel
	.section	.text._ZN12_GLOBAL__N_120geam_min_plus_kernelIf15HIP_vector_typeIfLj2EES2_Li8ELi32ELi64ELi128ELi4ELi64ELi4ELi64ELi4ELc78ELc84ELb1ELb0ELb0EfKPKfKPfEEviiiT16_PT17_ilSA_ilS8_SA_ilPT18_ili26rocblas_geam_ex_operation_,"axG",@progbits,_ZN12_GLOBAL__N_120geam_min_plus_kernelIf15HIP_vector_typeIfLj2EES2_Li8ELi32ELi64ELi128ELi4ELi64ELi4ELi64ELi4ELc78ELc84ELb1ELb0ELb0EfKPKfKPfEEviiiT16_PT17_ilSA_ilS8_SA_ilPT18_ili26rocblas_geam_ex_operation_,comdat
.Lfunc_end40:
	.size	_ZN12_GLOBAL__N_120geam_min_plus_kernelIf15HIP_vector_typeIfLj2EES2_Li8ELi32ELi64ELi128ELi4ELi64ELi4ELi64ELi4ELc78ELc84ELb1ELb0ELb0EfKPKfKPfEEviiiT16_PT17_ilSA_ilS8_SA_ilPT18_ili26rocblas_geam_ex_operation_, .Lfunc_end40-_ZN12_GLOBAL__N_120geam_min_plus_kernelIf15HIP_vector_typeIfLj2EES2_Li8ELi32ELi64ELi128ELi4ELi64ELi4ELi64ELi4ELc78ELc84ELb1ELb0ELb0EfKPKfKPfEEviiiT16_PT17_ilSA_ilS8_SA_ilPT18_ili26rocblas_geam_ex_operation_
                                        ; -- End function
	.section	.AMDGPU.csdata,"",@progbits
; Kernel info:
; codeLenInByte = 8652
; NumSgprs: 30
; NumVgprs: 156
; NumAgprs: 0
; TotalNumVgprs: 156
; ScratchSize: 0
; MemoryBound: 0
; FloatMode: 240
; IeeeMode: 1
; LDSByteSize: 6144 bytes/workgroup (compile time only)
; SGPRBlocks: 3
; VGPRBlocks: 19
; NumSGPRsForWavesPerEU: 30
; NumVGPRsForWavesPerEU: 156
; AccumOffset: 156
; Occupancy: 3
; WaveLimiterHint : 1
; COMPUTE_PGM_RSRC2:SCRATCH_EN: 0
; COMPUTE_PGM_RSRC2:USER_SGPR: 2
; COMPUTE_PGM_RSRC2:TRAP_HANDLER: 0
; COMPUTE_PGM_RSRC2:TGID_X_EN: 1
; COMPUTE_PGM_RSRC2:TGID_Y_EN: 0
; COMPUTE_PGM_RSRC2:TGID_Z_EN: 1
; COMPUTE_PGM_RSRC2:TIDIG_COMP_CNT: 1
; COMPUTE_PGM_RSRC3_GFX90A:ACCUM_OFFSET: 38
; COMPUTE_PGM_RSRC3_GFX90A:TG_SPLIT: 0
	.section	.text._ZN12_GLOBAL__N_120geam_min_plus_kernelIf15HIP_vector_typeIfLj2EES2_Li8ELi32ELi64ELi128ELi4ELi64ELi4ELi64ELi4ELc78ELc84ELb0ELb0ELb0EfKPKfKPfEEviiiT16_PT17_ilSA_ilS8_SA_ilPT18_ili26rocblas_geam_ex_operation_,"axG",@progbits,_ZN12_GLOBAL__N_120geam_min_plus_kernelIf15HIP_vector_typeIfLj2EES2_Li8ELi32ELi64ELi128ELi4ELi64ELi4ELi64ELi4ELc78ELc84ELb0ELb0ELb0EfKPKfKPfEEviiiT16_PT17_ilSA_ilS8_SA_ilPT18_ili26rocblas_geam_ex_operation_,comdat
	.globl	_ZN12_GLOBAL__N_120geam_min_plus_kernelIf15HIP_vector_typeIfLj2EES2_Li8ELi32ELi64ELi128ELi4ELi64ELi4ELi64ELi4ELc78ELc84ELb0ELb0ELb0EfKPKfKPfEEviiiT16_PT17_ilSA_ilS8_SA_ilPT18_ili26rocblas_geam_ex_operation_ ; -- Begin function _ZN12_GLOBAL__N_120geam_min_plus_kernelIf15HIP_vector_typeIfLj2EES2_Li8ELi32ELi64ELi128ELi4ELi64ELi4ELi64ELi4ELc78ELc84ELb0ELb0ELb0EfKPKfKPfEEviiiT16_PT17_ilSA_ilS8_SA_ilPT18_ili26rocblas_geam_ex_operation_
	.p2align	8
	.type	_ZN12_GLOBAL__N_120geam_min_plus_kernelIf15HIP_vector_typeIfLj2EES2_Li8ELi32ELi64ELi128ELi4ELi64ELi4ELi64ELi4ELc78ELc84ELb0ELb0ELb0EfKPKfKPfEEviiiT16_PT17_ilSA_ilS8_SA_ilPT18_ili26rocblas_geam_ex_operation_,@function
_ZN12_GLOBAL__N_120geam_min_plus_kernelIf15HIP_vector_typeIfLj2EES2_Li8ELi32ELi64ELi128ELi4ELi64ELi4ELi64ELi4ELc78ELc84ELb0ELb0ELb0EfKPKfKPfEEviiiT16_PT17_ilSA_ilS8_SA_ilPT18_ili26rocblas_geam_ex_operation_: ; @_ZN12_GLOBAL__N_120geam_min_plus_kernelIf15HIP_vector_typeIfLj2EES2_Li8ELi32ELi64ELi128ELi4ELi64ELi4ELi64ELi4ELc78ELc84ELb0ELb0ELb0EfKPKfKPfEEviiiT16_PT17_ilSA_ilS8_SA_ilPT18_ili26rocblas_geam_ex_operation_
; %bb.0:
	s_load_dwordx2 s[12:13], s[0:1], 0x8
	s_load_dwordx4 s[4:7], s[0:1], 0x20
	s_mov_b32 s20, s3
	s_mov_b32 s21, 0
	s_waitcnt lgkmcnt(0)
	v_cmp_eq_f32_e64 s[8:9], s13, 0
	s_and_b64 vcc, exec, s[8:9]
	s_cbranch_vccnz .LBB41_3
; %bb.1:
	s_load_dwordx2 s[10:11], s[0:1], 0x10
	s_lshl_b64 s[14:15], s[20:21], 3
	s_waitcnt lgkmcnt(0)
	s_add_u32 s10, s10, s14
	s_addc_u32 s11, s11, s15
	s_load_dwordx2 s[10:11], s[10:11], 0x0
	s_lshl_b64 s[4:5], s[4:5], 2
	s_waitcnt lgkmcnt(0)
	s_add_u32 s16, s10, s4
	s_addc_u32 s17, s11, s5
	s_andn2_b64 vcc, exec, s[8:9]
	s_cbranch_vccnz .LBB41_4
.LBB41_2:
	s_mov_b64 s[14:15], 0
	s_cbranch_execz .LBB41_5
	s_branch .LBB41_6
.LBB41_3:
	s_mov_b64 s[16:17], 0
	s_andn2_b64 vcc, exec, s[8:9]
	s_cbranch_vccz .LBB41_2
.LBB41_4:
                                        ; implicit-def: $sgpr14_sgpr15
.LBB41_5:
	s_lshl_b64 s[8:9], s[20:21], 3
	s_add_u32 s6, s6, s8
	s_load_dwordx2 s[4:5], s[0:1], 0x38
	s_addc_u32 s7, s7, s9
	s_load_dwordx2 s[6:7], s[6:7], 0x0
	s_waitcnt lgkmcnt(0)
	s_lshl_b64 s[4:5], s[4:5], 2
	s_add_u32 s14, s6, s4
	s_addc_u32 s15, s7, s5
.LBB41_6:
	s_load_dword s24, s[0:1], 0x40
	s_load_dwordx4 s[8:11], s[0:1], 0x58
	v_cmp_neq_f32_e64 s[22:23], s13, 0
	s_waitcnt lgkmcnt(0)
	v_cmp_eq_f32_e64 s[4:5], s24, 0
	s_and_b64 s[6:7], exec, s[4:5]
	s_mov_b64 vcc, s[6:7]
	s_cbranch_vccnz .LBB41_8
; %bb.7:
	s_load_dwordx2 s[4:5], s[0:1], 0x48
	s_lshl_b64 s[18:19], s[20:21], 3
	s_waitcnt lgkmcnt(0)
	s_add_u32 s4, s4, s18
	s_addc_u32 s5, s5, s19
	s_load_dwordx2 s[4:5], s[4:5], 0x0
	s_lshl_b64 s[8:9], s[8:9], 2
	s_waitcnt lgkmcnt(0)
	s_add_u32 s8, s4, s8
	s_addc_u32 s9, s5, s9
	s_branch .LBB41_9
.LBB41_8:
	s_mov_b64 s[8:9], 0
.LBB41_9:
	s_load_dword s18, s[0:1], 0x18
	s_load_dword s3, s[0:1], 0x0
	s_lshl_b64 s[4:5], s[20:21], 3
	v_and_b32_e32 v206, 0x3ff, v0
	v_bfe_u32 v207, v0, 10, 10
	s_waitcnt lgkmcnt(0)
	s_ashr_i32 s19, s18, 31
	s_add_u32 s10, s10, s4
	s_addc_u32 s11, s11, s5
	s_add_i32 s3, s3, -1
	s_ashr_i32 s4, s3, 31
	s_lshr_b32 s4, s4, 26
	s_add_i32 s3, s3, s4
	s_ashr_i32 s3, s3, 6
	s_add_i32 s20, s3, 1
	v_cvt_f32_u32_e32 v1, s20
	s_not_b32 s3, s3
	v_lshl_add_u32 v2, v207, 3, v206
	v_and_b32_e32 v7, 63, v2
	v_rcp_iflag_f32_e32 v0, v1
	v_cndmask_b32_e64 v1, 0, 1, s[22:23]
	v_cmp_ne_u32_e64 s[4:5], 1, v1
	v_lshrrev_b32_e32 v6, 6, v2
	v_mul_f32_e32 v0, 0x4f7ffffe, v0
	v_cvt_u32_f32_e32 v0, v0
	s_nop 0
	v_readfirstlane_b32 s21, v0
	s_mul_i32 s3, s3, s21
	s_mul_hi_u32 s3, s21, s3
	s_add_i32 s21, s21, s3
	s_mul_hi_u32 s3, s2, s21
	s_mul_i32 s21, s3, s20
	s_sub_i32 s21, s2, s21
	s_add_i32 s25, s3, 1
	s_sub_i32 s26, s21, s20
	s_cmp_ge_u32 s21, s20
	s_cselect_b32 s3, s25, s3
	s_cselect_b32 s21, s26, s21
	s_add_i32 s25, s3, 1
	s_cmp_ge_u32 s21, s20
	s_cselect_b32 s21, s25, s3
	s_mul_i32 s3, s21, s20
	s_sub_i32 s20, s2, s3
	s_lshl_b32 s25, s20, 6
	v_or_b32_e32 v0, s25, v7
	s_andn2_b64 vcc, exec, s[22:23]
	v_ashrrev_i32_e32 v1, 31, v0
	s_cbranch_vccnz .LBB41_11
; %bb.10:
	v_mad_i64_i32 v[2:3], s[22:23], s18, v6, 0
	v_lshl_add_u64 v[2:3], v[2:3], 2, s[16:17]
	v_lshl_add_u64 v[2:3], v[0:1], 2, v[2:3]
	flat_load_dword v2, v[2:3]
	s_waitcnt vmcnt(0) lgkmcnt(0)
	v_mul_f32_e32 v9, s13, v2
	s_branch .LBB41_12
.LBB41_11:
	v_mov_b32_e32 v9, 0
.LBB41_12:
	s_load_dword s20, s[0:1], 0x30
	s_lshl_b32 s22, s21, 7
	v_or_b32_e32 v4, s22, v7
	s_and_b64 vcc, exec, s[4:5]
	v_ashrrev_i32_e32 v5, 31, v4
	s_waitcnt lgkmcnt(0)
	s_ashr_i32 s21, s20, 31
	s_cbranch_vccnz .LBB41_16
; %bb.13:
	v_mad_i64_i32 v[2:3], s[26:27], s20, v6, 0
	v_lshl_add_u64 v[2:3], v[2:3], 2, s[14:15]
	v_lshl_add_u64 v[2:3], v[4:5], 2, v[2:3]
	flat_load_dword v10, v[2:3]
	flat_load_dword v11, v[2:3] offset:256
	s_mov_b32 s26, s13
	s_waitcnt vmcnt(0) lgkmcnt(0)
	v_pk_mul_f32 v[2:3], v[10:11], s[26:27] op_sel_hi:[1,0]
	s_and_b64 vcc, exec, s[4:5]
	v_add_u32_e32 v10, 4, v6
	s_cbranch_vccnz .LBB41_17
.LBB41_14:
	v_mad_i64_i32 v[12:13], s[26:27], s18, v10, 0
	v_lshl_add_u64 v[12:13], v[12:13], 2, s[16:17]
	v_lshl_add_u64 v[0:1], v[0:1], 2, v[12:13]
	flat_load_dword v0, v[0:1]
	s_waitcnt vmcnt(0) lgkmcnt(0)
	v_mul_f32_e32 v8, s13, v0
	s_and_b64 vcc, exec, s[4:5]
	s_cbranch_vccnz .LBB41_18
.LBB41_15:
	v_mad_i64_i32 v[0:1], s[26:27], s20, v10, 0
	v_lshl_add_u64 v[0:1], v[0:1], 2, s[14:15]
	v_lshl_add_u64 v[0:1], v[4:5], 2, v[0:1]
	flat_load_dword v4, v[0:1]
	flat_load_dword v5, v[0:1] offset:256
	s_mov_b32 s26, s13
	s_waitcnt vmcnt(0) lgkmcnt(0)
	v_pk_mul_f32 v[0:1], v[4:5], s[26:27] op_sel_hi:[1,0]
	s_branch .LBB41_19
.LBB41_16:
	v_mov_b32_e32 v2, 0
	v_mov_b32_e32 v3, 0
	s_and_b64 vcc, exec, s[4:5]
	v_add_u32_e32 v10, 4, v6
	s_cbranch_vccz .LBB41_14
.LBB41_17:
	v_mov_b32_e32 v8, 0
	s_and_b64 vcc, exec, s[4:5]
	s_cbranch_vccz .LBB41_15
.LBB41_18:
	v_mov_b32_e32 v0, 0
	v_mov_b32_e32 v1, 0
.LBB41_19:
	v_lshlrev_b32_e32 v4, 2, v6
	v_lshl_add_u32 v210, v7, 4, v4
	v_lshlrev_b32_e32 v209, 4, v207
	s_load_dwordx2 s[10:11], s[10:11], 0x0
	ds_write_b32 v210, v9 offset:4096
	ds_write2st64_b32 v210, v2, v3 offset1:4
	s_waitcnt lgkmcnt(0)
	s_barrier
	ds_read_b128 v[2:5], v209
	v_lshlrev_b32_e32 v208, 4, v206
	ds_read_b128 v[10:13], v208 offset:4992
	ds_read_b128 v[14:17], v209 offset:512
	;; [unrolled: 1-line block ×5, first 2 shown]
	s_waitcnt lgkmcnt(5)
	v_max_f32_e32 v9, v3, v3
	v_max_f32_e32 v52, v2, v2
	ds_read_b128 v[30:33], v208 offset:4096
	ds_read_b128 v[34:37], v208 offset:4224
	v_max_f32_e32 v104, v5, v5
	v_max_f32_e32 v106, v4, v4
	ds_read_b128 v[2:5], v208 offset:4352
	s_waitcnt lgkmcnt(7)
	v_max_f32_e32 v56, v11, v11
	v_max_f32_e32 v57, v10, v10
	s_waitcnt lgkmcnt(6)
	v_max_f32_e32 v54, v15, v15
	v_max_f32_e32 v55, v14, v14
	s_waitcnt lgkmcnt(3)
	v_max_f32_e32 v59, v26, v26
	s_waitcnt lgkmcnt(2)
	v_max_f32_e32 v26, v30, v30
	v_max_f32_e32 v105, v13, v13
	;; [unrolled: 1-line block ×3, first 2 shown]
	ds_read_b128 v[10:13], v208 offset:4480
	v_max_f32_e32 v108, v17, v17
	v_max_f32_e32 v109, v16, v16
	s_waitcnt lgkmcnt(1)
	v_max_f32_e32 v30, v2, v2
	v_max_f32_e32 v125, v28, v28
	;; [unrolled: 1-line block ×4, first 2 shown]
	ds_read_b128 v[14:17], v208 offset:4608
	v_max_f32_e32 v73, v5, v5
	ds_read_b128 v[2:5], v208 offset:4736
	v_max_f32_e32 v58, v27, v27
	v_max_f32_e32 v60, v23, v23
	;; [unrolled: 1-line block ×4, first 2 shown]
	s_waitcnt lgkmcnt(0)
	v_max_f32_e32 v50, v2, v2
	v_max_f32_e32 v51, v3, v3
	;; [unrolled: 1-line block ×10, first 2 shown]
	v_min_f32_e32 v46, v50, v52
	v_min_f32_e32 v47, v51, v9
	;; [unrolled: 1-line block ×10, first 2 shown]
	v_max_f32_e32 v124, v29, v29
	v_max_f32_e32 v66, v32, v32
	;; [unrolled: 1-line block ×14, first 2 shown]
	v_min_f32_e32 v2, v26, v52
	v_min_f32_e32 v3, v27, v9
	;; [unrolled: 1-line block ×41, first 2 shown]
	v_pk_add_f32 v[50:51], v[50:51], 0 op_sel_hi:[1,0]
	v_min_f32_e32 v57, v105, v104
	v_min_f32_e32 v56, v107, v106
	v_pk_add_f32 v[88:89], v[56:57], v[50:51]
	v_pk_add_f32 v[50:51], v[52:53], 0 op_sel_hi:[1,0]
	v_min_f32_e32 v53, v105, v108
	v_min_f32_e32 v52, v107, v109
	v_pk_add_f32 v[74:75], v[52:53], v[50:51]
	v_pk_add_f32 v[50:51], v[54:55], 0 op_sel_hi:[1,0]
	v_min_f32_e32 v53, v105, v124
	v_min_f32_e32 v52, v107, v125
	v_max_f32_e32 v69, v37, v37
	v_min_f32_e32 v31, v39, v9
	v_min_f32_e32 v35, v39, v58
	;; [unrolled: 1-line block ×10, first 2 shown]
	v_pk_add_f32 v[60:61], v[52:53], v[50:51]
	v_pk_add_f32 v[2:3], v[2:3], 0 op_sel_hi:[1,0]
	v_min_f32_e32 v50, v66, v106
	v_min_f32_e32 v51, v67, v104
	v_pk_add_f32 v[122:123], v[50:51], v[2:3]
	v_pk_add_f32 v[2:3], v[4:5], 0 op_sel_hi:[1,0]
	v_min_f32_e32 v4, v66, v109
	v_min_f32_e32 v5, v67, v108
	;; [unrolled: 4-line block ×3, first 2 shown]
	v_min_f32_e32 v81, v71, v9
	v_min_f32_e32 v98, v70, v59
	;; [unrolled: 1-line block ×3, first 2 shown]
	v_pk_add_f32 v[70:71], v[4:5], v[2:3]
	v_min_f32_e32 v3, v67, v126
	v_min_f32_e32 v2, v66, v127
	v_pk_add_f32 v[4:5], v[12:13], 0 op_sel_hi:[1,0]
	s_cmp_lt_i32 s12, 9
	v_pk_add_f32 v[56:57], v[2:3], v[4:5]
	v_pk_add_f32 v[2:3], v[14:15], 0 op_sel_hi:[1,0]
	v_min_f32_e32 v4, v68, v106
	v_min_f32_e32 v5, v69, v104
	v_pk_add_f32 v[120:121], v[4:5], v[2:3]
	v_pk_add_f32 v[2:3], v[16:17], 0 op_sel_hi:[1,0]
	v_min_f32_e32 v4, v68, v109
	v_min_f32_e32 v5, v69, v108
	;; [unrolled: 4-line block ×3, first 2 shown]
	v_pk_add_f32 v[66:67], v[4:5], v[2:3]
	v_min_f32_e32 v3, v69, v126
	v_min_f32_e32 v2, v68, v127
	v_pk_add_f32 v[4:5], v[20:21], 0 op_sel_hi:[1,0]
	ds_write2st64_b32 v210, v0, v1 offset0:8 offset1:12
	ds_write_b32 v210, v8 offset:5120
	v_pk_add_f32 v[50:51], v[2:3], v[4:5]
	v_pk_add_f32 v[2:3], v[22:23], 0 op_sel_hi:[1,0]
	v_min_f32_e32 v4, v72, v106
	v_min_f32_e32 v5, v73, v104
	v_pk_add_f32 v[118:119], v[4:5], v[2:3]
	v_pk_add_f32 v[2:3], v[24:25], 0 op_sel_hi:[1,0]
	v_min_f32_e32 v4, v72, v109
	v_min_f32_e32 v5, v73, v108
	;; [unrolled: 4-line block ×3, first 2 shown]
	v_pk_add_f32 v[68:69], v[4:5], v[2:3]
	v_min_f32_e32 v3, v73, v126
	v_min_f32_e32 v2, v72, v127
	v_pk_add_f32 v[4:5], v[28:29], 0 op_sel_hi:[1,0]
	s_waitcnt lgkmcnt(0)
	v_pk_add_f32 v[52:53], v[2:3], v[4:5]
	v_pk_add_f32 v[2:3], v[30:31], 0 op_sel_hi:[1,0]
	v_min_f32_e32 v4, v76, v106
	v_min_f32_e32 v5, v77, v104
	v_pk_add_f32 v[116:117], v[4:5], v[2:3]
	v_pk_add_f32 v[2:3], v[32:33], 0 op_sel_hi:[1,0]
	v_min_f32_e32 v4, v76, v109
	v_min_f32_e32 v5, v77, v108
	;; [unrolled: 4-line block ×3, first 2 shown]
	v_pk_add_f32 v[72:73], v[4:5], v[2:3]
	v_min_f32_e32 v3, v77, v126
	v_min_f32_e32 v2, v76, v127
	v_pk_add_f32 v[4:5], v[36:37], 0 op_sel_hi:[1,0]
	s_barrier
	v_pk_add_f32 v[54:55], v[2:3], v[4:5]
	v_pk_add_f32 v[2:3], v[38:39], 0 op_sel_hi:[1,0]
	v_min_f32_e32 v4, v78, v106
	v_min_f32_e32 v5, v79, v104
	v_pk_add_f32 v[114:115], v[4:5], v[2:3]
	v_pk_add_f32 v[2:3], v[40:41], 0 op_sel_hi:[1,0]
	v_min_f32_e32 v4, v78, v109
	v_min_f32_e32 v5, v79, v108
	;; [unrolled: 4-line block ×3, first 2 shown]
	v_pk_add_f32 v[76:77], v[4:5], v[2:3]
	v_min_f32_e32 v3, v79, v126
	v_min_f32_e32 v2, v78, v127
	v_pk_add_f32 v[4:5], v[44:45], 0 op_sel_hi:[1,0]
	s_nop 0
	v_pk_add_f32 v[58:59], v[2:3], v[4:5]
	v_pk_add_f32 v[2:3], v[46:47], 0 op_sel_hi:[1,0]
	v_min_f32_e32 v4, v110, v106
	v_min_f32_e32 v5, v111, v104
	v_pk_add_f32 v[112:113], v[4:5], v[2:3]
	v_pk_add_f32 v[2:3], v[48:49], 0 op_sel_hi:[1,0]
	v_min_f32_e32 v4, v110, v109
	v_min_f32_e32 v5, v111, v108
	;; [unrolled: 4-line block ×3, first 2 shown]
	v_pk_add_f32 v[78:79], v[4:5], v[2:3]
	v_min_f32_e32 v3, v111, v126
	v_min_f32_e32 v2, v110, v127
	v_pk_add_f32 v[4:5], v[64:65], 0 op_sel_hi:[1,0]
	s_nop 0
	v_pk_add_f32 v[62:63], v[2:3], v[4:5]
	v_min_f32_e32 v2, v128, v106
	v_min_f32_e32 v3, v129, v104
	v_pk_add_f32 v[4:5], v[80:81], 0 op_sel_hi:[1,0]
	s_nop 0
	v_pk_add_f32 v[110:111], v[2:3], v[4:5]
	v_min_f32_e32 v2, v128, v109
	v_min_f32_e32 v3, v129, v108
	v_pk_add_f32 v[4:5], v[96:97], 0 op_sel_hi:[1,0]
	s_nop 0
	v_pk_add_f32 v[96:97], v[2:3], v[4:5]
	v_min_f32_e32 v2, v128, v125
	v_min_f32_e32 v3, v129, v124
	v_pk_add_f32 v[4:5], v[98:99], 0 op_sel_hi:[1,0]
	s_nop 0
	v_pk_add_f32 v[80:81], v[2:3], v[4:5]
	v_min_f32_e32 v3, v129, v126
	v_min_f32_e32 v2, v128, v127
	v_pk_add_f32 v[4:5], v[100:101], 0 op_sel_hi:[1,0]
	s_nop 0
	v_pk_add_f32 v[64:65], v[2:3], v[4:5]
	v_min_f32_e32 v3, v105, v126
	v_min_f32_e32 v2, v107, v127
	v_pk_add_f32 v[4:5], v[102:103], 0 op_sel_hi:[1,0]
	s_nop 0
	v_pk_add_f32 v[48:49], v[2:3], v[4:5]
	s_cbranch_scc1 .LBB41_33
; %bb.20:
	v_mov_b32_e32 v0, 0x1400
	v_lshl_add_u32 v215, v206, 4, v0
	v_mov_b32_e32 v0, 0x800
	v_add_u32_e32 v2, 12, v6
	v_lshl_add_u32 v216, v207, 4, v0
	v_mad_i64_i32 v[0:1], s[26:27], v2, s20, 0
	v_lshlrev_b64 v[98:99], 2, v[0:1]
	v_add_u32_e32 v0, s22, v7
	v_ashrrev_i32_e32 v1, 31, v0
	v_lshl_add_u64 v[100:101], v[0:1], 2, s[14:15]
	v_mad_i64_i32 v[0:1], s[26:27], v2, s18, 0
	v_lshlrev_b64 v[102:103], 2, v[0:1]
	v_lshl_or_b32 v0, s2, 6, v7
	s_lshl_b32 s2, s3, 6
	v_subrev_u32_e32 v0, s2, v0
	v_ashrrev_i32_e32 v1, 31, v0
	v_add_u32_e32 v2, 8, v6
	v_lshl_add_u64 v[104:105], v[0:1], 2, s[16:17]
	v_mad_i64_i32 v[0:1], s[16:17], v2, s20, 0
	v_lshlrev_b64 v[106:107], 2, v[0:1]
	v_mad_i64_i32 v[0:1], s[16:17], v2, s18, 0
	v_or_b32_e32 v211, 0x1000, v210
	v_add_u32_e32 v212, 0x1000, v208
	v_add_u32_e32 v213, 0x1400, v210
	v_or_b32_e32 v214, 0x800, v210
	s_add_i32 s23, s12, -8
	s_mov_b32 s12, s13
	s_lshl_b64 s[14:15], s[20:21], 5
	s_lshl_b64 s[2:3], s[18:19], 5
	v_lshlrev_b64 v[108:109], 2, v[0:1]
	s_mov_b32 s16, 0
	s_branch .LBB41_23
.LBB41_21:                              ;   in Loop: Header=BB41_23 Depth=1
	v_lshl_add_u64 v[16:17], v[100:101], 0, v[98:99]
	flat_load_dword v218, v[16:17]
	flat_load_dword v219, v[16:17] offset:256
	s_waitcnt vmcnt(0) lgkmcnt(0)
	v_pk_mul_f32 v[16:17], v[218:219], s[12:13]
.LBB41_22:                              ;   in Loop: Header=BB41_23 Depth=1
	v_pk_add_f32 v[40:41], v[40:41], v[88:89]
	v_pk_add_f32 v[32:33], v[32:33], v[60:61]
	;; [unrolled: 1-line block ×32, first 2 shown]
	ds_read_b128 v[0:3], v209
	ds_read_b128 v[8:11], v209 offset:512
	v_pk_add_f32 v[22:23], v[6:7], v[80:81]
	ds_read_b128 v[4:7], v212 offset:896
	ds_read_b128 v[12:15], v212 offset:768
	;; [unrolled: 1-line block ×4, first 2 shown]
	v_pk_add_f32 v[88:89], v[132:133], v[68:69]
	v_pk_add_f32 v[90:91], v[140:141], v[90:91]
	v_pk_add_f32 v[120:121], v[150:151], v[58:59]
	v_pk_add_f32 v[124:125], v[164:165], v[48:49]
	v_pk_add_f32 v[58:59], v[18:19], v[88:89]
	v_pk_add_f32 v[48:49], v[180:181], v[90:91]
	ds_read_b128 v[88:91], v212
	v_pk_add_f32 v[36:37], v[36:37], v[74:75]
	v_pk_add_f32 v[116:117], v[142:143], v[116:117]
	;; [unrolled: 1-line block ×9, first 2 shown]
	s_waitcnt lgkmcnt(4)
	v_max_f32_e32 v117, v5, v5
	v_max_f32_e32 v119, v4, v4
	;; [unrolled: 1-line block ×4, first 2 shown]
	s_waitcnt lgkmcnt(1)
	v_max_f32_e32 v122, v85, v85
	v_max_f32_e32 v123, v84, v84
	v_min_f32_e32 v5, v117, v120
	v_min_f32_e32 v4, v119, v121
	;; [unrolled: 1-line block ×4, first 2 shown]
	v_max_f32_e32 v116, v1, v1
	v_max_f32_e32 v118, v0, v0
	v_pk_add_f32 v[4:5], v[4:5], v[78:79]
	v_pk_add_f32 v[8:9], v[8:9], v[76:77]
	ds_read_b128 v[76:79], v212 offset:128
	s_waitcnt lgkmcnt(1)
	v_max_f32_e32 v88, v88, v88
	v_max_f32_e32 v89, v89, v89
	v_min_f32_e32 v84, v88, v118
	v_min_f32_e32 v85, v89, v116
	v_pk_add_f32 v[92:93], v[146:147], v[92:93]
	v_pk_add_f32 v[84:85], v[84:85], v[70:71]
	v_min_f32_e32 v70, v88, v121
	v_min_f32_e32 v71, v89, v120
	v_pk_add_f32 v[94:95], v[152:153], v[94:95]
	v_pk_add_f32 v[40:41], v[186:187], v[92:93]
	;; [unrolled: 1-line block ×3, first 2 shown]
	v_min_f32_e32 v70, v88, v123
	v_min_f32_e32 v71, v89, v122
	v_pk_add_f32 v[32:33], v[196:197], v[94:95]
	v_pk_add_f32 v[94:95], v[70:71], v[74:75]
	v_max_f32_e32 v74, v81, v81
	v_max_f32_e32 v75, v80, v80
	v_pk_add_f32 v[68:69], v[26:27], v[24:25]
	v_min_f32_e32 v71, v89, v74
	v_min_f32_e32 v70, v88, v75
	s_waitcnt lgkmcnt(0)
	v_max_f32_e32 v72, v76, v76
	v_max_f32_e32 v73, v77, v77
	v_pk_add_f32 v[68:69], v[70:71], v[68:69]
	v_min_f32_e32 v70, v72, v118
	v_min_f32_e32 v71, v73, v116
	v_pk_add_f32 v[76:77], v[70:71], v[62:63]
	v_min_f32_e32 v62, v72, v121
	v_min_f32_e32 v63, v73, v120
	;; [unrolled: 3-line block ×3, first 2 shown]
	v_pk_add_f32 v[66:67], v[62:63], v[66:67]
	ds_read_b128 v[62:65], v212 offset:256
	v_pk_add_f32 v[96:97], v[158:159], v[96:97]
	v_min_f32_e32 v71, v73, v74
	v_min_f32_e32 v70, v72, v75
	v_pk_add_f32 v[24:25], v[202:203], v[96:97]
	v_pk_add_f32 v[96:97], v[70:71], v[60:61]
	ds_read_b128 v[70:73], v212 offset:384
	s_waitcnt lgkmcnt(1)
	v_max_f32_e32 v62, v62, v62
	v_max_f32_e32 v63, v63, v63
	v_min_f32_e32 v60, v62, v118
	v_min_f32_e32 v61, v63, v116
	v_pk_add_f32 v[110:111], v[160:161], v[110:111]
	v_pk_add_f32 v[54:55], v[60:61], v[54:55]
	v_min_f32_e32 v60, v62, v121
	v_min_f32_e32 v61, v63, v120
	v_pk_add_f32 v[52:53], v[138:139], v[52:53]
	v_pk_add_f32 v[26:27], v[204:205], v[110:111]
	;; [unrolled: 1-line block ×3, first 2 shown]
	v_min_f32_e32 v56, v62, v123
	v_min_f32_e32 v57, v63, v122
	v_pk_add_f32 v[52:53], v[178:179], v[52:53]
	v_pk_add_f32 v[58:59], v[56:57], v[58:59]
	v_min_f32_e32 v57, v63, v74
	v_min_f32_e32 v56, v62, v75
	s_waitcnt lgkmcnt(0)
	v_max_f32_e32 v60, v70, v70
	v_max_f32_e32 v61, v71, v71
	v_pk_add_f32 v[112:113], v[154:155], v[112:113]
	v_pk_add_f32 v[52:53], v[56:57], v[52:53]
	v_min_f32_e32 v56, v60, v118
	v_min_f32_e32 v57, v61, v116
	v_pk_add_f32 v[114:115], v[148:149], v[114:115]
	v_pk_add_f32 v[30:31], v[198:199], v[112:113]
	;; [unrolled: 1-line block ×3, first 2 shown]
	v_min_f32_e32 v46, v60, v121
	v_min_f32_e32 v47, v61, v120
	v_pk_add_f32 v[38:39], v[188:189], v[114:115]
	v_pk_add_f32 v[114:115], v[46:47], v[48:49]
	v_min_f32_e32 v46, v60, v123
	v_min_f32_e32 v47, v61, v122
	v_pk_add_f32 v[18:19], v[194:195], v[124:125]
	v_pk_add_f32 v[124:125], v[46:47], v[50:51]
	ds_read_b128 v[46:49], v212 offset:512
	v_min_f32_e32 v51, v61, v74
	v_min_f32_e32 v50, v60, v75
	ds_read_b128 v[60:63], v212 offset:640
	v_pk_add_f32 v[44:45], v[50:51], v[44:45]
	s_waitcnt lgkmcnt(1)
	v_max_f32_e32 v50, v46, v46
	v_max_f32_e32 v51, v47, v47
	v_min_f32_e32 v46, v50, v118
	v_min_f32_e32 v47, v51, v116
	v_pk_add_f32 v[38:39], v[46:47], v[38:39]
	v_min_f32_e32 v46, v50, v121
	v_min_f32_e32 v47, v51, v120
	v_pk_add_f32 v[40:41], v[46:47], v[40:41]
	;; [unrolled: 3-line block ×3, first 2 shown]
	v_min_f32_e32 v47, v51, v74
	v_min_f32_e32 v46, v50, v75
	s_waitcnt lgkmcnt(0)
	v_max_f32_e32 v50, v60, v60
	v_max_f32_e32 v51, v61, v61
	v_pk_add_f32 v[36:37], v[46:47], v[36:37]
	v_min_f32_e32 v46, v50, v118
	v_min_f32_e32 v47, v51, v116
	v_pk_add_f32 v[30:31], v[46:47], v[30:31]
	v_min_f32_e32 v46, v50, v121
	v_min_f32_e32 v47, v51, v120
	v_pk_add_f32 v[32:33], v[46:47], v[32:33]
	v_min_f32_e32 v46, v50, v123
	v_min_f32_e32 v47, v51, v122
	v_pk_add_f32 v[34:35], v[46:47], v[34:35]
	v_min_f32_e32 v47, v51, v74
	v_min_f32_e32 v46, v50, v75
	v_pk_add_f32 v[28:29], v[46:47], v[28:29]
	v_max_f32_e32 v46, v12, v12
	v_max_f32_e32 v47, v13, v13
	v_min_f32_e32 v12, v46, v118
	v_min_f32_e32 v13, v47, v116
	v_pk_add_f32 v[12:13], v[12:13], v[26:27]
	v_min_f32_e32 v26, v46, v121
	v_min_f32_e32 v27, v47, v120
	v_pk_add_f32 v[24:25], v[26:27], v[24:25]
	;; [unrolled: 3-line block ×4, first 2 shown]
	v_min_f32_e32 v27, v117, v74
	v_min_f32_e32 v26, v119, v75
	;; [unrolled: 1-line block ×4, first 2 shown]
	v_pk_add_f32 v[18:19], v[26:27], v[18:19]
	v_max_f32_e32 v26, v3, v3
	v_max_f32_e32 v7, v7, v7
	;; [unrolled: 1-line block ×4, first 2 shown]
	v_pk_add_f32 v[0:1], v[0:1], v[126:127]
	v_min_f32_e32 v3, v7, v26
	v_min_f32_e32 v2, v6, v27
	v_pk_add_f32 v[88:89], v[2:3], v[0:1]
	v_max_f32_e32 v2, v11, v11
	v_max_f32_e32 v3, v10, v10
	v_min_f32_e32 v1, v7, v2
	v_min_f32_e32 v0, v6, v3
	v_pk_add_f32 v[74:75], v[0:1], v[4:5]
	v_max_f32_e32 v4, v87, v87
	v_max_f32_e32 v5, v86, v86
	;; [unrolled: 5-line block ×3, first 2 shown]
	v_min_f32_e32 v0, v8, v27
	v_min_f32_e32 v1, v9, v26
	v_pk_add_f32 v[122:123], v[0:1], v[84:85]
	v_min_f32_e32 v0, v8, v3
	v_min_f32_e32 v1, v9, v2
	v_pk_add_f32 v[86:87], v[0:1], v[92:93]
	v_min_f32_e32 v0, v8, v5
	v_min_f32_e32 v1, v9, v4
	v_max_f32_e32 v10, v83, v83
	v_pk_add_f32 v[70:71], v[0:1], v[94:95]
	v_min_f32_e32 v1, v9, v10
	v_max_f32_e32 v9, v82, v82
	v_min_f32_e32 v0, v8, v9
	v_max_f32_e32 v8, v78, v78
	v_max_f32_e32 v11, v79, v79
	v_pk_add_f32 v[56:57], v[0:1], v[68:69]
	v_min_f32_e32 v0, v8, v27
	v_min_f32_e32 v1, v11, v26
	v_pk_add_f32 v[120:121], v[0:1], v[76:77]
	v_min_f32_e32 v0, v8, v3
	v_min_f32_e32 v1, v11, v2
	v_pk_add_f32 v[82:83], v[0:1], v[80:81]
	v_min_f32_e32 v0, v8, v5
	v_min_f32_e32 v1, v11, v4
	v_pk_add_f32 v[66:67], v[0:1], v[66:67]
	v_min_f32_e32 v1, v11, v10
	v_min_f32_e32 v0, v8, v9
	v_max_f32_e32 v8, v64, v64
	v_max_f32_e32 v11, v65, v65
	v_pk_add_f32 v[50:51], v[0:1], v[96:97]
	v_min_f32_e32 v0, v8, v27
	v_min_f32_e32 v1, v11, v26
	v_pk_add_f32 v[118:119], v[0:1], v[54:55]
	v_min_f32_e32 v0, v8, v3
	v_min_f32_e32 v1, v11, v2
	v_pk_add_f32 v[84:85], v[0:1], v[110:111]
	v_min_f32_e32 v0, v8, v5
	v_min_f32_e32 v1, v11, v4
	v_pk_add_f32 v[68:69], v[0:1], v[58:59]
	v_min_f32_e32 v1, v11, v10
	;; [unrolled: 14-line block ×6, first 2 shown]
	v_min_f32_e32 v0, v8, v9
	v_pk_add_f32 v[64:65], v[0:1], v[22:23]
	v_min_f32_e32 v1, v7, v10
	v_min_f32_e32 v0, v6, v9
	s_add_i32 s16, s16, 8
	v_pk_add_f32 v[48:49], v[0:1], v[18:19]
	v_lshl_add_u64 v[100:101], v[100:101], 0, s[14:15]
	s_cmp_ge_i32 s16, s23
	v_lshl_add_u64 v[104:105], v[104:105], 0, s[2:3]
	ds_write_b32 v213, v217
	ds_write2st64_b32 v214, v16, v17 offset1:4
	s_waitcnt lgkmcnt(0)
	s_barrier
	s_cbranch_scc1 .LBB41_33
.LBB41_23:                              ; =>This Inner Loop Header: Depth=1
	s_and_b64 vcc, exec, s[4:5]
	s_cbranch_vccnz .LBB41_26
; %bb.24:                               ;   in Loop: Header=BB41_23 Depth=1
	v_lshl_add_u64 v[0:1], v[104:105], 0, v[108:109]
	flat_load_dword v0, v[0:1]
	s_waitcnt vmcnt(0) lgkmcnt(0)
	v_mul_f32_e32 v126, s13, v0
	s_and_b64 vcc, exec, s[4:5]
	s_cbranch_vccnz .LBB41_27
.LBB41_25:                              ;   in Loop: Header=BB41_23 Depth=1
	v_lshl_add_u64 v[0:1], v[100:101], 0, v[106:107]
	flat_load_dword v2, v[0:1]
	flat_load_dword v3, v[0:1] offset:256
	s_waitcnt vmcnt(0) lgkmcnt(0)
	v_pk_mul_f32 v[124:125], v[2:3], s[12:13]
	s_branch .LBB41_28
.LBB41_26:                              ;   in Loop: Header=BB41_23 Depth=1
	v_mov_b32_e32 v126, 0
	s_and_b64 vcc, exec, s[4:5]
	s_cbranch_vccz .LBB41_25
.LBB41_27:                              ;   in Loop: Header=BB41_23 Depth=1
	v_mov_b32_e32 v124, 0
	v_mov_b32_e32 v125, 0
.LBB41_28:                              ;   in Loop: Header=BB41_23 Depth=1
	ds_read_b128 v[40:43], v216
	ds_read_b128 v[36:39], v216 offset:512
	ds_read_b128 v[24:27], v216 offset:1536
	;; [unrolled: 1-line block ×3, first 2 shown]
	ds_read_b128 v[28:31], v215
	ds_read_b128 v[20:23], v215 offset:128
	ds_read_b128 v[16:19], v215 offset:256
	;; [unrolled: 1-line block ×7, first 2 shown]
	s_and_b64 vcc, exec, s[4:5]
	ds_write_b32 v211, v126
	ds_write2st64_b32 v210, v124, v125 offset1:4
	s_waitcnt lgkmcnt(0)
	s_barrier
	s_cbranch_vccnz .LBB41_30
; %bb.29:                               ;   in Loop: Header=BB41_23 Depth=1
	v_lshl_add_u64 v[124:125], v[104:105], 0, v[102:103]
	flat_load_dword v124, v[124:125]
	s_waitcnt vmcnt(0) lgkmcnt(0)
	v_mul_f32_e32 v217, s13, v124
	s_branch .LBB41_31
.LBB41_30:                              ;   in Loop: Header=BB41_23 Depth=1
	v_mov_b32_e32 v217, 0
.LBB41_31:                              ;   in Loop: Header=BB41_23 Depth=1
	v_max_f32_e32 v158, v41, v41
	v_max_f32_e32 v159, v40, v40
	;; [unrolled: 1-line block ×10, first 2 shown]
	v_min_f32_e32 v136, v16, v159
	v_min_f32_e32 v137, v17, v158
	v_min_f32_e32 v134, v16, v163
	v_min_f32_e32 v135, v17, v162
	v_min_f32_e32 v132, v16, v167
	v_min_f32_e32 v133, v17, v165
	v_min_f32_e32 v139, v17, v168
	v_min_f32_e32 v138, v16, v169
	v_max_f32_e32 v16, v12, v12
	v_max_f32_e32 v17, v13, v13
	v_min_f32_e32 v142, v16, v159
	v_min_f32_e32 v143, v17, v158
	v_min_f32_e32 v140, v16, v163
	v_min_f32_e32 v141, v17, v162
	v_min_f32_e32 v12, v16, v167
	v_min_f32_e32 v13, v17, v165
	v_min_f32_e32 v145, v17, v168
	v_min_f32_e32 v144, v16, v169
	v_max_f32_e32 v16, v8, v8
	v_max_f32_e32 v17, v9, v9
	;; [unrolled: 10-line block ×3, first 2 shown]
	v_max_f32_e32 v164, v45, v45
	v_max_f32_e32 v166, v44, v44
	;; [unrolled: 1-line block ×6, first 2 shown]
	v_min_f32_e32 v154, v16, v159
	v_min_f32_e32 v155, v17, v158
	;; [unrolled: 1-line block ×8, first 2 shown]
	v_max_f32_e32 v16, v0, v0
	v_max_f32_e32 v17, v1, v1
	v_min_f32_e32 v41, v164, v158
	v_min_f32_e32 v40, v166, v159
	;; [unrolled: 1-line block ×17, first 2 shown]
	v_max_f32_e32 v16, v43, v43
	v_max_f32_e32 v194, v42, v42
	;; [unrolled: 1-line block ×10, first 2 shown]
	v_min_f32_e32 v36, v166, v163
	v_min_f32_e32 v33, v164, v165
	;; [unrolled: 1-line block ×14, first 2 shown]
	v_max_f32_e32 v17, v47, v47
	v_max_f32_e32 v218, v46, v46
	;; [unrolled: 1-line block ×12, first 2 shown]
	v_min_f32_e32 v198, v6, v194
	v_min_f32_e32 v199, v7, v16
	;; [unrolled: 1-line block ×8, first 2 shown]
	v_max_f32_e32 v6, v2, v2
	v_max_f32_e32 v7, v3, v3
	v_min_f32_e32 v32, v166, v167
	v_min_f32_e32 v43, v17, v16
	;; [unrolled: 1-line block ×56, first 2 shown]
	s_and_b64 vcc, exec, s[4:5]
	v_min_f32_e32 v194, v218, v222
	s_cbranch_vccz .LBB41_21
; %bb.32:                               ;   in Loop: Header=BB41_23 Depth=1
	v_mov_b32_e32 v16, 0
	v_mov_b32_e32 v17, 0
	s_branch .LBB41_22
.LBB41_33:
	s_load_dword s12, s[0:1], 0x50
	ds_read_b128 v[40:43], v209 offset:2048
	ds_read_b128 v[44:47], v208 offset:5120
	v_add_u32_e32 v102, s22, v207
	v_cmp_neq_f32_e64 s[4:5], s24, 0
	v_add_u32_e32 v98, s25, v206
	s_waitcnt lgkmcnt(0)
	v_mad_i64_i32 v[0:1], s[2:3], v102, s12, 0
	v_ashrrev_i32_e32 v99, 31, v98
	v_lshl_add_u64 v[100:101], v[0:1], 2, s[8:9]
	s_and_b64 vcc, exec, s[4:5]
	v_mov_b32_e32 v105, 0
	v_mov_b32_e32 v104, 0
	s_cbranch_vccz .LBB41_35
; %bb.34:
	v_lshl_add_u64 v[0:1], v[98:99], 2, v[100:101]
	flat_load_dword v0, v[0:1]
	s_waitcnt vmcnt(0) lgkmcnt(0)
	v_mul_f32_e32 v104, s24, v0
.LBB41_35:
	ds_read_b128 v[12:15], v208 offset:6016
	ds_read_b128 v[0:3], v209 offset:3584
	;; [unrolled: 1-line block ×6, first 2 shown]
	s_load_dword s13, s[0:1], 0x68
	s_load_dwordx2 s[2:3], s[0:1], 0x70
	v_max_f32_e32 v124, v40, v40
	v_max_f32_e32 v44, v44, v44
	;; [unrolled: 1-line block ×4, first 2 shown]
	ds_read_b128 v[28:31], v208 offset:5504
	ds_read_b128 v[24:27], v208 offset:5632
	;; [unrolled: 1-line block ×4, first 2 shown]
	v_min_f32_e32 v40, v44, v124
	v_min_f32_e32 v41, v103, v125
	v_pk_add_f32 v[40:41], v[40:41], v[122:123]
	v_max_f32_e32 v122, v42, v42
	v_max_f32_e32 v45, v46, v46
	v_max_f32_e32 v123, v43, v43
	v_max_f32_e32 v46, v47, v47
	s_waitcnt lgkmcnt(0)
	s_lshl_b64 s[0:1], s[2:3], 2
	v_min_f32_e32 v42, v45, v122
	v_min_f32_e32 v43, v46, v123
	s_add_u32 s2, s10, s0
	v_pk_add_f32 v[106:107], v[42:43], v[40:41]
	s_addc_u32 s3, s11, s1
	v_mad_i64_i32 v[42:43], s[0:1], v102, s13, 0
	v_add_f32_e32 v47, v106, v107
	v_add_u32_e32 v40, 8, v98
	v_lshl_add_u64 v[42:43], v[42:43], 2, s[2:3]
	v_add_f32_e32 v47, v47, v104
	v_cndmask_b32_e64 v104, 0, 1, s[4:5]
	v_ashrrev_i32_e32 v41, 31, v40
	v_lshl_add_u64 v[106:107], v[98:99], 2, v[42:43]
	v_cmp_ne_u32_e64 s[0:1], 1, v104
	s_andn2_b64 vcc, exec, s[4:5]
	global_store_dword v[106:107], v47, off
	s_cbranch_vccnz .LBB41_37
; %bb.36:
	v_lshl_add_u64 v[104:105], v[40:41], 2, v[100:101]
	flat_load_dword v47, v[104:105]
	s_waitcnt vmcnt(0) lgkmcnt(0)
	v_mul_f32_e32 v105, s24, v47
.LBB41_37:
	v_max_f32_e32 v47, v36, v36
	v_max_f32_e32 v104, v37, v37
	v_min_f32_e32 v36, v47, v124
	v_min_f32_e32 v37, v104, v125
	v_max_f32_e32 v38, v38, v38
	v_max_f32_e32 v39, v39, v39
	v_pk_add_f32 v[36:37], v[36:37], v[120:121]
	v_min_f32_e32 v106, v38, v122
	v_min_f32_e32 v107, v39, v123
	v_pk_add_f32 v[36:37], v[106:107], v[36:37]
	s_and_b64 vcc, exec, s[0:1]
	v_add_f32_e32 v106, v36, v37
	v_add_u32_e32 v36, 16, v98
	v_add_f32_e32 v105, v106, v105
	v_lshl_add_u64 v[106:107], v[40:41], 2, v[42:43]
	v_ashrrev_i32_e32 v37, 31, v36
	global_store_dword v[106:107], v105, off
	v_mov_b32_e32 v109, 0
	v_mov_b32_e32 v107, 0
	s_cbranch_vccnz .LBB41_39
; %bb.38:
	v_lshl_add_u64 v[106:107], v[36:37], 2, v[100:101]
	flat_load_dword v105, v[106:107]
	s_waitcnt vmcnt(0) lgkmcnt(0)
	v_mul_f32_e32 v107, s24, v105
.LBB41_39:
	v_max_f32_e32 v105, v32, v32
	v_max_f32_e32 v106, v33, v33
	v_min_f32_e32 v32, v105, v124
	v_min_f32_e32 v33, v106, v125
	v_max_f32_e32 v34, v34, v34
	v_max_f32_e32 v35, v35, v35
	v_pk_add_f32 v[32:33], v[32:33], v[118:119]
	v_min_f32_e32 v118, v34, v122
	v_min_f32_e32 v119, v35, v123
	v_pk_add_f32 v[32:33], v[118:119], v[32:33]
	v_lshl_add_u64 v[118:119], v[36:37], 2, v[42:43]
	v_add_f32_e32 v108, v32, v33
	v_add_u32_e32 v32, 24, v98
	v_ashrrev_i32_e32 v33, 31, v32
	v_add_f32_e32 v107, v108, v107
	s_and_b64 vcc, exec, s[0:1]
	global_store_dword v[118:119], v107, off
	s_cbranch_vccnz .LBB41_41
; %bb.40:
	v_lshl_add_u64 v[108:109], v[32:33], 2, v[100:101]
	flat_load_dword v107, v[108:109]
	s_waitcnt vmcnt(0) lgkmcnt(0)
	v_mul_f32_e32 v109, s24, v107
.LBB41_41:
	v_max_f32_e32 v107, v28, v28
	v_max_f32_e32 v108, v29, v29
	v_min_f32_e32 v28, v107, v124
	v_min_f32_e32 v29, v108, v125
	v_max_f32_e32 v30, v30, v30
	v_max_f32_e32 v31, v31, v31
	v_pk_add_f32 v[28:29], v[28:29], v[116:117]
	v_min_f32_e32 v116, v30, v122
	v_min_f32_e32 v117, v31, v123
	v_pk_add_f32 v[28:29], v[116:117], v[28:29]
	s_and_b64 vcc, exec, s[0:1]
	v_add_f32_e32 v116, v28, v29
	v_add_u32_e32 v28, 32, v98
	v_add_f32_e32 v109, v116, v109
	v_lshl_add_u64 v[116:117], v[32:33], 2, v[42:43]
	v_ashrrev_i32_e32 v29, 31, v28
	global_store_dword v[116:117], v109, off
	v_mov_b32_e32 v117, 0
	v_mov_b32_e32 v118, 0
	s_cbranch_vccnz .LBB41_43
; %bb.42:
	v_lshl_add_u64 v[118:119], v[28:29], 2, v[100:101]
	flat_load_dword v109, v[118:119]
	s_waitcnt vmcnt(0) lgkmcnt(0)
	v_mul_f32_e32 v118, s24, v109
.LBB41_43:
	v_max_f32_e32 v109, v24, v24
	v_max_f32_e32 v116, v25, v25
	v_min_f32_e32 v24, v109, v124
	v_min_f32_e32 v25, v116, v125
	v_max_f32_e32 v26, v26, v26
	v_max_f32_e32 v27, v27, v27
	v_pk_add_f32 v[24:25], v[24:25], v[114:115]
	v_min_f32_e32 v114, v26, v122
	v_min_f32_e32 v115, v27, v123
	v_pk_add_f32 v[24:25], v[114:115], v[24:25]
	s_and_b64 vcc, exec, s[0:1]
	v_add_f32_e32 v114, v24, v25
	v_add_u32_e32 v24, 40, v98
	v_ashrrev_i32_e32 v25, 31, v24
	v_add_f32_e32 v118, v114, v118
	v_lshl_add_u64 v[114:115], v[28:29], 2, v[42:43]
	global_store_dword v[114:115], v118, off
	s_cbranch_vccnz .LBB41_45
; %bb.44:
	v_lshl_add_u64 v[114:115], v[24:25], 2, v[100:101]
	flat_load_dword v114, v[114:115]
	s_waitcnt vmcnt(0) lgkmcnt(0)
	v_mul_f32_e32 v117, s24, v114
.LBB41_45:
	v_max_f32_e32 v114, v20, v20
	v_max_f32_e32 v115, v21, v21
	v_min_f32_e32 v20, v114, v124
	v_min_f32_e32 v21, v115, v125
	v_max_f32_e32 v22, v22, v22
	v_max_f32_e32 v23, v23, v23
	v_pk_add_f32 v[20:21], v[20:21], v[112:113]
	v_min_f32_e32 v112, v22, v122
	v_min_f32_e32 v113, v23, v123
	v_pk_add_f32 v[20:21], v[112:113], v[20:21]
	s_and_b64 vcc, exec, s[0:1]
	v_add_f32_e32 v112, v20, v21
	v_add_u32_e32 v20, 48, v98
	v_add_f32_e32 v117, v112, v117
	v_lshl_add_u64 v[112:113], v[24:25], 2, v[42:43]
	v_ashrrev_i32_e32 v21, 31, v20
	global_store_dword v[112:113], v117, off
	v_mov_b32_e32 v117, 0
	v_mov_b32_e32 v118, 0
	s_cbranch_vccnz .LBB41_47
; %bb.46:
	v_lshl_add_u64 v[112:113], v[20:21], 2, v[100:101]
	flat_load_dword v112, v[112:113]
	s_waitcnt vmcnt(0) lgkmcnt(0)
	v_mul_f32_e32 v118, s24, v112
.LBB41_47:
	v_max_f32_e32 v112, v16, v16
	v_max_f32_e32 v113, v17, v17
	v_min_f32_e32 v16, v112, v124
	v_min_f32_e32 v17, v113, v125
	v_pk_add_f32 v[16:17], v[16:17], v[110:111]
	v_max_f32_e32 v110, v18, v18
	v_max_f32_e32 v111, v19, v19
	v_min_f32_e32 v18, v110, v122
	v_min_f32_e32 v19, v111, v123
	v_pk_add_f32 v[16:17], v[18:19], v[16:17]
	s_and_b64 vcc, exec, s[0:1]
	v_add_f32_e32 v18, v16, v17
	v_add_u32_e32 v16, 56, v98
	v_ashrrev_i32_e32 v17, 31, v16
	v_add_f32_e32 v118, v18, v118
	v_lshl_add_u64 v[18:19], v[20:21], 2, v[42:43]
	global_store_dword v[18:19], v118, off
	s_cbranch_vccnz .LBB41_49
; %bb.48:
	v_lshl_add_u64 v[18:19], v[16:17], 2, v[100:101]
	flat_load_dword v18, v[18:19]
	s_waitcnt vmcnt(0) lgkmcnt(0)
	v_mul_f32_e32 v117, s24, v18
.LBB41_49:
	v_max_f32_e32 v18, v13, v13
	v_max_f32_e32 v19, v12, v12
	v_min_f32_e32 v13, v18, v125
	v_min_f32_e32 v12, v19, v124
	v_max_f32_e32 v15, v15, v15
	v_max_f32_e32 v14, v14, v14
	v_pk_add_f32 v[12:13], v[12:13], v[88:89]
	v_min_f32_e32 v89, v15, v123
	v_min_f32_e32 v88, v14, v122
	v_pk_add_f32 v[12:13], v[88:89], v[12:13]
	v_add_u32_e32 v89, 32, v102
	v_add_f32_e32 v12, v12, v13
	v_add_f32_e32 v88, v12, v117
	v_lshl_add_u64 v[12:13], v[16:17], 2, v[42:43]
	global_store_dword v[12:13], v88, off
	v_mad_i64_i32 v[12:13], s[4:5], v89, s12, 0
	v_lshl_add_u64 v[12:13], v[12:13], 2, s[8:9]
	s_and_b64 vcc, exec, s[0:1]
	v_mov_b32_e32 v88, 0
	v_mov_b32_e32 v100, 0
	s_cbranch_vccnz .LBB41_51
; %bb.50:
	v_lshl_add_u64 v[42:43], v[98:99], 2, v[12:13]
	flat_load_dword v42, v[42:43]
	s_waitcnt vmcnt(0) lgkmcnt(0)
	v_mul_f32_e32 v100, s24, v42
.LBB41_51:
	v_max_f32_e32 v42, v8, v8
	v_max_f32_e32 v43, v9, v9
	v_min_f32_e32 v8, v44, v42
	v_min_f32_e32 v9, v103, v43
	v_max_f32_e32 v10, v10, v10
	v_max_f32_e32 v11, v11, v11
	v_pk_add_f32 v[8:9], v[8:9], v[86:87]
	v_min_f32_e32 v86, v45, v10
	v_min_f32_e32 v87, v46, v11
	v_pk_add_f32 v[86:87], v[86:87], v[8:9]
	v_mad_i64_i32 v[8:9], s[4:5], v89, s13, 0
	v_lshl_add_u64 v[8:9], v[8:9], 2, s[2:3]
	v_add_f32_e32 v86, v86, v87
	v_add_f32_e32 v89, v86, v100
	v_lshl_add_u64 v[86:87], v[98:99], 2, v[8:9]
	s_and_b64 vcc, exec, s[0:1]
	global_store_dword v[86:87], v89, off
	s_cbranch_vccnz .LBB41_53
; %bb.52:
	v_lshl_add_u64 v[86:87], v[40:41], 2, v[12:13]
	flat_load_dword v86, v[86:87]
	s_waitcnt vmcnt(0) lgkmcnt(0)
	v_mul_f32_e32 v88, s24, v86
.LBB41_53:
	v_min_f32_e32 v86, v47, v42
	v_min_f32_e32 v87, v104, v43
	v_pk_add_f32 v[82:83], v[86:87], v[82:83]
	v_min_f32_e32 v86, v38, v10
	v_min_f32_e32 v87, v39, v11
	v_pk_add_f32 v[82:83], v[86:87], v[82:83]
	s_and_b64 vcc, exec, s[0:1]
	v_add_f32_e32 v82, v82, v83
	v_add_f32_e32 v86, v82, v88
	v_lshl_add_u64 v[82:83], v[40:41], 2, v[8:9]
	global_store_dword v[82:83], v86, off
	v_mov_b32_e32 v82, 0
	v_mov_b32_e32 v83, 0
	s_cbranch_vccnz .LBB41_55
; %bb.54:
	v_lshl_add_u64 v[86:87], v[36:37], 2, v[12:13]
	flat_load_dword v83, v[86:87]
	s_waitcnt vmcnt(0) lgkmcnt(0)
	v_mul_f32_e32 v83, s24, v83
.LBB41_55:
	v_min_f32_e32 v86, v105, v42
	v_min_f32_e32 v87, v106, v43
	v_pk_add_f32 v[84:85], v[86:87], v[84:85]
	v_min_f32_e32 v86, v34, v10
	v_min_f32_e32 v87, v35, v11
	v_pk_add_f32 v[84:85], v[86:87], v[84:85]
	s_and_b64 vcc, exec, s[0:1]
	v_add_f32_e32 v84, v84, v85
	v_add_f32_e32 v83, v84, v83
	v_lshl_add_u64 v[84:85], v[36:37], 2, v[8:9]
	global_store_dword v[84:85], v83, off
	s_cbranch_vccnz .LBB41_57
; %bb.56:
	v_lshl_add_u64 v[82:83], v[32:33], 2, v[12:13]
	flat_load_dword v82, v[82:83]
	s_waitcnt vmcnt(0) lgkmcnt(0)
	v_mul_f32_e32 v82, s24, v82
.LBB41_57:
	v_min_f32_e32 v84, v107, v42
	v_min_f32_e32 v85, v108, v43
	v_pk_add_f32 v[84:85], v[84:85], v[90:91]
	v_min_f32_e32 v86, v30, v10
	v_min_f32_e32 v87, v31, v11
	v_pk_add_f32 v[84:85], v[86:87], v[84:85]
	s_and_b64 vcc, exec, s[0:1]
	v_add_f32_e32 v83, v84, v85
	v_add_f32_e32 v84, v83, v82
	v_lshl_add_u64 v[82:83], v[32:33], 2, v[8:9]
	global_store_dword v[82:83], v84, off
	v_mov_b32_e32 v82, 0
	v_mov_b32_e32 v83, 0
	s_cbranch_vccnz .LBB41_59
; %bb.58:
	v_lshl_add_u64 v[84:85], v[28:29], 2, v[12:13]
	flat_load_dword v83, v[84:85]
	s_waitcnt vmcnt(0) lgkmcnt(0)
	v_mul_f32_e32 v83, s24, v83
.LBB41_59:
	v_min_f32_e32 v84, v109, v42
	v_min_f32_e32 v85, v116, v43
	v_pk_add_f32 v[84:85], v[84:85], v[92:93]
	v_min_f32_e32 v86, v26, v10
	v_min_f32_e32 v87, v27, v11
	v_pk_add_f32 v[84:85], v[86:87], v[84:85]
	s_and_b64 vcc, exec, s[0:1]
	v_add_f32_e32 v84, v84, v85
	v_add_f32_e32 v83, v84, v83
	v_lshl_add_u64 v[84:85], v[28:29], 2, v[8:9]
	;; [unrolled: 38-line block ×3, first 2 shown]
	global_store_dword v[84:85], v83, off
	s_cbranch_vccnz .LBB41_65
; %bb.64:
	v_lshl_add_u64 v[12:13], v[16:17], 2, v[12:13]
	flat_load_dword v12, v[12:13]
	s_waitcnt vmcnt(0) lgkmcnt(0)
	v_mul_f32_e32 v82, s24, v12
.LBB41_65:
	v_min_f32_e32 v13, v18, v43
	v_min_f32_e32 v12, v19, v42
	v_pk_add_f32 v[12:13], v[12:13], v[74:75]
	v_min_f32_e32 v11, v15, v11
	v_min_f32_e32 v10, v14, v10
	v_pk_add_f32 v[10:11], v[10:11], v[12:13]
	v_lshl_add_u64 v[8:9], v[16:17], 2, v[8:9]
	v_add_f32_e32 v10, v10, v11
	v_add_f32_e32 v10, v10, v82
	v_add_u32_e32 v13, 64, v102
	global_store_dword v[8:9], v10, off
	v_mad_i64_i32 v[8:9], s[4:5], v13, s12, 0
	v_lshl_add_u64 v[8:9], v[8:9], 2, s[8:9]
	s_and_b64 vcc, exec, s[0:1]
	v_mov_b32_e32 v12, 0
	v_mov_b32_e32 v42, 0
	s_cbranch_vccnz .LBB41_67
; %bb.66:
	v_lshl_add_u64 v[10:11], v[98:99], 2, v[8:9]
	flat_load_dword v10, v[10:11]
	s_waitcnt vmcnt(0) lgkmcnt(0)
	v_mul_f32_e32 v42, s24, v10
.LBB41_67:
	v_max_f32_e32 v10, v4, v4
	v_max_f32_e32 v11, v5, v5
	v_min_f32_e32 v4, v44, v10
	v_min_f32_e32 v5, v103, v11
	v_max_f32_e32 v6, v6, v6
	v_max_f32_e32 v7, v7, v7
	v_pk_add_f32 v[4:5], v[4:5], v[70:71]
	v_min_f32_e32 v70, v45, v6
	v_min_f32_e32 v71, v46, v7
	v_pk_add_f32 v[70:71], v[70:71], v[4:5]
	v_mad_i64_i32 v[4:5], s[4:5], v13, s13, 0
	v_lshl_add_u64 v[4:5], v[4:5], 2, s[2:3]
	v_add_f32_e32 v13, v70, v71
	v_add_f32_e32 v13, v13, v42
	v_lshl_add_u64 v[42:43], v[98:99], 2, v[4:5]
	s_and_b64 vcc, exec, s[0:1]
	global_store_dword v[42:43], v13, off
	s_cbranch_vccnz .LBB41_69
; %bb.68:
	v_lshl_add_u64 v[12:13], v[40:41], 2, v[8:9]
	flat_load_dword v12, v[12:13]
	s_waitcnt vmcnt(0) lgkmcnt(0)
	v_mul_f32_e32 v12, s24, v12
.LBB41_69:
	v_min_f32_e32 v42, v47, v10
	v_min_f32_e32 v43, v104, v11
	v_pk_add_f32 v[42:43], v[42:43], v[66:67]
	v_min_f32_e32 v66, v38, v6
	v_min_f32_e32 v67, v39, v7
	v_pk_add_f32 v[42:43], v[66:67], v[42:43]
	s_and_b64 vcc, exec, s[0:1]
	v_add_f32_e32 v13, v42, v43
	v_add_f32_e32 v42, v13, v12
	v_lshl_add_u64 v[12:13], v[40:41], 2, v[4:5]
	global_store_dword v[12:13], v42, off
	v_mov_b32_e32 v12, 0
	v_mov_b32_e32 v13, 0
	s_cbranch_vccnz .LBB41_71
; %bb.70:
	v_lshl_add_u64 v[42:43], v[36:37], 2, v[8:9]
	flat_load_dword v13, v[42:43]
	s_waitcnt vmcnt(0) lgkmcnt(0)
	v_mul_f32_e32 v13, s24, v13
.LBB41_71:
	v_min_f32_e32 v42, v105, v10
	v_min_f32_e32 v43, v106, v11
	v_pk_add_f32 v[42:43], v[42:43], v[68:69]
	v_min_f32_e32 v66, v34, v6
	v_min_f32_e32 v67, v35, v7
	v_pk_add_f32 v[42:43], v[66:67], v[42:43]
	s_and_b64 vcc, exec, s[0:1]
	v_add_f32_e32 v42, v42, v43
	v_add_f32_e32 v13, v42, v13
	v_lshl_add_u64 v[42:43], v[36:37], 2, v[4:5]
	global_store_dword v[42:43], v13, off
	s_cbranch_vccnz .LBB41_73
; %bb.72:
	v_lshl_add_u64 v[12:13], v[32:33], 2, v[8:9]
	flat_load_dword v12, v[12:13]
	s_waitcnt vmcnt(0) lgkmcnt(0)
	v_mul_f32_e32 v12, s24, v12
.LBB41_73:
	v_min_f32_e32 v42, v107, v10
	v_min_f32_e32 v43, v108, v11
	v_pk_add_f32 v[42:43], v[42:43], v[72:73]
	v_min_f32_e32 v66, v30, v6
	v_min_f32_e32 v67, v31, v7
	v_pk_add_f32 v[42:43], v[66:67], v[42:43]
	s_and_b64 vcc, exec, s[0:1]
	v_add_f32_e32 v13, v42, v43
	v_add_f32_e32 v42, v13, v12
	v_lshl_add_u64 v[12:13], v[32:33], 2, v[4:5]
	global_store_dword v[12:13], v42, off
	v_mov_b32_e32 v12, 0
	v_mov_b32_e32 v13, 0
	s_cbranch_vccnz .LBB41_75
; %bb.74:
	v_lshl_add_u64 v[42:43], v[28:29], 2, v[8:9]
	flat_load_dword v13, v[42:43]
	s_waitcnt vmcnt(0) lgkmcnt(0)
	v_mul_f32_e32 v13, s24, v13
.LBB41_75:
	v_min_f32_e32 v42, v109, v10
	v_min_f32_e32 v43, v116, v11
	v_pk_add_f32 v[42:43], v[42:43], v[76:77]
	v_min_f32_e32 v66, v26, v6
	v_min_f32_e32 v67, v27, v7
	v_pk_add_f32 v[42:43], v[66:67], v[42:43]
	s_and_b64 vcc, exec, s[0:1]
	v_add_f32_e32 v42, v42, v43
	v_add_f32_e32 v13, v42, v13
	v_lshl_add_u64 v[42:43], v[28:29], 2, v[4:5]
	;; [unrolled: 38-line block ×3, first 2 shown]
	global_store_dword v[42:43], v13, off
	s_cbranch_vccnz .LBB41_81
; %bb.80:
	v_lshl_add_u64 v[8:9], v[16:17], 2, v[8:9]
	flat_load_dword v8, v[8:9]
	s_waitcnt vmcnt(0) lgkmcnt(0)
	v_mul_f32_e32 v12, s24, v8
.LBB41_81:
	v_min_f32_e32 v9, v18, v11
	v_min_f32_e32 v8, v19, v10
	v_pk_add_f32 v[8:9], v[8:9], v[60:61]
	v_min_f32_e32 v7, v15, v7
	v_min_f32_e32 v6, v14, v6
	v_pk_add_f32 v[6:7], v[6:7], v[8:9]
	v_lshl_add_u64 v[4:5], v[16:17], 2, v[4:5]
	v_add_f32_e32 v6, v6, v7
	v_add_f32_e32 v6, v6, v12
	v_add_u32_e32 v9, 0x60, v102
	global_store_dword v[4:5], v6, off
	v_mad_i64_i32 v[4:5], s[4:5], v9, s12, 0
	v_lshl_add_u64 v[4:5], v[4:5], 2, s[8:9]
	s_and_b64 vcc, exec, s[0:1]
	v_mov_b32_e32 v8, 0
	v_mov_b32_e32 v10, 0
	s_cbranch_vccnz .LBB41_83
; %bb.82:
	v_lshl_add_u64 v[6:7], v[98:99], 2, v[4:5]
	flat_load_dword v6, v[6:7]
	s_waitcnt vmcnt(0) lgkmcnt(0)
	v_mul_f32_e32 v10, s24, v6
.LBB41_83:
	v_max_f32_e32 v6, v1, v1
	v_max_f32_e32 v7, v0, v0
	v_min_f32_e32 v1, v103, v6
	v_min_f32_e32 v0, v44, v7
	v_max_f32_e32 v3, v3, v3
	v_max_f32_e32 v2, v2, v2
	v_pk_add_f32 v[0:1], v[0:1], v[56:57]
	v_min_f32_e32 v13, v46, v3
	v_min_f32_e32 v12, v45, v2
	v_pk_add_f32 v[12:13], v[12:13], v[0:1]
	v_mad_i64_i32 v[0:1], s[4:5], v9, s13, 0
	v_lshl_add_u64 v[0:1], v[0:1], 2, s[2:3]
	v_add_f32_e32 v9, v12, v13
	v_add_f32_e32 v9, v9, v10
	v_lshl_add_u64 v[10:11], v[98:99], 2, v[0:1]
	s_and_b64 vcc, exec, s[0:1]
	global_store_dword v[10:11], v9, off
	s_cbranch_vccnz .LBB41_85
; %bb.84:
	v_lshl_add_u64 v[8:9], v[40:41], 2, v[4:5]
	flat_load_dword v8, v[8:9]
	s_waitcnt vmcnt(0) lgkmcnt(0)
	v_mul_f32_e32 v8, s24, v8
.LBB41_85:
	v_min_f32_e32 v11, v104, v6
	v_min_f32_e32 v10, v47, v7
	v_pk_add_f32 v[10:11], v[10:11], v[50:51]
	v_min_f32_e32 v13, v39, v3
	v_min_f32_e32 v12, v38, v2
	v_pk_add_f32 v[10:11], v[12:13], v[10:11]
	s_and_b64 vcc, exec, s[0:1]
	v_add_f32_e32 v9, v10, v11
	v_add_f32_e32 v10, v9, v8
	v_lshl_add_u64 v[8:9], v[40:41], 2, v[0:1]
	global_store_dword v[8:9], v10, off
	v_mov_b32_e32 v8, 0
	v_mov_b32_e32 v9, 0
	s_cbranch_vccnz .LBB41_87
; %bb.86:
	v_lshl_add_u64 v[10:11], v[36:37], 2, v[4:5]
	flat_load_dword v9, v[10:11]
	s_waitcnt vmcnt(0) lgkmcnt(0)
	v_mul_f32_e32 v9, s24, v9
.LBB41_87:
	v_min_f32_e32 v11, v106, v6
	v_min_f32_e32 v10, v105, v7
	v_pk_add_f32 v[10:11], v[10:11], v[52:53]
	v_min_f32_e32 v13, v35, v3
	v_min_f32_e32 v12, v34, v2
	v_pk_add_f32 v[10:11], v[12:13], v[10:11]
	s_and_b64 vcc, exec, s[0:1]
	v_add_f32_e32 v10, v10, v11
	v_add_f32_e32 v9, v10, v9
	v_lshl_add_u64 v[10:11], v[36:37], 2, v[0:1]
	global_store_dword v[10:11], v9, off
	s_cbranch_vccnz .LBB41_89
; %bb.88:
	v_lshl_add_u64 v[8:9], v[32:33], 2, v[4:5]
	flat_load_dword v8, v[8:9]
	s_waitcnt vmcnt(0) lgkmcnt(0)
	v_mul_f32_e32 v8, s24, v8
.LBB41_89:
	v_min_f32_e32 v11, v108, v6
	v_min_f32_e32 v10, v107, v7
	v_pk_add_f32 v[10:11], v[10:11], v[54:55]
	v_min_f32_e32 v13, v31, v3
	v_min_f32_e32 v12, v30, v2
	v_pk_add_f32 v[10:11], v[12:13], v[10:11]
	s_and_b64 vcc, exec, s[0:1]
	v_add_f32_e32 v9, v10, v11
	v_add_f32_e32 v10, v9, v8
	v_lshl_add_u64 v[8:9], v[32:33], 2, v[0:1]
	global_store_dword v[8:9], v10, off
	v_mov_b32_e32 v8, 0
	v_mov_b32_e32 v9, 0
	s_cbranch_vccnz .LBB41_91
; %bb.90:
	v_lshl_add_u64 v[10:11], v[28:29], 2, v[4:5]
	flat_load_dword v9, v[10:11]
	s_waitcnt vmcnt(0) lgkmcnt(0)
	v_mul_f32_e32 v9, s24, v9
.LBB41_91:
	v_min_f32_e32 v11, v116, v6
	v_min_f32_e32 v10, v109, v7
	v_pk_add_f32 v[10:11], v[10:11], v[58:59]
	v_min_f32_e32 v13, v27, v3
	v_min_f32_e32 v12, v26, v2
	v_pk_add_f32 v[10:11], v[12:13], v[10:11]
	s_and_b64 vcc, exec, s[0:1]
	v_add_f32_e32 v10, v10, v11
	v_add_f32_e32 v9, v10, v9
	v_lshl_add_u64 v[10:11], v[28:29], 2, v[0:1]
	global_store_dword v[10:11], v9, off
	s_cbranch_vccnz .LBB41_93
; %bb.92:
	v_lshl_add_u64 v[8:9], v[24:25], 2, v[4:5]
	flat_load_dword v8, v[8:9]
	s_waitcnt vmcnt(0) lgkmcnt(0)
	v_mul_f32_e32 v8, s24, v8
.LBB41_93:
	v_min_f32_e32 v11, v115, v6
	v_min_f32_e32 v10, v114, v7
	v_pk_add_f32 v[10:11], v[10:11], v[62:63]
	v_min_f32_e32 v13, v23, v3
	v_min_f32_e32 v12, v22, v2
	v_pk_add_f32 v[10:11], v[12:13], v[10:11]
	v_min_f32_e32 v13, v111, v3
	v_add_f32_e32 v9, v10, v11
	v_min_f32_e32 v11, v113, v6
	v_min_f32_e32 v10, v112, v7
	v_pk_add_f32 v[10:11], v[10:11], v[64:65]
	v_min_f32_e32 v12, v110, v2
	v_pk_add_f32 v[10:11], v[12:13], v[10:11]
	v_add_f32_e32 v12, v9, v8
	v_lshl_add_u64 v[8:9], v[24:25], 2, v[0:1]
	global_store_dword v[8:9], v12, off
	v_add_f32_e32 v8, v10, v11
	s_mov_b64 vcc, s[6:7]
	s_cbranch_vccz .LBB41_96
; %bb.94:
	v_add_f32_e32 v9, 0, v8
	v_lshl_add_u64 v[10:11], v[20:21], 2, v[0:1]
	s_mov_b32 s2, 0
	global_store_dword v[10:11], v9, off
	s_cbranch_execz .LBB41_97
; %bb.95:
	v_mov_b32_e32 v4, s2
	s_branch .LBB41_98
.LBB41_96:
                                        ; implicit-def: $sgpr2
.LBB41_97:
	v_lshlrev_b64 v[10:11], 2, v[20:21]
	v_lshl_add_u64 v[12:13], v[4:5], 0, v[10:11]
	flat_load_dword v9, v[12:13]
	v_lshl_add_u64 v[10:11], v[0:1], 0, v[10:11]
	v_lshl_add_u64 v[4:5], v[16:17], 2, v[4:5]
	s_waitcnt vmcnt(0) lgkmcnt(0)
	v_fmac_f32_e32 v8, s24, v9
	global_store_dword v[10:11], v8, off
	flat_load_dword v4, v[4:5]
	s_waitcnt vmcnt(0) lgkmcnt(0)
	v_mul_f32_e32 v4, s24, v4
.LBB41_98:
	v_min_f32_e32 v9, v18, v6
	v_min_f32_e32 v8, v19, v7
	v_min_f32_e32 v3, v15, v3
	v_min_f32_e32 v2, v14, v2
	v_pk_add_f32 v[6:7], v[8:9], v[48:49]
	v_lshl_add_u64 v[0:1], v[16:17], 2, v[0:1]
	v_pk_add_f32 v[2:3], v[2:3], v[6:7]
	s_nop 0
	v_add_f32_e32 v2, v2, v3
	v_add_f32_e32 v2, v2, v4
	global_store_dword v[0:1], v2, off
	s_endpgm
	.section	.rodata,"a",@progbits
	.p2align	6, 0x0
	.amdhsa_kernel _ZN12_GLOBAL__N_120geam_min_plus_kernelIf15HIP_vector_typeIfLj2EES2_Li8ELi32ELi64ELi128ELi4ELi64ELi4ELi64ELi4ELc78ELc84ELb0ELb0ELb0EfKPKfKPfEEviiiT16_PT17_ilSA_ilS8_SA_ilPT18_ili26rocblas_geam_ex_operation_
		.amdhsa_group_segment_fixed_size 6144
		.amdhsa_private_segment_fixed_size 0
		.amdhsa_kernarg_size 128
		.amdhsa_user_sgpr_count 2
		.amdhsa_user_sgpr_dispatch_ptr 0
		.amdhsa_user_sgpr_queue_ptr 0
		.amdhsa_user_sgpr_kernarg_segment_ptr 1
		.amdhsa_user_sgpr_dispatch_id 0
		.amdhsa_user_sgpr_kernarg_preload_length 0
		.amdhsa_user_sgpr_kernarg_preload_offset 0
		.amdhsa_user_sgpr_private_segment_size 0
		.amdhsa_uses_dynamic_stack 0
		.amdhsa_enable_private_segment 0
		.amdhsa_system_sgpr_workgroup_id_x 1
		.amdhsa_system_sgpr_workgroup_id_y 0
		.amdhsa_system_sgpr_workgroup_id_z 1
		.amdhsa_system_sgpr_workgroup_info 0
		.amdhsa_system_vgpr_workitem_id 1
		.amdhsa_next_free_vgpr 223
		.amdhsa_next_free_sgpr 28
		.amdhsa_accum_offset 224
		.amdhsa_reserve_vcc 1
		.amdhsa_float_round_mode_32 0
		.amdhsa_float_round_mode_16_64 0
		.amdhsa_float_denorm_mode_32 3
		.amdhsa_float_denorm_mode_16_64 3
		.amdhsa_dx10_clamp 1
		.amdhsa_ieee_mode 1
		.amdhsa_fp16_overflow 0
		.amdhsa_tg_split 0
		.amdhsa_exception_fp_ieee_invalid_op 0
		.amdhsa_exception_fp_denorm_src 0
		.amdhsa_exception_fp_ieee_div_zero 0
		.amdhsa_exception_fp_ieee_overflow 0
		.amdhsa_exception_fp_ieee_underflow 0
		.amdhsa_exception_fp_ieee_inexact 0
		.amdhsa_exception_int_div_zero 0
	.end_amdhsa_kernel
	.section	.text._ZN12_GLOBAL__N_120geam_min_plus_kernelIf15HIP_vector_typeIfLj2EES2_Li8ELi32ELi64ELi128ELi4ELi64ELi4ELi64ELi4ELc78ELc84ELb0ELb0ELb0EfKPKfKPfEEviiiT16_PT17_ilSA_ilS8_SA_ilPT18_ili26rocblas_geam_ex_operation_,"axG",@progbits,_ZN12_GLOBAL__N_120geam_min_plus_kernelIf15HIP_vector_typeIfLj2EES2_Li8ELi32ELi64ELi128ELi4ELi64ELi4ELi64ELi4ELc78ELc84ELb0ELb0ELb0EfKPKfKPfEEviiiT16_PT17_ilSA_ilS8_SA_ilPT18_ili26rocblas_geam_ex_operation_,comdat
.Lfunc_end41:
	.size	_ZN12_GLOBAL__N_120geam_min_plus_kernelIf15HIP_vector_typeIfLj2EES2_Li8ELi32ELi64ELi128ELi4ELi64ELi4ELi64ELi4ELc78ELc84ELb0ELb0ELb0EfKPKfKPfEEviiiT16_PT17_ilSA_ilS8_SA_ilPT18_ili26rocblas_geam_ex_operation_, .Lfunc_end41-_ZN12_GLOBAL__N_120geam_min_plus_kernelIf15HIP_vector_typeIfLj2EES2_Li8ELi32ELi64ELi128ELi4ELi64ELi4ELi64ELi4ELc78ELc84ELb0ELb0ELb0EfKPKfKPfEEviiiT16_PT17_ilSA_ilS8_SA_ilPT18_ili26rocblas_geam_ex_operation_
                                        ; -- End function
	.section	.AMDGPU.csdata,"",@progbits
; Kernel info:
; codeLenInByte = 8924
; NumSgprs: 34
; NumVgprs: 223
; NumAgprs: 0
; TotalNumVgprs: 223
; ScratchSize: 0
; MemoryBound: 0
; FloatMode: 240
; IeeeMode: 1
; LDSByteSize: 6144 bytes/workgroup (compile time only)
; SGPRBlocks: 4
; VGPRBlocks: 27
; NumSGPRsForWavesPerEU: 34
; NumVGPRsForWavesPerEU: 223
; AccumOffset: 224
; Occupancy: 2
; WaveLimiterHint : 1
; COMPUTE_PGM_RSRC2:SCRATCH_EN: 0
; COMPUTE_PGM_RSRC2:USER_SGPR: 2
; COMPUTE_PGM_RSRC2:TRAP_HANDLER: 0
; COMPUTE_PGM_RSRC2:TGID_X_EN: 1
; COMPUTE_PGM_RSRC2:TGID_Y_EN: 0
; COMPUTE_PGM_RSRC2:TGID_Z_EN: 1
; COMPUTE_PGM_RSRC2:TIDIG_COMP_CNT: 1
; COMPUTE_PGM_RSRC3_GFX90A:ACCUM_OFFSET: 55
; COMPUTE_PGM_RSRC3_GFX90A:TG_SPLIT: 0
	.section	.text._ZN12_GLOBAL__N_120geam_min_plus_kernelIf15HIP_vector_typeIfLj2EES2_Li8ELi32ELi64ELi128ELi4ELi64ELi4ELi64ELi4ELc78ELc84ELb0ELb1ELb0EPKfKS4_KPfEEviiiT16_PT17_ilSA_ilS8_SA_ilPT18_ili26rocblas_geam_ex_operation_,"axG",@progbits,_ZN12_GLOBAL__N_120geam_min_plus_kernelIf15HIP_vector_typeIfLj2EES2_Li8ELi32ELi64ELi128ELi4ELi64ELi4ELi64ELi4ELc78ELc84ELb0ELb1ELb0EPKfKS4_KPfEEviiiT16_PT17_ilSA_ilS8_SA_ilPT18_ili26rocblas_geam_ex_operation_,comdat
	.globl	_ZN12_GLOBAL__N_120geam_min_plus_kernelIf15HIP_vector_typeIfLj2EES2_Li8ELi32ELi64ELi128ELi4ELi64ELi4ELi64ELi4ELc78ELc84ELb0ELb1ELb0EPKfKS4_KPfEEviiiT16_PT17_ilSA_ilS8_SA_ilPT18_ili26rocblas_geam_ex_operation_ ; -- Begin function _ZN12_GLOBAL__N_120geam_min_plus_kernelIf15HIP_vector_typeIfLj2EES2_Li8ELi32ELi64ELi128ELi4ELi64ELi4ELi64ELi4ELc78ELc84ELb0ELb1ELb0EPKfKS4_KPfEEviiiT16_PT17_ilSA_ilS8_SA_ilPT18_ili26rocblas_geam_ex_operation_
	.p2align	8
	.type	_ZN12_GLOBAL__N_120geam_min_plus_kernelIf15HIP_vector_typeIfLj2EES2_Li8ELi32ELi64ELi128ELi4ELi64ELi4ELi64ELi4ELc78ELc84ELb0ELb1ELb0EPKfKS4_KPfEEviiiT16_PT17_ilSA_ilS8_SA_ilPT18_ili26rocblas_geam_ex_operation_,@function
_ZN12_GLOBAL__N_120geam_min_plus_kernelIf15HIP_vector_typeIfLj2EES2_Li8ELi32ELi64ELi128ELi4ELi64ELi4ELi64ELi4ELc78ELc84ELb0ELb1ELb0EPKfKS4_KPfEEviiiT16_PT17_ilSA_ilS8_SA_ilPT18_ili26rocblas_geam_ex_operation_: ; @_ZN12_GLOBAL__N_120geam_min_plus_kernelIf15HIP_vector_typeIfLj2EES2_Li8ELi32ELi64ELi128ELi4ELi64ELi4ELi64ELi4ELc78ELc84ELb0ELb1ELb0EPKfKS4_KPfEEviiiT16_PT17_ilSA_ilS8_SA_ilPT18_ili26rocblas_geam_ex_operation_
; %bb.0:
	s_load_dwordx4 s[12:15], s[0:1], 0x10
	s_load_dwordx4 s[4:7], s[0:1], 0x28
	s_mov_b32 s16, s3
	s_mov_b32 s17, 0
	s_lshl_b64 s[18:19], s[16:17], 2
	s_waitcnt lgkmcnt(0)
	s_add_u32 s12, s12, s18
	s_load_dwordx4 s[8:11], s[0:1], 0x40
	s_addc_u32 s13, s13, s19
	s_load_dword s31, s[12:13], 0x0
	s_load_dwordx2 s[20:21], s[0:1], 0x50
	s_mov_b64 s[12:13], 0
	s_waitcnt lgkmcnt(0)
	s_add_u32 s22, s10, s18
	s_addc_u32 s23, s11, s19
	v_cmp_eq_f32_e64 s[18:19], s31, 0
	v_cmp_neq_f32_e64 s[10:11], s31, 0
	s_and_b64 vcc, exec, s[18:19]
	s_mov_b64 s[18:19], 0
	s_cbranch_vccnz .LBB42_2
; %bb.1:
	s_lshl_b64 s[18:19], s[16:17], 3
	s_add_u32 s14, s14, s18
	s_addc_u32 s15, s15, s19
	s_load_dwordx2 s[14:15], s[14:15], 0x0
	s_lshl_b64 s[4:5], s[4:5], 2
	s_waitcnt lgkmcnt(0)
	s_add_u32 s18, s14, s4
	s_addc_u32 s19, s15, s5
.LBB42_2:
	s_load_dword s30, s[22:23], 0x0
	s_andn2_b64 vcc, exec, s[10:11]
	s_cbranch_vccnz .LBB42_4
; %bb.3:
	s_lshl_b64 s[4:5], s[16:17], 3
	s_add_u32 s4, s6, s4
	s_addc_u32 s5, s7, s5
	s_load_dwordx2 s[4:5], s[4:5], 0x0
	s_lshl_b64 s[6:7], s[8:9], 2
	s_waitcnt lgkmcnt(0)
	s_add_u32 s12, s4, s6
	s_addc_u32 s13, s5, s7
.LBB42_4:
	s_load_dwordx4 s[4:7], s[0:1], 0x60
	s_waitcnt lgkmcnt(0)
	v_cmp_eq_f32_e64 s[14:15], s30, 0
	v_cmp_neq_f32_e64 s[8:9], s30, 0
	s_and_b64 vcc, exec, s[14:15]
	s_cbranch_vccnz .LBB42_6
; %bb.5:
	s_lshl_b64 s[14:15], s[16:17], 3
	s_add_u32 s14, s20, s14
	s_addc_u32 s15, s21, s15
	s_load_dwordx2 s[14:15], s[14:15], 0x0
	s_lshl_b64 s[4:5], s[4:5], 2
	s_waitcnt lgkmcnt(0)
	s_add_u32 s24, s14, s4
	s_addc_u32 s25, s15, s5
	s_branch .LBB42_7
.LBB42_6:
	s_mov_b64 s[24:25], 0
.LBB42_7:
	s_load_dword s26, s[0:1], 0x20
	s_load_dwordx4 s[20:23], s[0:1], 0x0
	s_lshl_b64 s[4:5], s[16:17], 3
	v_and_b32_e32 v202, 0x3ff, v0
	v_bfe_u32 v203, v0, 10, 10
	s_waitcnt lgkmcnt(0)
	s_ashr_i32 s27, s26, 31
	s_add_u32 s6, s6, s4
	s_addc_u32 s7, s7, s5
	s_add_i32 s3, s20, -1
	s_ashr_i32 s4, s3, 31
	s_lshr_b32 s4, s4, 26
	s_add_i32 s3, s3, s4
	s_ashr_i32 s3, s3, 6
	s_add_i32 s16, s3, 1
	v_cvt_f32_u32_e32 v1, s16
	s_load_dwordx2 s[14:15], s[6:7], 0x0
	s_not_b32 s3, s3
	v_mov_b32_e32 v8, 0
	v_rcp_iflag_f32_e32 v0, v1
	v_lshl_add_u32 v1, v203, 3, v202
	v_and_b32_e32 v7, 63, v1
	v_lshrrev_b32_e32 v204, 6, v1
	v_mul_f32_e32 v0, 0x4f7ffffe, v0
	v_cvt_u32_f32_e32 v0, v0
	v_cmp_gt_i32_e64 s[4:5], s22, v204
	v_mov_b32_e32 v9, 0
	v_readfirstlane_b32 s6, v0
	s_mul_i32 s3, s3, s6
	s_mul_hi_u32 s3, s6, s3
	s_add_i32 s6, s6, s3
	s_mul_hi_u32 s3, s2, s6
	s_mul_i32 s6, s3, s16
	s_sub_i32 s6, s2, s6
	s_add_i32 s7, s3, 1
	s_sub_i32 s17, s6, s16
	s_cmp_ge_u32 s6, s16
	s_cselect_b32 s3, s7, s3
	s_cselect_b32 s6, s17, s6
	s_add_i32 s7, s3, 1
	s_cmp_ge_u32 s6, s16
	s_cselect_b32 s6, s7, s3
	s_mul_i32 s3, s6, s16
	s_sub_i32 s2, s2, s3
	s_lshl_b32 s33, s2, 6
	v_or_b32_e32 v0, s33, v7
	v_cmp_gt_i32_e32 vcc, s20, v0
	s_and_b64 s[2:3], s[4:5], vcc
	s_and_b64 s[4:5], s[10:11], s[2:3]
	v_ashrrev_i32_e32 v1, 31, v0
	s_and_saveexec_b64 s[2:3], s[4:5]
	s_cbranch_execz .LBB42_9
; %bb.8:
	v_mad_i64_i32 v[2:3], s[4:5], s26, v204, 0
	v_lshl_add_u64 v[2:3], v[2:3], 2, s[18:19]
	v_lshl_add_u64 v[2:3], v[0:1], 2, v[2:3]
	flat_load_dword v2, v[2:3]
	s_waitcnt vmcnt(0) lgkmcnt(0)
	v_mul_f32_e32 v9, s31, v2
.LBB42_9:
	s_or_b64 exec, exec, s[2:3]
	s_load_dword s23, s[0:1], 0x38
	s_add_i32 s35, s22, -1
	s_lshl_b32 s34, s6, 7
	v_min_i32_e32 v2, s35, v204
	v_or_b32_e32 v72, s34, v7
	s_waitcnt lgkmcnt(0)
	v_mad_i64_i32 v[2:3], s[2:3], s23, v2, 0
	v_cmp_le_i32_e64 s[6:7], s22, v204
	v_cmp_le_i32_e64 s[2:3], s21, v72
	s_or_b64 s[4:5], s[6:7], s[2:3]
	s_xor_b64 s[16:17], s[10:11], -1
	s_or_b64 s[4:5], s[4:5], s[16:17]
	v_lshl_add_u64 v[2:3], v[2:3], 2, s[12:13]
	s_xor_b64 s[28:29], s[4:5], -1
	v_ashrrev_i32_e32 v73, 31, v72
	s_and_saveexec_b64 s[4:5], s[28:29]
	s_cbranch_execz .LBB42_11
; %bb.10:
	v_lshl_add_u64 v[4:5], v[72:73], 2, v[2:3]
	flat_load_dword v4, v[4:5]
	s_waitcnt vmcnt(0) lgkmcnt(0)
	v_mul_f32_e32 v8, s31, v4
.LBB42_11:
	s_or_b64 exec, exec, s[4:5]
	v_or_b32_e32 v4, 64, v72
	v_cmp_le_i32_e64 s[4:5], s21, v4
	s_or_b64 s[6:7], s[6:7], s[4:5]
	s_or_b64 s[6:7], s[6:7], s[16:17]
	s_xor_b64 s[28:29], s[6:7], -1
	v_mov_b32_e32 v4, 0
	v_mov_b32_e32 v10, 0
	s_and_saveexec_b64 s[6:7], s[28:29]
	s_cbranch_execz .LBB42_13
; %bb.12:
	v_lshl_add_u64 v[2:3], v[72:73], 2, v[2:3]
	flat_load_dword v2, v[2:3] offset:256
	s_waitcnt vmcnt(0) lgkmcnt(0)
	v_mul_f32_e32 v10, s31, v2
.LBB42_13:
	s_or_b64 exec, exec, s[6:7]
	v_add_u32_e32 v2, 4, v204
	v_cmp_gt_i32_e64 s[6:7], s22, v2
	s_and_b64 s[6:7], vcc, s[6:7]
	s_and_b64 s[28:29], s[10:11], s[6:7]
	s_and_saveexec_b64 s[6:7], s[28:29]
	s_cbranch_execz .LBB42_15
; %bb.14:
	v_mad_u64_u32 v[4:5], s[28:29], s26, v2, 0
	v_mov_b32_e32 v6, v5
	v_mad_u64_u32 v[12:13], s[28:29], s27, v2, v[6:7]
	v_mov_b32_e32 v5, v12
	v_lshl_add_u64 v[4:5], v[4:5], 2, s[18:19]
	v_lshl_add_u64 v[4:5], v[0:1], 2, v[4:5]
	flat_load_dword v3, v[4:5]
	s_waitcnt vmcnt(0) lgkmcnt(0)
	v_mul_f32_e32 v4, s31, v3
.LBB42_15:
	s_or_b64 exec, exec, s[6:7]
	v_cmp_le_i32_e64 s[6:7], s22, v2
	v_min_i32_e32 v2, s35, v2
	v_mad_i64_i32 v[2:3], s[28:29], s23, v2, 0
	s_or_b64 s[28:29], s[2:3], s[6:7]
	s_or_b64 s[28:29], s[28:29], s[16:17]
	v_lshl_add_u64 v[2:3], v[2:3], 2, s[12:13]
	s_xor_b64 s[36:37], s[28:29], -1
	v_mov_b32_e32 v5, 0
	v_mov_b32_e32 v6, 0
	s_and_saveexec_b64 s[28:29], s[36:37]
	s_cbranch_execz .LBB42_17
; %bb.16:
	v_lshl_add_u64 v[12:13], v[72:73], 2, v[2:3]
	flat_load_dword v6, v[12:13]
	s_waitcnt vmcnt(0) lgkmcnt(0)
	v_mul_f32_e32 v6, s31, v6
.LBB42_17:
	s_or_b64 exec, exec, s[28:29]
	s_or_b64 s[6:7], s[4:5], s[6:7]
	s_or_b64 s[6:7], s[6:7], s[16:17]
	s_xor_b64 s[28:29], s[6:7], -1
	s_and_saveexec_b64 s[6:7], s[28:29]
	s_cbranch_execz .LBB42_19
; %bb.18:
	v_lshl_add_u64 v[2:3], v[72:73], 2, v[2:3]
	flat_load_dword v2, v[2:3] offset:256
	s_waitcnt vmcnt(0) lgkmcnt(0)
	v_mul_f32_e32 v5, s31, v2
.LBB42_19:
	s_or_b64 exec, exec, s[6:7]
	v_lshlrev_b32_e32 v2, 2, v204
	v_lshl_add_u32 v207, v7, 4, v2
	v_lshlrev_b32_e32 v206, 4, v203
	ds_write_b32 v207, v9 offset:4096
	ds_write2st64_b32 v207, v8, v10 offset1:4
	s_waitcnt lgkmcnt(0)
	s_barrier
	ds_read_b128 v[8:11], v206
	v_lshlrev_b32_e32 v205, 4, v202
	ds_read_b128 v[12:15], v205 offset:4992
	ds_read_b128 v[16:19], v206 offset:512
	;; [unrolled: 1-line block ×5, first 2 shown]
	s_waitcnt lgkmcnt(5)
	v_max_f32_e32 v7, v9, v9
	v_max_f32_e32 v56, v8, v8
	ds_read_b128 v[32:35], v205 offset:4096
	ds_read_b128 v[36:39], v205 offset:4224
	v_max_f32_e32 v112, v11, v11
	v_max_f32_e32 v113, v10, v10
	ds_read_b128 v[8:11], v205 offset:4352
	s_waitcnt lgkmcnt(7)
	v_max_f32_e32 v60, v13, v13
	v_max_f32_e32 v61, v12, v12
	s_waitcnt lgkmcnt(6)
	v_max_f32_e32 v58, v17, v17
	v_max_f32_e32 v59, v16, v16
	;; [unrolled: 3-line block ×4, first 2 shown]
	v_max_f32_e32 v120, v15, v15
	v_max_f32_e32 v121, v14, v14
	ds_read_b128 v[12:15], v205 offset:4480
	v_max_f32_e32 v122, v19, v19
	v_max_f32_e32 v123, v18, v18
	s_waitcnt lgkmcnt(1)
	v_max_f32_e32 v32, v8, v8
	v_max_f32_e32 v33, v9, v9
	;; [unrolled: 1-line block ×3, first 2 shown]
	ds_read_b128 v[16:19], v205 offset:4608
	v_max_f32_e32 v75, v11, v11
	ds_read_b128 v[8:11], v205 offset:4736
	v_max_f32_e32 v64, v25, v25
	v_max_f32_e32 v65, v24, v24
	;; [unrolled: 1-line block ×4, first 2 shown]
	s_waitcnt lgkmcnt(2)
	v_max_f32_e32 v36, v12, v12
	v_max_f32_e32 v37, v13, v13
	s_waitcnt lgkmcnt(1)
	v_max_f32_e32 v44, v16, v16
	v_max_f32_e32 v45, v17, v17
	;; [unrolled: 3-line block ×3, first 2 shown]
	v_max_f32_e32 v76, v20, v20
	v_max_f32_e32 v77, v21, v21
	v_min_f32_e32 v55, v60, v7
	v_min_f32_e32 v54, v61, v56
	v_max_f32_e32 v125, v30, v30
	v_max_f32_e32 v126, v27, v27
	;; [unrolled: 1-line block ×12, first 2 shown]
	v_min_f32_e32 v2, v28, v56
	v_min_f32_e32 v3, v29, v7
	;; [unrolled: 1-line block ×42, first 2 shown]
	v_pk_add_f32 v[54:55], v[54:55], 0 op_sel_hi:[1,0]
	v_min_f32_e32 v61, v120, v112
	v_min_f32_e32 v60, v121, v113
	v_max_f32_e32 v124, v31, v31
	v_pk_add_f32 v[98:99], v[54:55], v[60:61]
	v_pk_add_f32 v[54:55], v[56:57], 0 op_sel_hi:[1,0]
	v_min_f32_e32 v57, v120, v122
	v_min_f32_e32 v56, v121, v123
	v_max_f32_e32 v68, v34, v34
	v_max_f32_e32 v69, v35, v35
	v_pk_add_f32 v[82:83], v[54:55], v[56:57]
	v_pk_add_f32 v[54:55], v[58:59], 0 op_sel_hi:[1,0]
	v_min_f32_e32 v57, v120, v124
	v_min_f32_e32 v56, v121, v125
	v_max_f32_e32 v71, v39, v39
	v_min_f32_e32 v31, v37, v7
	v_min_f32_e32 v34, v36, v63
	;; [unrolled: 1-line block ×17, first 2 shown]
	v_pk_add_f32 v[64:65], v[54:55], v[56:57]
	v_pk_add_f32 v[2:3], v[2:3], 0 op_sel_hi:[1,0]
	v_min_f32_e32 v54, v68, v113
	v_min_f32_e32 v55, v69, v112
	v_pk_add_f32 v[118:119], v[2:3], v[54:55]
	v_pk_add_f32 v[2:3], v[8:9], 0 op_sel_hi:[1,0]
	v_min_f32_e32 v8, v68, v123
	v_min_f32_e32 v9, v69, v122
	;; [unrolled: 4-line block ×3, first 2 shown]
	v_pk_add_f32 v[80:81], v[2:3], v[8:9]
	v_min_f32_e32 v3, v69, v126
	v_min_f32_e32 v2, v68, v127
	v_pk_add_f32 v[8:9], v[12:13], 0 op_sel_hi:[1,0]
	v_min_f32_e32 v100, v76, v63
	v_min_f32_e32 v101, v77, v62
	v_pk_add_f32 v[62:63], v[8:9], v[2:3]
	v_pk_add_f32 v[2:3], v[14:15], 0 op_sel_hi:[1,0]
	v_min_f32_e32 v8, v70, v113
	v_min_f32_e32 v9, v71, v112
	v_pk_add_f32 v[116:117], v[2:3], v[8:9]
	;; [unrolled: 4-line block ×4, first 2 shown]
	v_min_f32_e32 v3, v71, v126
	v_min_f32_e32 v2, v70, v127
	v_pk_add_f32 v[8:9], v[20:21], 0 op_sel_hi:[1,0]
	v_min_f32_e32 v67, v77, v7
	v_pk_add_f32 v[60:61], v[8:9], v[2:3]
	v_pk_add_f32 v[2:3], v[22:23], 0 op_sel_hi:[1,0]
	v_min_f32_e32 v8, v74, v113
	v_min_f32_e32 v9, v75, v112
	v_pk_add_f32 v[114:115], v[2:3], v[8:9]
	v_pk_add_f32 v[2:3], v[24:25], 0 op_sel_hi:[1,0]
	v_min_f32_e32 v8, v74, v123
	;; [unrolled: 4-line block ×3, first 2 shown]
	v_min_f32_e32 v9, v75, v124
	v_pk_add_f32 v[76:77], v[2:3], v[8:9]
	v_min_f32_e32 v3, v75, v126
	v_min_f32_e32 v2, v74, v127
	v_pk_add_f32 v[8:9], v[28:29], 0 op_sel_hi:[1,0]
	s_cmp_lt_i32 s22, 9
	v_pk_add_f32 v[58:59], v[8:9], v[2:3]
	v_pk_add_f32 v[2:3], v[30:31], 0 op_sel_hi:[1,0]
	v_min_f32_e32 v8, v86, v113
	v_min_f32_e32 v9, v87, v112
	v_pk_add_f32 v[106:107], v[2:3], v[8:9]
	v_pk_add_f32 v[2:3], v[32:33], 0 op_sel_hi:[1,0]
	v_min_f32_e32 v8, v86, v123
	v_min_f32_e32 v9, v87, v122
	;; [unrolled: 4-line block ×3, first 2 shown]
	v_pk_add_f32 v[74:75], v[2:3], v[8:9]
	v_min_f32_e32 v3, v87, v126
	v_min_f32_e32 v2, v86, v127
	v_pk_add_f32 v[8:9], v[36:37], 0 op_sel_hi:[1,0]
	ds_write2st64_b32 v207, v6, v5 offset0:8 offset1:12
	ds_write_b32 v207, v4 offset:5120
	v_pk_add_f32 v[56:57], v[8:9], v[2:3]
	v_pk_add_f32 v[2:3], v[38:39], 0 op_sel_hi:[1,0]
	v_min_f32_e32 v8, v110, v113
	v_min_f32_e32 v9, v111, v112
	v_pk_add_f32 v[108:109], v[2:3], v[8:9]
	v_pk_add_f32 v[2:3], v[40:41], 0 op_sel_hi:[1,0]
	v_min_f32_e32 v8, v110, v123
	v_min_f32_e32 v9, v111, v122
	;; [unrolled: 4-line block ×3, first 2 shown]
	v_pk_add_f32 v[70:71], v[2:3], v[8:9]
	v_min_f32_e32 v3, v111, v126
	v_min_f32_e32 v2, v110, v127
	v_pk_add_f32 v[8:9], v[44:45], 0 op_sel_hi:[1,0]
	s_waitcnt lgkmcnt(0)
	v_pk_add_f32 v[54:55], v[8:9], v[2:3]
	v_pk_add_f32 v[2:3], v[46:47], 0 op_sel_hi:[1,0]
	v_min_f32_e32 v8, v128, v113
	v_min_f32_e32 v9, v129, v112
	v_pk_add_f32 v[110:111], v[2:3], v[8:9]
	v_pk_add_f32 v[2:3], v[48:49], 0 op_sel_hi:[1,0]
	v_min_f32_e32 v8, v128, v123
	v_min_f32_e32 v9, v129, v122
	;; [unrolled: 4-line block ×3, first 2 shown]
	v_pk_add_f32 v[68:69], v[2:3], v[8:9]
	v_min_f32_e32 v3, v129, v126
	v_min_f32_e32 v2, v128, v127
	v_pk_add_f32 v[8:9], v[52:53], 0 op_sel_hi:[1,0]
	s_barrier
	v_pk_add_f32 v[52:53], v[8:9], v[2:3]
	v_min_f32_e32 v2, v130, v113
	v_min_f32_e32 v3, v131, v112
	v_pk_add_f32 v[8:9], v[66:67], 0 op_sel_hi:[1,0]
	s_nop 0
	v_pk_add_f32 v[112:113], v[8:9], v[2:3]
	v_min_f32_e32 v2, v130, v123
	v_min_f32_e32 v3, v131, v122
	v_pk_add_f32 v[8:9], v[84:85], 0 op_sel_hi:[1,0]
	s_nop 0
	;; [unrolled: 5-line block ×5, first 2 shown]
	v_pk_add_f32 v[48:49], v[8:9], v[2:3]
	s_cbranch_scc1 .LBB42_34
; %bb.20:
	v_lshl_add_u64 v[100:101], v[0:1], 2, s[18:19]
	v_mov_b32_e32 v0, 0x1400
	v_lshl_add_u32 v212, v202, 4, v0
	v_mov_b32_e32 v0, 0x800
	v_lshl_add_u32 v213, v203, 4, v0
	v_add_u32_e32 v0, 12, v204
	v_mad_i64_i32 v[0:1], s[6:7], v0, s26, 0
	v_lshlrev_b64 v[102:103], 2, v[0:1]
	v_add_u32_e32 v0, 8, v204
	v_mad_i64_i32 v[0:1], s[6:7], v0, s26, 0
	v_or_b32_e32 v208, 0x1000, v207
	v_add_u32_e32 v209, 0x1000, v205
	v_add_u32_e32 v210, 0x1400, v207
	v_or_b32_e32 v211, 0x800, v207
	s_add_i32 s28, s22, -8
	s_lshl_b64 s[18:19], s[26:27], 5
	v_lshlrev_b64 v[104:105], 2, v[0:1]
	s_mov_b32 s29, 0
	s_branch .LBB42_22
.LBB42_21:                              ;   in Loop: Header=BB42_22 Depth=1
	s_or_b64 exec, exec, s[6:7]
	v_pk_add_f32 v[40:41], v[98:99], v[40:41]
	v_pk_add_f32 v[32:33], v[64:65], v[32:33]
	;; [unrolled: 1-line block ×19, first 2 shown]
	ds_read_b128 v[0:3], v206
	ds_read_b128 v[8:11], v206 offset:512
	v_pk_add_f32 v[20:21], v[118:119], v[6:7]
	ds_read_b128 v[4:7], v209 offset:896
	v_pk_add_f32 v[44:45], v[96:97], v[44:45]
	v_pk_add_f32 v[28:29], v[80:81], v[28:29]
	;; [unrolled: 1-line block ×20, first 2 shown]
	ds_read_b128 v[12:15], v209 offset:768
	s_waitcnt lgkmcnt(1)
	v_max_f32_e32 v95, v5, v5
	v_max_f32_e32 v97, v4, v4
	;; [unrolled: 1-line block ×4, first 2 shown]
	v_pk_add_f32 v[78:79], v[36:37], v[38:39]
	v_pk_add_f32 v[74:75], v[28:29], v[30:31]
	;; [unrolled: 1-line block ×6, first 2 shown]
	ds_read_b128 v[82:85], v206 offset:1536
	ds_read_b128 v[86:89], v206 offset:1024
	v_min_f32_e32 v5, v95, v98
	v_min_f32_e32 v4, v97, v99
	v_pk_add_f32 v[60:61], v[62:63], v[166:167]
	v_pk_add_f32 v[62:63], v[80:81], v[164:165]
	;; [unrolled: 1-line block ×3, first 2 shown]
	ds_read_b128 v[78:81], v209
	v_pk_add_f32 v[114:115], v[54:55], v[146:147]
	v_pk_add_f32 v[92:93], v[92:93], v[130:131]
	;; [unrolled: 1-line block ×4, first 2 shown]
	s_waitcnt lgkmcnt(1)
	v_max_f32_e32 v114, v87, v87
	v_max_f32_e32 v115, v86, v86
	v_pk_add_f32 v[54:55], v[92:93], v[170:171]
	v_pk_add_f32 v[46:47], v[90:91], v[176:177]
	ds_read_b128 v[90:93], v209 offset:128
	v_max_f32_e32 v94, v1, v1
	v_max_f32_e32 v96, v0, v0
	v_min_f32_e32 v9, v95, v114
	v_min_f32_e32 v8, v97, v115
	s_waitcnt lgkmcnt(1)
	v_max_f32_e32 v86, v78, v78
	v_max_f32_e32 v87, v79, v79
	v_pk_add_f32 v[8:9], v[76:77], v[8:9]
	v_min_f32_e32 v76, v86, v96
	v_min_f32_e32 v77, v87, v94
	v_pk_add_f32 v[76:77], v[68:69], v[76:77]
	v_min_f32_e32 v68, v86, v99
	v_min_f32_e32 v69, v87, v98
	v_pk_add_f32 v[78:79], v[70:71], v[68:69]
	v_min_f32_e32 v68, v86, v115
	v_min_f32_e32 v69, v87, v114
	v_max_f32_e32 v83, v83, v83
	v_max_f32_e32 v82, v82, v82
	v_pk_add_f32 v[66:67], v[24:25], v[26:27]
	v_pk_add_f32 v[74:75], v[74:75], v[68:69]
	v_min_f32_e32 v69, v87, v83
	v_min_f32_e32 v68, v86, v82
	v_pk_add_f32 v[86:87], v[66:67], v[68:69]
	s_waitcnt lgkmcnt(0)
	v_max_f32_e32 v68, v90, v90
	v_max_f32_e32 v69, v91, v91
	v_min_f32_e32 v66, v68, v96
	v_min_f32_e32 v67, v69, v94
	v_pk_add_f32 v[60:61], v[60:61], v[66:67]
	v_min_f32_e32 v66, v68, v99
	v_min_f32_e32 v67, v69, v98
	v_pk_add_f32 v[90:91], v[62:63], v[66:67]
	;; [unrolled: 3-line block ×3, first 2 shown]
	v_pk_add_f32 v[106:107], v[64:65], v[62:63]
	ds_read_b128 v[64:67], v209 offset:256
	v_min_f32_e32 v63, v69, v83
	v_min_f32_e32 v62, v68, v82
	ds_read_b128 v[68:71], v209 offset:384
	v_pk_add_f32 v[58:59], v[58:59], v[62:63]
	s_waitcnt lgkmcnt(1)
	v_max_f32_e32 v64, v64, v64
	v_max_f32_e32 v65, v65, v65
	v_min_f32_e32 v62, v64, v96
	v_min_f32_e32 v63, v65, v94
	v_pk_add_f32 v[52:53], v[52:53], v[62:63]
	v_min_f32_e32 v62, v64, v99
	v_min_f32_e32 v63, v65, v98
	v_pk_add_f32 v[54:55], v[54:55], v[62:63]
	;; [unrolled: 3-line block ×3, first 2 shown]
	v_pk_add_f32 v[56:57], v[56:57], v[62:63]
	v_min_f32_e32 v63, v65, v83
	v_min_f32_e32 v62, v64, v82
	v_pk_add_f32 v[36:37], v[108:109], v[184:185]
	v_pk_add_f32 v[108:109], v[50:51], v[62:63]
	s_waitcnt lgkmcnt(0)
	v_max_f32_e32 v62, v68, v68
	v_max_f32_e32 v63, v69, v69
	v_min_f32_e32 v50, v62, v96
	v_min_f32_e32 v51, v63, v94
	v_pk_add_f32 v[110:111], v[110:111], v[150:151]
	v_pk_add_f32 v[68:69], v[44:45], v[50:51]
	v_min_f32_e32 v44, v62, v99
	v_min_f32_e32 v45, v63, v98
	v_pk_add_f32 v[112:113], v[112:113], v[156:157]
	v_pk_add_f32 v[28:29], v[110:111], v[194:195]
	;; [unrolled: 1-line block ×3, first 2 shown]
	v_min_f32_e32 v44, v62, v115
	v_min_f32_e32 v45, v63, v114
	v_pk_add_f32 v[24:25], v[112:113], v[200:201]
	v_pk_add_f32 v[112:113], v[48:49], v[44:45]
	ds_read_b128 v[44:47], v209 offset:512
	v_min_f32_e32 v49, v63, v83
	v_min_f32_e32 v48, v62, v82
	v_pk_add_f32 v[42:43], v[42:43], v[48:49]
	ds_read_b128 v[48:51], v209 offset:640
	s_waitcnt lgkmcnt(1)
	v_max_f32_e32 v62, v44, v44
	v_max_f32_e32 v63, v45, v45
	v_min_f32_e32 v44, v62, v96
	v_min_f32_e32 v45, v63, v94
	v_pk_add_f32 v[36:37], v[36:37], v[44:45]
	v_min_f32_e32 v44, v62, v99
	v_min_f32_e32 v45, v63, v98
	v_pk_add_f32 v[38:39], v[38:39], v[44:45]
	;; [unrolled: 3-line block ×3, first 2 shown]
	v_min_f32_e32 v45, v63, v83
	v_min_f32_e32 v44, v62, v82
	s_waitcnt lgkmcnt(0)
	v_max_f32_e32 v48, v48, v48
	v_max_f32_e32 v49, v49, v49
	v_pk_add_f32 v[34:35], v[34:35], v[44:45]
	v_min_f32_e32 v44, v48, v96
	v_min_f32_e32 v45, v49, v94
	v_pk_add_f32 v[28:29], v[28:29], v[44:45]
	v_min_f32_e32 v44, v48, v99
	v_min_f32_e32 v45, v49, v98
	;; [unrolled: 3-line block ×3, first 2 shown]
	v_pk_add_f32 v[26:27], v[116:117], v[196:197]
	v_pk_add_f32 v[32:33], v[32:33], v[44:45]
	v_min_f32_e32 v45, v49, v83
	v_min_f32_e32 v44, v48, v82
	v_pk_add_f32 v[26:27], v[26:27], v[44:45]
	v_max_f32_e32 v44, v12, v12
	v_max_f32_e32 v45, v13, v13
	v_min_f32_e32 v12, v44, v96
	v_min_f32_e32 v13, v45, v94
	v_pk_add_f32 v[12:13], v[24:25], v[12:13]
	v_min_f32_e32 v24, v44, v99
	v_min_f32_e32 v25, v45, v98
	v_pk_add_f32 v[22:23], v[22:23], v[24:25]
	;; [unrolled: 3-line block ×4, first 2 shown]
	v_pk_add_f32 v[20:21], v[20:21], v[24:25]
	v_min_f32_e32 v25, v95, v83
	v_min_f32_e32 v24, v97, v82
	;; [unrolled: 1-line block ×4, first 2 shown]
	v_pk_add_f32 v[16:17], v[16:17], v[24:25]
	v_max_f32_e32 v24, v3, v3
	v_max_f32_e32 v7, v7, v7
	;; [unrolled: 1-line block ×4, first 2 shown]
	v_pk_add_f32 v[0:1], v[122:123], v[0:1]
	v_min_f32_e32 v3, v7, v24
	v_min_f32_e32 v2, v6, v25
	v_pk_add_f32 v[98:99], v[0:1], v[2:3]
	v_max_f32_e32 v2, v11, v11
	v_max_f32_e32 v3, v10, v10
	v_min_f32_e32 v1, v7, v2
	v_min_f32_e32 v0, v6, v3
	v_pk_add_f32 v[82:83], v[4:5], v[0:1]
	v_max_f32_e32 v4, v89, v89
	v_max_f32_e32 v5, v88, v88
	;; [unrolled: 5-line block ×3, first 2 shown]
	v_min_f32_e32 v0, v8, v25
	v_min_f32_e32 v1, v9, v24
	v_pk_add_f32 v[118:119], v[76:77], v[0:1]
	v_min_f32_e32 v0, v8, v3
	v_min_f32_e32 v1, v9, v2
	v_pk_add_f32 v[96:97], v[78:79], v[0:1]
	v_min_f32_e32 v0, v8, v5
	v_min_f32_e32 v1, v9, v4
	v_max_f32_e32 v10, v85, v85
	v_pk_add_f32 v[80:81], v[74:75], v[0:1]
	v_min_f32_e32 v1, v9, v10
	v_max_f32_e32 v9, v84, v84
	v_min_f32_e32 v0, v8, v9
	v_max_f32_e32 v8, v92, v92
	v_max_f32_e32 v11, v93, v93
	v_pk_add_f32 v[62:63], v[86:87], v[0:1]
	v_min_f32_e32 v0, v8, v25
	v_min_f32_e32 v1, v11, v24
	v_pk_add_f32 v[116:117], v[60:61], v[0:1]
	v_min_f32_e32 v0, v8, v3
	v_min_f32_e32 v1, v11, v2
	v_pk_add_f32 v[94:95], v[90:91], v[0:1]
	v_min_f32_e32 v0, v8, v5
	v_min_f32_e32 v1, v11, v4
	v_pk_add_f32 v[78:79], v[106:107], v[0:1]
	v_min_f32_e32 v1, v11, v10
	v_min_f32_e32 v0, v8, v9
	v_max_f32_e32 v8, v66, v66
	v_max_f32_e32 v11, v67, v67
	v_pk_add_f32 v[60:61], v[58:59], v[0:1]
	v_min_f32_e32 v0, v8, v25
	v_min_f32_e32 v1, v11, v24
	v_pk_add_f32 v[114:115], v[52:53], v[0:1]
	v_min_f32_e32 v0, v8, v3
	v_min_f32_e32 v1, v11, v2
	v_pk_add_f32 v[92:93], v[54:55], v[0:1]
	v_min_f32_e32 v0, v8, v5
	v_min_f32_e32 v1, v11, v4
	v_pk_add_f32 v[76:77], v[56:57], v[0:1]
	v_min_f32_e32 v1, v11, v10
	;; [unrolled: 14-line block ×6, first 2 shown]
	v_min_f32_e32 v0, v8, v9
	v_pk_add_f32 v[50:51], v[20:21], v[0:1]
	v_min_f32_e32 v1, v7, v10
	v_min_f32_e32 v0, v6, v9
	s_add_i32 s29, s29, 8
	v_pk_add_f32 v[48:49], v[16:17], v[0:1]
	s_cmp_ge_i32 s29, s28
	v_lshl_add_u64 v[100:101], v[100:101], 0, s[18:19]
	ds_write_b32 v210, v214
	ds_write2st64_b32 v211, v216, v215 offset1:4
	s_waitcnt lgkmcnt(0)
	s_barrier
	s_cbranch_scc1 .LBB42_34
.LBB42_22:                              ; =>This Inner Loop Header: Depth=1
	v_add_u32_e32 v120, s29, v204
	v_add_u32_e32 v0, 8, v120
	v_cmp_gt_i32_e64 s[6:7], s22, v0
	s_and_b64 s[6:7], vcc, s[6:7]
	s_and_b64 s[26:27], s[10:11], s[6:7]
	v_mov_b32_e32 v121, 0
	v_mov_b32_e32 v122, 0
	s_and_saveexec_b64 s[6:7], s[26:27]
	s_cbranch_execz .LBB42_24
; %bb.23:                               ;   in Loop: Header=BB42_22 Depth=1
	v_lshl_add_u64 v[2:3], v[100:101], 0, v[104:105]
	flat_load_dword v1, v[2:3]
	s_waitcnt vmcnt(0) lgkmcnt(0)
	v_mul_f32_e32 v122, s31, v1
.LBB42_24:                              ;   in Loop: Header=BB42_22 Depth=1
	s_or_b64 exec, exec, s[6:7]
	v_cmp_le_i32_e64 s[6:7], s22, v0
	v_min_i32_e32 v0, s35, v0
	v_mad_i64_i32 v[0:1], s[26:27], v0, s23, 0
	s_or_b64 s[26:27], s[2:3], s[6:7]
	v_lshl_add_u64 v[0:1], v[0:1], 2, s[12:13]
	s_or_b64 s[26:27], s[26:27], s[16:17]
	s_xor_b64 s[36:37], s[26:27], -1
	v_lshl_add_u64 v[0:1], v[72:73], 2, v[0:1]
	s_and_saveexec_b64 s[26:27], s[36:37]
	s_cbranch_execz .LBB42_26
; %bb.25:                               ;   in Loop: Header=BB42_22 Depth=1
	flat_load_dword v2, v[0:1]
	s_waitcnt vmcnt(0) lgkmcnt(0)
	v_mul_f32_e32 v121, s31, v2
.LBB42_26:                              ;   in Loop: Header=BB42_22 Depth=1
	s_or_b64 exec, exec, s[26:27]
	s_or_b64 s[6:7], s[4:5], s[6:7]
	s_or_b64 s[6:7], s[6:7], s[16:17]
	s_xor_b64 s[26:27], s[6:7], -1
	v_mov_b32_e32 v214, 0
	v_mov_b32_e32 v123, 0
	s_and_saveexec_b64 s[6:7], s[26:27]
	s_cbranch_execz .LBB42_28
; %bb.27:                               ;   in Loop: Header=BB42_22 Depth=1
	flat_load_dword v0, v[0:1] offset:256
	s_waitcnt vmcnt(0) lgkmcnt(0)
	v_mul_f32_e32 v123, s31, v0
.LBB42_28:                              ;   in Loop: Header=BB42_22 Depth=1
	s_or_b64 exec, exec, s[6:7]
	ds_read_b128 v[40:43], v213
	ds_read_b128 v[36:39], v213 offset:512
	ds_read_b128 v[24:27], v213 offset:1536
	;; [unrolled: 1-line block ×3, first 2 shown]
	ds_read_b128 v[28:31], v212
	ds_read_b128 v[20:23], v212 offset:128
	ds_read_b128 v[16:19], v212 offset:256
	;; [unrolled: 1-line block ×7, first 2 shown]
	v_add_u32_e32 v120, 12, v120
	v_cmp_gt_i32_e64 s[6:7], s22, v120
	s_and_b64 s[6:7], vcc, s[6:7]
	s_and_b64 s[26:27], s[10:11], s[6:7]
	ds_write_b32 v208, v122
	ds_write2st64_b32 v207, v121, v123 offset1:4
	s_waitcnt lgkmcnt(0)
	s_barrier
	s_and_saveexec_b64 s[6:7], s[26:27]
	s_cbranch_execz .LBB42_30
; %bb.29:                               ;   in Loop: Header=BB42_22 Depth=1
	v_lshl_add_u64 v[122:123], v[100:101], 0, v[102:103]
	flat_load_dword v121, v[122:123]
	s_waitcnt vmcnt(0) lgkmcnt(0)
	v_mul_f32_e32 v214, s31, v121
.LBB42_30:                              ;   in Loop: Header=BB42_22 Depth=1
	s_or_b64 exec, exec, s[6:7]
	v_cmp_le_i32_e64 s[6:7], s22, v120
	v_min_i32_e32 v120, s35, v120
	v_mad_i64_i32 v[120:121], s[26:27], v120, s23, 0
	s_or_b64 s[26:27], s[2:3], s[6:7]
	v_lshl_add_u64 v[120:121], v[120:121], 2, s[12:13]
	s_or_b64 s[26:27], s[26:27], s[16:17]
	s_xor_b64 s[36:37], s[26:27], -1
	v_mov_b32_e32 v215, 0
	v_lshl_add_u64 v[120:121], v[72:73], 2, v[120:121]
	v_mov_b32_e32 v216, 0
	s_and_saveexec_b64 s[26:27], s[36:37]
	s_cbranch_execz .LBB42_32
; %bb.31:                               ;   in Loop: Header=BB42_22 Depth=1
	flat_load_dword v122, v[120:121]
	s_waitcnt vmcnt(0) lgkmcnt(0)
	v_mul_f32_e32 v216, s31, v122
.LBB42_32:                              ;   in Loop: Header=BB42_22 Depth=1
	s_or_b64 exec, exec, s[26:27]
	v_max_f32_e32 v154, v41, v41
	v_max_f32_e32 v160, v45, v45
	;; [unrolled: 1-line block ×34, first 2 shown]
	s_or_b64 s[6:7], s[4:5], s[6:7]
	v_min_f32_e32 v41, v160, v154
	v_min_f32_e32 v40, v162, v155
	v_min_f32_e32 v37, v160, v158
	v_min_f32_e32 v36, v162, v159
	v_min_f32_e32 v33, v160, v161
	v_min_f32_e32 v122, v124, v155
	v_min_f32_e32 v123, v125, v154
	v_min_f32_e32 v44, v124, v159
	v_min_f32_e32 v45, v125, v158
	v_min_f32_e32 v28, v124, v163
	v_min_f32_e32 v29, v125, v161
	v_min_f32_e32 v25, v125, v164
	v_min_f32_e32 v24, v124, v165
	v_min_f32_e32 v126, v128, v155
	v_min_f32_e32 v127, v129, v154
	v_min_f32_e32 v124, v128, v159
	v_min_f32_e32 v125, v129, v158
	v_min_f32_e32 v20, v128, v163
	v_min_f32_e32 v21, v129, v161
	v_min_f32_e32 v129, v129, v164
	v_min_f32_e32 v128, v128, v165
	v_min_f32_e32 v132, v134, v155
	v_min_f32_e32 v133, v135, v154
	v_min_f32_e32 v130, v134, v159
	v_min_f32_e32 v131, v135, v158
	v_min_f32_e32 v16, v134, v163
	v_min_f32_e32 v17, v135, v161
	v_min_f32_e32 v135, v135, v164
	v_min_f32_e32 v134, v134, v165
	v_min_f32_e32 v138, v140, v155
	v_min_f32_e32 v139, v141, v154
	v_min_f32_e32 v136, v140, v159
	v_min_f32_e32 v137, v141, v158
	v_min_f32_e32 v12, v140, v163
	v_min_f32_e32 v13, v141, v161
	v_min_f32_e32 v141, v141, v164
	v_min_f32_e32 v140, v140, v165
	v_min_f32_e32 v144, v146, v155
	v_min_f32_e32 v145, v147, v154
	v_min_f32_e32 v142, v146, v159
	v_min_f32_e32 v143, v147, v158
	v_min_f32_e32 v8, v146, v163
	v_min_f32_e32 v9, v147, v161
	v_min_f32_e32 v147, v147, v164
	v_min_f32_e32 v146, v146, v165
	v_min_f32_e32 v150, v152, v155
	v_min_f32_e32 v151, v153, v154
	v_min_f32_e32 v148, v152, v159
	v_min_f32_e32 v149, v153, v158
	v_min_f32_e32 v4, v152, v163
	v_min_f32_e32 v5, v153, v161
	v_min_f32_e32 v153, v153, v164
	v_min_f32_e32 v152, v152, v165
	v_min_f32_e32 v156, v166, v155
	v_min_f32_e32 v157, v167, v154
	v_min_f32_e32 v154, v166, v159
	v_min_f32_e32 v155, v167, v158
	v_min_f32_e32 v1, v167, v161
	v_min_f32_e32 v159, v167, v164
	v_min_f32_e32 v158, v166, v165
	v_min_f32_e32 v161, v160, v164
	v_min_f32_e32 v160, v162, v165
	v_max_f32_e32 v191, v47, v47
	v_max_f32_e32 v217, v46, v46
	;; [unrolled: 1-line block ×12, first 2 shown]
	v_min_f32_e32 v194, v6, v198
	v_min_f32_e32 v195, v7, v190
	;; [unrolled: 1-line block ×8, first 2 shown]
	v_max_f32_e32 v6, v2, v2
	v_max_f32_e32 v7, v3, v3
	s_or_b64 s[6:7], s[6:7], s[16:17]
	v_min_f32_e32 v32, v162, v163
	v_min_f32_e32 v0, v166, v163
	;; [unrolled: 1-line block ×58, first 2 shown]
	s_xor_b64 s[26:27], s[6:7], -1
	s_and_saveexec_b64 s[6:7], s[26:27]
	s_cbranch_execz .LBB42_21
; %bb.33:                               ;   in Loop: Header=BB42_22 Depth=1
	flat_load_dword v120, v[120:121] offset:256
	s_waitcnt vmcnt(0) lgkmcnt(0)
	v_mul_f32_e32 v215, s31, v120
	s_branch .LBB42_21
.LBB42_34:
	s_load_dwordx2 s[2:3], s[0:1], 0x78
	s_load_dword s29, s[0:1], 0x58
	s_load_dword s28, s[0:1], 0x70
	ds_read_b128 v[44:47], v206 offset:2048
	ds_read_b128 v[40:43], v206 offset:2560
	;; [unrolled: 1-line block ×12, first 2 shown]
	s_waitcnt lgkmcnt(0)
	s_lshl_b64 s[0:1], s[2:3], 2
	s_add_u32 s22, s14, s0
	v_add_u32_e32 v124, s34, v203
	s_addc_u32 s23, s15, s1
	v_mad_i64_i32 v[100:101], s[0:1], v124, s29, 0
	v_add_u32_e32 v72, s33, v202
	v_lshl_add_u64 v[122:123], v[100:101], 2, s[24:25]
	v_mad_i64_i32 v[100:101], s[0:1], v124, s28, 0
	v_cmp_gt_i32_e64 s[18:19], s21, v124
	v_lshl_add_u64 v[120:121], v[100:101], 2, s[22:23]
	v_cmp_gt_i32_e64 s[2:3], s20, v72
	v_cndmask_b32_e64 v100, 0, 1, s[8:9]
	s_and_b64 s[6:7], s[2:3], s[18:19]
	v_ashrrev_i32_e32 v73, 31, v72
	v_cmp_ne_u32_e64 s[0:1], 1, v100
	s_and_saveexec_b64 s[4:5], s[6:7]
	s_cbranch_execz .LBB42_39
; %bb.35:
	s_and_b64 vcc, exec, s[0:1]
	s_cbranch_vccnz .LBB42_37
; %bb.36:
	v_lshl_add_u64 v[100:101], v[72:73], 2, v[122:123]
	flat_load_dword v100, v[100:101]
	s_waitcnt vmcnt(0) lgkmcnt(0)
	v_mul_f32_e32 v100, s30, v100
	s_branch .LBB42_38
.LBB42_37:
	v_mov_b32_e32 v100, 0
.LBB42_38:
	v_max_f32_e32 v101, v44, v44
	v_max_f32_e32 v102, v32, v32
	v_min_f32_e32 v102, v102, v101
	v_max_f32_e32 v101, v45, v45
	v_max_f32_e32 v103, v33, v33
	v_min_f32_e32 v103, v103, v101
	;; [unrolled: 3-line block ×3, first 2 shown]
	v_max_f32_e32 v101, v47, v47
	v_max_f32_e32 v105, v35, v35
	v_pk_add_f32 v[102:103], v[118:119], v[102:103]
	v_min_f32_e32 v105, v105, v101
	v_pk_add_f32 v[102:103], v[102:103], v[104:105]
	s_nop 0
	v_add_f32_e32 v101, v102, v103
	v_add_f32_e32 v102, v101, v100
	v_lshl_add_u64 v[100:101], v[72:73], 2, v[120:121]
	global_store_dword v[100:101], v102, off
.LBB42_39:
	s_or_b64 exec, exec, s[4:5]
	v_add_u32_e32 v100, 8, v72
	v_cmp_gt_i32_e64 s[4:5], s20, v100
	s_and_b64 s[8:9], s[4:5], s[18:19]
	v_ashrrev_i32_e32 v101, 31, v100
	s_and_saveexec_b64 s[6:7], s[8:9]
	s_cbranch_execz .LBB42_44
; %bb.40:
	s_and_b64 vcc, exec, s[0:1]
	s_cbranch_vccnz .LBB42_42
; %bb.41:
	v_lshl_add_u64 v[102:103], v[100:101], 2, v[122:123]
	flat_load_dword v102, v[102:103]
	s_waitcnt vmcnt(0) lgkmcnt(0)
	v_mul_f32_e32 v102, s30, v102
	s_branch .LBB42_43
.LBB42_42:
	v_mov_b32_e32 v102, 0
.LBB42_43:
	v_max_f32_e32 v103, v44, v44
	v_max_f32_e32 v104, v28, v28
	v_min_f32_e32 v104, v104, v103
	v_max_f32_e32 v103, v45, v45
	v_max_f32_e32 v105, v29, v29
	v_min_f32_e32 v105, v105, v103
	v_pk_add_f32 v[104:105], v[116:117], v[104:105]
	v_max_f32_e32 v103, v46, v46
	v_max_f32_e32 v116, v30, v30
	v_min_f32_e32 v116, v116, v103
	v_max_f32_e32 v103, v47, v47
	v_max_f32_e32 v117, v31, v31
	v_min_f32_e32 v117, v117, v103
	v_pk_add_f32 v[104:105], v[104:105], v[116:117]
	s_nop 0
	v_add_f32_e32 v103, v104, v105
	v_add_f32_e32 v104, v103, v102
	v_lshl_add_u64 v[102:103], v[100:101], 2, v[120:121]
	global_store_dword v[102:103], v104, off
.LBB42_44:
	s_or_b64 exec, exec, s[6:7]
	v_add_u32_e32 v102, 16, v72
	v_cmp_gt_i32_e64 s[6:7], s20, v102
	s_and_b64 s[10:11], s[6:7], s[18:19]
	v_ashrrev_i32_e32 v103, 31, v102
	s_and_saveexec_b64 s[8:9], s[10:11]
	s_cbranch_execz .LBB42_49
; %bb.45:
	s_and_b64 vcc, exec, s[0:1]
	s_cbranch_vccnz .LBB42_47
; %bb.46:
	v_lshl_add_u64 v[104:105], v[102:103], 2, v[122:123]
	flat_load_dword v104, v[104:105]
	s_waitcnt vmcnt(0) lgkmcnt(0)
	v_mul_f32_e32 v104, s30, v104
	s_branch .LBB42_48
.LBB42_47:
	v_mov_b32_e32 v104, 0
.LBB42_48:
	v_max_f32_e32 v105, v44, v44
	v_max_f32_e32 v116, v24, v24
	v_min_f32_e32 v116, v116, v105
	v_max_f32_e32 v105, v45, v45
	v_max_f32_e32 v117, v25, v25
	v_min_f32_e32 v117, v117, v105
	v_pk_add_f32 v[114:115], v[114:115], v[116:117]
	v_max_f32_e32 v105, v46, v46
	v_max_f32_e32 v116, v26, v26
	v_min_f32_e32 v116, v116, v105
	v_max_f32_e32 v105, v47, v47
	v_max_f32_e32 v117, v27, v27
	v_min_f32_e32 v117, v117, v105
	v_pk_add_f32 v[114:115], v[114:115], v[116:117]
	s_nop 0
	v_add_f32_e32 v105, v114, v115
	v_add_f32_e32 v114, v105, v104
	v_lshl_add_u64 v[104:105], v[102:103], 2, v[120:121]
	global_store_dword v[104:105], v114, off
.LBB42_49:
	;; [unrolled: 39-line block ×7, first 2 shown]
	s_or_b64 exec, exec, s[18:19]
	v_add_u32_e32 v98, 32, v124
	v_mad_i64_i32 v[44:45], s[26:27], v98, s29, 0
	v_cmp_gt_i32_e64 s[18:19], s21, v98
	v_lshl_add_u64 v[46:47], v[44:45], 2, s[24:25]
	v_mad_i64_i32 v[44:45], s[26:27], v98, s28, 0
	v_lshl_add_u64 v[44:45], v[44:45], 2, s[22:23]
	s_and_b64 s[34:35], s[2:3], s[18:19]
	s_and_saveexec_b64 s[26:27], s[34:35]
	s_cbranch_execnz .LBB42_82
; %bb.75:
	s_or_b64 exec, exec, s[26:27]
	s_and_b64 s[34:35], s[4:5], s[18:19]
	s_and_saveexec_b64 s[26:27], s[34:35]
	s_cbranch_execnz .LBB42_86
.LBB42_76:
	s_or_b64 exec, exec, s[26:27]
	s_and_b64 s[34:35], s[6:7], s[18:19]
	s_and_saveexec_b64 s[26:27], s[34:35]
	s_cbranch_execnz .LBB42_90
.LBB42_77:
	s_or_b64 exec, exec, s[26:27]
	s_and_b64 s[34:35], s[8:9], s[18:19]
	s_and_saveexec_b64 s[26:27], s[34:35]
	s_cbranch_execnz .LBB42_94
.LBB42_78:
	s_or_b64 exec, exec, s[26:27]
	s_and_b64 s[34:35], s[10:11], s[18:19]
	s_and_saveexec_b64 s[26:27], s[34:35]
	s_cbranch_execnz .LBB42_98
.LBB42_79:
	s_or_b64 exec, exec, s[26:27]
	s_and_b64 s[34:35], s[12:13], s[18:19]
	s_and_saveexec_b64 s[26:27], s[34:35]
	s_cbranch_execnz .LBB42_102
.LBB42_80:
	s_or_b64 exec, exec, s[26:27]
	s_and_b64 s[34:35], s[14:15], s[18:19]
	s_and_saveexec_b64 s[26:27], s[34:35]
	s_cbranch_execnz .LBB42_106
.LBB42_81:
	s_or_b64 exec, exec, s[26:27]
	s_and_b64 s[26:27], s[16:17], s[18:19]
	s_and_saveexec_b64 s[18:19], s[26:27]
	s_cbranch_execnz .LBB42_110
	s_branch .LBB42_114
.LBB42_82:
	s_and_b64 vcc, exec, s[0:1]
	s_cbranch_vccnz .LBB42_84
; %bb.83:
	v_lshl_add_u64 v[98:99], v[72:73], 2, v[46:47]
	flat_load_dword v98, v[98:99]
	s_waitcnt vmcnt(0) lgkmcnt(0)
	v_mul_f32_e32 v98, s30, v98
	s_branch .LBB42_85
.LBB42_84:
	v_mov_b32_e32 v98, 0
.LBB42_85:
	v_max_f32_e32 v99, v40, v40
	v_max_f32_e32 v114, v32, v32
	v_min_f32_e32 v114, v114, v99
	v_max_f32_e32 v99, v41, v41
	v_max_f32_e32 v115, v33, v33
	v_min_f32_e32 v115, v115, v99
	v_pk_add_f32 v[96:97], v[96:97], v[114:115]
	v_max_f32_e32 v99, v42, v42
	v_max_f32_e32 v114, v34, v34
	v_min_f32_e32 v114, v114, v99
	v_max_f32_e32 v99, v43, v43
	v_max_f32_e32 v115, v35, v35
	v_min_f32_e32 v115, v115, v99
	v_pk_add_f32 v[96:97], v[96:97], v[114:115]
	s_nop 0
	v_add_f32_e32 v96, v96, v97
	v_add_f32_e32 v98, v96, v98
	v_lshl_add_u64 v[96:97], v[72:73], 2, v[44:45]
	global_store_dword v[96:97], v98, off
	s_or_b64 exec, exec, s[26:27]
	s_and_b64 s[34:35], s[4:5], s[18:19]
	s_and_saveexec_b64 s[26:27], s[34:35]
	s_cbranch_execz .LBB42_76
.LBB42_86:
	s_and_b64 vcc, exec, s[0:1]
	s_cbranch_vccnz .LBB42_88
; %bb.87:
	v_lshl_add_u64 v[96:97], v[100:101], 2, v[46:47]
	flat_load_dword v96, v[96:97]
	s_waitcnt vmcnt(0) lgkmcnt(0)
	v_mul_f32_e32 v96, s30, v96
	s_branch .LBB42_89
.LBB42_88:
	v_mov_b32_e32 v96, 0
.LBB42_89:
	v_max_f32_e32 v97, v40, v40
	v_max_f32_e32 v98, v28, v28
	v_min_f32_e32 v98, v98, v97
	v_max_f32_e32 v97, v41, v41
	v_max_f32_e32 v99, v29, v29
	v_min_f32_e32 v99, v99, v97
	v_pk_add_f32 v[94:95], v[94:95], v[98:99]
	v_max_f32_e32 v97, v42, v42
	v_max_f32_e32 v98, v30, v30
	v_min_f32_e32 v98, v98, v97
	v_max_f32_e32 v97, v43, v43
	v_max_f32_e32 v99, v31, v31
	v_min_f32_e32 v99, v99, v97
	v_pk_add_f32 v[94:95], v[94:95], v[98:99]
	s_nop 0
	v_add_f32_e32 v94, v94, v95
	v_add_f32_e32 v96, v94, v96
	v_lshl_add_u64 v[94:95], v[100:101], 2, v[44:45]
	global_store_dword v[94:95], v96, off
	s_or_b64 exec, exec, s[26:27]
	s_and_b64 s[34:35], s[6:7], s[18:19]
	s_and_saveexec_b64 s[26:27], s[34:35]
	s_cbranch_execz .LBB42_77
.LBB42_90:
	s_and_b64 vcc, exec, s[0:1]
	s_cbranch_vccnz .LBB42_92
; %bb.91:
	v_lshl_add_u64 v[94:95], v[102:103], 2, v[46:47]
	flat_load_dword v94, v[94:95]
	s_waitcnt vmcnt(0) lgkmcnt(0)
	v_mul_f32_e32 v94, s30, v94
	s_branch .LBB42_93
.LBB42_92:
	v_mov_b32_e32 v94, 0
.LBB42_93:
	v_max_f32_e32 v95, v40, v40
	v_max_f32_e32 v96, v24, v24
	v_min_f32_e32 v96, v96, v95
	v_max_f32_e32 v95, v41, v41
	v_max_f32_e32 v97, v25, v25
	v_min_f32_e32 v97, v97, v95
	v_pk_add_f32 v[92:93], v[92:93], v[96:97]
	v_max_f32_e32 v95, v42, v42
	v_max_f32_e32 v96, v26, v26
	v_min_f32_e32 v96, v96, v95
	v_max_f32_e32 v95, v43, v43
	v_max_f32_e32 v97, v27, v27
	v_min_f32_e32 v97, v97, v95
	v_pk_add_f32 v[92:93], v[92:93], v[96:97]
	s_nop 0
	v_add_f32_e32 v92, v92, v93
	v_add_f32_e32 v94, v92, v94
	v_lshl_add_u64 v[92:93], v[102:103], 2, v[44:45]
	global_store_dword v[92:93], v94, off
	s_or_b64 exec, exec, s[26:27]
	s_and_b64 s[34:35], s[8:9], s[18:19]
	s_and_saveexec_b64 s[26:27], s[34:35]
	s_cbranch_execz .LBB42_78
.LBB42_94:
	s_and_b64 vcc, exec, s[0:1]
	s_cbranch_vccnz .LBB42_96
; %bb.95:
	v_lshl_add_u64 v[92:93], v[104:105], 2, v[46:47]
	flat_load_dword v92, v[92:93]
	s_waitcnt vmcnt(0) lgkmcnt(0)
	v_mul_f32_e32 v92, s30, v92
	s_branch .LBB42_97
.LBB42_96:
	v_mov_b32_e32 v92, 0
.LBB42_97:
	v_max_f32_e32 v93, v40, v40
	v_max_f32_e32 v94, v20, v20
	v_min_f32_e32 v94, v94, v93
	v_max_f32_e32 v93, v41, v41
	v_max_f32_e32 v95, v21, v21
	v_min_f32_e32 v95, v95, v93
	v_pk_add_f32 v[90:91], v[90:91], v[94:95]
	v_max_f32_e32 v93, v42, v42
	v_max_f32_e32 v94, v22, v22
	v_min_f32_e32 v94, v94, v93
	v_max_f32_e32 v93, v43, v43
	v_max_f32_e32 v95, v23, v23
	v_min_f32_e32 v95, v95, v93
	v_pk_add_f32 v[90:91], v[90:91], v[94:95]
	s_nop 0
	v_add_f32_e32 v90, v90, v91
	v_add_f32_e32 v92, v90, v92
	v_lshl_add_u64 v[90:91], v[104:105], 2, v[44:45]
	global_store_dword v[90:91], v92, off
	s_or_b64 exec, exec, s[26:27]
	s_and_b64 s[34:35], s[10:11], s[18:19]
	s_and_saveexec_b64 s[26:27], s[34:35]
	s_cbranch_execz .LBB42_79
.LBB42_98:
	s_and_b64 vcc, exec, s[0:1]
	s_cbranch_vccnz .LBB42_100
; %bb.99:
	v_lshl_add_u64 v[90:91], v[106:107], 2, v[46:47]
	flat_load_dword v90, v[90:91]
	s_waitcnt vmcnt(0) lgkmcnt(0)
	v_mul_f32_e32 v90, s30, v90
	s_branch .LBB42_101
.LBB42_100:
	v_mov_b32_e32 v90, 0
.LBB42_101:
	v_max_f32_e32 v91, v40, v40
	v_max_f32_e32 v92, v16, v16
	v_min_f32_e32 v92, v92, v91
	v_max_f32_e32 v91, v41, v41
	v_max_f32_e32 v93, v17, v17
	v_min_f32_e32 v93, v93, v91
	v_pk_add_f32 v[88:89], v[88:89], v[92:93]
	v_max_f32_e32 v91, v42, v42
	v_max_f32_e32 v92, v18, v18
	v_min_f32_e32 v92, v92, v91
	v_max_f32_e32 v91, v43, v43
	v_max_f32_e32 v93, v19, v19
	v_min_f32_e32 v93, v93, v91
	v_pk_add_f32 v[88:89], v[88:89], v[92:93]
	s_nop 0
	v_add_f32_e32 v88, v88, v89
	v_add_f32_e32 v90, v88, v90
	v_lshl_add_u64 v[88:89], v[106:107], 2, v[44:45]
	global_store_dword v[88:89], v90, off
	s_or_b64 exec, exec, s[26:27]
	s_and_b64 s[34:35], s[12:13], s[18:19]
	s_and_saveexec_b64 s[26:27], s[34:35]
	s_cbranch_execz .LBB42_80
.LBB42_102:
	s_and_b64 vcc, exec, s[0:1]
	s_cbranch_vccnz .LBB42_104
; %bb.103:
	v_lshl_add_u64 v[88:89], v[108:109], 2, v[46:47]
	flat_load_dword v88, v[88:89]
	s_waitcnt vmcnt(0) lgkmcnt(0)
	v_mul_f32_e32 v88, s30, v88
	s_branch .LBB42_105
.LBB42_104:
	v_mov_b32_e32 v88, 0
.LBB42_105:
	v_max_f32_e32 v89, v40, v40
	v_max_f32_e32 v90, v12, v12
	v_min_f32_e32 v90, v90, v89
	v_max_f32_e32 v89, v41, v41
	v_max_f32_e32 v91, v13, v13
	v_min_f32_e32 v91, v91, v89
	v_pk_add_f32 v[86:87], v[86:87], v[90:91]
	v_max_f32_e32 v89, v42, v42
	v_max_f32_e32 v90, v14, v14
	v_min_f32_e32 v90, v90, v89
	v_max_f32_e32 v89, v43, v43
	v_max_f32_e32 v91, v15, v15
	v_min_f32_e32 v91, v91, v89
	v_pk_add_f32 v[86:87], v[86:87], v[90:91]
	s_nop 0
	v_add_f32_e32 v86, v86, v87
	v_add_f32_e32 v88, v86, v88
	v_lshl_add_u64 v[86:87], v[108:109], 2, v[44:45]
	global_store_dword v[86:87], v88, off
	s_or_b64 exec, exec, s[26:27]
	s_and_b64 s[34:35], s[14:15], s[18:19]
	s_and_saveexec_b64 s[26:27], s[34:35]
	s_cbranch_execz .LBB42_81
.LBB42_106:
	s_and_b64 vcc, exec, s[0:1]
	s_cbranch_vccnz .LBB42_108
; %bb.107:
	v_lshl_add_u64 v[86:87], v[110:111], 2, v[46:47]
	flat_load_dword v86, v[86:87]
	s_waitcnt vmcnt(0) lgkmcnt(0)
	v_mul_f32_e32 v86, s30, v86
	s_branch .LBB42_109
.LBB42_108:
	v_mov_b32_e32 v86, 0
.LBB42_109:
	v_max_f32_e32 v87, v40, v40
	v_max_f32_e32 v88, v8, v8
	v_min_f32_e32 v88, v88, v87
	v_max_f32_e32 v87, v41, v41
	v_max_f32_e32 v89, v9, v9
	v_min_f32_e32 v89, v89, v87
	v_pk_add_f32 v[84:85], v[84:85], v[88:89]
	v_max_f32_e32 v87, v42, v42
	v_max_f32_e32 v88, v10, v10
	v_min_f32_e32 v88, v88, v87
	v_max_f32_e32 v87, v43, v43
	v_max_f32_e32 v89, v11, v11
	v_min_f32_e32 v89, v89, v87
	v_pk_add_f32 v[84:85], v[84:85], v[88:89]
	s_nop 0
	v_add_f32_e32 v84, v84, v85
	v_add_f32_e32 v86, v84, v86
	v_lshl_add_u64 v[84:85], v[110:111], 2, v[44:45]
	global_store_dword v[84:85], v86, off
	s_or_b64 exec, exec, s[26:27]
	s_and_b64 s[26:27], s[16:17], s[18:19]
	s_and_saveexec_b64 s[18:19], s[26:27]
	s_cbranch_execz .LBB42_114
.LBB42_110:
	s_and_b64 vcc, exec, s[0:1]
	s_cbranch_vccnz .LBB42_112
; %bb.111:
	v_lshl_add_u64 v[46:47], v[112:113], 2, v[46:47]
	flat_load_dword v46, v[46:47]
	s_waitcnt vmcnt(0) lgkmcnt(0)
	v_mul_f32_e32 v46, s30, v46
	s_branch .LBB42_113
.LBB42_112:
	v_mov_b32_e32 v46, 0
.LBB42_113:
	v_max_f32_e32 v41, v41, v41
	v_max_f32_e32 v47, v5, v5
	v_min_f32_e32 v41, v47, v41
	v_max_f32_e32 v40, v40, v40
	v_max_f32_e32 v47, v4, v4
	v_min_f32_e32 v40, v47, v40
	;; [unrolled: 3-line block ×3, first 2 shown]
	v_max_f32_e32 v42, v42, v42
	v_max_f32_e32 v47, v6, v6
	v_pk_add_f32 v[40:41], v[82:83], v[40:41]
	v_min_f32_e32 v42, v47, v42
	v_pk_add_f32 v[40:41], v[40:41], v[42:43]
	s_nop 0
	v_add_f32_e32 v40, v40, v41
	v_add_f32_e32 v42, v40, v46
	v_lshl_add_u64 v[40:41], v[112:113], 2, v[44:45]
	global_store_dword v[40:41], v42, off
.LBB42_114:
	s_or_b64 exec, exec, s[18:19]
	v_add_u32_e32 v44, 64, v124
	v_mad_i64_i32 v[40:41], s[26:27], v44, s29, 0
	v_cmp_gt_i32_e64 s[18:19], s21, v44
	v_lshl_add_u64 v[42:43], v[40:41], 2, s[24:25]
	v_mad_i64_i32 v[40:41], s[26:27], v44, s28, 0
	v_lshl_add_u64 v[40:41], v[40:41], 2, s[22:23]
	s_and_b64 s[34:35], s[2:3], s[18:19]
	s_and_saveexec_b64 s[26:27], s[34:35]
	s_cbranch_execnz .LBB42_122
; %bb.115:
	s_or_b64 exec, exec, s[26:27]
	s_and_b64 s[34:35], s[4:5], s[18:19]
	s_and_saveexec_b64 s[26:27], s[34:35]
	s_cbranch_execnz .LBB42_126
.LBB42_116:
	s_or_b64 exec, exec, s[26:27]
	s_and_b64 s[34:35], s[6:7], s[18:19]
	s_and_saveexec_b64 s[26:27], s[34:35]
	s_cbranch_execnz .LBB42_130
.LBB42_117:
	s_or_b64 exec, exec, s[26:27]
	s_and_b64 s[34:35], s[8:9], s[18:19]
	s_and_saveexec_b64 s[26:27], s[34:35]
	s_cbranch_execnz .LBB42_134
.LBB42_118:
	s_or_b64 exec, exec, s[26:27]
	s_and_b64 s[34:35], s[10:11], s[18:19]
	s_and_saveexec_b64 s[26:27], s[34:35]
	s_cbranch_execnz .LBB42_138
.LBB42_119:
	s_or_b64 exec, exec, s[26:27]
	s_and_b64 s[34:35], s[12:13], s[18:19]
	s_and_saveexec_b64 s[26:27], s[34:35]
	s_cbranch_execnz .LBB42_142
.LBB42_120:
	s_or_b64 exec, exec, s[26:27]
	s_and_b64 s[34:35], s[14:15], s[18:19]
	s_and_saveexec_b64 s[26:27], s[34:35]
	s_cbranch_execnz .LBB42_146
.LBB42_121:
	s_or_b64 exec, exec, s[26:27]
	s_and_b64 s[26:27], s[16:17], s[18:19]
	s_and_saveexec_b64 s[18:19], s[26:27]
	s_cbranch_execnz .LBB42_150
	s_branch .LBB42_154
.LBB42_122:
	s_and_b64 vcc, exec, s[0:1]
	s_cbranch_vccnz .LBB42_124
; %bb.123:
	v_lshl_add_u64 v[44:45], v[72:73], 2, v[42:43]
	flat_load_dword v44, v[44:45]
	s_waitcnt vmcnt(0) lgkmcnt(0)
	v_mul_f32_e32 v44, s30, v44
	s_branch .LBB42_125
.LBB42_124:
	v_mov_b32_e32 v44, 0
.LBB42_125:
	v_max_f32_e32 v45, v36, v36
	v_max_f32_e32 v46, v32, v32
	v_min_f32_e32 v46, v46, v45
	v_max_f32_e32 v45, v37, v37
	v_max_f32_e32 v47, v33, v33
	v_min_f32_e32 v47, v47, v45
	v_pk_add_f32 v[46:47], v[80:81], v[46:47]
	v_max_f32_e32 v45, v38, v38
	v_max_f32_e32 v80, v34, v34
	v_min_f32_e32 v80, v80, v45
	v_max_f32_e32 v45, v39, v39
	v_max_f32_e32 v81, v35, v35
	v_min_f32_e32 v81, v81, v45
	v_pk_add_f32 v[46:47], v[46:47], v[80:81]
	s_nop 0
	v_add_f32_e32 v45, v46, v47
	v_add_f32_e32 v46, v45, v44
	v_lshl_add_u64 v[44:45], v[72:73], 2, v[40:41]
	global_store_dword v[44:45], v46, off
	s_or_b64 exec, exec, s[26:27]
	s_and_b64 s[34:35], s[4:5], s[18:19]
	s_and_saveexec_b64 s[26:27], s[34:35]
	s_cbranch_execz .LBB42_116
.LBB42_126:
	s_and_b64 vcc, exec, s[0:1]
	s_cbranch_vccnz .LBB42_128
; %bb.127:
	v_lshl_add_u64 v[44:45], v[100:101], 2, v[42:43]
	flat_load_dword v44, v[44:45]
	s_waitcnt vmcnt(0) lgkmcnt(0)
	v_mul_f32_e32 v44, s30, v44
	s_branch .LBB42_129
.LBB42_128:
	v_mov_b32_e32 v44, 0
.LBB42_129:
	v_max_f32_e32 v45, v36, v36
	v_max_f32_e32 v46, v28, v28
	v_min_f32_e32 v46, v46, v45
	v_max_f32_e32 v45, v37, v37
	v_max_f32_e32 v47, v29, v29
	v_min_f32_e32 v47, v47, v45
	v_pk_add_f32 v[46:47], v[78:79], v[46:47]
	v_max_f32_e32 v45, v38, v38
	v_max_f32_e32 v78, v30, v30
	v_min_f32_e32 v78, v78, v45
	v_max_f32_e32 v45, v39, v39
	v_max_f32_e32 v79, v31, v31
	v_min_f32_e32 v79, v79, v45
	v_pk_add_f32 v[46:47], v[46:47], v[78:79]
	s_nop 0
	v_add_f32_e32 v45, v46, v47
	v_add_f32_e32 v46, v45, v44
	v_lshl_add_u64 v[44:45], v[100:101], 2, v[40:41]
	global_store_dword v[44:45], v46, off
	s_or_b64 exec, exec, s[26:27]
	s_and_b64 s[34:35], s[6:7], s[18:19]
	s_and_saveexec_b64 s[26:27], s[34:35]
	s_cbranch_execz .LBB42_117
.LBB42_130:
	s_and_b64 vcc, exec, s[0:1]
	s_cbranch_vccnz .LBB42_132
; %bb.131:
	v_lshl_add_u64 v[44:45], v[102:103], 2, v[42:43]
	flat_load_dword v44, v[44:45]
	s_waitcnt vmcnt(0) lgkmcnt(0)
	v_mul_f32_e32 v44, s30, v44
	s_branch .LBB42_133
.LBB42_132:
	v_mov_b32_e32 v44, 0
.LBB42_133:
	v_max_f32_e32 v45, v36, v36
	v_max_f32_e32 v46, v24, v24
	v_min_f32_e32 v46, v46, v45
	v_max_f32_e32 v45, v37, v37
	v_max_f32_e32 v47, v25, v25
	v_min_f32_e32 v47, v47, v45
	v_pk_add_f32 v[46:47], v[76:77], v[46:47]
	v_max_f32_e32 v45, v38, v38
	v_max_f32_e32 v76, v26, v26
	v_min_f32_e32 v76, v76, v45
	v_max_f32_e32 v45, v39, v39
	v_max_f32_e32 v77, v27, v27
	v_min_f32_e32 v77, v77, v45
	v_pk_add_f32 v[46:47], v[46:47], v[76:77]
	s_nop 0
	v_add_f32_e32 v45, v46, v47
	v_add_f32_e32 v46, v45, v44
	v_lshl_add_u64 v[44:45], v[102:103], 2, v[40:41]
	global_store_dword v[44:45], v46, off
	s_or_b64 exec, exec, s[26:27]
	s_and_b64 s[34:35], s[8:9], s[18:19]
	s_and_saveexec_b64 s[26:27], s[34:35]
	s_cbranch_execz .LBB42_118
.LBB42_134:
	s_and_b64 vcc, exec, s[0:1]
	s_cbranch_vccnz .LBB42_136
; %bb.135:
	v_lshl_add_u64 v[44:45], v[104:105], 2, v[42:43]
	flat_load_dword v44, v[44:45]
	s_waitcnt vmcnt(0) lgkmcnt(0)
	v_mul_f32_e32 v44, s30, v44
	s_branch .LBB42_137
.LBB42_136:
	v_mov_b32_e32 v44, 0
.LBB42_137:
	v_max_f32_e32 v45, v36, v36
	v_max_f32_e32 v46, v20, v20
	v_min_f32_e32 v46, v46, v45
	v_max_f32_e32 v45, v37, v37
	v_max_f32_e32 v47, v21, v21
	v_min_f32_e32 v47, v47, v45
	v_pk_add_f32 v[46:47], v[74:75], v[46:47]
	v_max_f32_e32 v45, v38, v38
	v_max_f32_e32 v74, v22, v22
	v_min_f32_e32 v74, v74, v45
	v_max_f32_e32 v45, v39, v39
	v_max_f32_e32 v75, v23, v23
	v_min_f32_e32 v75, v75, v45
	v_pk_add_f32 v[46:47], v[46:47], v[74:75]
	s_nop 0
	v_add_f32_e32 v45, v46, v47
	v_add_f32_e32 v46, v45, v44
	v_lshl_add_u64 v[44:45], v[104:105], 2, v[40:41]
	global_store_dword v[44:45], v46, off
	s_or_b64 exec, exec, s[26:27]
	s_and_b64 s[34:35], s[10:11], s[18:19]
	s_and_saveexec_b64 s[26:27], s[34:35]
	s_cbranch_execz .LBB42_119
.LBB42_138:
	s_and_b64 vcc, exec, s[0:1]
	s_cbranch_vccnz .LBB42_140
; %bb.139:
	v_lshl_add_u64 v[44:45], v[106:107], 2, v[42:43]
	flat_load_dword v44, v[44:45]
	s_waitcnt vmcnt(0) lgkmcnt(0)
	v_mul_f32_e32 v44, s30, v44
	s_branch .LBB42_141
.LBB42_140:
	v_mov_b32_e32 v44, 0
.LBB42_141:
	v_max_f32_e32 v45, v36, v36
	v_max_f32_e32 v46, v16, v16
	v_min_f32_e32 v46, v46, v45
	v_max_f32_e32 v45, v37, v37
	v_max_f32_e32 v47, v17, v17
	v_min_f32_e32 v47, v47, v45
	v_pk_add_f32 v[46:47], v[70:71], v[46:47]
	v_max_f32_e32 v45, v38, v38
	v_max_f32_e32 v70, v18, v18
	v_min_f32_e32 v70, v70, v45
	v_max_f32_e32 v45, v39, v39
	v_max_f32_e32 v71, v19, v19
	v_min_f32_e32 v71, v71, v45
	v_pk_add_f32 v[46:47], v[46:47], v[70:71]
	s_nop 0
	v_add_f32_e32 v45, v46, v47
	v_add_f32_e32 v46, v45, v44
	v_lshl_add_u64 v[44:45], v[106:107], 2, v[40:41]
	global_store_dword v[44:45], v46, off
	s_or_b64 exec, exec, s[26:27]
	s_and_b64 s[34:35], s[12:13], s[18:19]
	s_and_saveexec_b64 s[26:27], s[34:35]
	s_cbranch_execz .LBB42_120
.LBB42_142:
	s_and_b64 vcc, exec, s[0:1]
	s_cbranch_vccnz .LBB42_144
; %bb.143:
	v_lshl_add_u64 v[44:45], v[108:109], 2, v[42:43]
	flat_load_dword v44, v[44:45]
	s_waitcnt vmcnt(0) lgkmcnt(0)
	v_mul_f32_e32 v44, s30, v44
	s_branch .LBB42_145
.LBB42_144:
	v_mov_b32_e32 v44, 0
.LBB42_145:
	v_max_f32_e32 v45, v36, v36
	v_max_f32_e32 v46, v12, v12
	v_min_f32_e32 v46, v46, v45
	v_max_f32_e32 v45, v37, v37
	v_max_f32_e32 v47, v13, v13
	v_min_f32_e32 v47, v47, v45
	v_pk_add_f32 v[46:47], v[68:69], v[46:47]
	v_max_f32_e32 v45, v38, v38
	v_max_f32_e32 v68, v14, v14
	v_min_f32_e32 v68, v68, v45
	v_max_f32_e32 v45, v39, v39
	v_max_f32_e32 v69, v15, v15
	v_min_f32_e32 v69, v69, v45
	v_pk_add_f32 v[46:47], v[46:47], v[68:69]
	s_nop 0
	v_add_f32_e32 v45, v46, v47
	v_add_f32_e32 v46, v45, v44
	v_lshl_add_u64 v[44:45], v[108:109], 2, v[40:41]
	global_store_dword v[44:45], v46, off
	s_or_b64 exec, exec, s[26:27]
	s_and_b64 s[34:35], s[14:15], s[18:19]
	s_and_saveexec_b64 s[26:27], s[34:35]
	s_cbranch_execz .LBB42_121
.LBB42_146:
	s_and_b64 vcc, exec, s[0:1]
	s_cbranch_vccnz .LBB42_148
; %bb.147:
	v_lshl_add_u64 v[44:45], v[110:111], 2, v[42:43]
	flat_load_dword v44, v[44:45]
	s_waitcnt vmcnt(0) lgkmcnt(0)
	v_mul_f32_e32 v44, s30, v44
	s_branch .LBB42_149
.LBB42_148:
	v_mov_b32_e32 v44, 0
.LBB42_149:
	v_max_f32_e32 v45, v36, v36
	v_max_f32_e32 v46, v8, v8
	v_min_f32_e32 v46, v46, v45
	v_max_f32_e32 v45, v37, v37
	v_max_f32_e32 v47, v9, v9
	v_min_f32_e32 v47, v47, v45
	v_pk_add_f32 v[46:47], v[66:67], v[46:47]
	v_max_f32_e32 v45, v38, v38
	v_max_f32_e32 v66, v10, v10
	v_min_f32_e32 v66, v66, v45
	v_max_f32_e32 v45, v39, v39
	v_max_f32_e32 v67, v11, v11
	v_min_f32_e32 v67, v67, v45
	v_pk_add_f32 v[46:47], v[46:47], v[66:67]
	s_nop 0
	v_add_f32_e32 v45, v46, v47
	v_add_f32_e32 v46, v45, v44
	v_lshl_add_u64 v[44:45], v[110:111], 2, v[40:41]
	global_store_dword v[44:45], v46, off
	s_or_b64 exec, exec, s[26:27]
	s_and_b64 s[26:27], s[16:17], s[18:19]
	s_and_saveexec_b64 s[18:19], s[26:27]
	s_cbranch_execz .LBB42_154
.LBB42_150:
	s_and_b64 vcc, exec, s[0:1]
	s_cbranch_vccnz .LBB42_152
; %bb.151:
	v_lshl_add_u64 v[42:43], v[112:113], 2, v[42:43]
	flat_load_dword v42, v[42:43]
	s_waitcnt vmcnt(0) lgkmcnt(0)
	v_mul_f32_e32 v42, s30, v42
	s_branch .LBB42_153
.LBB42_152:
	v_mov_b32_e32 v42, 0
.LBB42_153:
	v_max_f32_e32 v37, v37, v37
	v_max_f32_e32 v43, v5, v5
	v_min_f32_e32 v37, v43, v37
	v_max_f32_e32 v36, v36, v36
	v_max_f32_e32 v43, v4, v4
	v_min_f32_e32 v36, v43, v36
	;; [unrolled: 3-line block ×3, first 2 shown]
	v_max_f32_e32 v38, v38, v38
	v_max_f32_e32 v43, v6, v6
	v_pk_add_f32 v[36:37], v[64:65], v[36:37]
	v_min_f32_e32 v38, v43, v38
	v_pk_add_f32 v[36:37], v[36:37], v[38:39]
	s_nop 0
	v_add_f32_e32 v36, v36, v37
	v_add_f32_e32 v38, v36, v42
	v_lshl_add_u64 v[36:37], v[112:113], 2, v[40:41]
	global_store_dword v[36:37], v38, off
.LBB42_154:
	s_or_b64 exec, exec, s[18:19]
	v_add_u32_e32 v40, 0x60, v124
	v_cmp_gt_i32_e64 s[18:19], s21, v40
	v_mad_i64_i32 v[36:37], s[20:21], v40, s29, 0
	v_lshl_add_u64 v[38:39], v[36:37], 2, s[24:25]
	v_mad_i64_i32 v[36:37], s[20:21], v40, s28, 0
	v_lshl_add_u64 v[36:37], v[36:37], 2, s[22:23]
	s_and_b64 s[20:21], s[2:3], s[18:19]
	s_and_saveexec_b64 s[2:3], s[20:21]
	s_cbranch_execnz .LBB42_163
; %bb.155:
	s_or_b64 exec, exec, s[2:3]
	s_and_b64 s[4:5], s[4:5], s[18:19]
	s_and_saveexec_b64 s[2:3], s[4:5]
	s_cbranch_execnz .LBB42_167
.LBB42_156:
	s_or_b64 exec, exec, s[2:3]
	s_and_b64 s[4:5], s[6:7], s[18:19]
	s_and_saveexec_b64 s[2:3], s[4:5]
	s_cbranch_execnz .LBB42_171
.LBB42_157:
	s_or_b64 exec, exec, s[2:3]
	s_and_b64 s[4:5], s[8:9], s[18:19]
	s_and_saveexec_b64 s[2:3], s[4:5]
	s_cbranch_execnz .LBB42_175
.LBB42_158:
	s_or_b64 exec, exec, s[2:3]
	s_and_b64 s[4:5], s[10:11], s[18:19]
	s_and_saveexec_b64 s[2:3], s[4:5]
	s_cbranch_execnz .LBB42_179
.LBB42_159:
	s_or_b64 exec, exec, s[2:3]
	s_and_b64 s[4:5], s[12:13], s[18:19]
	s_and_saveexec_b64 s[2:3], s[4:5]
	s_cbranch_execnz .LBB42_183
.LBB42_160:
	s_or_b64 exec, exec, s[2:3]
	s_and_b64 s[4:5], s[14:15], s[18:19]
	s_and_saveexec_b64 s[2:3], s[4:5]
	s_cbranch_execnz .LBB42_187
.LBB42_161:
	s_or_b64 exec, exec, s[2:3]
	s_and_b64 s[2:3], s[16:17], s[18:19]
	s_and_saveexec_b64 s[4:5], s[2:3]
	s_cbranch_execnz .LBB42_191
.LBB42_162:
	s_endpgm
.LBB42_163:
	s_and_b64 vcc, exec, s[0:1]
	s_cbranch_vccnz .LBB42_165
; %bb.164:
	v_lshl_add_u64 v[40:41], v[72:73], 2, v[38:39]
	flat_load_dword v40, v[40:41]
	s_waitcnt vmcnt(0) lgkmcnt(0)
	v_mul_f32_e32 v40, s30, v40
	s_branch .LBB42_166
.LBB42_165:
	v_mov_b32_e32 v40, 0
.LBB42_166:
	v_max_f32_e32 v41, v1, v1
	v_max_f32_e32 v33, v33, v33
	v_min_f32_e32 v33, v33, v41
	v_max_f32_e32 v41, v0, v0
	v_max_f32_e32 v32, v32, v32
	v_min_f32_e32 v32, v32, v41
	;; [unrolled: 3-line block ×3, first 2 shown]
	v_max_f32_e32 v41, v2, v2
	v_max_f32_e32 v34, v34, v34
	v_pk_add_f32 v[32:33], v[62:63], v[32:33]
	v_min_f32_e32 v34, v34, v41
	v_pk_add_f32 v[32:33], v[32:33], v[34:35]
	s_nop 0
	v_add_f32_e32 v32, v32, v33
	v_add_f32_e32 v34, v32, v40
	v_lshl_add_u64 v[32:33], v[72:73], 2, v[36:37]
	global_store_dword v[32:33], v34, off
	s_or_b64 exec, exec, s[2:3]
	s_and_b64 s[4:5], s[4:5], s[18:19]
	s_and_saveexec_b64 s[2:3], s[4:5]
	s_cbranch_execz .LBB42_156
.LBB42_167:
	s_and_b64 vcc, exec, s[0:1]
	s_cbranch_vccnz .LBB42_169
; %bb.168:
	v_lshl_add_u64 v[32:33], v[100:101], 2, v[38:39]
	flat_load_dword v32, v[32:33]
	s_waitcnt vmcnt(0) lgkmcnt(0)
	v_mul_f32_e32 v32, s30, v32
	s_branch .LBB42_170
.LBB42_169:
	v_mov_b32_e32 v32, 0
.LBB42_170:
	v_max_f32_e32 v33, v1, v1
	v_max_f32_e32 v29, v29, v29
	v_min_f32_e32 v29, v29, v33
	v_max_f32_e32 v33, v0, v0
	v_max_f32_e32 v28, v28, v28
	v_min_f32_e32 v28, v28, v33
	;; [unrolled: 3-line block ×3, first 2 shown]
	v_max_f32_e32 v33, v2, v2
	v_max_f32_e32 v30, v30, v30
	v_pk_add_f32 v[28:29], v[60:61], v[28:29]
	v_min_f32_e32 v30, v30, v33
	v_pk_add_f32 v[28:29], v[28:29], v[30:31]
	s_nop 0
	v_add_f32_e32 v28, v28, v29
	v_add_f32_e32 v30, v28, v32
	v_lshl_add_u64 v[28:29], v[100:101], 2, v[36:37]
	global_store_dword v[28:29], v30, off
	s_or_b64 exec, exec, s[2:3]
	s_and_b64 s[4:5], s[6:7], s[18:19]
	s_and_saveexec_b64 s[2:3], s[4:5]
	s_cbranch_execz .LBB42_157
.LBB42_171:
	s_and_b64 vcc, exec, s[0:1]
	s_cbranch_vccnz .LBB42_173
; %bb.172:
	v_lshl_add_u64 v[28:29], v[102:103], 2, v[38:39]
	flat_load_dword v28, v[28:29]
	s_waitcnt vmcnt(0) lgkmcnt(0)
	v_mul_f32_e32 v28, s30, v28
	s_branch .LBB42_174
.LBB42_173:
	v_mov_b32_e32 v28, 0
.LBB42_174:
	v_max_f32_e32 v29, v1, v1
	v_max_f32_e32 v25, v25, v25
	v_min_f32_e32 v25, v25, v29
	v_max_f32_e32 v29, v0, v0
	v_max_f32_e32 v24, v24, v24
	v_min_f32_e32 v24, v24, v29
	;; [unrolled: 3-line block ×3, first 2 shown]
	v_max_f32_e32 v29, v2, v2
	v_max_f32_e32 v26, v26, v26
	v_pk_add_f32 v[24:25], v[58:59], v[24:25]
	v_min_f32_e32 v26, v26, v29
	v_pk_add_f32 v[24:25], v[24:25], v[26:27]
	s_nop 0
	v_add_f32_e32 v24, v24, v25
	v_add_f32_e32 v26, v24, v28
	v_lshl_add_u64 v[24:25], v[102:103], 2, v[36:37]
	global_store_dword v[24:25], v26, off
	s_or_b64 exec, exec, s[2:3]
	s_and_b64 s[4:5], s[8:9], s[18:19]
	s_and_saveexec_b64 s[2:3], s[4:5]
	s_cbranch_execz .LBB42_158
.LBB42_175:
	s_and_b64 vcc, exec, s[0:1]
	s_cbranch_vccnz .LBB42_177
; %bb.176:
	v_lshl_add_u64 v[24:25], v[104:105], 2, v[38:39]
	flat_load_dword v24, v[24:25]
	s_waitcnt vmcnt(0) lgkmcnt(0)
	v_mul_f32_e32 v24, s30, v24
	s_branch .LBB42_178
.LBB42_177:
	v_mov_b32_e32 v24, 0
.LBB42_178:
	v_max_f32_e32 v25, v1, v1
	v_max_f32_e32 v21, v21, v21
	v_min_f32_e32 v21, v21, v25
	v_max_f32_e32 v25, v0, v0
	v_max_f32_e32 v20, v20, v20
	v_min_f32_e32 v20, v20, v25
	;; [unrolled: 3-line block ×3, first 2 shown]
	v_max_f32_e32 v25, v2, v2
	v_max_f32_e32 v22, v22, v22
	v_pk_add_f32 v[20:21], v[56:57], v[20:21]
	v_min_f32_e32 v22, v22, v25
	v_pk_add_f32 v[20:21], v[20:21], v[22:23]
	s_nop 0
	v_add_f32_e32 v20, v20, v21
	v_add_f32_e32 v22, v20, v24
	v_lshl_add_u64 v[20:21], v[104:105], 2, v[36:37]
	global_store_dword v[20:21], v22, off
	s_or_b64 exec, exec, s[2:3]
	s_and_b64 s[4:5], s[10:11], s[18:19]
	s_and_saveexec_b64 s[2:3], s[4:5]
	s_cbranch_execz .LBB42_159
.LBB42_179:
	s_and_b64 vcc, exec, s[0:1]
	s_cbranch_vccnz .LBB42_181
; %bb.180:
	v_lshl_add_u64 v[20:21], v[106:107], 2, v[38:39]
	flat_load_dword v20, v[20:21]
	s_waitcnt vmcnt(0) lgkmcnt(0)
	v_mul_f32_e32 v20, s30, v20
	s_branch .LBB42_182
.LBB42_181:
	v_mov_b32_e32 v20, 0
.LBB42_182:
	v_max_f32_e32 v21, v1, v1
	v_max_f32_e32 v17, v17, v17
	v_min_f32_e32 v17, v17, v21
	v_max_f32_e32 v21, v0, v0
	v_max_f32_e32 v16, v16, v16
	v_min_f32_e32 v16, v16, v21
	;; [unrolled: 3-line block ×3, first 2 shown]
	v_max_f32_e32 v21, v2, v2
	v_max_f32_e32 v18, v18, v18
	v_pk_add_f32 v[16:17], v[54:55], v[16:17]
	v_min_f32_e32 v18, v18, v21
	v_pk_add_f32 v[16:17], v[16:17], v[18:19]
	s_nop 0
	v_add_f32_e32 v16, v16, v17
	v_add_f32_e32 v18, v16, v20
	v_lshl_add_u64 v[16:17], v[106:107], 2, v[36:37]
	global_store_dword v[16:17], v18, off
	s_or_b64 exec, exec, s[2:3]
	s_and_b64 s[4:5], s[12:13], s[18:19]
	s_and_saveexec_b64 s[2:3], s[4:5]
	s_cbranch_execz .LBB42_160
.LBB42_183:
	s_and_b64 vcc, exec, s[0:1]
	s_cbranch_vccnz .LBB42_185
; %bb.184:
	v_lshl_add_u64 v[16:17], v[108:109], 2, v[38:39]
	flat_load_dword v16, v[16:17]
	s_waitcnt vmcnt(0) lgkmcnt(0)
	v_mul_f32_e32 v16, s30, v16
	s_branch .LBB42_186
.LBB42_185:
	v_mov_b32_e32 v16, 0
.LBB42_186:
	v_max_f32_e32 v17, v1, v1
	v_max_f32_e32 v13, v13, v13
	v_min_f32_e32 v13, v13, v17
	v_max_f32_e32 v17, v0, v0
	v_max_f32_e32 v12, v12, v12
	v_min_f32_e32 v12, v12, v17
	;; [unrolled: 3-line block ×3, first 2 shown]
	v_max_f32_e32 v17, v2, v2
	v_max_f32_e32 v14, v14, v14
	v_pk_add_f32 v[12:13], v[52:53], v[12:13]
	v_min_f32_e32 v14, v14, v17
	v_pk_add_f32 v[12:13], v[12:13], v[14:15]
	s_nop 0
	v_add_f32_e32 v12, v12, v13
	v_add_f32_e32 v14, v12, v16
	v_lshl_add_u64 v[12:13], v[108:109], 2, v[36:37]
	global_store_dword v[12:13], v14, off
	s_or_b64 exec, exec, s[2:3]
	s_and_b64 s[4:5], s[14:15], s[18:19]
	s_and_saveexec_b64 s[2:3], s[4:5]
	s_cbranch_execz .LBB42_161
.LBB42_187:
	s_and_b64 vcc, exec, s[0:1]
	s_cbranch_vccnz .LBB42_189
; %bb.188:
	v_lshl_add_u64 v[12:13], v[110:111], 2, v[38:39]
	flat_load_dword v12, v[12:13]
	s_waitcnt vmcnt(0) lgkmcnt(0)
	v_mul_f32_e32 v12, s30, v12
	s_branch .LBB42_190
.LBB42_189:
	v_mov_b32_e32 v12, 0
.LBB42_190:
	v_max_f32_e32 v13, v1, v1
	v_max_f32_e32 v9, v9, v9
	v_min_f32_e32 v9, v9, v13
	v_max_f32_e32 v13, v0, v0
	v_max_f32_e32 v8, v8, v8
	v_min_f32_e32 v8, v8, v13
	;; [unrolled: 3-line block ×3, first 2 shown]
	v_max_f32_e32 v13, v2, v2
	v_max_f32_e32 v10, v10, v10
	v_pk_add_f32 v[8:9], v[50:51], v[8:9]
	v_min_f32_e32 v10, v10, v13
	v_pk_add_f32 v[8:9], v[8:9], v[10:11]
	s_nop 0
	v_add_f32_e32 v8, v8, v9
	v_add_f32_e32 v10, v8, v12
	v_lshl_add_u64 v[8:9], v[110:111], 2, v[36:37]
	global_store_dword v[8:9], v10, off
	s_or_b64 exec, exec, s[2:3]
	s_and_b64 s[2:3], s[16:17], s[18:19]
	s_and_saveexec_b64 s[4:5], s[2:3]
	s_cbranch_execz .LBB42_162
.LBB42_191:
	s_and_b64 vcc, exec, s[0:1]
	s_cbranch_vccnz .LBB42_193
; %bb.192:
	v_lshl_add_u64 v[8:9], v[112:113], 2, v[38:39]
	flat_load_dword v8, v[8:9]
	s_waitcnt vmcnt(0) lgkmcnt(0)
	v_mul_f32_e32 v8, s30, v8
	s_branch .LBB42_194
.LBB42_193:
	v_mov_b32_e32 v8, 0
.LBB42_194:
	v_max_f32_e32 v0, v0, v0
	v_max_f32_e32 v4, v4, v4
	;; [unrolled: 1-line block ×4, first 2 shown]
	v_min_f32_e32 v0, v4, v0
	v_max_f32_e32 v3, v3, v3
	v_max_f32_e32 v4, v7, v7
	v_min_f32_e32 v1, v5, v1
	v_min_f32_e32 v3, v4, v3
	v_max_f32_e32 v2, v2, v2
	v_max_f32_e32 v4, v6, v6
	v_pk_add_f32 v[0:1], v[48:49], v[0:1]
	v_min_f32_e32 v2, v4, v2
	v_pk_add_f32 v[0:1], v[0:1], v[2:3]
	s_nop 0
	v_add_f32_e32 v0, v0, v1
	v_add_f32_e32 v2, v0, v8
	v_lshl_add_u64 v[0:1], v[112:113], 2, v[36:37]
	global_store_dword v[0:1], v2, off
	s_endpgm
	.section	.rodata,"a",@progbits
	.p2align	6, 0x0
	.amdhsa_kernel _ZN12_GLOBAL__N_120geam_min_plus_kernelIf15HIP_vector_typeIfLj2EES2_Li8ELi32ELi64ELi128ELi4ELi64ELi4ELi64ELi4ELc78ELc84ELb0ELb1ELb0EPKfKS4_KPfEEviiiT16_PT17_ilSA_ilS8_SA_ilPT18_ili26rocblas_geam_ex_operation_
		.amdhsa_group_segment_fixed_size 6144
		.amdhsa_private_segment_fixed_size 0
		.amdhsa_kernarg_size 136
		.amdhsa_user_sgpr_count 2
		.amdhsa_user_sgpr_dispatch_ptr 0
		.amdhsa_user_sgpr_queue_ptr 0
		.amdhsa_user_sgpr_kernarg_segment_ptr 1
		.amdhsa_user_sgpr_dispatch_id 0
		.amdhsa_user_sgpr_kernarg_preload_length 0
		.amdhsa_user_sgpr_kernarg_preload_offset 0
		.amdhsa_user_sgpr_private_segment_size 0
		.amdhsa_uses_dynamic_stack 0
		.amdhsa_enable_private_segment 0
		.amdhsa_system_sgpr_workgroup_id_x 1
		.amdhsa_system_sgpr_workgroup_id_y 0
		.amdhsa_system_sgpr_workgroup_id_z 1
		.amdhsa_system_sgpr_workgroup_info 0
		.amdhsa_system_vgpr_workitem_id 1
		.amdhsa_next_free_vgpr 223
		.amdhsa_next_free_sgpr 38
		.amdhsa_accum_offset 224
		.amdhsa_reserve_vcc 1
		.amdhsa_float_round_mode_32 0
		.amdhsa_float_round_mode_16_64 0
		.amdhsa_float_denorm_mode_32 3
		.amdhsa_float_denorm_mode_16_64 3
		.amdhsa_dx10_clamp 1
		.amdhsa_ieee_mode 1
		.amdhsa_fp16_overflow 0
		.amdhsa_tg_split 0
		.amdhsa_exception_fp_ieee_invalid_op 0
		.amdhsa_exception_fp_denorm_src 0
		.amdhsa_exception_fp_ieee_div_zero 0
		.amdhsa_exception_fp_ieee_overflow 0
		.amdhsa_exception_fp_ieee_underflow 0
		.amdhsa_exception_fp_ieee_inexact 0
		.amdhsa_exception_int_div_zero 0
	.end_amdhsa_kernel
	.section	.text._ZN12_GLOBAL__N_120geam_min_plus_kernelIf15HIP_vector_typeIfLj2EES2_Li8ELi32ELi64ELi128ELi4ELi64ELi4ELi64ELi4ELc78ELc84ELb0ELb1ELb0EPKfKS4_KPfEEviiiT16_PT17_ilSA_ilS8_SA_ilPT18_ili26rocblas_geam_ex_operation_,"axG",@progbits,_ZN12_GLOBAL__N_120geam_min_plus_kernelIf15HIP_vector_typeIfLj2EES2_Li8ELi32ELi64ELi128ELi4ELi64ELi4ELi64ELi4ELc78ELc84ELb0ELb1ELb0EPKfKS4_KPfEEviiiT16_PT17_ilSA_ilS8_SA_ilPT18_ili26rocblas_geam_ex_operation_,comdat
.Lfunc_end42:
	.size	_ZN12_GLOBAL__N_120geam_min_plus_kernelIf15HIP_vector_typeIfLj2EES2_Li8ELi32ELi64ELi128ELi4ELi64ELi4ELi64ELi4ELc78ELc84ELb0ELb1ELb0EPKfKS4_KPfEEviiiT16_PT17_ilSA_ilS8_SA_ilPT18_ili26rocblas_geam_ex_operation_, .Lfunc_end42-_ZN12_GLOBAL__N_120geam_min_plus_kernelIf15HIP_vector_typeIfLj2EES2_Li8ELi32ELi64ELi128ELi4ELi64ELi4ELi64ELi4ELc78ELc84ELb0ELb1ELb0EPKfKS4_KPfEEviiiT16_PT17_ilSA_ilS8_SA_ilPT18_ili26rocblas_geam_ex_operation_
                                        ; -- End function
	.section	.AMDGPU.csdata,"",@progbits
; Kernel info:
; codeLenInByte = 11180
; NumSgprs: 44
; NumVgprs: 223
; NumAgprs: 0
; TotalNumVgprs: 223
; ScratchSize: 0
; MemoryBound: 0
; FloatMode: 240
; IeeeMode: 1
; LDSByteSize: 6144 bytes/workgroup (compile time only)
; SGPRBlocks: 5
; VGPRBlocks: 27
; NumSGPRsForWavesPerEU: 44
; NumVGPRsForWavesPerEU: 223
; AccumOffset: 224
; Occupancy: 2
; WaveLimiterHint : 1
; COMPUTE_PGM_RSRC2:SCRATCH_EN: 0
; COMPUTE_PGM_RSRC2:USER_SGPR: 2
; COMPUTE_PGM_RSRC2:TRAP_HANDLER: 0
; COMPUTE_PGM_RSRC2:TGID_X_EN: 1
; COMPUTE_PGM_RSRC2:TGID_Y_EN: 0
; COMPUTE_PGM_RSRC2:TGID_Z_EN: 1
; COMPUTE_PGM_RSRC2:TIDIG_COMP_CNT: 1
; COMPUTE_PGM_RSRC3_GFX90A:ACCUM_OFFSET: 55
; COMPUTE_PGM_RSRC3_GFX90A:TG_SPLIT: 0
	.section	.text._ZN12_GLOBAL__N_120geam_min_plus_kernelIf15HIP_vector_typeIfLj2EES2_Li8ELi32ELi64ELi128ELi4ELi64ELi4ELi64ELi4ELc78ELc84ELb1ELb1ELb0EfKPKfKPfEEviiiT16_PT17_ilSA_ilS8_SA_ilPT18_ili26rocblas_geam_ex_operation_,"axG",@progbits,_ZN12_GLOBAL__N_120geam_min_plus_kernelIf15HIP_vector_typeIfLj2EES2_Li8ELi32ELi64ELi128ELi4ELi64ELi4ELi64ELi4ELc78ELc84ELb1ELb1ELb0EfKPKfKPfEEviiiT16_PT17_ilSA_ilS8_SA_ilPT18_ili26rocblas_geam_ex_operation_,comdat
	.globl	_ZN12_GLOBAL__N_120geam_min_plus_kernelIf15HIP_vector_typeIfLj2EES2_Li8ELi32ELi64ELi128ELi4ELi64ELi4ELi64ELi4ELc78ELc84ELb1ELb1ELb0EfKPKfKPfEEviiiT16_PT17_ilSA_ilS8_SA_ilPT18_ili26rocblas_geam_ex_operation_ ; -- Begin function _ZN12_GLOBAL__N_120geam_min_plus_kernelIf15HIP_vector_typeIfLj2EES2_Li8ELi32ELi64ELi128ELi4ELi64ELi4ELi64ELi4ELc78ELc84ELb1ELb1ELb0EfKPKfKPfEEviiiT16_PT17_ilSA_ilS8_SA_ilPT18_ili26rocblas_geam_ex_operation_
	.p2align	8
	.type	_ZN12_GLOBAL__N_120geam_min_plus_kernelIf15HIP_vector_typeIfLj2EES2_Li8ELi32ELi64ELi128ELi4ELi64ELi4ELi64ELi4ELc78ELc84ELb1ELb1ELb0EfKPKfKPfEEviiiT16_PT17_ilSA_ilS8_SA_ilPT18_ili26rocblas_geam_ex_operation_,@function
_ZN12_GLOBAL__N_120geam_min_plus_kernelIf15HIP_vector_typeIfLj2EES2_Li8ELi32ELi64ELi128ELi4ELi64ELi4ELi64ELi4ELc78ELc84ELb1ELb1ELb0EfKPKfKPfEEviiiT16_PT17_ilSA_ilS8_SA_ilPT18_ili26rocblas_geam_ex_operation_: ; @_ZN12_GLOBAL__N_120geam_min_plus_kernelIf15HIP_vector_typeIfLj2EES2_Li8ELi32ELi64ELi128ELi4ELi64ELi4ELi64ELi4ELc78ELc84ELb1ELb1ELb0EfKPKfKPfEEviiiT16_PT17_ilSA_ilS8_SA_ilPT18_ili26rocblas_geam_ex_operation_
; %bb.0:
	s_load_dwordx4 s[20:23], s[0:1], 0x0
	s_load_dwordx4 s[4:7], s[0:1], 0x20
	s_mov_b32 s10, s3
	s_mov_b32 s11, 0
	s_waitcnt lgkmcnt(0)
	v_cmp_eq_f32_e64 s[8:9], s23, 0
	s_and_b64 vcc, exec, s[8:9]
	s_cbranch_vccnz .LBB43_3
; %bb.1:
	s_load_dwordx2 s[12:13], s[0:1], 0x10
	s_lshl_b64 s[14:15], s[10:11], 3
	s_waitcnt lgkmcnt(0)
	s_add_u32 s12, s12, s14
	s_addc_u32 s13, s13, s15
	s_load_dwordx2 s[12:13], s[12:13], 0x0
	s_lshl_b64 s[4:5], s[4:5], 2
	s_waitcnt lgkmcnt(0)
	s_add_u32 s12, s12, s4
	s_addc_u32 s13, s13, s5
	s_andn2_b64 vcc, exec, s[8:9]
	s_cbranch_vccnz .LBB43_4
.LBB43_2:
	s_mov_b64 s[14:15], 0
	s_cbranch_execz .LBB43_5
	s_branch .LBB43_6
.LBB43_3:
	s_mov_b64 s[12:13], 0
	s_andn2_b64 vcc, exec, s[8:9]
	s_cbranch_vccz .LBB43_2
.LBB43_4:
                                        ; implicit-def: $sgpr14_sgpr15
.LBB43_5:
	s_lshl_b64 s[8:9], s[10:11], 3
	s_add_u32 s6, s6, s8
	s_load_dwordx2 s[4:5], s[0:1], 0x38
	s_addc_u32 s7, s7, s9
	s_load_dwordx2 s[6:7], s[6:7], 0x0
	s_waitcnt lgkmcnt(0)
	s_lshl_b64 s[4:5], s[4:5], 2
	s_add_u32 s14, s6, s4
	s_addc_u32 s15, s7, s5
.LBB43_6:
	s_load_dword s28, s[0:1], 0x40
	s_load_dwordx4 s[4:7], s[0:1], 0x58
	s_waitcnt lgkmcnt(0)
	v_cmp_eq_f32_e64 s[16:17], s28, 0
	v_cmp_neq_f32_e64 s[8:9], s28, 0
	s_and_b64 vcc, exec, s[16:17]
	s_cbranch_vccnz .LBB43_8
; %bb.7:
	s_load_dwordx2 s[16:17], s[0:1], 0x48
	s_lshl_b64 s[18:19], s[10:11], 3
	s_waitcnt lgkmcnt(0)
	s_add_u32 s16, s16, s18
	s_addc_u32 s17, s17, s19
	s_load_dwordx2 s[16:17], s[16:17], 0x0
	s_lshl_b64 s[4:5], s[4:5], 2
	s_waitcnt lgkmcnt(0)
	s_add_u32 s24, s16, s4
	s_addc_u32 s25, s17, s5
	s_branch .LBB43_9
.LBB43_8:
	s_mov_b64 s[24:25], 0
.LBB43_9:
	s_load_dword s16, s[0:1], 0x18
	s_lshl_b64 s[4:5], s[10:11], 3
	v_and_b32_e32 v206, 0x3ff, v0
	v_bfe_u32 v207, v0, 10, 10
	v_mov_b32_e32 v9, 0
	s_waitcnt lgkmcnt(0)
	s_ashr_i32 s17, s16, 31
	s_add_u32 s4, s6, s4
	s_addc_u32 s5, s7, s5
	s_add_i32 s3, s20, -1
	s_ashr_i32 s6, s3, 31
	s_lshr_b32 s6, s6, 26
	s_add_i32 s3, s3, s6
	s_ashr_i32 s3, s3, 6
	s_add_i32 s18, s3, 1
	v_cvt_f32_u32_e32 v1, s18
	s_load_dwordx2 s[10:11], s[4:5], 0x0
	s_not_b32 s3, s3
	v_mov_b32_e32 v11, 0
	v_rcp_iflag_f32_e32 v0, v1
	v_lshl_add_u32 v1, v207, 3, v206
	v_and_b32_e32 v10, 63, v1
	v_lshrrev_b32_e32 v208, 6, v1
	v_mul_f32_e32 v0, 0x4f7ffffe, v0
	v_cvt_u32_f32_e32 v0, v0
	v_cmp_le_i32_e64 s[6:7], s22, v208
	v_readfirstlane_b32 s4, v0
	s_mul_i32 s3, s3, s4
	s_mul_hi_u32 s3, s4, s3
	s_add_i32 s4, s4, s3
	s_mul_hi_u32 s3, s2, s4
	s_mul_i32 s4, s3, s18
	s_sub_i32 s4, s2, s4
	s_add_i32 s5, s3, 1
	s_sub_i32 s19, s4, s18
	s_cmp_ge_u32 s4, s18
	s_cselect_b32 s3, s5, s3
	s_cselect_b32 s4, s19, s4
	s_add_i32 s5, s3, 1
	s_cmp_ge_u32 s4, s18
	s_cselect_b32 s4, s5, s3
	s_mul_i32 s3, s4, s18
	s_sub_i32 s2, s2, s3
	s_lshl_b32 s29, s2, 6
	v_or_b32_e32 v0, s29, v10
	v_cmp_le_i32_e32 vcc, s20, v0
	s_or_b64 s[2:3], s[6:7], vcc
	s_xor_b64 s[18:19], s[2:3], -1
	v_ashrrev_i32_e32 v1, 31, v0
	s_and_saveexec_b64 s[2:3], s[18:19]
	s_cbranch_execz .LBB43_11
; %bb.10:
	v_mad_i64_i32 v[2:3], s[18:19], s16, v208, 0
	v_lshl_add_u64 v[2:3], v[2:3], 2, s[12:13]
	v_lshl_add_u64 v[2:3], v[0:1], 2, v[2:3]
	flat_load_dword v11, v[2:3]
.LBB43_11:
	s_or_b64 exec, exec, s[2:3]
	s_load_dword s18, s[0:1], 0x30
	s_lshl_b32 s30, s4, 7
	v_or_b32_e32 v2, s30, v10
	v_ashrrev_i32_e32 v3, 31, v2
	s_waitcnt lgkmcnt(0)
	v_mad_i64_i32 v[4:5], s[2:3], v208, s18, 0
	v_cmp_le_i32_e64 s[2:3], s21, v2
	s_or_b64 s[4:5], s[6:7], s[2:3]
	s_ashr_i32 s19, s18, 31
	v_lshl_add_u64 v[4:5], v[4:5], 2, s[14:15]
	s_xor_b64 s[26:27], s[4:5], -1
	s_and_saveexec_b64 s[4:5], s[26:27]
	s_cbranch_execz .LBB43_13
; %bb.12:
	v_lshl_add_u64 v[6:7], v[2:3], 2, v[4:5]
	flat_load_dword v9, v[6:7]
.LBB43_13:
	s_or_b64 exec, exec, s[4:5]
	v_or_b32_e32 v6, 64, v2
	v_cmp_le_i32_e64 s[4:5], s21, v6
	s_or_b64 s[6:7], s[6:7], s[4:5]
	s_xor_b64 s[26:27], s[6:7], -1
	v_mov_b32_e32 v6, 0
	v_mov_b32_e32 v12, 0
	s_and_saveexec_b64 s[6:7], s[26:27]
	s_cbranch_execz .LBB43_15
; %bb.14:
	v_lshl_add_u64 v[4:5], v[2:3], 2, v[4:5]
	flat_load_dword v12, v[4:5] offset:256
.LBB43_15:
	s_or_b64 exec, exec, s[6:7]
	v_add_u32_e32 v4, 4, v208
	v_cmp_le_i32_e64 s[6:7], s22, v4
	s_or_b64 s[26:27], vcc, s[6:7]
	s_xor_b64 s[34:35], s[26:27], -1
	s_and_saveexec_b64 s[26:27], s[34:35]
	s_cbranch_execz .LBB43_17
; %bb.16:
	v_mad_i64_i32 v[6:7], s[34:35], s16, v4, 0
	v_lshl_add_u64 v[6:7], v[6:7], 2, s[12:13]
	v_lshl_add_u64 v[6:7], v[0:1], 2, v[6:7]
	flat_load_dword v6, v[6:7]
.LBB43_17:
	s_or_b64 exec, exec, s[26:27]
	v_mad_i64_i32 v[4:5], s[26:27], v4, s18, 0
	s_or_b64 s[26:27], s[2:3], s[6:7]
	v_lshl_add_u64 v[4:5], v[4:5], 2, s[14:15]
	s_xor_b64 s[34:35], s[26:27], -1
	v_mov_b32_e32 v7, 0
	v_mov_b32_e32 v8, 0
	s_and_saveexec_b64 s[26:27], s[34:35]
	s_cbranch_execz .LBB43_19
; %bb.18:
	v_lshl_add_u64 v[14:15], v[2:3], 2, v[4:5]
	flat_load_dword v8, v[14:15]
.LBB43_19:
	s_or_b64 exec, exec, s[26:27]
	s_or_b64 s[6:7], s[4:5], s[6:7]
	s_xor_b64 s[26:27], s[6:7], -1
	s_and_saveexec_b64 s[6:7], s[26:27]
	s_cbranch_execz .LBB43_21
; %bb.20:
	v_lshl_add_u64 v[4:5], v[2:3], 2, v[4:5]
	flat_load_dword v7, v[4:5] offset:256
.LBB43_21:
	s_or_b64 exec, exec, s[6:7]
	v_lshlrev_b32_e32 v4, 2, v208
	v_lshl_add_u32 v211, v10, 4, v4
	v_lshlrev_b32_e32 v210, 4, v207
	s_waitcnt vmcnt(0)
	ds_write_b32 v211, v11 offset:4096
	s_waitcnt lgkmcnt(0)
	ds_write2st64_b32 v211, v9, v12 offset1:4
	s_waitcnt lgkmcnt(0)
	s_barrier
	ds_read_b128 v[10:13], v210
	v_lshlrev_b32_e32 v209, 4, v206
	ds_read_b128 v[14:17], v209 offset:4992
	ds_read_b128 v[18:21], v210 offset:512
	;; [unrolled: 1-line block ×5, first 2 shown]
	s_waitcnt lgkmcnt(5)
	v_max_f32_e32 v9, v11, v11
	v_max_f32_e32 v56, v10, v10
	ds_read_b128 v[34:37], v209 offset:4096
	ds_read_b128 v[38:41], v209 offset:4224
	v_max_f32_e32 v106, v13, v13
	v_max_f32_e32 v108, v12, v12
	ds_read_b128 v[10:13], v209 offset:4352
	s_waitcnt lgkmcnt(7)
	v_max_f32_e32 v60, v15, v15
	v_max_f32_e32 v61, v14, v14
	s_waitcnt lgkmcnt(6)
	v_max_f32_e32 v58, v19, v19
	v_max_f32_e32 v59, v18, v18
	;; [unrolled: 3-line block ×4, first 2 shown]
	v_max_f32_e32 v107, v17, v17
	v_max_f32_e32 v109, v16, v16
	ds_read_b128 v[14:17], v209 offset:4480
	v_max_f32_e32 v124, v21, v21
	v_max_f32_e32 v125, v20, v20
	s_waitcnt lgkmcnt(1)
	v_max_f32_e32 v34, v10, v10
	v_max_f32_e32 v35, v11, v11
	;; [unrolled: 1-line block ×3, first 2 shown]
	ds_read_b128 v[18:21], v209 offset:4608
	v_max_f32_e32 v73, v13, v13
	ds_read_b128 v[10:13], v209 offset:4736
	v_max_f32_e32 v64, v27, v27
	v_max_f32_e32 v65, v26, v26
	;; [unrolled: 1-line block ×4, first 2 shown]
	s_waitcnt lgkmcnt(0)
	v_max_f32_e32 v54, v10, v10
	v_max_f32_e32 v55, v11, v11
	;; [unrolled: 1-line block ×8, first 2 shown]
	v_min_f32_e32 v48, v54, v56
	v_min_f32_e32 v49, v55, v9
	;; [unrolled: 1-line block ×10, first 2 shown]
	v_max_f32_e32 v127, v32, v32
	v_max_f32_e32 v128, v29, v29
	;; [unrolled: 1-line block ×12, first 2 shown]
	v_min_f32_e32 v4, v30, v56
	v_min_f32_e32 v5, v31, v9
	;; [unrolled: 1-line block ×39, first 2 shown]
	v_pk_add_f32 v[54:55], v[54:55], 0 op_sel_hi:[1,0]
	v_min_f32_e32 v61, v107, v106
	v_min_f32_e32 v60, v109, v108
	v_max_f32_e32 v126, v33, v33
	v_pk_add_f32 v[96:97], v[54:55], v[60:61]
	v_pk_add_f32 v[54:55], v[56:57], 0 op_sel_hi:[1,0]
	v_min_f32_e32 v57, v107, v124
	v_min_f32_e32 v56, v109, v125
	v_max_f32_e32 v68, v36, v36
	v_max_f32_e32 v69, v37, v37
	v_pk_add_f32 v[80:81], v[54:55], v[56:57]
	v_pk_add_f32 v[54:55], v[58:59], 0 op_sel_hi:[1,0]
	v_min_f32_e32 v57, v107, v126
	v_min_f32_e32 v56, v109, v127
	v_max_f32_e32 v71, v41, v41
	v_min_f32_e32 v33, v39, v9
	v_min_f32_e32 v36, v38, v63
	;; [unrolled: 1-line block ×12, first 2 shown]
	v_pk_add_f32 v[64:65], v[54:55], v[56:57]
	v_pk_add_f32 v[4:5], v[4:5], 0 op_sel_hi:[1,0]
	v_min_f32_e32 v54, v68, v108
	v_min_f32_e32 v55, v69, v106
	v_pk_add_f32 v[122:123], v[4:5], v[54:55]
	v_pk_add_f32 v[4:5], v[10:11], 0 op_sel_hi:[1,0]
	v_min_f32_e32 v10, v68, v125
	v_min_f32_e32 v11, v69, v124
	;; [unrolled: 4-line block ×3, first 2 shown]
	v_pk_add_f32 v[78:79], v[4:5], v[10:11]
	v_min_f32_e32 v5, v69, v128
	v_min_f32_e32 v4, v68, v129
	v_pk_add_f32 v[10:11], v[14:15], 0 op_sel_hi:[1,0]
	v_min_f32_e32 v100, v74, v63
	v_min_f32_e32 v101, v75, v62
	v_pk_add_f32 v[62:63], v[10:11], v[4:5]
	v_pk_add_f32 v[4:5], v[16:17], 0 op_sel_hi:[1,0]
	v_min_f32_e32 v10, v70, v108
	v_min_f32_e32 v11, v71, v106
	v_pk_add_f32 v[120:121], v[4:5], v[10:11]
	;; [unrolled: 4-line block ×4, first 2 shown]
	v_min_f32_e32 v5, v71, v128
	v_min_f32_e32 v4, v70, v129
	v_pk_add_f32 v[10:11], v[22:23], 0 op_sel_hi:[1,0]
	v_min_f32_e32 v83, v75, v9
	v_pk_add_f32 v[60:61], v[10:11], v[4:5]
	v_pk_add_f32 v[4:5], v[24:25], 0 op_sel_hi:[1,0]
	v_min_f32_e32 v10, v72, v108
	v_min_f32_e32 v11, v73, v106
	v_pk_add_f32 v[118:119], v[4:5], v[10:11]
	v_pk_add_f32 v[4:5], v[26:27], 0 op_sel_hi:[1,0]
	v_min_f32_e32 v10, v72, v125
	;; [unrolled: 4-line block ×3, first 2 shown]
	v_min_f32_e32 v11, v73, v126
	v_pk_add_f32 v[74:75], v[4:5], v[10:11]
	v_min_f32_e32 v5, v73, v128
	v_min_f32_e32 v4, v72, v129
	v_pk_add_f32 v[10:11], v[30:31], 0 op_sel_hi:[1,0]
	s_cmp_lt_i32 s22, 9
	v_pk_add_f32 v[58:59], v[10:11], v[4:5]
	v_pk_add_f32 v[4:5], v[32:33], 0 op_sel_hi:[1,0]
	v_min_f32_e32 v10, v84, v108
	v_min_f32_e32 v11, v85, v106
	v_pk_add_f32 v[116:117], v[4:5], v[10:11]
	v_pk_add_f32 v[4:5], v[34:35], 0 op_sel_hi:[1,0]
	v_min_f32_e32 v10, v84, v125
	v_min_f32_e32 v11, v85, v124
	;; [unrolled: 4-line block ×3, first 2 shown]
	v_pk_add_f32 v[72:73], v[4:5], v[10:11]
	v_min_f32_e32 v5, v85, v128
	v_min_f32_e32 v4, v84, v129
	v_pk_add_f32 v[10:11], v[38:39], 0 op_sel_hi:[1,0]
	ds_write2st64_b32 v211, v8, v7 offset0:8 offset1:12
	ds_write_b32 v211, v6 offset:5120
	v_pk_add_f32 v[56:57], v[10:11], v[4:5]
	v_pk_add_f32 v[4:5], v[40:41], 0 op_sel_hi:[1,0]
	v_min_f32_e32 v10, v110, v108
	v_min_f32_e32 v11, v111, v106
	v_pk_add_f32 v[114:115], v[4:5], v[10:11]
	v_pk_add_f32 v[4:5], v[42:43], 0 op_sel_hi:[1,0]
	v_min_f32_e32 v10, v110, v125
	v_min_f32_e32 v11, v111, v124
	;; [unrolled: 4-line block ×3, first 2 shown]
	v_pk_add_f32 v[70:71], v[4:5], v[10:11]
	v_min_f32_e32 v5, v111, v128
	v_min_f32_e32 v4, v110, v129
	v_pk_add_f32 v[10:11], v[46:47], 0 op_sel_hi:[1,0]
	s_waitcnt lgkmcnt(0)
	v_pk_add_f32 v[54:55], v[10:11], v[4:5]
	v_pk_add_f32 v[4:5], v[48:49], 0 op_sel_hi:[1,0]
	v_min_f32_e32 v10, v112, v108
	v_min_f32_e32 v11, v113, v106
	v_pk_add_f32 v[110:111], v[4:5], v[10:11]
	v_pk_add_f32 v[4:5], v[50:51], 0 op_sel_hi:[1,0]
	v_min_f32_e32 v10, v112, v125
	v_min_f32_e32 v11, v113, v124
	;; [unrolled: 4-line block ×3, first 2 shown]
	v_pk_add_f32 v[68:69], v[4:5], v[10:11]
	v_min_f32_e32 v5, v113, v128
	v_min_f32_e32 v4, v112, v129
	v_pk_add_f32 v[10:11], v[66:67], 0 op_sel_hi:[1,0]
	s_barrier
	v_pk_add_f32 v[52:53], v[10:11], v[4:5]
	v_min_f32_e32 v4, v130, v108
	v_min_f32_e32 v5, v131, v106
	v_pk_add_f32 v[10:11], v[82:83], 0 op_sel_hi:[1,0]
	s_nop 0
	v_pk_add_f32 v[112:113], v[10:11], v[4:5]
	v_min_f32_e32 v4, v130, v125
	v_min_f32_e32 v5, v131, v124
	v_pk_add_f32 v[10:11], v[98:99], 0 op_sel_hi:[1,0]
	s_nop 0
	;; [unrolled: 5-line block ×5, first 2 shown]
	v_pk_add_f32 v[48:49], v[10:11], v[4:5]
	s_cbranch_scc1 .LBB43_36
; %bb.22:
	v_lshl_add_u64 v[98:99], v[0:1], 2, s[12:13]
	v_mov_b32_e32 v0, 0x1400
	v_lshl_add_u32 v216, v206, 4, v0
	v_mov_b32_e32 v0, 0x800
	v_add_u32_e32 v4, 12, v208
	v_lshl_add_u32 v217, v207, 4, v0
	v_mad_i64_i32 v[0:1], s[6:7], v4, s18, 0
	v_lshlrev_b64 v[100:101], 2, v[0:1]
	v_lshl_add_u64 v[102:103], v[2:3], 2, s[14:15]
	v_mad_i64_i32 v[0:1], s[6:7], v4, s16, 0
	v_add_u32_e32 v2, 8, v208
	v_lshlrev_b64 v[104:105], 2, v[0:1]
	v_mad_i64_i32 v[0:1], s[6:7], v2, s16, 0
	v_lshlrev_b64 v[106:107], 2, v[0:1]
	v_mad_i64_i32 v[0:1], s[6:7], v2, s18, 0
	v_or_b32_e32 v212, 0x1000, v211
	v_add_u32_e32 v213, 0x1000, v209
	v_add_u32_e32 v214, 0x1400, v211
	v_or_b32_e32 v215, 0x800, v211
	s_add_i32 s23, s22, -8
	s_lshl_b64 s[12:13], s[18:19], 5
	s_lshl_b64 s[14:15], s[16:17], 5
	v_lshlrev_b64 v[108:109], 2, v[0:1]
	s_mov_b32 s18, 0
	s_branch .LBB43_24
.LBB43_23:                              ;   in Loop: Header=BB43_24 Depth=1
	s_or_b64 exec, exec, s[6:7]
	v_pk_add_f32 v[40:41], v[96:97], v[40:41]
	v_pk_add_f32 v[32:33], v[64:65], v[32:33]
	;; [unrolled: 1-line block ×19, first 2 shown]
	ds_read_b128 v[0:3], v210
	ds_read_b128 v[8:11], v210 offset:512
	v_pk_add_f32 v[20:21], v[122:123], v[6:7]
	ds_read_b128 v[4:7], v213 offset:896
	v_pk_add_f32 v[44:45], v[94:95], v[44:45]
	v_pk_add_f32 v[28:29], v[78:79], v[28:29]
	;; [unrolled: 1-line block ×20, first 2 shown]
	ds_read_b128 v[12:15], v213 offset:768
	s_waitcnt lgkmcnt(0)
	v_max_f32_e32 v93, v5, v5
	v_max_f32_e32 v95, v4, v4
	;; [unrolled: 1-line block ×4, first 2 shown]
	v_pk_add_f32 v[76:77], v[36:37], v[38:39]
	v_pk_add_f32 v[72:73], v[28:29], v[30:31]
	;; [unrolled: 1-line block ×6, first 2 shown]
	ds_read_b128 v[80:83], v210 offset:1536
	ds_read_b128 v[84:87], v210 offset:1024
	v_min_f32_e32 v5, v93, v96
	v_min_f32_e32 v4, v95, v97
	v_pk_add_f32 v[60:61], v[62:63], v[170:171]
	v_pk_add_f32 v[62:63], v[78:79], v[168:169]
	;; [unrolled: 1-line block ×3, first 2 shown]
	ds_read_b128 v[76:79], v213
	v_pk_add_f32 v[90:91], v[90:91], v[134:135]
	v_pk_add_f32 v[88:89], v[88:89], v[140:141]
	;; [unrolled: 1-line block ×3, first 2 shown]
	s_waitcnt lgkmcnt(0)
	v_max_f32_e32 v116, v85, v85
	v_max_f32_e32 v117, v84, v84
	v_pk_add_f32 v[118:119], v[54:55], v[150:151]
	v_pk_add_f32 v[54:55], v[90:91], v[174:175]
	;; [unrolled: 1-line block ×3, first 2 shown]
	ds_read_b128 v[88:91], v213 offset:128
	v_max_f32_e32 v92, v1, v1
	v_max_f32_e32 v94, v0, v0
	v_min_f32_e32 v9, v93, v116
	v_min_f32_e32 v8, v95, v117
	v_max_f32_e32 v84, v76, v76
	v_max_f32_e32 v85, v77, v77
	v_pk_add_f32 v[8:9], v[74:75], v[8:9]
	v_min_f32_e32 v74, v84, v94
	v_min_f32_e32 v75, v85, v92
	v_pk_add_f32 v[74:75], v[68:69], v[74:75]
	v_min_f32_e32 v68, v84, v97
	v_min_f32_e32 v69, v85, v96
	;; [unrolled: 3-line block ×3, first 2 shown]
	v_max_f32_e32 v81, v81, v81
	v_max_f32_e32 v80, v80, v80
	v_pk_add_f32 v[66:67], v[24:25], v[26:27]
	v_pk_add_f32 v[72:73], v[72:73], v[68:69]
	v_min_f32_e32 v69, v85, v81
	v_min_f32_e32 v68, v84, v80
	v_pk_add_f32 v[84:85], v[66:67], v[68:69]
	s_waitcnt lgkmcnt(0)
	v_max_f32_e32 v68, v88, v88
	v_max_f32_e32 v69, v89, v89
	v_min_f32_e32 v66, v68, v94
	v_min_f32_e32 v67, v69, v92
	v_pk_add_f32 v[60:61], v[60:61], v[66:67]
	v_min_f32_e32 v66, v68, v97
	v_min_f32_e32 v67, v69, v96
	v_pk_add_f32 v[110:111], v[110:111], v[154:155]
	v_pk_add_f32 v[88:89], v[62:63], v[66:67]
	v_min_f32_e32 v62, v68, v117
	v_min_f32_e32 v63, v69, v116
	v_pk_add_f32 v[28:29], v[110:111], v[198:199]
	v_pk_add_f32 v[110:111], v[64:65], v[62:63]
	ds_read_b128 v[64:67], v213 offset:256
	v_min_f32_e32 v63, v69, v81
	v_min_f32_e32 v62, v68, v80
	ds_read_b128 v[68:71], v213 offset:384
	v_pk_add_f32 v[58:59], v[58:59], v[62:63]
	s_waitcnt lgkmcnt(0)
	v_max_f32_e32 v64, v64, v64
	v_max_f32_e32 v65, v65, v65
	v_min_f32_e32 v62, v64, v94
	v_min_f32_e32 v63, v65, v92
	v_pk_add_f32 v[52:53], v[52:53], v[62:63]
	v_min_f32_e32 v62, v64, v97
	v_min_f32_e32 v63, v65, v96
	v_pk_add_f32 v[54:55], v[54:55], v[62:63]
	;; [unrolled: 3-line block ×3, first 2 shown]
	v_pk_add_f32 v[56:57], v[56:57], v[62:63]
	v_min_f32_e32 v63, v65, v81
	v_min_f32_e32 v62, v64, v80
	v_pk_add_f32 v[24:25], v[112:113], v[204:205]
	v_pk_add_f32 v[112:113], v[50:51], v[62:63]
	v_max_f32_e32 v62, v68, v68
	v_max_f32_e32 v63, v69, v69
	v_min_f32_e32 v50, v62, v94
	v_min_f32_e32 v51, v63, v92
	v_pk_add_f32 v[114:115], v[114:115], v[148:149]
	v_pk_add_f32 v[68:69], v[44:45], v[50:51]
	v_min_f32_e32 v44, v62, v97
	v_min_f32_e32 v45, v63, v96
	v_pk_add_f32 v[36:37], v[114:115], v[188:189]
	v_pk_add_f32 v[114:115], v[46:47], v[44:45]
	;; [unrolled: 4-line block ×3, first 2 shown]
	ds_read_b128 v[44:47], v213 offset:512
	v_min_f32_e32 v49, v63, v81
	v_min_f32_e32 v48, v62, v80
	v_pk_add_f32 v[42:43], v[42:43], v[48:49]
	ds_read_b128 v[48:51], v213 offset:640
	s_waitcnt lgkmcnt(0)
	v_max_f32_e32 v62, v44, v44
	v_max_f32_e32 v63, v45, v45
	v_min_f32_e32 v44, v62, v94
	v_min_f32_e32 v45, v63, v92
	v_pk_add_f32 v[36:37], v[36:37], v[44:45]
	v_min_f32_e32 v44, v62, v97
	v_min_f32_e32 v45, v63, v96
	v_pk_add_f32 v[38:39], v[38:39], v[44:45]
	;; [unrolled: 3-line block ×3, first 2 shown]
	v_pk_add_f32 v[40:41], v[40:41], v[44:45]
	v_min_f32_e32 v45, v63, v81
	v_min_f32_e32 v44, v62, v80
	v_max_f32_e32 v48, v48, v48
	v_max_f32_e32 v49, v49, v49
	v_pk_add_f32 v[34:35], v[34:35], v[44:45]
	v_min_f32_e32 v44, v48, v94
	v_min_f32_e32 v45, v49, v92
	v_pk_add_f32 v[28:29], v[28:29], v[44:45]
	v_min_f32_e32 v44, v48, v97
	v_min_f32_e32 v45, v49, v96
	v_pk_add_f32 v[30:31], v[30:31], v[44:45]
	v_min_f32_e32 v44, v48, v117
	v_min_f32_e32 v45, v49, v116
	v_pk_add_f32 v[26:27], v[120:121], v[200:201]
	v_pk_add_f32 v[32:33], v[32:33], v[44:45]
	v_min_f32_e32 v45, v49, v81
	v_min_f32_e32 v44, v48, v80
	v_pk_add_f32 v[26:27], v[26:27], v[44:45]
	v_max_f32_e32 v44, v12, v12
	v_max_f32_e32 v45, v13, v13
	v_min_f32_e32 v12, v44, v94
	v_min_f32_e32 v13, v45, v92
	v_pk_add_f32 v[12:13], v[24:25], v[12:13]
	v_min_f32_e32 v24, v44, v97
	v_min_f32_e32 v25, v45, v96
	v_pk_add_f32 v[22:23], v[22:23], v[24:25]
	;; [unrolled: 3-line block ×4, first 2 shown]
	v_min_f32_e32 v25, v93, v81
	v_min_f32_e32 v24, v95, v80
	;; [unrolled: 1-line block ×4, first 2 shown]
	v_pk_add_f32 v[16:17], v[16:17], v[24:25]
	v_max_f32_e32 v24, v3, v3
	v_max_f32_e32 v7, v7, v7
	;; [unrolled: 1-line block ×4, first 2 shown]
	v_pk_add_f32 v[0:1], v[126:127], v[0:1]
	v_min_f32_e32 v3, v7, v24
	v_min_f32_e32 v2, v6, v25
	v_pk_add_f32 v[96:97], v[0:1], v[2:3]
	v_max_f32_e32 v2, v11, v11
	v_max_f32_e32 v3, v10, v10
	v_min_f32_e32 v1, v7, v2
	v_min_f32_e32 v0, v6, v3
	v_pk_add_f32 v[80:81], v[4:5], v[0:1]
	v_max_f32_e32 v4, v87, v87
	v_max_f32_e32 v5, v86, v86
	;; [unrolled: 5-line block ×3, first 2 shown]
	v_min_f32_e32 v0, v8, v25
	v_min_f32_e32 v1, v9, v24
	v_pk_add_f32 v[122:123], v[74:75], v[0:1]
	v_min_f32_e32 v0, v8, v3
	v_min_f32_e32 v1, v9, v2
	v_pk_add_f32 v[94:95], v[76:77], v[0:1]
	v_min_f32_e32 v0, v8, v5
	v_min_f32_e32 v1, v9, v4
	v_max_f32_e32 v10, v83, v83
	v_pk_add_f32 v[78:79], v[72:73], v[0:1]
	v_min_f32_e32 v1, v9, v10
	v_max_f32_e32 v9, v82, v82
	v_min_f32_e32 v0, v8, v9
	v_max_f32_e32 v8, v90, v90
	v_max_f32_e32 v11, v91, v91
	v_pk_add_f32 v[62:63], v[84:85], v[0:1]
	v_min_f32_e32 v0, v8, v25
	v_min_f32_e32 v1, v11, v24
	v_pk_add_f32 v[120:121], v[60:61], v[0:1]
	v_min_f32_e32 v0, v8, v3
	v_min_f32_e32 v1, v11, v2
	v_pk_add_f32 v[92:93], v[88:89], v[0:1]
	v_min_f32_e32 v0, v8, v5
	v_min_f32_e32 v1, v11, v4
	v_pk_add_f32 v[76:77], v[110:111], v[0:1]
	v_min_f32_e32 v1, v11, v10
	v_min_f32_e32 v0, v8, v9
	v_max_f32_e32 v8, v66, v66
	v_max_f32_e32 v11, v67, v67
	v_pk_add_f32 v[60:61], v[58:59], v[0:1]
	v_min_f32_e32 v0, v8, v25
	v_min_f32_e32 v1, v11, v24
	v_pk_add_f32 v[118:119], v[52:53], v[0:1]
	v_min_f32_e32 v0, v8, v3
	v_min_f32_e32 v1, v11, v2
	v_pk_add_f32 v[90:91], v[54:55], v[0:1]
	v_min_f32_e32 v0, v8, v5
	v_min_f32_e32 v1, v11, v4
	v_pk_add_f32 v[74:75], v[56:57], v[0:1]
	v_min_f32_e32 v1, v11, v10
	;; [unrolled: 14-line block ×6, first 2 shown]
	v_min_f32_e32 v0, v8, v9
	v_pk_add_f32 v[50:51], v[20:21], v[0:1]
	v_min_f32_e32 v1, v7, v10
	v_min_f32_e32 v0, v6, v9
	s_add_i32 s18, s18, 8
	v_pk_add_f32 v[48:49], v[16:17], v[0:1]
	v_lshl_add_u64 v[102:103], v[102:103], 0, s[12:13]
	s_cmp_ge_i32 s18, s23
	v_lshl_add_u64 v[98:99], v[98:99], 0, s[14:15]
	s_waitcnt vmcnt(0)
	ds_write_b32 v214, v218
	ds_write2st64_b32 v215, v220, v219 offset1:4
	s_waitcnt lgkmcnt(0)
	s_barrier
	s_cbranch_scc1 .LBB43_36
.LBB43_24:                              ; =>This Inner Loop Header: Depth=1
	v_add_u32_e32 v124, s18, v208
	v_add_u32_e32 v0, 8, v124
	v_cmp_le_i32_e64 s[6:7], s22, v0
	s_or_b64 s[16:17], vcc, s[6:7]
	s_xor_b64 s[26:27], s[16:17], -1
	v_mov_b32_e32 v125, 0
	v_mov_b32_e32 v126, 0
	s_and_saveexec_b64 s[16:17], s[26:27]
	s_cbranch_execz .LBB43_26
; %bb.25:                               ;   in Loop: Header=BB43_24 Depth=1
	v_lshl_add_u64 v[0:1], v[98:99], 0, v[106:107]
	flat_load_dword v126, v[0:1]
.LBB43_26:                              ;   in Loop: Header=BB43_24 Depth=1
	s_or_b64 exec, exec, s[16:17]
	s_or_b64 s[16:17], s[2:3], s[6:7]
	s_xor_b64 s[26:27], s[16:17], -1
	v_lshl_add_u64 v[0:1], v[102:103], 0, v[108:109]
	s_and_saveexec_b64 s[16:17], s[26:27]
	s_cbranch_execz .LBB43_28
; %bb.27:                               ;   in Loop: Header=BB43_24 Depth=1
	flat_load_dword v125, v[0:1]
.LBB43_28:                              ;   in Loop: Header=BB43_24 Depth=1
	s_or_b64 exec, exec, s[16:17]
	s_or_b64 s[6:7], s[4:5], s[6:7]
	s_xor_b64 s[16:17], s[6:7], -1
	v_mov_b32_e32 v218, 0
	v_mov_b32_e32 v127, 0
	s_and_saveexec_b64 s[6:7], s[16:17]
	s_cbranch_execz .LBB43_30
; %bb.29:                               ;   in Loop: Header=BB43_24 Depth=1
	flat_load_dword v127, v[0:1] offset:256
.LBB43_30:                              ;   in Loop: Header=BB43_24 Depth=1
	s_or_b64 exec, exec, s[6:7]
	ds_read_b128 v[40:43], v217
	ds_read_b128 v[36:39], v217 offset:512
	ds_read_b128 v[24:27], v217 offset:1536
	;; [unrolled: 1-line block ×3, first 2 shown]
	ds_read_b128 v[28:31], v216
	ds_read_b128 v[20:23], v216 offset:128
	ds_read_b128 v[16:19], v216 offset:256
	;; [unrolled: 1-line block ×7, first 2 shown]
	v_add_u32_e32 v124, 12, v124
	v_cmp_le_i32_e64 s[6:7], s22, v124
	s_or_b64 s[16:17], vcc, s[6:7]
	s_xor_b64 s[26:27], s[16:17], -1
	s_waitcnt vmcnt(0) lgkmcnt(0)
	ds_write_b32 v212, v126
	ds_write2st64_b32 v211, v125, v127 offset1:4
	s_waitcnt lgkmcnt(0)
	s_barrier
	s_and_saveexec_b64 s[16:17], s[26:27]
	s_cbranch_execz .LBB43_32
; %bb.31:                               ;   in Loop: Header=BB43_24 Depth=1
	v_lshl_add_u64 v[124:125], v[98:99], 0, v[104:105]
	flat_load_dword v218, v[124:125]
.LBB43_32:                              ;   in Loop: Header=BB43_24 Depth=1
	s_or_b64 exec, exec, s[16:17]
	s_or_b64 s[16:17], s[2:3], s[6:7]
	s_xor_b64 s[26:27], s[16:17], -1
	v_mov_b32_e32 v219, 0
	v_lshl_add_u64 v[124:125], v[102:103], 0, v[100:101]
	v_mov_b32_e32 v220, 0
	s_and_saveexec_b64 s[16:17], s[26:27]
	s_cbranch_execz .LBB43_34
; %bb.33:                               ;   in Loop: Header=BB43_24 Depth=1
	flat_load_dword v220, v[124:125]
.LBB43_34:                              ;   in Loop: Header=BB43_24 Depth=1
	s_or_b64 exec, exec, s[16:17]
	v_max_f32_e32 v158, v41, v41
	v_max_f32_e32 v164, v45, v45
	;; [unrolled: 1-line block ×34, first 2 shown]
	v_min_f32_e32 v41, v164, v158
	v_min_f32_e32 v40, v166, v159
	;; [unrolled: 1-line block ×62, first 2 shown]
	v_max_f32_e32 v195, v47, v47
	v_max_f32_e32 v221, v46, v46
	;; [unrolled: 1-line block ×12, first 2 shown]
	v_min_f32_e32 v198, v6, v202
	v_min_f32_e32 v199, v7, v194
	;; [unrolled: 1-line block ×8, first 2 shown]
	v_max_f32_e32 v6, v2, v2
	v_max_f32_e32 v7, v3, v3
	s_or_b64 s[6:7], s[4:5], s[6:7]
	v_min_f32_e32 v32, v166, v167
	v_min_f32_e32 v0, v170, v167
	;; [unrolled: 1-line block ×58, first 2 shown]
	s_xor_b64 s[16:17], s[6:7], -1
	s_and_saveexec_b64 s[6:7], s[16:17]
	s_cbranch_execz .LBB43_23
; %bb.35:                               ;   in Loop: Header=BB43_24 Depth=1
	flat_load_dword v219, v[124:125] offset:256
	s_branch .LBB43_23
.LBB43_36:
	s_load_dwordx2 s[2:3], s[0:1], 0x70
	s_load_dword s33, s[0:1], 0x50
	s_load_dword s31, s[0:1], 0x68
	ds_read_b128 v[44:47], v210 offset:2048
	ds_read_b128 v[40:43], v210 offset:2560
	;; [unrolled: 1-line block ×12, first 2 shown]
	s_waitcnt lgkmcnt(0)
	s_lshl_b64 s[0:1], s[2:3], 2
	s_add_u32 s22, s10, s0
	v_add_u32_e32 v128, s30, v207
	s_addc_u32 s23, s11, s1
	v_mad_i64_i32 v[100:101], s[0:1], v128, s33, 0
	v_add_u32_e32 v98, s29, v206
	v_lshl_add_u64 v[126:127], v[100:101], 2, s[24:25]
	v_mad_i64_i32 v[100:101], s[0:1], v128, s31, 0
	v_cmp_gt_i32_e64 s[18:19], s21, v128
	v_lshl_add_u64 v[124:125], v[100:101], 2, s[22:23]
	v_cmp_gt_i32_e64 s[2:3], s20, v98
	v_cndmask_b32_e64 v100, 0, 1, s[8:9]
	s_and_b64 s[6:7], s[2:3], s[18:19]
	v_ashrrev_i32_e32 v99, 31, v98
	v_cmp_ne_u32_e64 s[0:1], 1, v100
	s_and_saveexec_b64 s[4:5], s[6:7]
	s_cbranch_execz .LBB43_41
; %bb.37:
	s_and_b64 vcc, exec, s[0:1]
	s_cbranch_vccnz .LBB43_39
; %bb.38:
	v_lshl_add_u64 v[100:101], v[98:99], 2, v[126:127]
	flat_load_dword v100, v[100:101]
	s_waitcnt vmcnt(0) lgkmcnt(0)
	v_mul_f32_e32 v100, s28, v100
	s_branch .LBB43_40
.LBB43_39:
	v_mov_b32_e32 v100, 0
.LBB43_40:
	v_max_f32_e32 v101, v44, v44
	v_max_f32_e32 v102, v32, v32
	v_min_f32_e32 v102, v102, v101
	v_max_f32_e32 v101, v45, v45
	v_max_f32_e32 v103, v33, v33
	v_min_f32_e32 v103, v103, v101
	v_max_f32_e32 v101, v46, v46
	v_max_f32_e32 v104, v34, v34
	v_min_f32_e32 v104, v104, v101
	v_max_f32_e32 v101, v47, v47
	v_max_f32_e32 v105, v35, v35
	v_pk_add_f32 v[102:103], v[122:123], v[102:103]
	v_min_f32_e32 v105, v105, v101
	v_pk_add_f32 v[102:103], v[102:103], v[104:105]
	s_nop 0
	v_add_f32_e32 v101, v102, v103
	v_add_f32_e32 v102, v101, v100
	v_lshl_add_u64 v[100:101], v[98:99], 2, v[124:125]
	global_store_dword v[100:101], v102, off
.LBB43_41:
	s_or_b64 exec, exec, s[4:5]
	v_add_u32_e32 v100, 8, v98
	v_cmp_gt_i32_e64 s[4:5], s20, v100
	s_and_b64 s[8:9], s[4:5], s[18:19]
	v_ashrrev_i32_e32 v101, 31, v100
	s_and_saveexec_b64 s[6:7], s[8:9]
	s_cbranch_execz .LBB43_46
; %bb.42:
	s_and_b64 vcc, exec, s[0:1]
	s_cbranch_vccnz .LBB43_44
; %bb.43:
	v_lshl_add_u64 v[102:103], v[100:101], 2, v[126:127]
	flat_load_dword v102, v[102:103]
	s_waitcnt vmcnt(0) lgkmcnt(0)
	v_mul_f32_e32 v102, s28, v102
	s_branch .LBB43_45
.LBB43_44:
	v_mov_b32_e32 v102, 0
.LBB43_45:
	v_max_f32_e32 v103, v44, v44
	v_max_f32_e32 v104, v28, v28
	v_min_f32_e32 v104, v104, v103
	v_max_f32_e32 v103, v45, v45
	v_max_f32_e32 v105, v29, v29
	v_min_f32_e32 v105, v105, v103
	v_max_f32_e32 v103, v46, v46
	v_max_f32_e32 v106, v30, v30
	v_min_f32_e32 v106, v106, v103
	v_max_f32_e32 v103, v47, v47
	v_max_f32_e32 v107, v31, v31
	v_pk_add_f32 v[104:105], v[120:121], v[104:105]
	v_min_f32_e32 v107, v107, v103
	v_pk_add_f32 v[104:105], v[104:105], v[106:107]
	s_nop 0
	v_add_f32_e32 v103, v104, v105
	v_add_f32_e32 v104, v103, v102
	v_lshl_add_u64 v[102:103], v[100:101], 2, v[124:125]
	global_store_dword v[102:103], v104, off
.LBB43_46:
	s_or_b64 exec, exec, s[6:7]
	v_add_u32_e32 v102, 16, v98
	v_cmp_gt_i32_e64 s[6:7], s20, v102
	s_and_b64 s[10:11], s[6:7], s[18:19]
	v_ashrrev_i32_e32 v103, 31, v102
	;; [unrolled: 39-line block ×3, first 2 shown]
	s_and_saveexec_b64 s[10:11], s[12:13]
	s_cbranch_execz .LBB43_56
; %bb.52:
	s_and_b64 vcc, exec, s[0:1]
	s_cbranch_vccnz .LBB43_54
; %bb.53:
	v_lshl_add_u64 v[106:107], v[104:105], 2, v[126:127]
	flat_load_dword v106, v[106:107]
	s_waitcnt vmcnt(0) lgkmcnt(0)
	v_mul_f32_e32 v106, s28, v106
	s_branch .LBB43_55
.LBB43_54:
	v_mov_b32_e32 v106, 0
.LBB43_55:
	v_max_f32_e32 v107, v44, v44
	v_max_f32_e32 v108, v20, v20
	v_min_f32_e32 v108, v108, v107
	v_max_f32_e32 v107, v45, v45
	v_max_f32_e32 v109, v21, v21
	v_min_f32_e32 v109, v109, v107
	v_pk_add_f32 v[108:109], v[116:117], v[108:109]
	v_max_f32_e32 v107, v46, v46
	v_max_f32_e32 v116, v22, v22
	v_min_f32_e32 v116, v116, v107
	v_max_f32_e32 v107, v47, v47
	v_max_f32_e32 v117, v23, v23
	v_min_f32_e32 v117, v117, v107
	v_pk_add_f32 v[108:109], v[108:109], v[116:117]
	s_nop 0
	v_add_f32_e32 v107, v108, v109
	v_add_f32_e32 v108, v107, v106
	v_lshl_add_u64 v[106:107], v[104:105], 2, v[124:125]
	global_store_dword v[106:107], v108, off
.LBB43_56:
	s_or_b64 exec, exec, s[10:11]
	v_add_u32_e32 v106, 32, v98
	v_cmp_gt_i32_e64 s[10:11], s20, v106
	s_and_b64 s[14:15], s[10:11], s[18:19]
	v_ashrrev_i32_e32 v107, 31, v106
	s_and_saveexec_b64 s[12:13], s[14:15]
	s_cbranch_execz .LBB43_61
; %bb.57:
	s_and_b64 vcc, exec, s[0:1]
	s_cbranch_vccnz .LBB43_59
; %bb.58:
	v_lshl_add_u64 v[108:109], v[106:107], 2, v[126:127]
	flat_load_dword v108, v[108:109]
	s_waitcnt vmcnt(0) lgkmcnt(0)
	v_mul_f32_e32 v108, s28, v108
	s_branch .LBB43_60
.LBB43_59:
	v_mov_b32_e32 v108, 0
.LBB43_60:
	v_max_f32_e32 v109, v44, v44
	v_max_f32_e32 v116, v16, v16
	v_min_f32_e32 v116, v116, v109
	v_max_f32_e32 v109, v45, v45
	v_max_f32_e32 v117, v17, v17
	v_min_f32_e32 v117, v117, v109
	v_pk_add_f32 v[114:115], v[114:115], v[116:117]
	v_max_f32_e32 v109, v46, v46
	v_max_f32_e32 v116, v18, v18
	v_min_f32_e32 v116, v116, v109
	v_max_f32_e32 v109, v47, v47
	v_max_f32_e32 v117, v19, v19
	v_min_f32_e32 v117, v117, v109
	v_pk_add_f32 v[114:115], v[114:115], v[116:117]
	s_nop 0
	v_add_f32_e32 v109, v114, v115
	v_add_f32_e32 v114, v109, v108
	v_lshl_add_u64 v[108:109], v[106:107], 2, v[124:125]
	global_store_dword v[108:109], v114, off
.LBB43_61:
	s_or_b64 exec, exec, s[12:13]
	v_add_u32_e32 v108, 40, v98
	v_cmp_gt_i32_e64 s[12:13], s20, v108
	s_and_b64 s[16:17], s[12:13], s[18:19]
	v_ashrrev_i32_e32 v109, 31, v108
	;; [unrolled: 39-line block ×4, first 2 shown]
	s_and_saveexec_b64 s[18:19], s[26:27]
	s_cbranch_execz .LBB43_76
; %bb.72:
	s_and_b64 vcc, exec, s[0:1]
	s_cbranch_vccnz .LBB43_74
; %bb.73:
	v_lshl_add_u64 v[114:115], v[112:113], 2, v[126:127]
	flat_load_dword v114, v[114:115]
	s_waitcnt vmcnt(0) lgkmcnt(0)
	v_mul_f32_e32 v114, s28, v114
	s_branch .LBB43_75
.LBB43_74:
	v_mov_b32_e32 v114, 0
.LBB43_75:
	v_max_f32_e32 v45, v45, v45
	v_max_f32_e32 v115, v5, v5
	v_min_f32_e32 v45, v115, v45
	v_max_f32_e32 v44, v44, v44
	v_max_f32_e32 v115, v4, v4
	v_min_f32_e32 v44, v115, v44
	v_pk_add_f32 v[44:45], v[96:97], v[44:45]
	v_max_f32_e32 v47, v47, v47
	v_max_f32_e32 v96, v7, v7
	v_min_f32_e32 v47, v96, v47
	v_max_f32_e32 v46, v46, v46
	v_max_f32_e32 v96, v6, v6
	v_min_f32_e32 v46, v96, v46
	v_pk_add_f32 v[44:45], v[44:45], v[46:47]
	s_nop 0
	v_add_f32_e32 v44, v44, v45
	v_add_f32_e32 v46, v44, v114
	v_lshl_add_u64 v[44:45], v[112:113], 2, v[124:125]
	global_store_dword v[44:45], v46, off
.LBB43_76:
	s_or_b64 exec, exec, s[18:19]
	v_add_u32_e32 v96, 32, v128
	v_mad_i64_i32 v[44:45], s[26:27], v96, s33, 0
	v_cmp_gt_i32_e64 s[18:19], s21, v96
	v_lshl_add_u64 v[46:47], v[44:45], 2, s[24:25]
	v_mad_i64_i32 v[44:45], s[26:27], v96, s31, 0
	v_lshl_add_u64 v[44:45], v[44:45], 2, s[22:23]
	s_and_b64 s[34:35], s[2:3], s[18:19]
	s_and_saveexec_b64 s[26:27], s[34:35]
	s_cbranch_execnz .LBB43_84
; %bb.77:
	s_or_b64 exec, exec, s[26:27]
	s_and_b64 s[34:35], s[4:5], s[18:19]
	s_and_saveexec_b64 s[26:27], s[34:35]
	s_cbranch_execnz .LBB43_88
.LBB43_78:
	s_or_b64 exec, exec, s[26:27]
	s_and_b64 s[34:35], s[6:7], s[18:19]
	s_and_saveexec_b64 s[26:27], s[34:35]
	s_cbranch_execnz .LBB43_92
.LBB43_79:
	s_or_b64 exec, exec, s[26:27]
	s_and_b64 s[34:35], s[8:9], s[18:19]
	s_and_saveexec_b64 s[26:27], s[34:35]
	s_cbranch_execnz .LBB43_96
.LBB43_80:
	s_or_b64 exec, exec, s[26:27]
	s_and_b64 s[34:35], s[10:11], s[18:19]
	s_and_saveexec_b64 s[26:27], s[34:35]
	s_cbranch_execnz .LBB43_100
.LBB43_81:
	s_or_b64 exec, exec, s[26:27]
	s_and_b64 s[34:35], s[12:13], s[18:19]
	s_and_saveexec_b64 s[26:27], s[34:35]
	s_cbranch_execnz .LBB43_104
.LBB43_82:
	s_or_b64 exec, exec, s[26:27]
	s_and_b64 s[34:35], s[14:15], s[18:19]
	s_and_saveexec_b64 s[26:27], s[34:35]
	s_cbranch_execnz .LBB43_108
.LBB43_83:
	s_or_b64 exec, exec, s[26:27]
	s_and_b64 s[26:27], s[16:17], s[18:19]
	s_and_saveexec_b64 s[18:19], s[26:27]
	s_cbranch_execnz .LBB43_112
	s_branch .LBB43_116
.LBB43_84:
	s_and_b64 vcc, exec, s[0:1]
	s_cbranch_vccnz .LBB43_86
; %bb.85:
	v_lshl_add_u64 v[96:97], v[98:99], 2, v[46:47]
	flat_load_dword v96, v[96:97]
	s_waitcnt vmcnt(0) lgkmcnt(0)
	v_mul_f32_e32 v96, s28, v96
	s_branch .LBB43_87
.LBB43_86:
	v_mov_b32_e32 v96, 0
.LBB43_87:
	v_max_f32_e32 v97, v40, v40
	v_max_f32_e32 v114, v32, v32
	v_min_f32_e32 v114, v114, v97
	v_max_f32_e32 v97, v41, v41
	v_max_f32_e32 v115, v33, v33
	v_min_f32_e32 v115, v115, v97
	v_pk_add_f32 v[94:95], v[94:95], v[114:115]
	v_max_f32_e32 v97, v42, v42
	v_max_f32_e32 v114, v34, v34
	v_min_f32_e32 v114, v114, v97
	v_max_f32_e32 v97, v43, v43
	v_max_f32_e32 v115, v35, v35
	v_min_f32_e32 v115, v115, v97
	v_pk_add_f32 v[94:95], v[94:95], v[114:115]
	s_nop 0
	v_add_f32_e32 v94, v94, v95
	v_add_f32_e32 v96, v94, v96
	v_lshl_add_u64 v[94:95], v[98:99], 2, v[44:45]
	global_store_dword v[94:95], v96, off
	s_or_b64 exec, exec, s[26:27]
	s_and_b64 s[34:35], s[4:5], s[18:19]
	s_and_saveexec_b64 s[26:27], s[34:35]
	s_cbranch_execz .LBB43_78
.LBB43_88:
	s_and_b64 vcc, exec, s[0:1]
	s_cbranch_vccnz .LBB43_90
; %bb.89:
	v_lshl_add_u64 v[94:95], v[100:101], 2, v[46:47]
	flat_load_dword v94, v[94:95]
	s_waitcnt vmcnt(0) lgkmcnt(0)
	v_mul_f32_e32 v94, s28, v94
	s_branch .LBB43_91
.LBB43_90:
	v_mov_b32_e32 v94, 0
.LBB43_91:
	v_max_f32_e32 v95, v40, v40
	v_max_f32_e32 v96, v28, v28
	v_min_f32_e32 v96, v96, v95
	v_max_f32_e32 v95, v41, v41
	v_max_f32_e32 v97, v29, v29
	v_min_f32_e32 v97, v97, v95
	v_pk_add_f32 v[92:93], v[92:93], v[96:97]
	v_max_f32_e32 v95, v42, v42
	v_max_f32_e32 v96, v30, v30
	v_min_f32_e32 v96, v96, v95
	v_max_f32_e32 v95, v43, v43
	v_max_f32_e32 v97, v31, v31
	v_min_f32_e32 v97, v97, v95
	v_pk_add_f32 v[92:93], v[92:93], v[96:97]
	s_nop 0
	v_add_f32_e32 v92, v92, v93
	v_add_f32_e32 v94, v92, v94
	v_lshl_add_u64 v[92:93], v[100:101], 2, v[44:45]
	global_store_dword v[92:93], v94, off
	s_or_b64 exec, exec, s[26:27]
	s_and_b64 s[34:35], s[6:7], s[18:19]
	s_and_saveexec_b64 s[26:27], s[34:35]
	s_cbranch_execz .LBB43_79
.LBB43_92:
	s_and_b64 vcc, exec, s[0:1]
	s_cbranch_vccnz .LBB43_94
; %bb.93:
	v_lshl_add_u64 v[92:93], v[102:103], 2, v[46:47]
	flat_load_dword v92, v[92:93]
	s_waitcnt vmcnt(0) lgkmcnt(0)
	v_mul_f32_e32 v92, s28, v92
	s_branch .LBB43_95
.LBB43_94:
	v_mov_b32_e32 v92, 0
.LBB43_95:
	v_max_f32_e32 v93, v40, v40
	v_max_f32_e32 v94, v24, v24
	v_min_f32_e32 v94, v94, v93
	v_max_f32_e32 v93, v41, v41
	v_max_f32_e32 v95, v25, v25
	v_min_f32_e32 v95, v95, v93
	v_pk_add_f32 v[90:91], v[90:91], v[94:95]
	v_max_f32_e32 v93, v42, v42
	v_max_f32_e32 v94, v26, v26
	v_min_f32_e32 v94, v94, v93
	v_max_f32_e32 v93, v43, v43
	v_max_f32_e32 v95, v27, v27
	v_min_f32_e32 v95, v95, v93
	v_pk_add_f32 v[90:91], v[90:91], v[94:95]
	s_nop 0
	v_add_f32_e32 v90, v90, v91
	v_add_f32_e32 v92, v90, v92
	v_lshl_add_u64 v[90:91], v[102:103], 2, v[44:45]
	global_store_dword v[90:91], v92, off
	s_or_b64 exec, exec, s[26:27]
	s_and_b64 s[34:35], s[8:9], s[18:19]
	s_and_saveexec_b64 s[26:27], s[34:35]
	s_cbranch_execz .LBB43_80
.LBB43_96:
	s_and_b64 vcc, exec, s[0:1]
	s_cbranch_vccnz .LBB43_98
; %bb.97:
	v_lshl_add_u64 v[90:91], v[104:105], 2, v[46:47]
	flat_load_dword v90, v[90:91]
	s_waitcnt vmcnt(0) lgkmcnt(0)
	v_mul_f32_e32 v90, s28, v90
	s_branch .LBB43_99
.LBB43_98:
	v_mov_b32_e32 v90, 0
.LBB43_99:
	v_max_f32_e32 v91, v40, v40
	v_max_f32_e32 v92, v20, v20
	v_min_f32_e32 v92, v92, v91
	v_max_f32_e32 v91, v41, v41
	v_max_f32_e32 v93, v21, v21
	v_min_f32_e32 v93, v93, v91
	v_pk_add_f32 v[88:89], v[88:89], v[92:93]
	v_max_f32_e32 v91, v42, v42
	v_max_f32_e32 v92, v22, v22
	v_min_f32_e32 v92, v92, v91
	v_max_f32_e32 v91, v43, v43
	v_max_f32_e32 v93, v23, v23
	v_min_f32_e32 v93, v93, v91
	v_pk_add_f32 v[88:89], v[88:89], v[92:93]
	s_nop 0
	v_add_f32_e32 v88, v88, v89
	v_add_f32_e32 v90, v88, v90
	v_lshl_add_u64 v[88:89], v[104:105], 2, v[44:45]
	global_store_dword v[88:89], v90, off
	s_or_b64 exec, exec, s[26:27]
	s_and_b64 s[34:35], s[10:11], s[18:19]
	s_and_saveexec_b64 s[26:27], s[34:35]
	s_cbranch_execz .LBB43_81
.LBB43_100:
	s_and_b64 vcc, exec, s[0:1]
	s_cbranch_vccnz .LBB43_102
; %bb.101:
	v_lshl_add_u64 v[88:89], v[106:107], 2, v[46:47]
	flat_load_dword v88, v[88:89]
	s_waitcnt vmcnt(0) lgkmcnt(0)
	v_mul_f32_e32 v88, s28, v88
	s_branch .LBB43_103
.LBB43_102:
	v_mov_b32_e32 v88, 0
.LBB43_103:
	v_max_f32_e32 v89, v40, v40
	v_max_f32_e32 v90, v16, v16
	v_min_f32_e32 v90, v90, v89
	v_max_f32_e32 v89, v41, v41
	v_max_f32_e32 v91, v17, v17
	v_min_f32_e32 v91, v91, v89
	v_pk_add_f32 v[86:87], v[86:87], v[90:91]
	v_max_f32_e32 v89, v42, v42
	v_max_f32_e32 v90, v18, v18
	v_min_f32_e32 v90, v90, v89
	v_max_f32_e32 v89, v43, v43
	v_max_f32_e32 v91, v19, v19
	v_min_f32_e32 v91, v91, v89
	v_pk_add_f32 v[86:87], v[86:87], v[90:91]
	s_nop 0
	v_add_f32_e32 v86, v86, v87
	v_add_f32_e32 v88, v86, v88
	v_lshl_add_u64 v[86:87], v[106:107], 2, v[44:45]
	global_store_dword v[86:87], v88, off
	s_or_b64 exec, exec, s[26:27]
	s_and_b64 s[34:35], s[12:13], s[18:19]
	s_and_saveexec_b64 s[26:27], s[34:35]
	s_cbranch_execz .LBB43_82
.LBB43_104:
	s_and_b64 vcc, exec, s[0:1]
	s_cbranch_vccnz .LBB43_106
; %bb.105:
	v_lshl_add_u64 v[86:87], v[108:109], 2, v[46:47]
	flat_load_dword v86, v[86:87]
	s_waitcnt vmcnt(0) lgkmcnt(0)
	v_mul_f32_e32 v86, s28, v86
	s_branch .LBB43_107
.LBB43_106:
	v_mov_b32_e32 v86, 0
.LBB43_107:
	v_max_f32_e32 v87, v40, v40
	v_max_f32_e32 v88, v12, v12
	v_min_f32_e32 v88, v88, v87
	v_max_f32_e32 v87, v41, v41
	v_max_f32_e32 v89, v13, v13
	v_min_f32_e32 v89, v89, v87
	v_pk_add_f32 v[84:85], v[84:85], v[88:89]
	v_max_f32_e32 v87, v42, v42
	v_max_f32_e32 v88, v14, v14
	v_min_f32_e32 v88, v88, v87
	v_max_f32_e32 v87, v43, v43
	v_max_f32_e32 v89, v15, v15
	v_min_f32_e32 v89, v89, v87
	v_pk_add_f32 v[84:85], v[84:85], v[88:89]
	s_nop 0
	v_add_f32_e32 v84, v84, v85
	v_add_f32_e32 v86, v84, v86
	v_lshl_add_u64 v[84:85], v[108:109], 2, v[44:45]
	global_store_dword v[84:85], v86, off
	s_or_b64 exec, exec, s[26:27]
	s_and_b64 s[34:35], s[14:15], s[18:19]
	s_and_saveexec_b64 s[26:27], s[34:35]
	s_cbranch_execz .LBB43_83
.LBB43_108:
	s_and_b64 vcc, exec, s[0:1]
	s_cbranch_vccnz .LBB43_110
; %bb.109:
	v_lshl_add_u64 v[84:85], v[110:111], 2, v[46:47]
	flat_load_dword v84, v[84:85]
	s_waitcnt vmcnt(0) lgkmcnt(0)
	v_mul_f32_e32 v84, s28, v84
	s_branch .LBB43_111
.LBB43_110:
	v_mov_b32_e32 v84, 0
.LBB43_111:
	v_max_f32_e32 v85, v40, v40
	v_max_f32_e32 v86, v8, v8
	v_min_f32_e32 v86, v86, v85
	v_max_f32_e32 v85, v41, v41
	v_max_f32_e32 v87, v9, v9
	v_min_f32_e32 v87, v87, v85
	v_pk_add_f32 v[82:83], v[82:83], v[86:87]
	v_max_f32_e32 v85, v42, v42
	v_max_f32_e32 v86, v10, v10
	v_min_f32_e32 v86, v86, v85
	v_max_f32_e32 v85, v43, v43
	v_max_f32_e32 v87, v11, v11
	v_min_f32_e32 v87, v87, v85
	v_pk_add_f32 v[82:83], v[82:83], v[86:87]
	s_nop 0
	v_add_f32_e32 v82, v82, v83
	v_add_f32_e32 v84, v82, v84
	v_lshl_add_u64 v[82:83], v[110:111], 2, v[44:45]
	global_store_dword v[82:83], v84, off
	s_or_b64 exec, exec, s[26:27]
	s_and_b64 s[26:27], s[16:17], s[18:19]
	s_and_saveexec_b64 s[18:19], s[26:27]
	s_cbranch_execz .LBB43_116
.LBB43_112:
	s_and_b64 vcc, exec, s[0:1]
	s_cbranch_vccnz .LBB43_114
; %bb.113:
	v_lshl_add_u64 v[46:47], v[112:113], 2, v[46:47]
	flat_load_dword v46, v[46:47]
	s_waitcnt vmcnt(0) lgkmcnt(0)
	v_mul_f32_e32 v46, s28, v46
	s_branch .LBB43_115
.LBB43_114:
	v_mov_b32_e32 v46, 0
.LBB43_115:
	v_max_f32_e32 v41, v41, v41
	v_max_f32_e32 v47, v5, v5
	v_min_f32_e32 v41, v47, v41
	v_max_f32_e32 v40, v40, v40
	v_max_f32_e32 v47, v4, v4
	v_min_f32_e32 v40, v47, v40
	;; [unrolled: 3-line block ×3, first 2 shown]
	v_max_f32_e32 v42, v42, v42
	v_max_f32_e32 v47, v6, v6
	v_pk_add_f32 v[40:41], v[80:81], v[40:41]
	v_min_f32_e32 v42, v47, v42
	v_pk_add_f32 v[40:41], v[40:41], v[42:43]
	s_nop 0
	v_add_f32_e32 v40, v40, v41
	v_add_f32_e32 v42, v40, v46
	v_lshl_add_u64 v[40:41], v[112:113], 2, v[44:45]
	global_store_dword v[40:41], v42, off
.LBB43_116:
	s_or_b64 exec, exec, s[18:19]
	v_add_u32_e32 v44, 64, v128
	v_mad_i64_i32 v[40:41], s[26:27], v44, s33, 0
	v_cmp_gt_i32_e64 s[18:19], s21, v44
	v_lshl_add_u64 v[42:43], v[40:41], 2, s[24:25]
	v_mad_i64_i32 v[40:41], s[26:27], v44, s31, 0
	v_lshl_add_u64 v[40:41], v[40:41], 2, s[22:23]
	s_and_b64 s[34:35], s[2:3], s[18:19]
	s_and_saveexec_b64 s[26:27], s[34:35]
	s_cbranch_execnz .LBB43_124
; %bb.117:
	s_or_b64 exec, exec, s[26:27]
	s_and_b64 s[34:35], s[4:5], s[18:19]
	s_and_saveexec_b64 s[26:27], s[34:35]
	s_cbranch_execnz .LBB43_128
.LBB43_118:
	s_or_b64 exec, exec, s[26:27]
	s_and_b64 s[34:35], s[6:7], s[18:19]
	s_and_saveexec_b64 s[26:27], s[34:35]
	s_cbranch_execnz .LBB43_132
.LBB43_119:
	s_or_b64 exec, exec, s[26:27]
	s_and_b64 s[34:35], s[8:9], s[18:19]
	s_and_saveexec_b64 s[26:27], s[34:35]
	s_cbranch_execnz .LBB43_136
.LBB43_120:
	s_or_b64 exec, exec, s[26:27]
	s_and_b64 s[34:35], s[10:11], s[18:19]
	s_and_saveexec_b64 s[26:27], s[34:35]
	s_cbranch_execnz .LBB43_140
.LBB43_121:
	s_or_b64 exec, exec, s[26:27]
	s_and_b64 s[34:35], s[12:13], s[18:19]
	s_and_saveexec_b64 s[26:27], s[34:35]
	s_cbranch_execnz .LBB43_144
.LBB43_122:
	s_or_b64 exec, exec, s[26:27]
	s_and_b64 s[34:35], s[14:15], s[18:19]
	s_and_saveexec_b64 s[26:27], s[34:35]
	s_cbranch_execnz .LBB43_148
.LBB43_123:
	s_or_b64 exec, exec, s[26:27]
	s_and_b64 s[26:27], s[16:17], s[18:19]
	s_and_saveexec_b64 s[18:19], s[26:27]
	s_cbranch_execnz .LBB43_152
	s_branch .LBB43_156
.LBB43_124:
	s_and_b64 vcc, exec, s[0:1]
	s_cbranch_vccnz .LBB43_126
; %bb.125:
	v_lshl_add_u64 v[44:45], v[98:99], 2, v[42:43]
	flat_load_dword v44, v[44:45]
	s_waitcnt vmcnt(0) lgkmcnt(0)
	v_mul_f32_e32 v44, s28, v44
	s_branch .LBB43_127
.LBB43_126:
	v_mov_b32_e32 v44, 0
.LBB43_127:
	v_max_f32_e32 v45, v36, v36
	v_max_f32_e32 v46, v32, v32
	v_min_f32_e32 v46, v46, v45
	v_max_f32_e32 v45, v37, v37
	v_max_f32_e32 v47, v33, v33
	v_min_f32_e32 v47, v47, v45
	v_pk_add_f32 v[46:47], v[78:79], v[46:47]
	v_max_f32_e32 v45, v38, v38
	v_max_f32_e32 v78, v34, v34
	v_min_f32_e32 v78, v78, v45
	v_max_f32_e32 v45, v39, v39
	v_max_f32_e32 v79, v35, v35
	v_min_f32_e32 v79, v79, v45
	v_pk_add_f32 v[46:47], v[46:47], v[78:79]
	s_nop 0
	v_add_f32_e32 v45, v46, v47
	v_add_f32_e32 v46, v45, v44
	v_lshl_add_u64 v[44:45], v[98:99], 2, v[40:41]
	global_store_dword v[44:45], v46, off
	s_or_b64 exec, exec, s[26:27]
	s_and_b64 s[34:35], s[4:5], s[18:19]
	s_and_saveexec_b64 s[26:27], s[34:35]
	s_cbranch_execz .LBB43_118
.LBB43_128:
	s_and_b64 vcc, exec, s[0:1]
	s_cbranch_vccnz .LBB43_130
; %bb.129:
	v_lshl_add_u64 v[44:45], v[100:101], 2, v[42:43]
	flat_load_dword v44, v[44:45]
	s_waitcnt vmcnt(0) lgkmcnt(0)
	v_mul_f32_e32 v44, s28, v44
	s_branch .LBB43_131
.LBB43_130:
	v_mov_b32_e32 v44, 0
.LBB43_131:
	v_max_f32_e32 v45, v36, v36
	v_max_f32_e32 v46, v28, v28
	v_min_f32_e32 v46, v46, v45
	v_max_f32_e32 v45, v37, v37
	v_max_f32_e32 v47, v29, v29
	v_min_f32_e32 v47, v47, v45
	v_pk_add_f32 v[46:47], v[76:77], v[46:47]
	v_max_f32_e32 v45, v38, v38
	v_max_f32_e32 v76, v30, v30
	v_min_f32_e32 v76, v76, v45
	v_max_f32_e32 v45, v39, v39
	v_max_f32_e32 v77, v31, v31
	v_min_f32_e32 v77, v77, v45
	v_pk_add_f32 v[46:47], v[46:47], v[76:77]
	s_nop 0
	v_add_f32_e32 v45, v46, v47
	v_add_f32_e32 v46, v45, v44
	v_lshl_add_u64 v[44:45], v[100:101], 2, v[40:41]
	global_store_dword v[44:45], v46, off
	s_or_b64 exec, exec, s[26:27]
	s_and_b64 s[34:35], s[6:7], s[18:19]
	s_and_saveexec_b64 s[26:27], s[34:35]
	s_cbranch_execz .LBB43_119
.LBB43_132:
	s_and_b64 vcc, exec, s[0:1]
	s_cbranch_vccnz .LBB43_134
; %bb.133:
	v_lshl_add_u64 v[44:45], v[102:103], 2, v[42:43]
	flat_load_dword v44, v[44:45]
	s_waitcnt vmcnt(0) lgkmcnt(0)
	v_mul_f32_e32 v44, s28, v44
	s_branch .LBB43_135
.LBB43_134:
	v_mov_b32_e32 v44, 0
.LBB43_135:
	v_max_f32_e32 v45, v36, v36
	v_max_f32_e32 v46, v24, v24
	v_min_f32_e32 v46, v46, v45
	v_max_f32_e32 v45, v37, v37
	v_max_f32_e32 v47, v25, v25
	v_min_f32_e32 v47, v47, v45
	v_pk_add_f32 v[46:47], v[74:75], v[46:47]
	v_max_f32_e32 v45, v38, v38
	v_max_f32_e32 v74, v26, v26
	v_min_f32_e32 v74, v74, v45
	v_max_f32_e32 v45, v39, v39
	v_max_f32_e32 v75, v27, v27
	v_min_f32_e32 v75, v75, v45
	v_pk_add_f32 v[46:47], v[46:47], v[74:75]
	s_nop 0
	v_add_f32_e32 v45, v46, v47
	v_add_f32_e32 v46, v45, v44
	v_lshl_add_u64 v[44:45], v[102:103], 2, v[40:41]
	global_store_dword v[44:45], v46, off
	s_or_b64 exec, exec, s[26:27]
	s_and_b64 s[34:35], s[8:9], s[18:19]
	s_and_saveexec_b64 s[26:27], s[34:35]
	s_cbranch_execz .LBB43_120
.LBB43_136:
	s_and_b64 vcc, exec, s[0:1]
	s_cbranch_vccnz .LBB43_138
; %bb.137:
	v_lshl_add_u64 v[44:45], v[104:105], 2, v[42:43]
	flat_load_dword v44, v[44:45]
	s_waitcnt vmcnt(0) lgkmcnt(0)
	v_mul_f32_e32 v44, s28, v44
	s_branch .LBB43_139
.LBB43_138:
	v_mov_b32_e32 v44, 0
.LBB43_139:
	v_max_f32_e32 v45, v36, v36
	v_max_f32_e32 v46, v20, v20
	v_min_f32_e32 v46, v46, v45
	v_max_f32_e32 v45, v37, v37
	v_max_f32_e32 v47, v21, v21
	v_min_f32_e32 v47, v47, v45
	v_pk_add_f32 v[46:47], v[72:73], v[46:47]
	v_max_f32_e32 v45, v38, v38
	v_max_f32_e32 v72, v22, v22
	v_min_f32_e32 v72, v72, v45
	v_max_f32_e32 v45, v39, v39
	v_max_f32_e32 v73, v23, v23
	v_min_f32_e32 v73, v73, v45
	v_pk_add_f32 v[46:47], v[46:47], v[72:73]
	s_nop 0
	v_add_f32_e32 v45, v46, v47
	v_add_f32_e32 v46, v45, v44
	v_lshl_add_u64 v[44:45], v[104:105], 2, v[40:41]
	global_store_dword v[44:45], v46, off
	s_or_b64 exec, exec, s[26:27]
	s_and_b64 s[34:35], s[10:11], s[18:19]
	s_and_saveexec_b64 s[26:27], s[34:35]
	s_cbranch_execz .LBB43_121
.LBB43_140:
	s_and_b64 vcc, exec, s[0:1]
	s_cbranch_vccnz .LBB43_142
; %bb.141:
	v_lshl_add_u64 v[44:45], v[106:107], 2, v[42:43]
	flat_load_dword v44, v[44:45]
	s_waitcnt vmcnt(0) lgkmcnt(0)
	v_mul_f32_e32 v44, s28, v44
	s_branch .LBB43_143
.LBB43_142:
	v_mov_b32_e32 v44, 0
.LBB43_143:
	v_max_f32_e32 v45, v36, v36
	v_max_f32_e32 v46, v16, v16
	v_min_f32_e32 v46, v46, v45
	v_max_f32_e32 v45, v37, v37
	v_max_f32_e32 v47, v17, v17
	v_min_f32_e32 v47, v47, v45
	v_pk_add_f32 v[46:47], v[70:71], v[46:47]
	v_max_f32_e32 v45, v38, v38
	v_max_f32_e32 v70, v18, v18
	v_min_f32_e32 v70, v70, v45
	v_max_f32_e32 v45, v39, v39
	v_max_f32_e32 v71, v19, v19
	v_min_f32_e32 v71, v71, v45
	v_pk_add_f32 v[46:47], v[46:47], v[70:71]
	s_nop 0
	v_add_f32_e32 v45, v46, v47
	v_add_f32_e32 v46, v45, v44
	v_lshl_add_u64 v[44:45], v[106:107], 2, v[40:41]
	global_store_dword v[44:45], v46, off
	s_or_b64 exec, exec, s[26:27]
	s_and_b64 s[34:35], s[12:13], s[18:19]
	s_and_saveexec_b64 s[26:27], s[34:35]
	s_cbranch_execz .LBB43_122
.LBB43_144:
	s_and_b64 vcc, exec, s[0:1]
	s_cbranch_vccnz .LBB43_146
; %bb.145:
	v_lshl_add_u64 v[44:45], v[108:109], 2, v[42:43]
	flat_load_dword v44, v[44:45]
	s_waitcnt vmcnt(0) lgkmcnt(0)
	v_mul_f32_e32 v44, s28, v44
	s_branch .LBB43_147
.LBB43_146:
	v_mov_b32_e32 v44, 0
.LBB43_147:
	v_max_f32_e32 v45, v36, v36
	v_max_f32_e32 v46, v12, v12
	v_min_f32_e32 v46, v46, v45
	v_max_f32_e32 v45, v37, v37
	v_max_f32_e32 v47, v13, v13
	v_min_f32_e32 v47, v47, v45
	v_pk_add_f32 v[46:47], v[68:69], v[46:47]
	v_max_f32_e32 v45, v38, v38
	v_max_f32_e32 v68, v14, v14
	v_min_f32_e32 v68, v68, v45
	v_max_f32_e32 v45, v39, v39
	v_max_f32_e32 v69, v15, v15
	v_min_f32_e32 v69, v69, v45
	v_pk_add_f32 v[46:47], v[46:47], v[68:69]
	s_nop 0
	v_add_f32_e32 v45, v46, v47
	v_add_f32_e32 v46, v45, v44
	v_lshl_add_u64 v[44:45], v[108:109], 2, v[40:41]
	global_store_dword v[44:45], v46, off
	s_or_b64 exec, exec, s[26:27]
	s_and_b64 s[34:35], s[14:15], s[18:19]
	s_and_saveexec_b64 s[26:27], s[34:35]
	s_cbranch_execz .LBB43_123
.LBB43_148:
	s_and_b64 vcc, exec, s[0:1]
	s_cbranch_vccnz .LBB43_150
; %bb.149:
	v_lshl_add_u64 v[44:45], v[110:111], 2, v[42:43]
	flat_load_dword v44, v[44:45]
	s_waitcnt vmcnt(0) lgkmcnt(0)
	v_mul_f32_e32 v44, s28, v44
	s_branch .LBB43_151
.LBB43_150:
	v_mov_b32_e32 v44, 0
.LBB43_151:
	v_max_f32_e32 v45, v36, v36
	v_max_f32_e32 v46, v8, v8
	v_min_f32_e32 v46, v46, v45
	v_max_f32_e32 v45, v37, v37
	v_max_f32_e32 v47, v9, v9
	v_min_f32_e32 v47, v47, v45
	v_pk_add_f32 v[46:47], v[66:67], v[46:47]
	v_max_f32_e32 v45, v38, v38
	v_max_f32_e32 v66, v10, v10
	v_min_f32_e32 v66, v66, v45
	v_max_f32_e32 v45, v39, v39
	v_max_f32_e32 v67, v11, v11
	v_min_f32_e32 v67, v67, v45
	v_pk_add_f32 v[46:47], v[46:47], v[66:67]
	s_nop 0
	v_add_f32_e32 v45, v46, v47
	v_add_f32_e32 v46, v45, v44
	v_lshl_add_u64 v[44:45], v[110:111], 2, v[40:41]
	global_store_dword v[44:45], v46, off
	s_or_b64 exec, exec, s[26:27]
	s_and_b64 s[26:27], s[16:17], s[18:19]
	s_and_saveexec_b64 s[18:19], s[26:27]
	s_cbranch_execz .LBB43_156
.LBB43_152:
	s_and_b64 vcc, exec, s[0:1]
	s_cbranch_vccnz .LBB43_154
; %bb.153:
	v_lshl_add_u64 v[42:43], v[112:113], 2, v[42:43]
	flat_load_dword v42, v[42:43]
	s_waitcnt vmcnt(0) lgkmcnt(0)
	v_mul_f32_e32 v42, s28, v42
	s_branch .LBB43_155
.LBB43_154:
	v_mov_b32_e32 v42, 0
.LBB43_155:
	v_max_f32_e32 v37, v37, v37
	v_max_f32_e32 v43, v5, v5
	v_min_f32_e32 v37, v43, v37
	v_max_f32_e32 v36, v36, v36
	v_max_f32_e32 v43, v4, v4
	v_min_f32_e32 v36, v43, v36
	;; [unrolled: 3-line block ×3, first 2 shown]
	v_max_f32_e32 v38, v38, v38
	v_max_f32_e32 v43, v6, v6
	v_pk_add_f32 v[36:37], v[64:65], v[36:37]
	v_min_f32_e32 v38, v43, v38
	v_pk_add_f32 v[36:37], v[36:37], v[38:39]
	s_nop 0
	v_add_f32_e32 v36, v36, v37
	v_add_f32_e32 v38, v36, v42
	v_lshl_add_u64 v[36:37], v[112:113], 2, v[40:41]
	global_store_dword v[36:37], v38, off
.LBB43_156:
	s_or_b64 exec, exec, s[18:19]
	v_add_u32_e32 v40, 0x60, v128
	v_cmp_gt_i32_e64 s[18:19], s21, v40
	v_mad_i64_i32 v[36:37], s[20:21], v40, s33, 0
	v_lshl_add_u64 v[38:39], v[36:37], 2, s[24:25]
	v_mad_i64_i32 v[36:37], s[20:21], v40, s31, 0
	v_lshl_add_u64 v[36:37], v[36:37], 2, s[22:23]
	s_and_b64 s[20:21], s[2:3], s[18:19]
	s_and_saveexec_b64 s[2:3], s[20:21]
	s_cbranch_execnz .LBB43_165
; %bb.157:
	s_or_b64 exec, exec, s[2:3]
	s_and_b64 s[4:5], s[4:5], s[18:19]
	s_and_saveexec_b64 s[2:3], s[4:5]
	s_cbranch_execnz .LBB43_169
.LBB43_158:
	s_or_b64 exec, exec, s[2:3]
	s_and_b64 s[4:5], s[6:7], s[18:19]
	s_and_saveexec_b64 s[2:3], s[4:5]
	s_cbranch_execnz .LBB43_173
.LBB43_159:
	s_or_b64 exec, exec, s[2:3]
	s_and_b64 s[4:5], s[8:9], s[18:19]
	s_and_saveexec_b64 s[2:3], s[4:5]
	s_cbranch_execnz .LBB43_177
.LBB43_160:
	s_or_b64 exec, exec, s[2:3]
	s_and_b64 s[4:5], s[10:11], s[18:19]
	s_and_saveexec_b64 s[2:3], s[4:5]
	s_cbranch_execnz .LBB43_181
.LBB43_161:
	s_or_b64 exec, exec, s[2:3]
	s_and_b64 s[4:5], s[12:13], s[18:19]
	s_and_saveexec_b64 s[2:3], s[4:5]
	s_cbranch_execnz .LBB43_185
.LBB43_162:
	s_or_b64 exec, exec, s[2:3]
	s_and_b64 s[4:5], s[14:15], s[18:19]
	s_and_saveexec_b64 s[2:3], s[4:5]
	s_cbranch_execnz .LBB43_189
.LBB43_163:
	s_or_b64 exec, exec, s[2:3]
	s_and_b64 s[2:3], s[16:17], s[18:19]
	s_and_saveexec_b64 s[4:5], s[2:3]
	s_cbranch_execnz .LBB43_193
.LBB43_164:
	s_endpgm
.LBB43_165:
	s_and_b64 vcc, exec, s[0:1]
	s_cbranch_vccnz .LBB43_167
; %bb.166:
	v_lshl_add_u64 v[40:41], v[98:99], 2, v[38:39]
	flat_load_dword v40, v[40:41]
	s_waitcnt vmcnt(0) lgkmcnt(0)
	v_mul_f32_e32 v40, s28, v40
	s_branch .LBB43_168
.LBB43_167:
	v_mov_b32_e32 v40, 0
.LBB43_168:
	v_max_f32_e32 v41, v1, v1
	v_max_f32_e32 v33, v33, v33
	v_min_f32_e32 v33, v33, v41
	v_max_f32_e32 v41, v0, v0
	v_max_f32_e32 v32, v32, v32
	v_min_f32_e32 v32, v32, v41
	;; [unrolled: 3-line block ×3, first 2 shown]
	v_max_f32_e32 v41, v2, v2
	v_max_f32_e32 v34, v34, v34
	v_pk_add_f32 v[32:33], v[62:63], v[32:33]
	v_min_f32_e32 v34, v34, v41
	v_pk_add_f32 v[32:33], v[32:33], v[34:35]
	s_nop 0
	v_add_f32_e32 v32, v32, v33
	v_add_f32_e32 v34, v32, v40
	v_lshl_add_u64 v[32:33], v[98:99], 2, v[36:37]
	global_store_dword v[32:33], v34, off
	s_or_b64 exec, exec, s[2:3]
	s_and_b64 s[4:5], s[4:5], s[18:19]
	s_and_saveexec_b64 s[2:3], s[4:5]
	s_cbranch_execz .LBB43_158
.LBB43_169:
	s_and_b64 vcc, exec, s[0:1]
	s_cbranch_vccnz .LBB43_171
; %bb.170:
	v_lshl_add_u64 v[32:33], v[100:101], 2, v[38:39]
	flat_load_dword v32, v[32:33]
	s_waitcnt vmcnt(0) lgkmcnt(0)
	v_mul_f32_e32 v32, s28, v32
	s_branch .LBB43_172
.LBB43_171:
	v_mov_b32_e32 v32, 0
.LBB43_172:
	v_max_f32_e32 v33, v1, v1
	v_max_f32_e32 v29, v29, v29
	v_min_f32_e32 v29, v29, v33
	v_max_f32_e32 v33, v0, v0
	v_max_f32_e32 v28, v28, v28
	v_min_f32_e32 v28, v28, v33
	;; [unrolled: 3-line block ×3, first 2 shown]
	v_max_f32_e32 v33, v2, v2
	v_max_f32_e32 v30, v30, v30
	v_pk_add_f32 v[28:29], v[60:61], v[28:29]
	v_min_f32_e32 v30, v30, v33
	v_pk_add_f32 v[28:29], v[28:29], v[30:31]
	s_nop 0
	v_add_f32_e32 v28, v28, v29
	v_add_f32_e32 v30, v28, v32
	v_lshl_add_u64 v[28:29], v[100:101], 2, v[36:37]
	global_store_dword v[28:29], v30, off
	s_or_b64 exec, exec, s[2:3]
	s_and_b64 s[4:5], s[6:7], s[18:19]
	s_and_saveexec_b64 s[2:3], s[4:5]
	s_cbranch_execz .LBB43_159
.LBB43_173:
	s_and_b64 vcc, exec, s[0:1]
	s_cbranch_vccnz .LBB43_175
; %bb.174:
	v_lshl_add_u64 v[28:29], v[102:103], 2, v[38:39]
	flat_load_dword v28, v[28:29]
	s_waitcnt vmcnt(0) lgkmcnt(0)
	v_mul_f32_e32 v28, s28, v28
	s_branch .LBB43_176
.LBB43_175:
	v_mov_b32_e32 v28, 0
.LBB43_176:
	v_max_f32_e32 v29, v1, v1
	v_max_f32_e32 v25, v25, v25
	v_min_f32_e32 v25, v25, v29
	v_max_f32_e32 v29, v0, v0
	v_max_f32_e32 v24, v24, v24
	v_min_f32_e32 v24, v24, v29
	;; [unrolled: 3-line block ×3, first 2 shown]
	v_max_f32_e32 v29, v2, v2
	v_max_f32_e32 v26, v26, v26
	v_pk_add_f32 v[24:25], v[58:59], v[24:25]
	v_min_f32_e32 v26, v26, v29
	v_pk_add_f32 v[24:25], v[24:25], v[26:27]
	s_nop 0
	v_add_f32_e32 v24, v24, v25
	v_add_f32_e32 v26, v24, v28
	v_lshl_add_u64 v[24:25], v[102:103], 2, v[36:37]
	global_store_dword v[24:25], v26, off
	s_or_b64 exec, exec, s[2:3]
	s_and_b64 s[4:5], s[8:9], s[18:19]
	s_and_saveexec_b64 s[2:3], s[4:5]
	s_cbranch_execz .LBB43_160
.LBB43_177:
	s_and_b64 vcc, exec, s[0:1]
	s_cbranch_vccnz .LBB43_179
; %bb.178:
	v_lshl_add_u64 v[24:25], v[104:105], 2, v[38:39]
	flat_load_dword v24, v[24:25]
	s_waitcnt vmcnt(0) lgkmcnt(0)
	v_mul_f32_e32 v24, s28, v24
	s_branch .LBB43_180
.LBB43_179:
	v_mov_b32_e32 v24, 0
.LBB43_180:
	v_max_f32_e32 v25, v1, v1
	v_max_f32_e32 v21, v21, v21
	v_min_f32_e32 v21, v21, v25
	v_max_f32_e32 v25, v0, v0
	v_max_f32_e32 v20, v20, v20
	v_min_f32_e32 v20, v20, v25
	v_max_f32_e32 v25, v3, v3
	v_max_f32_e32 v23, v23, v23
	v_min_f32_e32 v23, v23, v25
	v_max_f32_e32 v25, v2, v2
	v_max_f32_e32 v22, v22, v22
	v_pk_add_f32 v[20:21], v[56:57], v[20:21]
	v_min_f32_e32 v22, v22, v25
	v_pk_add_f32 v[20:21], v[20:21], v[22:23]
	s_nop 0
	v_add_f32_e32 v20, v20, v21
	v_add_f32_e32 v22, v20, v24
	v_lshl_add_u64 v[20:21], v[104:105], 2, v[36:37]
	global_store_dword v[20:21], v22, off
	s_or_b64 exec, exec, s[2:3]
	s_and_b64 s[4:5], s[10:11], s[18:19]
	s_and_saveexec_b64 s[2:3], s[4:5]
	s_cbranch_execz .LBB43_161
.LBB43_181:
	s_and_b64 vcc, exec, s[0:1]
	s_cbranch_vccnz .LBB43_183
; %bb.182:
	v_lshl_add_u64 v[20:21], v[106:107], 2, v[38:39]
	flat_load_dword v20, v[20:21]
	s_waitcnt vmcnt(0) lgkmcnt(0)
	v_mul_f32_e32 v20, s28, v20
	s_branch .LBB43_184
.LBB43_183:
	v_mov_b32_e32 v20, 0
.LBB43_184:
	v_max_f32_e32 v21, v1, v1
	v_max_f32_e32 v17, v17, v17
	v_min_f32_e32 v17, v17, v21
	v_max_f32_e32 v21, v0, v0
	v_max_f32_e32 v16, v16, v16
	v_min_f32_e32 v16, v16, v21
	;; [unrolled: 3-line block ×3, first 2 shown]
	v_max_f32_e32 v21, v2, v2
	v_max_f32_e32 v18, v18, v18
	v_pk_add_f32 v[16:17], v[54:55], v[16:17]
	v_min_f32_e32 v18, v18, v21
	v_pk_add_f32 v[16:17], v[16:17], v[18:19]
	s_nop 0
	v_add_f32_e32 v16, v16, v17
	v_add_f32_e32 v18, v16, v20
	v_lshl_add_u64 v[16:17], v[106:107], 2, v[36:37]
	global_store_dword v[16:17], v18, off
	s_or_b64 exec, exec, s[2:3]
	s_and_b64 s[4:5], s[12:13], s[18:19]
	s_and_saveexec_b64 s[2:3], s[4:5]
	s_cbranch_execz .LBB43_162
.LBB43_185:
	s_and_b64 vcc, exec, s[0:1]
	s_cbranch_vccnz .LBB43_187
; %bb.186:
	v_lshl_add_u64 v[16:17], v[108:109], 2, v[38:39]
	flat_load_dword v16, v[16:17]
	s_waitcnt vmcnt(0) lgkmcnt(0)
	v_mul_f32_e32 v16, s28, v16
	s_branch .LBB43_188
.LBB43_187:
	v_mov_b32_e32 v16, 0
.LBB43_188:
	v_max_f32_e32 v17, v1, v1
	v_max_f32_e32 v13, v13, v13
	v_min_f32_e32 v13, v13, v17
	v_max_f32_e32 v17, v0, v0
	v_max_f32_e32 v12, v12, v12
	v_min_f32_e32 v12, v12, v17
	;; [unrolled: 3-line block ×3, first 2 shown]
	v_max_f32_e32 v17, v2, v2
	v_max_f32_e32 v14, v14, v14
	v_pk_add_f32 v[12:13], v[52:53], v[12:13]
	v_min_f32_e32 v14, v14, v17
	v_pk_add_f32 v[12:13], v[12:13], v[14:15]
	s_nop 0
	v_add_f32_e32 v12, v12, v13
	v_add_f32_e32 v14, v12, v16
	v_lshl_add_u64 v[12:13], v[108:109], 2, v[36:37]
	global_store_dword v[12:13], v14, off
	s_or_b64 exec, exec, s[2:3]
	s_and_b64 s[4:5], s[14:15], s[18:19]
	s_and_saveexec_b64 s[2:3], s[4:5]
	s_cbranch_execz .LBB43_163
.LBB43_189:
	s_and_b64 vcc, exec, s[0:1]
	s_cbranch_vccnz .LBB43_191
; %bb.190:
	v_lshl_add_u64 v[12:13], v[110:111], 2, v[38:39]
	flat_load_dword v12, v[12:13]
	s_waitcnt vmcnt(0) lgkmcnt(0)
	v_mul_f32_e32 v12, s28, v12
	s_branch .LBB43_192
.LBB43_191:
	v_mov_b32_e32 v12, 0
.LBB43_192:
	v_max_f32_e32 v13, v1, v1
	v_max_f32_e32 v9, v9, v9
	v_min_f32_e32 v9, v9, v13
	v_max_f32_e32 v13, v0, v0
	v_max_f32_e32 v8, v8, v8
	v_min_f32_e32 v8, v8, v13
	;; [unrolled: 3-line block ×3, first 2 shown]
	v_max_f32_e32 v13, v2, v2
	v_max_f32_e32 v10, v10, v10
	v_pk_add_f32 v[8:9], v[50:51], v[8:9]
	v_min_f32_e32 v10, v10, v13
	v_pk_add_f32 v[8:9], v[8:9], v[10:11]
	s_nop 0
	v_add_f32_e32 v8, v8, v9
	v_add_f32_e32 v10, v8, v12
	v_lshl_add_u64 v[8:9], v[110:111], 2, v[36:37]
	global_store_dword v[8:9], v10, off
	s_or_b64 exec, exec, s[2:3]
	s_and_b64 s[2:3], s[16:17], s[18:19]
	s_and_saveexec_b64 s[4:5], s[2:3]
	s_cbranch_execz .LBB43_164
.LBB43_193:
	s_and_b64 vcc, exec, s[0:1]
	s_cbranch_vccnz .LBB43_195
; %bb.194:
	v_lshl_add_u64 v[8:9], v[112:113], 2, v[38:39]
	flat_load_dword v8, v[8:9]
	s_waitcnt vmcnt(0) lgkmcnt(0)
	v_mul_f32_e32 v8, s28, v8
	s_branch .LBB43_196
.LBB43_195:
	v_mov_b32_e32 v8, 0
.LBB43_196:
	v_max_f32_e32 v0, v0, v0
	v_max_f32_e32 v4, v4, v4
	;; [unrolled: 1-line block ×4, first 2 shown]
	v_min_f32_e32 v0, v4, v0
	v_max_f32_e32 v3, v3, v3
	v_max_f32_e32 v4, v7, v7
	v_min_f32_e32 v1, v5, v1
	v_min_f32_e32 v3, v4, v3
	v_max_f32_e32 v2, v2, v2
	v_max_f32_e32 v4, v6, v6
	v_pk_add_f32 v[0:1], v[48:49], v[0:1]
	v_min_f32_e32 v2, v4, v2
	v_pk_add_f32 v[0:1], v[0:1], v[2:3]
	s_nop 0
	v_add_f32_e32 v0, v0, v1
	v_add_f32_e32 v2, v0, v8
	v_lshl_add_u64 v[0:1], v[112:113], 2, v[36:37]
	global_store_dword v[0:1], v2, off
	s_endpgm
	.section	.rodata,"a",@progbits
	.p2align	6, 0x0
	.amdhsa_kernel _ZN12_GLOBAL__N_120geam_min_plus_kernelIf15HIP_vector_typeIfLj2EES2_Li8ELi32ELi64ELi128ELi4ELi64ELi4ELi64ELi4ELc78ELc84ELb1ELb1ELb0EfKPKfKPfEEviiiT16_PT17_ilSA_ilS8_SA_ilPT18_ili26rocblas_geam_ex_operation_
		.amdhsa_group_segment_fixed_size 6144
		.amdhsa_private_segment_fixed_size 0
		.amdhsa_kernarg_size 128
		.amdhsa_user_sgpr_count 2
		.amdhsa_user_sgpr_dispatch_ptr 0
		.amdhsa_user_sgpr_queue_ptr 0
		.amdhsa_user_sgpr_kernarg_segment_ptr 1
		.amdhsa_user_sgpr_dispatch_id 0
		.amdhsa_user_sgpr_kernarg_preload_length 0
		.amdhsa_user_sgpr_kernarg_preload_offset 0
		.amdhsa_user_sgpr_private_segment_size 0
		.amdhsa_uses_dynamic_stack 0
		.amdhsa_enable_private_segment 0
		.amdhsa_system_sgpr_workgroup_id_x 1
		.amdhsa_system_sgpr_workgroup_id_y 0
		.amdhsa_system_sgpr_workgroup_id_z 1
		.amdhsa_system_sgpr_workgroup_info 0
		.amdhsa_system_vgpr_workitem_id 1
		.amdhsa_next_free_vgpr 227
		.amdhsa_next_free_sgpr 36
		.amdhsa_accum_offset 228
		.amdhsa_reserve_vcc 1
		.amdhsa_float_round_mode_32 0
		.amdhsa_float_round_mode_16_64 0
		.amdhsa_float_denorm_mode_32 3
		.amdhsa_float_denorm_mode_16_64 3
		.amdhsa_dx10_clamp 1
		.amdhsa_ieee_mode 1
		.amdhsa_fp16_overflow 0
		.amdhsa_tg_split 0
		.amdhsa_exception_fp_ieee_invalid_op 0
		.amdhsa_exception_fp_denorm_src 0
		.amdhsa_exception_fp_ieee_div_zero 0
		.amdhsa_exception_fp_ieee_overflow 0
		.amdhsa_exception_fp_ieee_underflow 0
		.amdhsa_exception_fp_ieee_inexact 0
		.amdhsa_exception_int_div_zero 0
	.end_amdhsa_kernel
	.section	.text._ZN12_GLOBAL__N_120geam_min_plus_kernelIf15HIP_vector_typeIfLj2EES2_Li8ELi32ELi64ELi128ELi4ELi64ELi4ELi64ELi4ELc78ELc84ELb1ELb1ELb0EfKPKfKPfEEviiiT16_PT17_ilSA_ilS8_SA_ilPT18_ili26rocblas_geam_ex_operation_,"axG",@progbits,_ZN12_GLOBAL__N_120geam_min_plus_kernelIf15HIP_vector_typeIfLj2EES2_Li8ELi32ELi64ELi128ELi4ELi64ELi4ELi64ELi4ELc78ELc84ELb1ELb1ELb0EfKPKfKPfEEviiiT16_PT17_ilSA_ilS8_SA_ilPT18_ili26rocblas_geam_ex_operation_,comdat
.Lfunc_end43:
	.size	_ZN12_GLOBAL__N_120geam_min_plus_kernelIf15HIP_vector_typeIfLj2EES2_Li8ELi32ELi64ELi128ELi4ELi64ELi4ELi64ELi4ELc78ELc84ELb1ELb1ELb0EfKPKfKPfEEviiiT16_PT17_ilSA_ilS8_SA_ilPT18_ili26rocblas_geam_ex_operation_, .Lfunc_end43-_ZN12_GLOBAL__N_120geam_min_plus_kernelIf15HIP_vector_typeIfLj2EES2_Li8ELi32ELi64ELi128ELi4ELi64ELi4ELi64ELi4ELc78ELc84ELb1ELb1ELb0EfKPKfKPfEEviiiT16_PT17_ilSA_ilS8_SA_ilPT18_ili26rocblas_geam_ex_operation_
                                        ; -- End function
	.section	.AMDGPU.csdata,"",@progbits
; Kernel info:
; codeLenInByte = 10984
; NumSgprs: 42
; NumVgprs: 227
; NumAgprs: 0
; TotalNumVgprs: 227
; ScratchSize: 0
; MemoryBound: 0
; FloatMode: 240
; IeeeMode: 1
; LDSByteSize: 6144 bytes/workgroup (compile time only)
; SGPRBlocks: 5
; VGPRBlocks: 28
; NumSGPRsForWavesPerEU: 42
; NumVGPRsForWavesPerEU: 227
; AccumOffset: 228
; Occupancy: 2
; WaveLimiterHint : 1
; COMPUTE_PGM_RSRC2:SCRATCH_EN: 0
; COMPUTE_PGM_RSRC2:USER_SGPR: 2
; COMPUTE_PGM_RSRC2:TRAP_HANDLER: 0
; COMPUTE_PGM_RSRC2:TGID_X_EN: 1
; COMPUTE_PGM_RSRC2:TGID_Y_EN: 0
; COMPUTE_PGM_RSRC2:TGID_Z_EN: 1
; COMPUTE_PGM_RSRC2:TIDIG_COMP_CNT: 1
; COMPUTE_PGM_RSRC3_GFX90A:ACCUM_OFFSET: 56
; COMPUTE_PGM_RSRC3_GFX90A:TG_SPLIT: 0
	.section	.text._ZN12_GLOBAL__N_120geam_min_plus_kernelIf15HIP_vector_typeIfLj2EES2_Li8ELi32ELi64ELi128ELi4ELi64ELi4ELi64ELi4ELc78ELc84ELb0ELb1ELb0EfKPKfKPfEEviiiT16_PT17_ilSA_ilS8_SA_ilPT18_ili26rocblas_geam_ex_operation_,"axG",@progbits,_ZN12_GLOBAL__N_120geam_min_plus_kernelIf15HIP_vector_typeIfLj2EES2_Li8ELi32ELi64ELi128ELi4ELi64ELi4ELi64ELi4ELc78ELc84ELb0ELb1ELb0EfKPKfKPfEEviiiT16_PT17_ilSA_ilS8_SA_ilPT18_ili26rocblas_geam_ex_operation_,comdat
	.globl	_ZN12_GLOBAL__N_120geam_min_plus_kernelIf15HIP_vector_typeIfLj2EES2_Li8ELi32ELi64ELi128ELi4ELi64ELi4ELi64ELi4ELc78ELc84ELb0ELb1ELb0EfKPKfKPfEEviiiT16_PT17_ilSA_ilS8_SA_ilPT18_ili26rocblas_geam_ex_operation_ ; -- Begin function _ZN12_GLOBAL__N_120geam_min_plus_kernelIf15HIP_vector_typeIfLj2EES2_Li8ELi32ELi64ELi128ELi4ELi64ELi4ELi64ELi4ELc78ELc84ELb0ELb1ELb0EfKPKfKPfEEviiiT16_PT17_ilSA_ilS8_SA_ilPT18_ili26rocblas_geam_ex_operation_
	.p2align	8
	.type	_ZN12_GLOBAL__N_120geam_min_plus_kernelIf15HIP_vector_typeIfLj2EES2_Li8ELi32ELi64ELi128ELi4ELi64ELi4ELi64ELi4ELc78ELc84ELb0ELb1ELb0EfKPKfKPfEEviiiT16_PT17_ilSA_ilS8_SA_ilPT18_ili26rocblas_geam_ex_operation_,@function
_ZN12_GLOBAL__N_120geam_min_plus_kernelIf15HIP_vector_typeIfLj2EES2_Li8ELi32ELi64ELi128ELi4ELi64ELi4ELi64ELi4ELc78ELc84ELb0ELb1ELb0EfKPKfKPfEEviiiT16_PT17_ilSA_ilS8_SA_ilPT18_ili26rocblas_geam_ex_operation_: ; @_ZN12_GLOBAL__N_120geam_min_plus_kernelIf15HIP_vector_typeIfLj2EES2_Li8ELi32ELi64ELi128ELi4ELi64ELi4ELi64ELi4ELc78ELc84ELb0ELb1ELb0EfKPKfKPfEEviiiT16_PT17_ilSA_ilS8_SA_ilPT18_ili26rocblas_geam_ex_operation_
; %bb.0:
	s_load_dwordx4 s[20:23], s[0:1], 0x0
	s_load_dwordx4 s[4:7], s[0:1], 0x20
	s_mov_b32 s12, s3
	s_mov_b32 s13, 0
	s_waitcnt lgkmcnt(0)
	v_cmp_eq_f32_e64 s[8:9], s23, 0
	v_cmp_neq_f32_e64 s[10:11], s23, 0
	s_and_b64 vcc, exec, s[8:9]
	s_cbranch_vccnz .LBB44_3
; %bb.1:
	s_load_dwordx2 s[14:15], s[0:1], 0x10
	s_lshl_b64 s[16:17], s[12:13], 3
	s_waitcnt lgkmcnt(0)
	s_add_u32 s14, s14, s16
	s_addc_u32 s15, s15, s17
	s_load_dwordx2 s[14:15], s[14:15], 0x0
	s_lshl_b64 s[4:5], s[4:5], 2
	s_waitcnt lgkmcnt(0)
	s_add_u32 s18, s14, s4
	s_addc_u32 s19, s15, s5
	s_andn2_b64 vcc, exec, s[8:9]
	s_cbranch_vccnz .LBB44_4
.LBB44_2:
	s_mov_b64 s[14:15], 0
	s_cbranch_execz .LBB44_5
	s_branch .LBB44_6
.LBB44_3:
	s_mov_b64 s[18:19], 0
	s_andn2_b64 vcc, exec, s[8:9]
	s_cbranch_vccz .LBB44_2
.LBB44_4:
                                        ; implicit-def: $sgpr14_sgpr15
.LBB44_5:
	s_lshl_b64 s[8:9], s[12:13], 3
	s_add_u32 s6, s6, s8
	s_load_dwordx2 s[4:5], s[0:1], 0x38
	s_addc_u32 s7, s7, s9
	s_load_dwordx2 s[6:7], s[6:7], 0x0
	s_waitcnt lgkmcnt(0)
	s_lshl_b64 s[4:5], s[4:5], 2
	s_add_u32 s14, s6, s4
	s_addc_u32 s15, s7, s5
.LBB44_6:
	s_load_dword s30, s[0:1], 0x40
	s_load_dwordx4 s[4:7], s[0:1], 0x58
	s_waitcnt lgkmcnt(0)
	v_cmp_eq_f32_e64 s[16:17], s30, 0
	v_cmp_neq_f32_e64 s[8:9], s30, 0
	s_and_b64 vcc, exec, s[16:17]
	s_cbranch_vccnz .LBB44_8
; %bb.7:
	s_load_dwordx2 s[16:17], s[0:1], 0x48
	s_lshl_b64 s[24:25], s[12:13], 3
	s_waitcnt lgkmcnt(0)
	s_add_u32 s16, s16, s24
	s_addc_u32 s17, s17, s25
	s_load_dwordx2 s[16:17], s[16:17], 0x0
	s_lshl_b64 s[4:5], s[4:5], 2
	s_waitcnt lgkmcnt(0)
	s_add_u32 s24, s16, s4
	s_addc_u32 s25, s17, s5
	s_branch .LBB44_9
.LBB44_8:
	s_mov_b64 s[24:25], 0
.LBB44_9:
	s_load_dword s26, s[0:1], 0x18
	s_lshl_b64 s[4:5], s[12:13], 3
	v_and_b32_e32 v202, 0x3ff, v0
	v_bfe_u32 v203, v0, 10, 10
	v_mov_b32_e32 v8, 0
	s_waitcnt lgkmcnt(0)
	s_ashr_i32 s27, s26, 31
	s_add_u32 s6, s6, s4
	s_addc_u32 s7, s7, s5
	s_add_i32 s3, s20, -1
	s_ashr_i32 s4, s3, 31
	s_lshr_b32 s4, s4, 26
	s_add_i32 s3, s3, s4
	s_ashr_i32 s3, s3, 6
	s_add_i32 s16, s3, 1
	v_cvt_f32_u32_e32 v1, s16
	s_load_dwordx2 s[12:13], s[6:7], 0x0
	s_not_b32 s3, s3
	v_mov_b32_e32 v9, 0
	v_rcp_iflag_f32_e32 v0, v1
	v_lshl_add_u32 v1, v203, 3, v202
	v_and_b32_e32 v7, 63, v1
	v_lshrrev_b32_e32 v204, 6, v1
	v_mul_f32_e32 v0, 0x4f7ffffe, v0
	v_cvt_u32_f32_e32 v0, v0
	v_cmp_gt_i32_e64 s[4:5], s22, v204
	v_readfirstlane_b32 s6, v0
	s_mul_i32 s3, s3, s6
	s_mul_hi_u32 s3, s6, s3
	s_add_i32 s6, s6, s3
	s_mul_hi_u32 s3, s2, s6
	s_mul_i32 s6, s3, s16
	s_sub_i32 s6, s2, s6
	s_add_i32 s7, s3, 1
	s_sub_i32 s17, s6, s16
	s_cmp_ge_u32 s6, s16
	s_cselect_b32 s3, s7, s3
	s_cselect_b32 s6, s17, s6
	s_add_i32 s7, s3, 1
	s_cmp_ge_u32 s6, s16
	s_cselect_b32 s6, s7, s3
	s_mul_i32 s3, s6, s16
	s_sub_i32 s2, s2, s3
	s_lshl_b32 s31, s2, 6
	v_or_b32_e32 v0, s31, v7
	v_cmp_gt_i32_e32 vcc, s20, v0
	s_and_b64 s[2:3], s[4:5], vcc
	s_and_b64 s[4:5], s[10:11], s[2:3]
	v_ashrrev_i32_e32 v1, 31, v0
	s_and_saveexec_b64 s[2:3], s[4:5]
	s_cbranch_execz .LBB44_11
; %bb.10:
	v_mad_i64_i32 v[2:3], s[4:5], s26, v204, 0
	v_lshl_add_u64 v[2:3], v[2:3], 2, s[18:19]
	v_lshl_add_u64 v[2:3], v[0:1], 2, v[2:3]
	flat_load_dword v2, v[2:3]
	s_waitcnt vmcnt(0) lgkmcnt(0)
	v_mul_f32_e32 v9, s23, v2
.LBB44_11:
	s_or_b64 exec, exec, s[2:3]
	s_load_dword s34, s[0:1], 0x30
	s_add_i32 s35, s22, -1
	s_lshl_b32 s33, s6, 7
	v_min_i32_e32 v2, s35, v204
	v_or_b32_e32 v72, s33, v7
	s_waitcnt lgkmcnt(0)
	v_mad_i64_i32 v[2:3], s[2:3], s34, v2, 0
	v_cmp_le_i32_e64 s[6:7], s22, v204
	v_cmp_le_i32_e64 s[2:3], s21, v72
	s_or_b64 s[4:5], s[6:7], s[2:3]
	s_xor_b64 s[16:17], s[10:11], -1
	s_or_b64 s[4:5], s[4:5], s[16:17]
	v_lshl_add_u64 v[2:3], v[2:3], 2, s[14:15]
	s_xor_b64 s[28:29], s[4:5], -1
	v_ashrrev_i32_e32 v73, 31, v72
	s_and_saveexec_b64 s[4:5], s[28:29]
	s_cbranch_execz .LBB44_13
; %bb.12:
	v_lshl_add_u64 v[4:5], v[72:73], 2, v[2:3]
	flat_load_dword v4, v[4:5]
	s_waitcnt vmcnt(0) lgkmcnt(0)
	v_mul_f32_e32 v8, s23, v4
.LBB44_13:
	s_or_b64 exec, exec, s[4:5]
	v_or_b32_e32 v4, 64, v72
	v_cmp_le_i32_e64 s[4:5], s21, v4
	s_or_b64 s[6:7], s[6:7], s[4:5]
	s_or_b64 s[6:7], s[6:7], s[16:17]
	s_xor_b64 s[28:29], s[6:7], -1
	v_mov_b32_e32 v4, 0
	v_mov_b32_e32 v10, 0
	s_and_saveexec_b64 s[6:7], s[28:29]
	s_cbranch_execz .LBB44_15
; %bb.14:
	v_lshl_add_u64 v[2:3], v[72:73], 2, v[2:3]
	flat_load_dword v2, v[2:3] offset:256
	s_waitcnt vmcnt(0) lgkmcnt(0)
	v_mul_f32_e32 v10, s23, v2
.LBB44_15:
	s_or_b64 exec, exec, s[6:7]
	v_add_u32_e32 v2, 4, v204
	v_cmp_gt_i32_e64 s[6:7], s22, v2
	s_and_b64 s[6:7], vcc, s[6:7]
	s_and_b64 s[28:29], s[10:11], s[6:7]
	s_and_saveexec_b64 s[6:7], s[28:29]
	s_cbranch_execz .LBB44_17
; %bb.16:
	v_mad_u64_u32 v[4:5], s[28:29], s26, v2, 0
	v_mov_b32_e32 v6, v5
	v_mad_u64_u32 v[12:13], s[28:29], s27, v2, v[6:7]
	v_mov_b32_e32 v5, v12
	v_lshl_add_u64 v[4:5], v[4:5], 2, s[18:19]
	v_lshl_add_u64 v[4:5], v[0:1], 2, v[4:5]
	flat_load_dword v3, v[4:5]
	s_waitcnt vmcnt(0) lgkmcnt(0)
	v_mul_f32_e32 v4, s23, v3
.LBB44_17:
	s_or_b64 exec, exec, s[6:7]
	v_cmp_le_i32_e64 s[6:7], s22, v2
	v_min_i32_e32 v2, s35, v2
	v_mad_i64_i32 v[2:3], s[28:29], s34, v2, 0
	s_or_b64 s[28:29], s[2:3], s[6:7]
	s_or_b64 s[28:29], s[28:29], s[16:17]
	v_lshl_add_u64 v[2:3], v[2:3], 2, s[14:15]
	s_xor_b64 s[36:37], s[28:29], -1
	v_mov_b32_e32 v5, 0
	v_mov_b32_e32 v6, 0
	s_and_saveexec_b64 s[28:29], s[36:37]
	s_cbranch_execz .LBB44_19
; %bb.18:
	v_lshl_add_u64 v[12:13], v[72:73], 2, v[2:3]
	flat_load_dword v6, v[12:13]
	s_waitcnt vmcnt(0) lgkmcnt(0)
	v_mul_f32_e32 v6, s23, v6
.LBB44_19:
	s_or_b64 exec, exec, s[28:29]
	s_or_b64 s[6:7], s[4:5], s[6:7]
	s_or_b64 s[6:7], s[6:7], s[16:17]
	s_xor_b64 s[28:29], s[6:7], -1
	s_and_saveexec_b64 s[6:7], s[28:29]
	s_cbranch_execz .LBB44_21
; %bb.20:
	v_lshl_add_u64 v[2:3], v[72:73], 2, v[2:3]
	flat_load_dword v2, v[2:3] offset:256
	s_waitcnt vmcnt(0) lgkmcnt(0)
	v_mul_f32_e32 v5, s23, v2
.LBB44_21:
	s_or_b64 exec, exec, s[6:7]
	v_lshlrev_b32_e32 v2, 2, v204
	v_lshl_add_u32 v207, v7, 4, v2
	v_lshlrev_b32_e32 v206, 4, v203
	ds_write_b32 v207, v9 offset:4096
	ds_write2st64_b32 v207, v8, v10 offset1:4
	s_waitcnt lgkmcnt(0)
	s_barrier
	ds_read_b128 v[8:11], v206
	v_lshlrev_b32_e32 v205, 4, v202
	ds_read_b128 v[12:15], v205 offset:4992
	ds_read_b128 v[16:19], v206 offset:512
	;; [unrolled: 1-line block ×5, first 2 shown]
	s_waitcnt lgkmcnt(5)
	v_max_f32_e32 v7, v9, v9
	v_max_f32_e32 v56, v8, v8
	ds_read_b128 v[32:35], v205 offset:4096
	ds_read_b128 v[36:39], v205 offset:4224
	v_max_f32_e32 v112, v11, v11
	v_max_f32_e32 v113, v10, v10
	ds_read_b128 v[8:11], v205 offset:4352
	s_waitcnt lgkmcnt(7)
	v_max_f32_e32 v60, v13, v13
	v_max_f32_e32 v61, v12, v12
	s_waitcnt lgkmcnt(6)
	v_max_f32_e32 v58, v17, v17
	v_max_f32_e32 v59, v16, v16
	s_waitcnt lgkmcnt(3)
	v_max_f32_e32 v62, v29, v29
	v_max_f32_e32 v63, v28, v28
	s_waitcnt lgkmcnt(2)
	v_max_f32_e32 v28, v32, v32
	v_max_f32_e32 v29, v33, v33
	v_max_f32_e32 v120, v15, v15
	v_max_f32_e32 v121, v14, v14
	ds_read_b128 v[12:15], v205 offset:4480
	v_max_f32_e32 v122, v19, v19
	v_max_f32_e32 v123, v18, v18
	s_waitcnt lgkmcnt(1)
	v_max_f32_e32 v32, v8, v8
	v_max_f32_e32 v33, v9, v9
	;; [unrolled: 1-line block ×3, first 2 shown]
	ds_read_b128 v[16:19], v205 offset:4608
	v_max_f32_e32 v75, v11, v11
	ds_read_b128 v[8:11], v205 offset:4736
	v_max_f32_e32 v64, v25, v25
	v_max_f32_e32 v65, v24, v24
	;; [unrolled: 1-line block ×4, first 2 shown]
	s_waitcnt lgkmcnt(2)
	v_max_f32_e32 v36, v12, v12
	v_max_f32_e32 v37, v13, v13
	s_waitcnt lgkmcnt(1)
	v_max_f32_e32 v44, v16, v16
	v_max_f32_e32 v45, v17, v17
	;; [unrolled: 3-line block ×3, first 2 shown]
	v_max_f32_e32 v76, v20, v20
	v_max_f32_e32 v77, v21, v21
	v_min_f32_e32 v55, v60, v7
	v_min_f32_e32 v54, v61, v56
	v_max_f32_e32 v125, v30, v30
	v_max_f32_e32 v126, v27, v27
	;; [unrolled: 1-line block ×12, first 2 shown]
	v_min_f32_e32 v2, v28, v56
	v_min_f32_e32 v3, v29, v7
	;; [unrolled: 1-line block ×42, first 2 shown]
	v_pk_add_f32 v[54:55], v[54:55], 0 op_sel_hi:[1,0]
	v_min_f32_e32 v61, v120, v112
	v_min_f32_e32 v60, v121, v113
	v_max_f32_e32 v124, v31, v31
	v_pk_add_f32 v[98:99], v[54:55], v[60:61]
	v_pk_add_f32 v[54:55], v[56:57], 0 op_sel_hi:[1,0]
	v_min_f32_e32 v57, v120, v122
	v_min_f32_e32 v56, v121, v123
	v_max_f32_e32 v68, v34, v34
	v_max_f32_e32 v69, v35, v35
	v_pk_add_f32 v[82:83], v[54:55], v[56:57]
	v_pk_add_f32 v[54:55], v[58:59], 0 op_sel_hi:[1,0]
	v_min_f32_e32 v57, v120, v124
	v_min_f32_e32 v56, v121, v125
	v_max_f32_e32 v71, v39, v39
	v_min_f32_e32 v31, v37, v7
	v_min_f32_e32 v34, v36, v63
	;; [unrolled: 1-line block ×17, first 2 shown]
	v_pk_add_f32 v[64:65], v[54:55], v[56:57]
	v_pk_add_f32 v[2:3], v[2:3], 0 op_sel_hi:[1,0]
	v_min_f32_e32 v54, v68, v113
	v_min_f32_e32 v55, v69, v112
	v_pk_add_f32 v[118:119], v[2:3], v[54:55]
	v_pk_add_f32 v[2:3], v[8:9], 0 op_sel_hi:[1,0]
	v_min_f32_e32 v8, v68, v123
	v_min_f32_e32 v9, v69, v122
	;; [unrolled: 4-line block ×3, first 2 shown]
	v_pk_add_f32 v[80:81], v[2:3], v[8:9]
	v_min_f32_e32 v3, v69, v126
	v_min_f32_e32 v2, v68, v127
	v_pk_add_f32 v[8:9], v[12:13], 0 op_sel_hi:[1,0]
	v_min_f32_e32 v100, v76, v63
	v_min_f32_e32 v101, v77, v62
	v_pk_add_f32 v[62:63], v[8:9], v[2:3]
	v_pk_add_f32 v[2:3], v[14:15], 0 op_sel_hi:[1,0]
	v_min_f32_e32 v8, v70, v113
	v_min_f32_e32 v9, v71, v112
	v_pk_add_f32 v[116:117], v[2:3], v[8:9]
	;; [unrolled: 4-line block ×4, first 2 shown]
	v_min_f32_e32 v3, v71, v126
	v_min_f32_e32 v2, v70, v127
	v_pk_add_f32 v[8:9], v[20:21], 0 op_sel_hi:[1,0]
	v_min_f32_e32 v67, v77, v7
	v_pk_add_f32 v[60:61], v[8:9], v[2:3]
	v_pk_add_f32 v[2:3], v[22:23], 0 op_sel_hi:[1,0]
	v_min_f32_e32 v8, v74, v113
	v_min_f32_e32 v9, v75, v112
	v_pk_add_f32 v[114:115], v[2:3], v[8:9]
	v_pk_add_f32 v[2:3], v[24:25], 0 op_sel_hi:[1,0]
	v_min_f32_e32 v8, v74, v123
	;; [unrolled: 4-line block ×3, first 2 shown]
	v_min_f32_e32 v9, v75, v124
	v_pk_add_f32 v[76:77], v[2:3], v[8:9]
	v_min_f32_e32 v3, v75, v126
	v_min_f32_e32 v2, v74, v127
	v_pk_add_f32 v[8:9], v[28:29], 0 op_sel_hi:[1,0]
	s_cmp_lt_i32 s22, 9
	v_pk_add_f32 v[58:59], v[8:9], v[2:3]
	v_pk_add_f32 v[2:3], v[30:31], 0 op_sel_hi:[1,0]
	v_min_f32_e32 v8, v86, v113
	v_min_f32_e32 v9, v87, v112
	v_pk_add_f32 v[106:107], v[2:3], v[8:9]
	v_pk_add_f32 v[2:3], v[32:33], 0 op_sel_hi:[1,0]
	v_min_f32_e32 v8, v86, v123
	v_min_f32_e32 v9, v87, v122
	;; [unrolled: 4-line block ×3, first 2 shown]
	v_pk_add_f32 v[74:75], v[2:3], v[8:9]
	v_min_f32_e32 v3, v87, v126
	v_min_f32_e32 v2, v86, v127
	v_pk_add_f32 v[8:9], v[36:37], 0 op_sel_hi:[1,0]
	ds_write2st64_b32 v207, v6, v5 offset0:8 offset1:12
	ds_write_b32 v207, v4 offset:5120
	v_pk_add_f32 v[56:57], v[8:9], v[2:3]
	v_pk_add_f32 v[2:3], v[38:39], 0 op_sel_hi:[1,0]
	v_min_f32_e32 v8, v110, v113
	v_min_f32_e32 v9, v111, v112
	v_pk_add_f32 v[108:109], v[2:3], v[8:9]
	v_pk_add_f32 v[2:3], v[40:41], 0 op_sel_hi:[1,0]
	v_min_f32_e32 v8, v110, v123
	v_min_f32_e32 v9, v111, v122
	v_pk_add_f32 v[88:89], v[2:3], v[8:9]
	v_pk_add_f32 v[2:3], v[42:43], 0 op_sel_hi:[1,0]
	v_min_f32_e32 v8, v110, v125
	v_min_f32_e32 v9, v111, v124
	v_pk_add_f32 v[70:71], v[2:3], v[8:9]
	v_min_f32_e32 v3, v111, v126
	v_min_f32_e32 v2, v110, v127
	v_pk_add_f32 v[8:9], v[44:45], 0 op_sel_hi:[1,0]
	s_waitcnt lgkmcnt(0)
	v_pk_add_f32 v[54:55], v[8:9], v[2:3]
	v_pk_add_f32 v[2:3], v[46:47], 0 op_sel_hi:[1,0]
	v_min_f32_e32 v8, v128, v113
	v_min_f32_e32 v9, v129, v112
	v_pk_add_f32 v[110:111], v[2:3], v[8:9]
	v_pk_add_f32 v[2:3], v[48:49], 0 op_sel_hi:[1,0]
	v_min_f32_e32 v8, v128, v123
	v_min_f32_e32 v9, v129, v122
	;; [unrolled: 4-line block ×3, first 2 shown]
	v_pk_add_f32 v[68:69], v[2:3], v[8:9]
	v_min_f32_e32 v3, v129, v126
	v_min_f32_e32 v2, v128, v127
	v_pk_add_f32 v[8:9], v[52:53], 0 op_sel_hi:[1,0]
	s_barrier
	v_pk_add_f32 v[52:53], v[8:9], v[2:3]
	v_min_f32_e32 v2, v130, v113
	v_min_f32_e32 v3, v131, v112
	v_pk_add_f32 v[8:9], v[66:67], 0 op_sel_hi:[1,0]
	s_nop 0
	v_pk_add_f32 v[112:113], v[8:9], v[2:3]
	v_min_f32_e32 v2, v130, v123
	v_min_f32_e32 v3, v131, v122
	v_pk_add_f32 v[8:9], v[84:85], 0 op_sel_hi:[1,0]
	s_nop 0
	;; [unrolled: 5-line block ×5, first 2 shown]
	v_pk_add_f32 v[48:49], v[8:9], v[2:3]
	s_cbranch_scc1 .LBB44_36
; %bb.22:
	v_lshl_add_u64 v[100:101], v[0:1], 2, s[18:19]
	v_mov_b32_e32 v0, 0x1400
	v_lshl_add_u32 v212, v202, 4, v0
	v_mov_b32_e32 v0, 0x800
	v_lshl_add_u32 v213, v203, 4, v0
	v_add_u32_e32 v0, 12, v204
	v_mad_i64_i32 v[0:1], s[6:7], v0, s26, 0
	v_lshlrev_b64 v[102:103], 2, v[0:1]
	v_add_u32_e32 v0, 8, v204
	v_mad_i64_i32 v[0:1], s[6:7], v0, s26, 0
	v_or_b32_e32 v208, 0x1000, v207
	v_add_u32_e32 v209, 0x1000, v205
	v_add_u32_e32 v210, 0x1400, v207
	v_or_b32_e32 v211, 0x800, v207
	s_add_i32 s28, s22, -8
	s_lshl_b64 s[18:19], s[26:27], 5
	v_lshlrev_b64 v[104:105], 2, v[0:1]
	s_mov_b32 s29, 0
	s_branch .LBB44_24
.LBB44_23:                              ;   in Loop: Header=BB44_24 Depth=1
	s_or_b64 exec, exec, s[6:7]
	v_pk_add_f32 v[40:41], v[98:99], v[40:41]
	v_pk_add_f32 v[32:33], v[64:65], v[32:33]
	;; [unrolled: 1-line block ×19, first 2 shown]
	ds_read_b128 v[0:3], v206
	ds_read_b128 v[8:11], v206 offset:512
	v_pk_add_f32 v[20:21], v[118:119], v[6:7]
	ds_read_b128 v[4:7], v209 offset:896
	v_pk_add_f32 v[44:45], v[96:97], v[44:45]
	v_pk_add_f32 v[28:29], v[80:81], v[28:29]
	;; [unrolled: 1-line block ×20, first 2 shown]
	ds_read_b128 v[12:15], v209 offset:768
	s_waitcnt lgkmcnt(1)
	v_max_f32_e32 v95, v5, v5
	v_max_f32_e32 v97, v4, v4
	;; [unrolled: 1-line block ×4, first 2 shown]
	v_pk_add_f32 v[78:79], v[36:37], v[38:39]
	v_pk_add_f32 v[74:75], v[28:29], v[30:31]
	;; [unrolled: 1-line block ×6, first 2 shown]
	ds_read_b128 v[82:85], v206 offset:1536
	ds_read_b128 v[86:89], v206 offset:1024
	v_min_f32_e32 v5, v95, v98
	v_min_f32_e32 v4, v97, v99
	v_pk_add_f32 v[60:61], v[62:63], v[166:167]
	v_pk_add_f32 v[62:63], v[80:81], v[164:165]
	;; [unrolled: 1-line block ×3, first 2 shown]
	ds_read_b128 v[78:81], v209
	v_pk_add_f32 v[114:115], v[54:55], v[146:147]
	v_pk_add_f32 v[92:93], v[92:93], v[130:131]
	;; [unrolled: 1-line block ×4, first 2 shown]
	s_waitcnt lgkmcnt(1)
	v_max_f32_e32 v114, v87, v87
	v_max_f32_e32 v115, v86, v86
	v_pk_add_f32 v[54:55], v[92:93], v[170:171]
	v_pk_add_f32 v[46:47], v[90:91], v[176:177]
	ds_read_b128 v[90:93], v209 offset:128
	v_max_f32_e32 v94, v1, v1
	v_max_f32_e32 v96, v0, v0
	v_min_f32_e32 v9, v95, v114
	v_min_f32_e32 v8, v97, v115
	s_waitcnt lgkmcnt(1)
	v_max_f32_e32 v86, v78, v78
	v_max_f32_e32 v87, v79, v79
	v_pk_add_f32 v[8:9], v[76:77], v[8:9]
	v_min_f32_e32 v76, v86, v96
	v_min_f32_e32 v77, v87, v94
	v_pk_add_f32 v[76:77], v[68:69], v[76:77]
	v_min_f32_e32 v68, v86, v99
	v_min_f32_e32 v69, v87, v98
	;; [unrolled: 3-line block ×3, first 2 shown]
	v_max_f32_e32 v83, v83, v83
	v_max_f32_e32 v82, v82, v82
	v_pk_add_f32 v[66:67], v[24:25], v[26:27]
	v_pk_add_f32 v[74:75], v[74:75], v[68:69]
	v_min_f32_e32 v69, v87, v83
	v_min_f32_e32 v68, v86, v82
	v_pk_add_f32 v[86:87], v[66:67], v[68:69]
	s_waitcnt lgkmcnt(0)
	v_max_f32_e32 v68, v90, v90
	v_max_f32_e32 v69, v91, v91
	v_min_f32_e32 v66, v68, v96
	v_min_f32_e32 v67, v69, v94
	v_pk_add_f32 v[60:61], v[60:61], v[66:67]
	v_min_f32_e32 v66, v68, v99
	v_min_f32_e32 v67, v69, v98
	v_pk_add_f32 v[90:91], v[62:63], v[66:67]
	;; [unrolled: 3-line block ×3, first 2 shown]
	v_pk_add_f32 v[106:107], v[64:65], v[62:63]
	ds_read_b128 v[64:67], v209 offset:256
	v_min_f32_e32 v63, v69, v83
	v_min_f32_e32 v62, v68, v82
	ds_read_b128 v[68:71], v209 offset:384
	v_pk_add_f32 v[58:59], v[58:59], v[62:63]
	s_waitcnt lgkmcnt(1)
	v_max_f32_e32 v64, v64, v64
	v_max_f32_e32 v65, v65, v65
	v_min_f32_e32 v62, v64, v96
	v_min_f32_e32 v63, v65, v94
	v_pk_add_f32 v[52:53], v[52:53], v[62:63]
	v_min_f32_e32 v62, v64, v99
	v_min_f32_e32 v63, v65, v98
	v_pk_add_f32 v[54:55], v[54:55], v[62:63]
	;; [unrolled: 3-line block ×3, first 2 shown]
	v_pk_add_f32 v[56:57], v[56:57], v[62:63]
	v_min_f32_e32 v63, v65, v83
	v_min_f32_e32 v62, v64, v82
	v_pk_add_f32 v[36:37], v[108:109], v[184:185]
	v_pk_add_f32 v[108:109], v[50:51], v[62:63]
	s_waitcnt lgkmcnt(0)
	v_max_f32_e32 v62, v68, v68
	v_max_f32_e32 v63, v69, v69
	v_min_f32_e32 v50, v62, v96
	v_min_f32_e32 v51, v63, v94
	v_pk_add_f32 v[110:111], v[110:111], v[150:151]
	v_pk_add_f32 v[68:69], v[44:45], v[50:51]
	v_min_f32_e32 v44, v62, v99
	v_min_f32_e32 v45, v63, v98
	v_pk_add_f32 v[112:113], v[112:113], v[156:157]
	v_pk_add_f32 v[28:29], v[110:111], v[194:195]
	;; [unrolled: 1-line block ×3, first 2 shown]
	v_min_f32_e32 v44, v62, v115
	v_min_f32_e32 v45, v63, v114
	v_pk_add_f32 v[24:25], v[112:113], v[200:201]
	v_pk_add_f32 v[112:113], v[48:49], v[44:45]
	ds_read_b128 v[44:47], v209 offset:512
	v_min_f32_e32 v49, v63, v83
	v_min_f32_e32 v48, v62, v82
	v_pk_add_f32 v[42:43], v[42:43], v[48:49]
	ds_read_b128 v[48:51], v209 offset:640
	s_waitcnt lgkmcnt(1)
	v_max_f32_e32 v62, v44, v44
	v_max_f32_e32 v63, v45, v45
	v_min_f32_e32 v44, v62, v96
	v_min_f32_e32 v45, v63, v94
	v_pk_add_f32 v[36:37], v[36:37], v[44:45]
	v_min_f32_e32 v44, v62, v99
	v_min_f32_e32 v45, v63, v98
	v_pk_add_f32 v[38:39], v[38:39], v[44:45]
	;; [unrolled: 3-line block ×3, first 2 shown]
	v_min_f32_e32 v45, v63, v83
	v_min_f32_e32 v44, v62, v82
	s_waitcnt lgkmcnt(0)
	v_max_f32_e32 v48, v48, v48
	v_max_f32_e32 v49, v49, v49
	v_pk_add_f32 v[34:35], v[34:35], v[44:45]
	v_min_f32_e32 v44, v48, v96
	v_min_f32_e32 v45, v49, v94
	v_pk_add_f32 v[28:29], v[28:29], v[44:45]
	v_min_f32_e32 v44, v48, v99
	v_min_f32_e32 v45, v49, v98
	;; [unrolled: 3-line block ×3, first 2 shown]
	v_pk_add_f32 v[26:27], v[116:117], v[196:197]
	v_pk_add_f32 v[32:33], v[32:33], v[44:45]
	v_min_f32_e32 v45, v49, v83
	v_min_f32_e32 v44, v48, v82
	v_pk_add_f32 v[26:27], v[26:27], v[44:45]
	v_max_f32_e32 v44, v12, v12
	v_max_f32_e32 v45, v13, v13
	v_min_f32_e32 v12, v44, v96
	v_min_f32_e32 v13, v45, v94
	v_pk_add_f32 v[12:13], v[24:25], v[12:13]
	v_min_f32_e32 v24, v44, v99
	v_min_f32_e32 v25, v45, v98
	v_pk_add_f32 v[22:23], v[22:23], v[24:25]
	;; [unrolled: 3-line block ×4, first 2 shown]
	v_pk_add_f32 v[20:21], v[20:21], v[24:25]
	v_min_f32_e32 v25, v95, v83
	v_min_f32_e32 v24, v97, v82
	v_min_f32_e32 v1, v95, v94
	v_min_f32_e32 v0, v97, v96
	v_pk_add_f32 v[16:17], v[16:17], v[24:25]
	v_max_f32_e32 v24, v3, v3
	v_max_f32_e32 v7, v7, v7
	;; [unrolled: 1-line block ×4, first 2 shown]
	v_pk_add_f32 v[0:1], v[122:123], v[0:1]
	v_min_f32_e32 v3, v7, v24
	v_min_f32_e32 v2, v6, v25
	v_pk_add_f32 v[98:99], v[0:1], v[2:3]
	v_max_f32_e32 v2, v11, v11
	v_max_f32_e32 v3, v10, v10
	v_min_f32_e32 v1, v7, v2
	v_min_f32_e32 v0, v6, v3
	v_pk_add_f32 v[82:83], v[4:5], v[0:1]
	v_max_f32_e32 v4, v89, v89
	v_max_f32_e32 v5, v88, v88
	;; [unrolled: 5-line block ×3, first 2 shown]
	v_min_f32_e32 v0, v8, v25
	v_min_f32_e32 v1, v9, v24
	v_pk_add_f32 v[118:119], v[76:77], v[0:1]
	v_min_f32_e32 v0, v8, v3
	v_min_f32_e32 v1, v9, v2
	v_pk_add_f32 v[96:97], v[78:79], v[0:1]
	v_min_f32_e32 v0, v8, v5
	v_min_f32_e32 v1, v9, v4
	v_max_f32_e32 v10, v85, v85
	v_pk_add_f32 v[80:81], v[74:75], v[0:1]
	v_min_f32_e32 v1, v9, v10
	v_max_f32_e32 v9, v84, v84
	v_min_f32_e32 v0, v8, v9
	v_max_f32_e32 v8, v92, v92
	v_max_f32_e32 v11, v93, v93
	v_pk_add_f32 v[62:63], v[86:87], v[0:1]
	v_min_f32_e32 v0, v8, v25
	v_min_f32_e32 v1, v11, v24
	v_pk_add_f32 v[116:117], v[60:61], v[0:1]
	v_min_f32_e32 v0, v8, v3
	v_min_f32_e32 v1, v11, v2
	v_pk_add_f32 v[94:95], v[90:91], v[0:1]
	v_min_f32_e32 v0, v8, v5
	v_min_f32_e32 v1, v11, v4
	v_pk_add_f32 v[78:79], v[106:107], v[0:1]
	v_min_f32_e32 v1, v11, v10
	v_min_f32_e32 v0, v8, v9
	v_max_f32_e32 v8, v66, v66
	v_max_f32_e32 v11, v67, v67
	v_pk_add_f32 v[60:61], v[58:59], v[0:1]
	v_min_f32_e32 v0, v8, v25
	v_min_f32_e32 v1, v11, v24
	v_pk_add_f32 v[114:115], v[52:53], v[0:1]
	v_min_f32_e32 v0, v8, v3
	v_min_f32_e32 v1, v11, v2
	v_pk_add_f32 v[92:93], v[54:55], v[0:1]
	v_min_f32_e32 v0, v8, v5
	v_min_f32_e32 v1, v11, v4
	v_pk_add_f32 v[76:77], v[56:57], v[0:1]
	v_min_f32_e32 v1, v11, v10
	;; [unrolled: 14-line block ×6, first 2 shown]
	v_min_f32_e32 v0, v8, v9
	v_pk_add_f32 v[50:51], v[20:21], v[0:1]
	v_min_f32_e32 v1, v7, v10
	v_min_f32_e32 v0, v6, v9
	s_add_i32 s29, s29, 8
	v_pk_add_f32 v[48:49], v[16:17], v[0:1]
	s_cmp_ge_i32 s29, s28
	v_lshl_add_u64 v[100:101], v[100:101], 0, s[18:19]
	ds_write_b32 v210, v214
	ds_write2st64_b32 v211, v216, v215 offset1:4
	s_waitcnt lgkmcnt(0)
	s_barrier
	s_cbranch_scc1 .LBB44_36
.LBB44_24:                              ; =>This Inner Loop Header: Depth=1
	v_add_u32_e32 v120, s29, v204
	v_add_u32_e32 v0, 8, v120
	v_cmp_gt_i32_e64 s[6:7], s22, v0
	s_and_b64 s[6:7], vcc, s[6:7]
	s_and_b64 s[26:27], s[10:11], s[6:7]
	v_mov_b32_e32 v121, 0
	v_mov_b32_e32 v122, 0
	s_and_saveexec_b64 s[6:7], s[26:27]
	s_cbranch_execz .LBB44_26
; %bb.25:                               ;   in Loop: Header=BB44_24 Depth=1
	v_lshl_add_u64 v[2:3], v[100:101], 0, v[104:105]
	flat_load_dword v1, v[2:3]
	s_waitcnt vmcnt(0) lgkmcnt(0)
	v_mul_f32_e32 v122, s23, v1
.LBB44_26:                              ;   in Loop: Header=BB44_24 Depth=1
	s_or_b64 exec, exec, s[6:7]
	v_cmp_le_i32_e64 s[6:7], s22, v0
	v_min_i32_e32 v0, s35, v0
	v_mad_i64_i32 v[0:1], s[26:27], v0, s34, 0
	s_or_b64 s[26:27], s[2:3], s[6:7]
	v_lshl_add_u64 v[0:1], v[0:1], 2, s[14:15]
	s_or_b64 s[26:27], s[26:27], s[16:17]
	s_xor_b64 s[36:37], s[26:27], -1
	v_lshl_add_u64 v[0:1], v[72:73], 2, v[0:1]
	s_and_saveexec_b64 s[26:27], s[36:37]
	s_cbranch_execz .LBB44_28
; %bb.27:                               ;   in Loop: Header=BB44_24 Depth=1
	flat_load_dword v2, v[0:1]
	s_waitcnt vmcnt(0) lgkmcnt(0)
	v_mul_f32_e32 v121, s23, v2
.LBB44_28:                              ;   in Loop: Header=BB44_24 Depth=1
	s_or_b64 exec, exec, s[26:27]
	s_or_b64 s[6:7], s[4:5], s[6:7]
	s_or_b64 s[6:7], s[6:7], s[16:17]
	s_xor_b64 s[26:27], s[6:7], -1
	v_mov_b32_e32 v214, 0
	v_mov_b32_e32 v123, 0
	s_and_saveexec_b64 s[6:7], s[26:27]
	s_cbranch_execz .LBB44_30
; %bb.29:                               ;   in Loop: Header=BB44_24 Depth=1
	flat_load_dword v0, v[0:1] offset:256
	s_waitcnt vmcnt(0) lgkmcnt(0)
	v_mul_f32_e32 v123, s23, v0
.LBB44_30:                              ;   in Loop: Header=BB44_24 Depth=1
	s_or_b64 exec, exec, s[6:7]
	ds_read_b128 v[40:43], v213
	ds_read_b128 v[36:39], v213 offset:512
	ds_read_b128 v[24:27], v213 offset:1536
	;; [unrolled: 1-line block ×3, first 2 shown]
	ds_read_b128 v[28:31], v212
	ds_read_b128 v[20:23], v212 offset:128
	ds_read_b128 v[16:19], v212 offset:256
	;; [unrolled: 1-line block ×7, first 2 shown]
	v_add_u32_e32 v120, 12, v120
	v_cmp_gt_i32_e64 s[6:7], s22, v120
	s_and_b64 s[6:7], vcc, s[6:7]
	s_and_b64 s[26:27], s[10:11], s[6:7]
	ds_write_b32 v208, v122
	ds_write2st64_b32 v207, v121, v123 offset1:4
	s_waitcnt lgkmcnt(0)
	s_barrier
	s_and_saveexec_b64 s[6:7], s[26:27]
	s_cbranch_execz .LBB44_32
; %bb.31:                               ;   in Loop: Header=BB44_24 Depth=1
	v_lshl_add_u64 v[122:123], v[100:101], 0, v[102:103]
	flat_load_dword v121, v[122:123]
	s_waitcnt vmcnt(0) lgkmcnt(0)
	v_mul_f32_e32 v214, s23, v121
.LBB44_32:                              ;   in Loop: Header=BB44_24 Depth=1
	s_or_b64 exec, exec, s[6:7]
	v_cmp_le_i32_e64 s[6:7], s22, v120
	v_min_i32_e32 v120, s35, v120
	v_mad_i64_i32 v[120:121], s[26:27], v120, s34, 0
	s_or_b64 s[26:27], s[2:3], s[6:7]
	v_lshl_add_u64 v[120:121], v[120:121], 2, s[14:15]
	s_or_b64 s[26:27], s[26:27], s[16:17]
	s_xor_b64 s[36:37], s[26:27], -1
	v_mov_b32_e32 v215, 0
	v_lshl_add_u64 v[120:121], v[72:73], 2, v[120:121]
	v_mov_b32_e32 v216, 0
	s_and_saveexec_b64 s[26:27], s[36:37]
	s_cbranch_execz .LBB44_34
; %bb.33:                               ;   in Loop: Header=BB44_24 Depth=1
	flat_load_dword v122, v[120:121]
	s_waitcnt vmcnt(0) lgkmcnt(0)
	v_mul_f32_e32 v216, s23, v122
.LBB44_34:                              ;   in Loop: Header=BB44_24 Depth=1
	s_or_b64 exec, exec, s[26:27]
	v_max_f32_e32 v154, v41, v41
	v_max_f32_e32 v160, v45, v45
	;; [unrolled: 1-line block ×34, first 2 shown]
	s_or_b64 s[6:7], s[4:5], s[6:7]
	v_min_f32_e32 v41, v160, v154
	v_min_f32_e32 v40, v162, v155
	;; [unrolled: 1-line block ×62, first 2 shown]
	v_max_f32_e32 v191, v47, v47
	v_max_f32_e32 v217, v46, v46
	;; [unrolled: 1-line block ×12, first 2 shown]
	v_min_f32_e32 v194, v6, v198
	v_min_f32_e32 v195, v7, v190
	v_min_f32_e32 v192, v6, v218
	v_min_f32_e32 v193, v7, v199
	v_min_f32_e32 v188, v6, v220
	v_min_f32_e32 v189, v7, v219
	v_min_f32_e32 v197, v7, v221
	v_min_f32_e32 v196, v6, v222
	v_max_f32_e32 v6, v2, v2
	v_max_f32_e32 v7, v3, v3
	s_or_b64 s[6:7], s[6:7], s[16:17]
	v_min_f32_e32 v32, v162, v163
	v_min_f32_e32 v0, v166, v163
	;; [unrolled: 1-line block ×58, first 2 shown]
	s_xor_b64 s[26:27], s[6:7], -1
	s_and_saveexec_b64 s[6:7], s[26:27]
	s_cbranch_execz .LBB44_23
; %bb.35:                               ;   in Loop: Header=BB44_24 Depth=1
	flat_load_dword v120, v[120:121] offset:256
	s_waitcnt vmcnt(0) lgkmcnt(0)
	v_mul_f32_e32 v215, s23, v120
	s_branch .LBB44_23
.LBB44_36:
	s_load_dwordx2 s[2:3], s[0:1], 0x70
	s_load_dword s29, s[0:1], 0x50
	s_load_dword s28, s[0:1], 0x68
	ds_read_b128 v[44:47], v206 offset:2048
	ds_read_b128 v[40:43], v206 offset:2560
	;; [unrolled: 1-line block ×12, first 2 shown]
	s_waitcnt lgkmcnt(0)
	s_lshl_b64 s[0:1], s[2:3], 2
	s_add_u32 s22, s12, s0
	v_add_u32_e32 v124, s33, v203
	s_addc_u32 s23, s13, s1
	v_mad_i64_i32 v[100:101], s[0:1], v124, s29, 0
	v_add_u32_e32 v72, s31, v202
	v_lshl_add_u64 v[122:123], v[100:101], 2, s[24:25]
	v_mad_i64_i32 v[100:101], s[0:1], v124, s28, 0
	v_cmp_gt_i32_e64 s[18:19], s21, v124
	v_lshl_add_u64 v[120:121], v[100:101], 2, s[22:23]
	v_cmp_gt_i32_e64 s[2:3], s20, v72
	v_cndmask_b32_e64 v100, 0, 1, s[8:9]
	s_and_b64 s[6:7], s[2:3], s[18:19]
	v_ashrrev_i32_e32 v73, 31, v72
	v_cmp_ne_u32_e64 s[0:1], 1, v100
	s_and_saveexec_b64 s[4:5], s[6:7]
	s_cbranch_execz .LBB44_41
; %bb.37:
	s_and_b64 vcc, exec, s[0:1]
	s_cbranch_vccnz .LBB44_39
; %bb.38:
	v_lshl_add_u64 v[100:101], v[72:73], 2, v[122:123]
	flat_load_dword v100, v[100:101]
	s_waitcnt vmcnt(0) lgkmcnt(0)
	v_mul_f32_e32 v100, s30, v100
	s_branch .LBB44_40
.LBB44_39:
	v_mov_b32_e32 v100, 0
.LBB44_40:
	v_max_f32_e32 v101, v44, v44
	v_max_f32_e32 v102, v32, v32
	v_min_f32_e32 v102, v102, v101
	v_max_f32_e32 v101, v45, v45
	v_max_f32_e32 v103, v33, v33
	v_min_f32_e32 v103, v103, v101
	v_max_f32_e32 v101, v46, v46
	v_max_f32_e32 v104, v34, v34
	v_min_f32_e32 v104, v104, v101
	v_max_f32_e32 v101, v47, v47
	v_max_f32_e32 v105, v35, v35
	v_pk_add_f32 v[102:103], v[118:119], v[102:103]
	v_min_f32_e32 v105, v105, v101
	v_pk_add_f32 v[102:103], v[102:103], v[104:105]
	s_nop 0
	v_add_f32_e32 v101, v102, v103
	v_add_f32_e32 v102, v101, v100
	v_lshl_add_u64 v[100:101], v[72:73], 2, v[120:121]
	global_store_dword v[100:101], v102, off
.LBB44_41:
	s_or_b64 exec, exec, s[4:5]
	v_add_u32_e32 v100, 8, v72
	v_cmp_gt_i32_e64 s[4:5], s20, v100
	s_and_b64 s[8:9], s[4:5], s[18:19]
	v_ashrrev_i32_e32 v101, 31, v100
	s_and_saveexec_b64 s[6:7], s[8:9]
	s_cbranch_execz .LBB44_46
; %bb.42:
	s_and_b64 vcc, exec, s[0:1]
	s_cbranch_vccnz .LBB44_44
; %bb.43:
	v_lshl_add_u64 v[102:103], v[100:101], 2, v[122:123]
	flat_load_dword v102, v[102:103]
	s_waitcnt vmcnt(0) lgkmcnt(0)
	v_mul_f32_e32 v102, s30, v102
	s_branch .LBB44_45
.LBB44_44:
	v_mov_b32_e32 v102, 0
.LBB44_45:
	v_max_f32_e32 v103, v44, v44
	v_max_f32_e32 v104, v28, v28
	v_min_f32_e32 v104, v104, v103
	v_max_f32_e32 v103, v45, v45
	v_max_f32_e32 v105, v29, v29
	v_min_f32_e32 v105, v105, v103
	v_pk_add_f32 v[104:105], v[116:117], v[104:105]
	v_max_f32_e32 v103, v46, v46
	v_max_f32_e32 v116, v30, v30
	v_min_f32_e32 v116, v116, v103
	v_max_f32_e32 v103, v47, v47
	v_max_f32_e32 v117, v31, v31
	v_min_f32_e32 v117, v117, v103
	v_pk_add_f32 v[104:105], v[104:105], v[116:117]
	s_nop 0
	v_add_f32_e32 v103, v104, v105
	v_add_f32_e32 v104, v103, v102
	v_lshl_add_u64 v[102:103], v[100:101], 2, v[120:121]
	global_store_dword v[102:103], v104, off
.LBB44_46:
	s_or_b64 exec, exec, s[6:7]
	v_add_u32_e32 v102, 16, v72
	v_cmp_gt_i32_e64 s[6:7], s20, v102
	s_and_b64 s[10:11], s[6:7], s[18:19]
	v_ashrrev_i32_e32 v103, 31, v102
	s_and_saveexec_b64 s[8:9], s[10:11]
	s_cbranch_execz .LBB44_51
; %bb.47:
	s_and_b64 vcc, exec, s[0:1]
	s_cbranch_vccnz .LBB44_49
; %bb.48:
	v_lshl_add_u64 v[104:105], v[102:103], 2, v[122:123]
	flat_load_dword v104, v[104:105]
	s_waitcnt vmcnt(0) lgkmcnt(0)
	v_mul_f32_e32 v104, s30, v104
	s_branch .LBB44_50
.LBB44_49:
	v_mov_b32_e32 v104, 0
.LBB44_50:
	v_max_f32_e32 v105, v44, v44
	v_max_f32_e32 v116, v24, v24
	v_min_f32_e32 v116, v116, v105
	v_max_f32_e32 v105, v45, v45
	v_max_f32_e32 v117, v25, v25
	v_min_f32_e32 v117, v117, v105
	v_pk_add_f32 v[114:115], v[114:115], v[116:117]
	v_max_f32_e32 v105, v46, v46
	v_max_f32_e32 v116, v26, v26
	v_min_f32_e32 v116, v116, v105
	v_max_f32_e32 v105, v47, v47
	v_max_f32_e32 v117, v27, v27
	v_min_f32_e32 v117, v117, v105
	v_pk_add_f32 v[114:115], v[114:115], v[116:117]
	s_nop 0
	v_add_f32_e32 v105, v114, v115
	v_add_f32_e32 v114, v105, v104
	v_lshl_add_u64 v[104:105], v[102:103], 2, v[120:121]
	global_store_dword v[104:105], v114, off
.LBB44_51:
	;; [unrolled: 39-line block ×7, first 2 shown]
	s_or_b64 exec, exec, s[18:19]
	v_add_u32_e32 v98, 32, v124
	v_mad_i64_i32 v[44:45], s[26:27], v98, s29, 0
	v_cmp_gt_i32_e64 s[18:19], s21, v98
	v_lshl_add_u64 v[46:47], v[44:45], 2, s[24:25]
	v_mad_i64_i32 v[44:45], s[26:27], v98, s28, 0
	v_lshl_add_u64 v[44:45], v[44:45], 2, s[22:23]
	s_and_b64 s[34:35], s[2:3], s[18:19]
	s_and_saveexec_b64 s[26:27], s[34:35]
	s_cbranch_execnz .LBB44_84
; %bb.77:
	s_or_b64 exec, exec, s[26:27]
	s_and_b64 s[34:35], s[4:5], s[18:19]
	s_and_saveexec_b64 s[26:27], s[34:35]
	s_cbranch_execnz .LBB44_88
.LBB44_78:
	s_or_b64 exec, exec, s[26:27]
	s_and_b64 s[34:35], s[6:7], s[18:19]
	s_and_saveexec_b64 s[26:27], s[34:35]
	s_cbranch_execnz .LBB44_92
.LBB44_79:
	s_or_b64 exec, exec, s[26:27]
	s_and_b64 s[34:35], s[8:9], s[18:19]
	s_and_saveexec_b64 s[26:27], s[34:35]
	s_cbranch_execnz .LBB44_96
.LBB44_80:
	s_or_b64 exec, exec, s[26:27]
	s_and_b64 s[34:35], s[10:11], s[18:19]
	s_and_saveexec_b64 s[26:27], s[34:35]
	s_cbranch_execnz .LBB44_100
.LBB44_81:
	s_or_b64 exec, exec, s[26:27]
	s_and_b64 s[34:35], s[12:13], s[18:19]
	s_and_saveexec_b64 s[26:27], s[34:35]
	s_cbranch_execnz .LBB44_104
.LBB44_82:
	s_or_b64 exec, exec, s[26:27]
	s_and_b64 s[34:35], s[14:15], s[18:19]
	s_and_saveexec_b64 s[26:27], s[34:35]
	s_cbranch_execnz .LBB44_108
.LBB44_83:
	s_or_b64 exec, exec, s[26:27]
	s_and_b64 s[26:27], s[16:17], s[18:19]
	s_and_saveexec_b64 s[18:19], s[26:27]
	s_cbranch_execnz .LBB44_112
	s_branch .LBB44_116
.LBB44_84:
	s_and_b64 vcc, exec, s[0:1]
	s_cbranch_vccnz .LBB44_86
; %bb.85:
	v_lshl_add_u64 v[98:99], v[72:73], 2, v[46:47]
	flat_load_dword v98, v[98:99]
	s_waitcnt vmcnt(0) lgkmcnt(0)
	v_mul_f32_e32 v98, s30, v98
	s_branch .LBB44_87
.LBB44_86:
	v_mov_b32_e32 v98, 0
.LBB44_87:
	v_max_f32_e32 v99, v40, v40
	v_max_f32_e32 v114, v32, v32
	v_min_f32_e32 v114, v114, v99
	v_max_f32_e32 v99, v41, v41
	v_max_f32_e32 v115, v33, v33
	v_min_f32_e32 v115, v115, v99
	v_pk_add_f32 v[96:97], v[96:97], v[114:115]
	v_max_f32_e32 v99, v42, v42
	v_max_f32_e32 v114, v34, v34
	v_min_f32_e32 v114, v114, v99
	v_max_f32_e32 v99, v43, v43
	v_max_f32_e32 v115, v35, v35
	v_min_f32_e32 v115, v115, v99
	v_pk_add_f32 v[96:97], v[96:97], v[114:115]
	s_nop 0
	v_add_f32_e32 v96, v96, v97
	v_add_f32_e32 v98, v96, v98
	v_lshl_add_u64 v[96:97], v[72:73], 2, v[44:45]
	global_store_dword v[96:97], v98, off
	s_or_b64 exec, exec, s[26:27]
	s_and_b64 s[34:35], s[4:5], s[18:19]
	s_and_saveexec_b64 s[26:27], s[34:35]
	s_cbranch_execz .LBB44_78
.LBB44_88:
	s_and_b64 vcc, exec, s[0:1]
	s_cbranch_vccnz .LBB44_90
; %bb.89:
	v_lshl_add_u64 v[96:97], v[100:101], 2, v[46:47]
	flat_load_dword v96, v[96:97]
	s_waitcnt vmcnt(0) lgkmcnt(0)
	v_mul_f32_e32 v96, s30, v96
	s_branch .LBB44_91
.LBB44_90:
	v_mov_b32_e32 v96, 0
.LBB44_91:
	v_max_f32_e32 v97, v40, v40
	v_max_f32_e32 v98, v28, v28
	v_min_f32_e32 v98, v98, v97
	v_max_f32_e32 v97, v41, v41
	v_max_f32_e32 v99, v29, v29
	v_min_f32_e32 v99, v99, v97
	v_pk_add_f32 v[94:95], v[94:95], v[98:99]
	v_max_f32_e32 v97, v42, v42
	v_max_f32_e32 v98, v30, v30
	v_min_f32_e32 v98, v98, v97
	v_max_f32_e32 v97, v43, v43
	v_max_f32_e32 v99, v31, v31
	v_min_f32_e32 v99, v99, v97
	v_pk_add_f32 v[94:95], v[94:95], v[98:99]
	s_nop 0
	v_add_f32_e32 v94, v94, v95
	v_add_f32_e32 v96, v94, v96
	v_lshl_add_u64 v[94:95], v[100:101], 2, v[44:45]
	global_store_dword v[94:95], v96, off
	s_or_b64 exec, exec, s[26:27]
	s_and_b64 s[34:35], s[6:7], s[18:19]
	s_and_saveexec_b64 s[26:27], s[34:35]
	s_cbranch_execz .LBB44_79
.LBB44_92:
	s_and_b64 vcc, exec, s[0:1]
	s_cbranch_vccnz .LBB44_94
; %bb.93:
	v_lshl_add_u64 v[94:95], v[102:103], 2, v[46:47]
	flat_load_dword v94, v[94:95]
	s_waitcnt vmcnt(0) lgkmcnt(0)
	v_mul_f32_e32 v94, s30, v94
	s_branch .LBB44_95
.LBB44_94:
	v_mov_b32_e32 v94, 0
.LBB44_95:
	v_max_f32_e32 v95, v40, v40
	v_max_f32_e32 v96, v24, v24
	v_min_f32_e32 v96, v96, v95
	v_max_f32_e32 v95, v41, v41
	v_max_f32_e32 v97, v25, v25
	v_min_f32_e32 v97, v97, v95
	v_pk_add_f32 v[92:93], v[92:93], v[96:97]
	v_max_f32_e32 v95, v42, v42
	v_max_f32_e32 v96, v26, v26
	v_min_f32_e32 v96, v96, v95
	v_max_f32_e32 v95, v43, v43
	v_max_f32_e32 v97, v27, v27
	v_min_f32_e32 v97, v97, v95
	v_pk_add_f32 v[92:93], v[92:93], v[96:97]
	s_nop 0
	v_add_f32_e32 v92, v92, v93
	v_add_f32_e32 v94, v92, v94
	v_lshl_add_u64 v[92:93], v[102:103], 2, v[44:45]
	global_store_dword v[92:93], v94, off
	s_or_b64 exec, exec, s[26:27]
	s_and_b64 s[34:35], s[8:9], s[18:19]
	s_and_saveexec_b64 s[26:27], s[34:35]
	s_cbranch_execz .LBB44_80
.LBB44_96:
	s_and_b64 vcc, exec, s[0:1]
	s_cbranch_vccnz .LBB44_98
; %bb.97:
	v_lshl_add_u64 v[92:93], v[104:105], 2, v[46:47]
	flat_load_dword v92, v[92:93]
	s_waitcnt vmcnt(0) lgkmcnt(0)
	v_mul_f32_e32 v92, s30, v92
	s_branch .LBB44_99
.LBB44_98:
	v_mov_b32_e32 v92, 0
.LBB44_99:
	v_max_f32_e32 v93, v40, v40
	v_max_f32_e32 v94, v20, v20
	v_min_f32_e32 v94, v94, v93
	v_max_f32_e32 v93, v41, v41
	v_max_f32_e32 v95, v21, v21
	v_min_f32_e32 v95, v95, v93
	v_pk_add_f32 v[90:91], v[90:91], v[94:95]
	v_max_f32_e32 v93, v42, v42
	v_max_f32_e32 v94, v22, v22
	v_min_f32_e32 v94, v94, v93
	v_max_f32_e32 v93, v43, v43
	v_max_f32_e32 v95, v23, v23
	v_min_f32_e32 v95, v95, v93
	v_pk_add_f32 v[90:91], v[90:91], v[94:95]
	s_nop 0
	v_add_f32_e32 v90, v90, v91
	v_add_f32_e32 v92, v90, v92
	v_lshl_add_u64 v[90:91], v[104:105], 2, v[44:45]
	global_store_dword v[90:91], v92, off
	s_or_b64 exec, exec, s[26:27]
	s_and_b64 s[34:35], s[10:11], s[18:19]
	s_and_saveexec_b64 s[26:27], s[34:35]
	s_cbranch_execz .LBB44_81
.LBB44_100:
	s_and_b64 vcc, exec, s[0:1]
	s_cbranch_vccnz .LBB44_102
; %bb.101:
	v_lshl_add_u64 v[90:91], v[106:107], 2, v[46:47]
	flat_load_dword v90, v[90:91]
	s_waitcnt vmcnt(0) lgkmcnt(0)
	v_mul_f32_e32 v90, s30, v90
	s_branch .LBB44_103
.LBB44_102:
	v_mov_b32_e32 v90, 0
.LBB44_103:
	v_max_f32_e32 v91, v40, v40
	v_max_f32_e32 v92, v16, v16
	v_min_f32_e32 v92, v92, v91
	v_max_f32_e32 v91, v41, v41
	v_max_f32_e32 v93, v17, v17
	v_min_f32_e32 v93, v93, v91
	v_pk_add_f32 v[88:89], v[88:89], v[92:93]
	v_max_f32_e32 v91, v42, v42
	v_max_f32_e32 v92, v18, v18
	v_min_f32_e32 v92, v92, v91
	v_max_f32_e32 v91, v43, v43
	v_max_f32_e32 v93, v19, v19
	v_min_f32_e32 v93, v93, v91
	v_pk_add_f32 v[88:89], v[88:89], v[92:93]
	s_nop 0
	v_add_f32_e32 v88, v88, v89
	v_add_f32_e32 v90, v88, v90
	v_lshl_add_u64 v[88:89], v[106:107], 2, v[44:45]
	global_store_dword v[88:89], v90, off
	s_or_b64 exec, exec, s[26:27]
	s_and_b64 s[34:35], s[12:13], s[18:19]
	s_and_saveexec_b64 s[26:27], s[34:35]
	s_cbranch_execz .LBB44_82
.LBB44_104:
	s_and_b64 vcc, exec, s[0:1]
	s_cbranch_vccnz .LBB44_106
; %bb.105:
	v_lshl_add_u64 v[88:89], v[108:109], 2, v[46:47]
	flat_load_dword v88, v[88:89]
	s_waitcnt vmcnt(0) lgkmcnt(0)
	v_mul_f32_e32 v88, s30, v88
	s_branch .LBB44_107
.LBB44_106:
	v_mov_b32_e32 v88, 0
.LBB44_107:
	v_max_f32_e32 v89, v40, v40
	v_max_f32_e32 v90, v12, v12
	v_min_f32_e32 v90, v90, v89
	v_max_f32_e32 v89, v41, v41
	v_max_f32_e32 v91, v13, v13
	v_min_f32_e32 v91, v91, v89
	v_pk_add_f32 v[86:87], v[86:87], v[90:91]
	v_max_f32_e32 v89, v42, v42
	v_max_f32_e32 v90, v14, v14
	v_min_f32_e32 v90, v90, v89
	v_max_f32_e32 v89, v43, v43
	v_max_f32_e32 v91, v15, v15
	v_min_f32_e32 v91, v91, v89
	v_pk_add_f32 v[86:87], v[86:87], v[90:91]
	s_nop 0
	v_add_f32_e32 v86, v86, v87
	v_add_f32_e32 v88, v86, v88
	v_lshl_add_u64 v[86:87], v[108:109], 2, v[44:45]
	global_store_dword v[86:87], v88, off
	s_or_b64 exec, exec, s[26:27]
	s_and_b64 s[34:35], s[14:15], s[18:19]
	s_and_saveexec_b64 s[26:27], s[34:35]
	s_cbranch_execz .LBB44_83
.LBB44_108:
	s_and_b64 vcc, exec, s[0:1]
	s_cbranch_vccnz .LBB44_110
; %bb.109:
	v_lshl_add_u64 v[86:87], v[110:111], 2, v[46:47]
	flat_load_dword v86, v[86:87]
	s_waitcnt vmcnt(0) lgkmcnt(0)
	v_mul_f32_e32 v86, s30, v86
	s_branch .LBB44_111
.LBB44_110:
	v_mov_b32_e32 v86, 0
.LBB44_111:
	v_max_f32_e32 v87, v40, v40
	v_max_f32_e32 v88, v8, v8
	v_min_f32_e32 v88, v88, v87
	v_max_f32_e32 v87, v41, v41
	v_max_f32_e32 v89, v9, v9
	v_min_f32_e32 v89, v89, v87
	v_pk_add_f32 v[84:85], v[84:85], v[88:89]
	v_max_f32_e32 v87, v42, v42
	v_max_f32_e32 v88, v10, v10
	v_min_f32_e32 v88, v88, v87
	v_max_f32_e32 v87, v43, v43
	v_max_f32_e32 v89, v11, v11
	v_min_f32_e32 v89, v89, v87
	v_pk_add_f32 v[84:85], v[84:85], v[88:89]
	s_nop 0
	v_add_f32_e32 v84, v84, v85
	v_add_f32_e32 v86, v84, v86
	v_lshl_add_u64 v[84:85], v[110:111], 2, v[44:45]
	global_store_dword v[84:85], v86, off
	s_or_b64 exec, exec, s[26:27]
	s_and_b64 s[26:27], s[16:17], s[18:19]
	s_and_saveexec_b64 s[18:19], s[26:27]
	s_cbranch_execz .LBB44_116
.LBB44_112:
	s_and_b64 vcc, exec, s[0:1]
	s_cbranch_vccnz .LBB44_114
; %bb.113:
	v_lshl_add_u64 v[46:47], v[112:113], 2, v[46:47]
	flat_load_dword v46, v[46:47]
	s_waitcnt vmcnt(0) lgkmcnt(0)
	v_mul_f32_e32 v46, s30, v46
	s_branch .LBB44_115
.LBB44_114:
	v_mov_b32_e32 v46, 0
.LBB44_115:
	v_max_f32_e32 v41, v41, v41
	v_max_f32_e32 v47, v5, v5
	v_min_f32_e32 v41, v47, v41
	v_max_f32_e32 v40, v40, v40
	v_max_f32_e32 v47, v4, v4
	v_min_f32_e32 v40, v47, v40
	;; [unrolled: 3-line block ×3, first 2 shown]
	v_max_f32_e32 v42, v42, v42
	v_max_f32_e32 v47, v6, v6
	v_pk_add_f32 v[40:41], v[82:83], v[40:41]
	v_min_f32_e32 v42, v47, v42
	v_pk_add_f32 v[40:41], v[40:41], v[42:43]
	s_nop 0
	v_add_f32_e32 v40, v40, v41
	v_add_f32_e32 v42, v40, v46
	v_lshl_add_u64 v[40:41], v[112:113], 2, v[44:45]
	global_store_dword v[40:41], v42, off
.LBB44_116:
	s_or_b64 exec, exec, s[18:19]
	v_add_u32_e32 v44, 64, v124
	v_mad_i64_i32 v[40:41], s[26:27], v44, s29, 0
	v_cmp_gt_i32_e64 s[18:19], s21, v44
	v_lshl_add_u64 v[42:43], v[40:41], 2, s[24:25]
	v_mad_i64_i32 v[40:41], s[26:27], v44, s28, 0
	v_lshl_add_u64 v[40:41], v[40:41], 2, s[22:23]
	s_and_b64 s[34:35], s[2:3], s[18:19]
	s_and_saveexec_b64 s[26:27], s[34:35]
	s_cbranch_execnz .LBB44_124
; %bb.117:
	s_or_b64 exec, exec, s[26:27]
	s_and_b64 s[34:35], s[4:5], s[18:19]
	s_and_saveexec_b64 s[26:27], s[34:35]
	s_cbranch_execnz .LBB44_128
.LBB44_118:
	s_or_b64 exec, exec, s[26:27]
	s_and_b64 s[34:35], s[6:7], s[18:19]
	s_and_saveexec_b64 s[26:27], s[34:35]
	s_cbranch_execnz .LBB44_132
.LBB44_119:
	s_or_b64 exec, exec, s[26:27]
	s_and_b64 s[34:35], s[8:9], s[18:19]
	s_and_saveexec_b64 s[26:27], s[34:35]
	s_cbranch_execnz .LBB44_136
.LBB44_120:
	s_or_b64 exec, exec, s[26:27]
	s_and_b64 s[34:35], s[10:11], s[18:19]
	s_and_saveexec_b64 s[26:27], s[34:35]
	s_cbranch_execnz .LBB44_140
.LBB44_121:
	s_or_b64 exec, exec, s[26:27]
	s_and_b64 s[34:35], s[12:13], s[18:19]
	s_and_saveexec_b64 s[26:27], s[34:35]
	s_cbranch_execnz .LBB44_144
.LBB44_122:
	s_or_b64 exec, exec, s[26:27]
	s_and_b64 s[34:35], s[14:15], s[18:19]
	s_and_saveexec_b64 s[26:27], s[34:35]
	s_cbranch_execnz .LBB44_148
.LBB44_123:
	s_or_b64 exec, exec, s[26:27]
	s_and_b64 s[26:27], s[16:17], s[18:19]
	s_and_saveexec_b64 s[18:19], s[26:27]
	s_cbranch_execnz .LBB44_152
	s_branch .LBB44_156
.LBB44_124:
	s_and_b64 vcc, exec, s[0:1]
	s_cbranch_vccnz .LBB44_126
; %bb.125:
	v_lshl_add_u64 v[44:45], v[72:73], 2, v[42:43]
	flat_load_dword v44, v[44:45]
	s_waitcnt vmcnt(0) lgkmcnt(0)
	v_mul_f32_e32 v44, s30, v44
	s_branch .LBB44_127
.LBB44_126:
	v_mov_b32_e32 v44, 0
.LBB44_127:
	v_max_f32_e32 v45, v36, v36
	v_max_f32_e32 v46, v32, v32
	v_min_f32_e32 v46, v46, v45
	v_max_f32_e32 v45, v37, v37
	v_max_f32_e32 v47, v33, v33
	v_min_f32_e32 v47, v47, v45
	v_pk_add_f32 v[46:47], v[80:81], v[46:47]
	v_max_f32_e32 v45, v38, v38
	v_max_f32_e32 v80, v34, v34
	v_min_f32_e32 v80, v80, v45
	v_max_f32_e32 v45, v39, v39
	v_max_f32_e32 v81, v35, v35
	v_min_f32_e32 v81, v81, v45
	v_pk_add_f32 v[46:47], v[46:47], v[80:81]
	s_nop 0
	v_add_f32_e32 v45, v46, v47
	v_add_f32_e32 v46, v45, v44
	v_lshl_add_u64 v[44:45], v[72:73], 2, v[40:41]
	global_store_dword v[44:45], v46, off
	s_or_b64 exec, exec, s[26:27]
	s_and_b64 s[34:35], s[4:5], s[18:19]
	s_and_saveexec_b64 s[26:27], s[34:35]
	s_cbranch_execz .LBB44_118
.LBB44_128:
	s_and_b64 vcc, exec, s[0:1]
	s_cbranch_vccnz .LBB44_130
; %bb.129:
	v_lshl_add_u64 v[44:45], v[100:101], 2, v[42:43]
	flat_load_dword v44, v[44:45]
	s_waitcnt vmcnt(0) lgkmcnt(0)
	v_mul_f32_e32 v44, s30, v44
	s_branch .LBB44_131
.LBB44_130:
	v_mov_b32_e32 v44, 0
.LBB44_131:
	v_max_f32_e32 v45, v36, v36
	v_max_f32_e32 v46, v28, v28
	v_min_f32_e32 v46, v46, v45
	v_max_f32_e32 v45, v37, v37
	v_max_f32_e32 v47, v29, v29
	v_min_f32_e32 v47, v47, v45
	v_pk_add_f32 v[46:47], v[78:79], v[46:47]
	v_max_f32_e32 v45, v38, v38
	v_max_f32_e32 v78, v30, v30
	v_min_f32_e32 v78, v78, v45
	v_max_f32_e32 v45, v39, v39
	v_max_f32_e32 v79, v31, v31
	v_min_f32_e32 v79, v79, v45
	v_pk_add_f32 v[46:47], v[46:47], v[78:79]
	s_nop 0
	v_add_f32_e32 v45, v46, v47
	v_add_f32_e32 v46, v45, v44
	v_lshl_add_u64 v[44:45], v[100:101], 2, v[40:41]
	global_store_dword v[44:45], v46, off
	s_or_b64 exec, exec, s[26:27]
	s_and_b64 s[34:35], s[6:7], s[18:19]
	s_and_saveexec_b64 s[26:27], s[34:35]
	s_cbranch_execz .LBB44_119
.LBB44_132:
	s_and_b64 vcc, exec, s[0:1]
	s_cbranch_vccnz .LBB44_134
; %bb.133:
	v_lshl_add_u64 v[44:45], v[102:103], 2, v[42:43]
	flat_load_dword v44, v[44:45]
	s_waitcnt vmcnt(0) lgkmcnt(0)
	v_mul_f32_e32 v44, s30, v44
	s_branch .LBB44_135
.LBB44_134:
	v_mov_b32_e32 v44, 0
.LBB44_135:
	v_max_f32_e32 v45, v36, v36
	v_max_f32_e32 v46, v24, v24
	v_min_f32_e32 v46, v46, v45
	v_max_f32_e32 v45, v37, v37
	v_max_f32_e32 v47, v25, v25
	v_min_f32_e32 v47, v47, v45
	v_pk_add_f32 v[46:47], v[76:77], v[46:47]
	v_max_f32_e32 v45, v38, v38
	v_max_f32_e32 v76, v26, v26
	v_min_f32_e32 v76, v76, v45
	v_max_f32_e32 v45, v39, v39
	v_max_f32_e32 v77, v27, v27
	v_min_f32_e32 v77, v77, v45
	v_pk_add_f32 v[46:47], v[46:47], v[76:77]
	s_nop 0
	v_add_f32_e32 v45, v46, v47
	v_add_f32_e32 v46, v45, v44
	v_lshl_add_u64 v[44:45], v[102:103], 2, v[40:41]
	global_store_dword v[44:45], v46, off
	s_or_b64 exec, exec, s[26:27]
	s_and_b64 s[34:35], s[8:9], s[18:19]
	s_and_saveexec_b64 s[26:27], s[34:35]
	s_cbranch_execz .LBB44_120
.LBB44_136:
	s_and_b64 vcc, exec, s[0:1]
	s_cbranch_vccnz .LBB44_138
; %bb.137:
	v_lshl_add_u64 v[44:45], v[104:105], 2, v[42:43]
	flat_load_dword v44, v[44:45]
	s_waitcnt vmcnt(0) lgkmcnt(0)
	v_mul_f32_e32 v44, s30, v44
	s_branch .LBB44_139
.LBB44_138:
	v_mov_b32_e32 v44, 0
.LBB44_139:
	v_max_f32_e32 v45, v36, v36
	v_max_f32_e32 v46, v20, v20
	v_min_f32_e32 v46, v46, v45
	v_max_f32_e32 v45, v37, v37
	v_max_f32_e32 v47, v21, v21
	v_min_f32_e32 v47, v47, v45
	v_pk_add_f32 v[46:47], v[74:75], v[46:47]
	v_max_f32_e32 v45, v38, v38
	v_max_f32_e32 v74, v22, v22
	v_min_f32_e32 v74, v74, v45
	v_max_f32_e32 v45, v39, v39
	v_max_f32_e32 v75, v23, v23
	v_min_f32_e32 v75, v75, v45
	v_pk_add_f32 v[46:47], v[46:47], v[74:75]
	s_nop 0
	v_add_f32_e32 v45, v46, v47
	v_add_f32_e32 v46, v45, v44
	v_lshl_add_u64 v[44:45], v[104:105], 2, v[40:41]
	global_store_dword v[44:45], v46, off
	s_or_b64 exec, exec, s[26:27]
	s_and_b64 s[34:35], s[10:11], s[18:19]
	s_and_saveexec_b64 s[26:27], s[34:35]
	s_cbranch_execz .LBB44_121
.LBB44_140:
	s_and_b64 vcc, exec, s[0:1]
	s_cbranch_vccnz .LBB44_142
; %bb.141:
	v_lshl_add_u64 v[44:45], v[106:107], 2, v[42:43]
	flat_load_dword v44, v[44:45]
	s_waitcnt vmcnt(0) lgkmcnt(0)
	v_mul_f32_e32 v44, s30, v44
	s_branch .LBB44_143
.LBB44_142:
	v_mov_b32_e32 v44, 0
.LBB44_143:
	v_max_f32_e32 v45, v36, v36
	v_max_f32_e32 v46, v16, v16
	v_min_f32_e32 v46, v46, v45
	v_max_f32_e32 v45, v37, v37
	v_max_f32_e32 v47, v17, v17
	v_min_f32_e32 v47, v47, v45
	v_pk_add_f32 v[46:47], v[70:71], v[46:47]
	v_max_f32_e32 v45, v38, v38
	v_max_f32_e32 v70, v18, v18
	v_min_f32_e32 v70, v70, v45
	v_max_f32_e32 v45, v39, v39
	v_max_f32_e32 v71, v19, v19
	v_min_f32_e32 v71, v71, v45
	v_pk_add_f32 v[46:47], v[46:47], v[70:71]
	s_nop 0
	v_add_f32_e32 v45, v46, v47
	v_add_f32_e32 v46, v45, v44
	v_lshl_add_u64 v[44:45], v[106:107], 2, v[40:41]
	global_store_dword v[44:45], v46, off
	s_or_b64 exec, exec, s[26:27]
	s_and_b64 s[34:35], s[12:13], s[18:19]
	s_and_saveexec_b64 s[26:27], s[34:35]
	s_cbranch_execz .LBB44_122
.LBB44_144:
	s_and_b64 vcc, exec, s[0:1]
	s_cbranch_vccnz .LBB44_146
; %bb.145:
	v_lshl_add_u64 v[44:45], v[108:109], 2, v[42:43]
	flat_load_dword v44, v[44:45]
	s_waitcnt vmcnt(0) lgkmcnt(0)
	v_mul_f32_e32 v44, s30, v44
	s_branch .LBB44_147
.LBB44_146:
	v_mov_b32_e32 v44, 0
.LBB44_147:
	v_max_f32_e32 v45, v36, v36
	v_max_f32_e32 v46, v12, v12
	v_min_f32_e32 v46, v46, v45
	v_max_f32_e32 v45, v37, v37
	v_max_f32_e32 v47, v13, v13
	v_min_f32_e32 v47, v47, v45
	v_pk_add_f32 v[46:47], v[68:69], v[46:47]
	v_max_f32_e32 v45, v38, v38
	v_max_f32_e32 v68, v14, v14
	v_min_f32_e32 v68, v68, v45
	v_max_f32_e32 v45, v39, v39
	v_max_f32_e32 v69, v15, v15
	v_min_f32_e32 v69, v69, v45
	v_pk_add_f32 v[46:47], v[46:47], v[68:69]
	s_nop 0
	v_add_f32_e32 v45, v46, v47
	v_add_f32_e32 v46, v45, v44
	v_lshl_add_u64 v[44:45], v[108:109], 2, v[40:41]
	global_store_dword v[44:45], v46, off
	s_or_b64 exec, exec, s[26:27]
	s_and_b64 s[34:35], s[14:15], s[18:19]
	s_and_saveexec_b64 s[26:27], s[34:35]
	s_cbranch_execz .LBB44_123
.LBB44_148:
	s_and_b64 vcc, exec, s[0:1]
	s_cbranch_vccnz .LBB44_150
; %bb.149:
	v_lshl_add_u64 v[44:45], v[110:111], 2, v[42:43]
	flat_load_dword v44, v[44:45]
	s_waitcnt vmcnt(0) lgkmcnt(0)
	v_mul_f32_e32 v44, s30, v44
	s_branch .LBB44_151
.LBB44_150:
	v_mov_b32_e32 v44, 0
.LBB44_151:
	v_max_f32_e32 v45, v36, v36
	v_max_f32_e32 v46, v8, v8
	v_min_f32_e32 v46, v46, v45
	v_max_f32_e32 v45, v37, v37
	v_max_f32_e32 v47, v9, v9
	v_min_f32_e32 v47, v47, v45
	v_pk_add_f32 v[46:47], v[66:67], v[46:47]
	v_max_f32_e32 v45, v38, v38
	v_max_f32_e32 v66, v10, v10
	v_min_f32_e32 v66, v66, v45
	v_max_f32_e32 v45, v39, v39
	v_max_f32_e32 v67, v11, v11
	v_min_f32_e32 v67, v67, v45
	v_pk_add_f32 v[46:47], v[46:47], v[66:67]
	s_nop 0
	v_add_f32_e32 v45, v46, v47
	v_add_f32_e32 v46, v45, v44
	v_lshl_add_u64 v[44:45], v[110:111], 2, v[40:41]
	global_store_dword v[44:45], v46, off
	s_or_b64 exec, exec, s[26:27]
	s_and_b64 s[26:27], s[16:17], s[18:19]
	s_and_saveexec_b64 s[18:19], s[26:27]
	s_cbranch_execz .LBB44_156
.LBB44_152:
	s_and_b64 vcc, exec, s[0:1]
	s_cbranch_vccnz .LBB44_154
; %bb.153:
	v_lshl_add_u64 v[42:43], v[112:113], 2, v[42:43]
	flat_load_dword v42, v[42:43]
	s_waitcnt vmcnt(0) lgkmcnt(0)
	v_mul_f32_e32 v42, s30, v42
	s_branch .LBB44_155
.LBB44_154:
	v_mov_b32_e32 v42, 0
.LBB44_155:
	v_max_f32_e32 v37, v37, v37
	v_max_f32_e32 v43, v5, v5
	v_min_f32_e32 v37, v43, v37
	v_max_f32_e32 v36, v36, v36
	v_max_f32_e32 v43, v4, v4
	v_min_f32_e32 v36, v43, v36
	;; [unrolled: 3-line block ×3, first 2 shown]
	v_max_f32_e32 v38, v38, v38
	v_max_f32_e32 v43, v6, v6
	v_pk_add_f32 v[36:37], v[64:65], v[36:37]
	v_min_f32_e32 v38, v43, v38
	v_pk_add_f32 v[36:37], v[36:37], v[38:39]
	s_nop 0
	v_add_f32_e32 v36, v36, v37
	v_add_f32_e32 v38, v36, v42
	v_lshl_add_u64 v[36:37], v[112:113], 2, v[40:41]
	global_store_dword v[36:37], v38, off
.LBB44_156:
	s_or_b64 exec, exec, s[18:19]
	v_add_u32_e32 v40, 0x60, v124
	v_cmp_gt_i32_e64 s[18:19], s21, v40
	v_mad_i64_i32 v[36:37], s[20:21], v40, s29, 0
	v_lshl_add_u64 v[38:39], v[36:37], 2, s[24:25]
	v_mad_i64_i32 v[36:37], s[20:21], v40, s28, 0
	v_lshl_add_u64 v[36:37], v[36:37], 2, s[22:23]
	s_and_b64 s[20:21], s[2:3], s[18:19]
	s_and_saveexec_b64 s[2:3], s[20:21]
	s_cbranch_execnz .LBB44_165
; %bb.157:
	s_or_b64 exec, exec, s[2:3]
	s_and_b64 s[4:5], s[4:5], s[18:19]
	s_and_saveexec_b64 s[2:3], s[4:5]
	s_cbranch_execnz .LBB44_169
.LBB44_158:
	s_or_b64 exec, exec, s[2:3]
	s_and_b64 s[4:5], s[6:7], s[18:19]
	s_and_saveexec_b64 s[2:3], s[4:5]
	s_cbranch_execnz .LBB44_173
.LBB44_159:
	s_or_b64 exec, exec, s[2:3]
	s_and_b64 s[4:5], s[8:9], s[18:19]
	s_and_saveexec_b64 s[2:3], s[4:5]
	s_cbranch_execnz .LBB44_177
.LBB44_160:
	s_or_b64 exec, exec, s[2:3]
	s_and_b64 s[4:5], s[10:11], s[18:19]
	s_and_saveexec_b64 s[2:3], s[4:5]
	s_cbranch_execnz .LBB44_181
.LBB44_161:
	s_or_b64 exec, exec, s[2:3]
	s_and_b64 s[4:5], s[12:13], s[18:19]
	s_and_saveexec_b64 s[2:3], s[4:5]
	s_cbranch_execnz .LBB44_185
.LBB44_162:
	s_or_b64 exec, exec, s[2:3]
	s_and_b64 s[4:5], s[14:15], s[18:19]
	s_and_saveexec_b64 s[2:3], s[4:5]
	s_cbranch_execnz .LBB44_189
.LBB44_163:
	s_or_b64 exec, exec, s[2:3]
	s_and_b64 s[2:3], s[16:17], s[18:19]
	s_and_saveexec_b64 s[4:5], s[2:3]
	s_cbranch_execnz .LBB44_193
.LBB44_164:
	s_endpgm
.LBB44_165:
	s_and_b64 vcc, exec, s[0:1]
	s_cbranch_vccnz .LBB44_167
; %bb.166:
	v_lshl_add_u64 v[40:41], v[72:73], 2, v[38:39]
	flat_load_dword v40, v[40:41]
	s_waitcnt vmcnt(0) lgkmcnt(0)
	v_mul_f32_e32 v40, s30, v40
	s_branch .LBB44_168
.LBB44_167:
	v_mov_b32_e32 v40, 0
.LBB44_168:
	v_max_f32_e32 v41, v1, v1
	v_max_f32_e32 v33, v33, v33
	v_min_f32_e32 v33, v33, v41
	v_max_f32_e32 v41, v0, v0
	v_max_f32_e32 v32, v32, v32
	v_min_f32_e32 v32, v32, v41
	v_max_f32_e32 v41, v3, v3
	v_max_f32_e32 v35, v35, v35
	v_min_f32_e32 v35, v35, v41
	v_max_f32_e32 v41, v2, v2
	v_max_f32_e32 v34, v34, v34
	v_pk_add_f32 v[32:33], v[62:63], v[32:33]
	v_min_f32_e32 v34, v34, v41
	v_pk_add_f32 v[32:33], v[32:33], v[34:35]
	s_nop 0
	v_add_f32_e32 v32, v32, v33
	v_add_f32_e32 v34, v32, v40
	v_lshl_add_u64 v[32:33], v[72:73], 2, v[36:37]
	global_store_dword v[32:33], v34, off
	s_or_b64 exec, exec, s[2:3]
	s_and_b64 s[4:5], s[4:5], s[18:19]
	s_and_saveexec_b64 s[2:3], s[4:5]
	s_cbranch_execz .LBB44_158
.LBB44_169:
	s_and_b64 vcc, exec, s[0:1]
	s_cbranch_vccnz .LBB44_171
; %bb.170:
	v_lshl_add_u64 v[32:33], v[100:101], 2, v[38:39]
	flat_load_dword v32, v[32:33]
	s_waitcnt vmcnt(0) lgkmcnt(0)
	v_mul_f32_e32 v32, s30, v32
	s_branch .LBB44_172
.LBB44_171:
	v_mov_b32_e32 v32, 0
.LBB44_172:
	v_max_f32_e32 v33, v1, v1
	v_max_f32_e32 v29, v29, v29
	v_min_f32_e32 v29, v29, v33
	v_max_f32_e32 v33, v0, v0
	v_max_f32_e32 v28, v28, v28
	v_min_f32_e32 v28, v28, v33
	;; [unrolled: 3-line block ×3, first 2 shown]
	v_max_f32_e32 v33, v2, v2
	v_max_f32_e32 v30, v30, v30
	v_pk_add_f32 v[28:29], v[60:61], v[28:29]
	v_min_f32_e32 v30, v30, v33
	v_pk_add_f32 v[28:29], v[28:29], v[30:31]
	s_nop 0
	v_add_f32_e32 v28, v28, v29
	v_add_f32_e32 v30, v28, v32
	v_lshl_add_u64 v[28:29], v[100:101], 2, v[36:37]
	global_store_dword v[28:29], v30, off
	s_or_b64 exec, exec, s[2:3]
	s_and_b64 s[4:5], s[6:7], s[18:19]
	s_and_saveexec_b64 s[2:3], s[4:5]
	s_cbranch_execz .LBB44_159
.LBB44_173:
	s_and_b64 vcc, exec, s[0:1]
	s_cbranch_vccnz .LBB44_175
; %bb.174:
	v_lshl_add_u64 v[28:29], v[102:103], 2, v[38:39]
	flat_load_dword v28, v[28:29]
	s_waitcnt vmcnt(0) lgkmcnt(0)
	v_mul_f32_e32 v28, s30, v28
	s_branch .LBB44_176
.LBB44_175:
	v_mov_b32_e32 v28, 0
.LBB44_176:
	v_max_f32_e32 v29, v1, v1
	v_max_f32_e32 v25, v25, v25
	v_min_f32_e32 v25, v25, v29
	v_max_f32_e32 v29, v0, v0
	v_max_f32_e32 v24, v24, v24
	v_min_f32_e32 v24, v24, v29
	v_max_f32_e32 v29, v3, v3
	v_max_f32_e32 v27, v27, v27
	v_min_f32_e32 v27, v27, v29
	v_max_f32_e32 v29, v2, v2
	v_max_f32_e32 v26, v26, v26
	v_pk_add_f32 v[24:25], v[58:59], v[24:25]
	v_min_f32_e32 v26, v26, v29
	v_pk_add_f32 v[24:25], v[24:25], v[26:27]
	s_nop 0
	v_add_f32_e32 v24, v24, v25
	v_add_f32_e32 v26, v24, v28
	v_lshl_add_u64 v[24:25], v[102:103], 2, v[36:37]
	global_store_dword v[24:25], v26, off
	s_or_b64 exec, exec, s[2:3]
	s_and_b64 s[4:5], s[8:9], s[18:19]
	s_and_saveexec_b64 s[2:3], s[4:5]
	s_cbranch_execz .LBB44_160
.LBB44_177:
	s_and_b64 vcc, exec, s[0:1]
	s_cbranch_vccnz .LBB44_179
; %bb.178:
	v_lshl_add_u64 v[24:25], v[104:105], 2, v[38:39]
	flat_load_dword v24, v[24:25]
	s_waitcnt vmcnt(0) lgkmcnt(0)
	v_mul_f32_e32 v24, s30, v24
	s_branch .LBB44_180
.LBB44_179:
	v_mov_b32_e32 v24, 0
.LBB44_180:
	v_max_f32_e32 v25, v1, v1
	v_max_f32_e32 v21, v21, v21
	v_min_f32_e32 v21, v21, v25
	v_max_f32_e32 v25, v0, v0
	v_max_f32_e32 v20, v20, v20
	v_min_f32_e32 v20, v20, v25
	;; [unrolled: 3-line block ×3, first 2 shown]
	v_max_f32_e32 v25, v2, v2
	v_max_f32_e32 v22, v22, v22
	v_pk_add_f32 v[20:21], v[56:57], v[20:21]
	v_min_f32_e32 v22, v22, v25
	v_pk_add_f32 v[20:21], v[20:21], v[22:23]
	s_nop 0
	v_add_f32_e32 v20, v20, v21
	v_add_f32_e32 v22, v20, v24
	v_lshl_add_u64 v[20:21], v[104:105], 2, v[36:37]
	global_store_dword v[20:21], v22, off
	s_or_b64 exec, exec, s[2:3]
	s_and_b64 s[4:5], s[10:11], s[18:19]
	s_and_saveexec_b64 s[2:3], s[4:5]
	s_cbranch_execz .LBB44_161
.LBB44_181:
	s_and_b64 vcc, exec, s[0:1]
	s_cbranch_vccnz .LBB44_183
; %bb.182:
	v_lshl_add_u64 v[20:21], v[106:107], 2, v[38:39]
	flat_load_dword v20, v[20:21]
	s_waitcnt vmcnt(0) lgkmcnt(0)
	v_mul_f32_e32 v20, s30, v20
	s_branch .LBB44_184
.LBB44_183:
	v_mov_b32_e32 v20, 0
.LBB44_184:
	v_max_f32_e32 v21, v1, v1
	v_max_f32_e32 v17, v17, v17
	v_min_f32_e32 v17, v17, v21
	v_max_f32_e32 v21, v0, v0
	v_max_f32_e32 v16, v16, v16
	v_min_f32_e32 v16, v16, v21
	;; [unrolled: 3-line block ×3, first 2 shown]
	v_max_f32_e32 v21, v2, v2
	v_max_f32_e32 v18, v18, v18
	v_pk_add_f32 v[16:17], v[54:55], v[16:17]
	v_min_f32_e32 v18, v18, v21
	v_pk_add_f32 v[16:17], v[16:17], v[18:19]
	s_nop 0
	v_add_f32_e32 v16, v16, v17
	v_add_f32_e32 v18, v16, v20
	v_lshl_add_u64 v[16:17], v[106:107], 2, v[36:37]
	global_store_dword v[16:17], v18, off
	s_or_b64 exec, exec, s[2:3]
	s_and_b64 s[4:5], s[12:13], s[18:19]
	s_and_saveexec_b64 s[2:3], s[4:5]
	s_cbranch_execz .LBB44_162
.LBB44_185:
	s_and_b64 vcc, exec, s[0:1]
	s_cbranch_vccnz .LBB44_187
; %bb.186:
	v_lshl_add_u64 v[16:17], v[108:109], 2, v[38:39]
	flat_load_dword v16, v[16:17]
	s_waitcnt vmcnt(0) lgkmcnt(0)
	v_mul_f32_e32 v16, s30, v16
	s_branch .LBB44_188
.LBB44_187:
	v_mov_b32_e32 v16, 0
.LBB44_188:
	v_max_f32_e32 v17, v1, v1
	v_max_f32_e32 v13, v13, v13
	v_min_f32_e32 v13, v13, v17
	v_max_f32_e32 v17, v0, v0
	v_max_f32_e32 v12, v12, v12
	v_min_f32_e32 v12, v12, v17
	;; [unrolled: 3-line block ×3, first 2 shown]
	v_max_f32_e32 v17, v2, v2
	v_max_f32_e32 v14, v14, v14
	v_pk_add_f32 v[12:13], v[52:53], v[12:13]
	v_min_f32_e32 v14, v14, v17
	v_pk_add_f32 v[12:13], v[12:13], v[14:15]
	s_nop 0
	v_add_f32_e32 v12, v12, v13
	v_add_f32_e32 v14, v12, v16
	v_lshl_add_u64 v[12:13], v[108:109], 2, v[36:37]
	global_store_dword v[12:13], v14, off
	s_or_b64 exec, exec, s[2:3]
	s_and_b64 s[4:5], s[14:15], s[18:19]
	s_and_saveexec_b64 s[2:3], s[4:5]
	s_cbranch_execz .LBB44_163
.LBB44_189:
	s_and_b64 vcc, exec, s[0:1]
	s_cbranch_vccnz .LBB44_191
; %bb.190:
	v_lshl_add_u64 v[12:13], v[110:111], 2, v[38:39]
	flat_load_dword v12, v[12:13]
	s_waitcnt vmcnt(0) lgkmcnt(0)
	v_mul_f32_e32 v12, s30, v12
	s_branch .LBB44_192
.LBB44_191:
	v_mov_b32_e32 v12, 0
.LBB44_192:
	v_max_f32_e32 v13, v1, v1
	v_max_f32_e32 v9, v9, v9
	v_min_f32_e32 v9, v9, v13
	v_max_f32_e32 v13, v0, v0
	v_max_f32_e32 v8, v8, v8
	v_min_f32_e32 v8, v8, v13
	;; [unrolled: 3-line block ×3, first 2 shown]
	v_max_f32_e32 v13, v2, v2
	v_max_f32_e32 v10, v10, v10
	v_pk_add_f32 v[8:9], v[50:51], v[8:9]
	v_min_f32_e32 v10, v10, v13
	v_pk_add_f32 v[8:9], v[8:9], v[10:11]
	s_nop 0
	v_add_f32_e32 v8, v8, v9
	v_add_f32_e32 v10, v8, v12
	v_lshl_add_u64 v[8:9], v[110:111], 2, v[36:37]
	global_store_dword v[8:9], v10, off
	s_or_b64 exec, exec, s[2:3]
	s_and_b64 s[2:3], s[16:17], s[18:19]
	s_and_saveexec_b64 s[4:5], s[2:3]
	s_cbranch_execz .LBB44_164
.LBB44_193:
	s_and_b64 vcc, exec, s[0:1]
	s_cbranch_vccnz .LBB44_195
; %bb.194:
	v_lshl_add_u64 v[8:9], v[112:113], 2, v[38:39]
	flat_load_dword v8, v[8:9]
	s_waitcnt vmcnt(0) lgkmcnt(0)
	v_mul_f32_e32 v8, s30, v8
	s_branch .LBB44_196
.LBB44_195:
	v_mov_b32_e32 v8, 0
.LBB44_196:
	v_max_f32_e32 v0, v0, v0
	v_max_f32_e32 v4, v4, v4
	;; [unrolled: 1-line block ×4, first 2 shown]
	v_min_f32_e32 v0, v4, v0
	v_max_f32_e32 v3, v3, v3
	v_max_f32_e32 v4, v7, v7
	v_min_f32_e32 v1, v5, v1
	v_min_f32_e32 v3, v4, v3
	v_max_f32_e32 v2, v2, v2
	v_max_f32_e32 v4, v6, v6
	v_pk_add_f32 v[0:1], v[48:49], v[0:1]
	v_min_f32_e32 v2, v4, v2
	v_pk_add_f32 v[0:1], v[0:1], v[2:3]
	s_nop 0
	v_add_f32_e32 v0, v0, v1
	v_add_f32_e32 v2, v0, v8
	v_lshl_add_u64 v[0:1], v[112:113], 2, v[36:37]
	global_store_dword v[0:1], v2, off
	s_endpgm
	.section	.rodata,"a",@progbits
	.p2align	6, 0x0
	.amdhsa_kernel _ZN12_GLOBAL__N_120geam_min_plus_kernelIf15HIP_vector_typeIfLj2EES2_Li8ELi32ELi64ELi128ELi4ELi64ELi4ELi64ELi4ELc78ELc84ELb0ELb1ELb0EfKPKfKPfEEviiiT16_PT17_ilSA_ilS8_SA_ilPT18_ili26rocblas_geam_ex_operation_
		.amdhsa_group_segment_fixed_size 6144
		.amdhsa_private_segment_fixed_size 0
		.amdhsa_kernarg_size 128
		.amdhsa_user_sgpr_count 2
		.amdhsa_user_sgpr_dispatch_ptr 0
		.amdhsa_user_sgpr_queue_ptr 0
		.amdhsa_user_sgpr_kernarg_segment_ptr 1
		.amdhsa_user_sgpr_dispatch_id 0
		.amdhsa_user_sgpr_kernarg_preload_length 0
		.amdhsa_user_sgpr_kernarg_preload_offset 0
		.amdhsa_user_sgpr_private_segment_size 0
		.amdhsa_uses_dynamic_stack 0
		.amdhsa_enable_private_segment 0
		.amdhsa_system_sgpr_workgroup_id_x 1
		.amdhsa_system_sgpr_workgroup_id_y 0
		.amdhsa_system_sgpr_workgroup_id_z 1
		.amdhsa_system_sgpr_workgroup_info 0
		.amdhsa_system_vgpr_workitem_id 1
		.amdhsa_next_free_vgpr 223
		.amdhsa_next_free_sgpr 38
		.amdhsa_accum_offset 224
		.amdhsa_reserve_vcc 1
		.amdhsa_float_round_mode_32 0
		.amdhsa_float_round_mode_16_64 0
		.amdhsa_float_denorm_mode_32 3
		.amdhsa_float_denorm_mode_16_64 3
		.amdhsa_dx10_clamp 1
		.amdhsa_ieee_mode 1
		.amdhsa_fp16_overflow 0
		.amdhsa_tg_split 0
		.amdhsa_exception_fp_ieee_invalid_op 0
		.amdhsa_exception_fp_denorm_src 0
		.amdhsa_exception_fp_ieee_div_zero 0
		.amdhsa_exception_fp_ieee_overflow 0
		.amdhsa_exception_fp_ieee_underflow 0
		.amdhsa_exception_fp_ieee_inexact 0
		.amdhsa_exception_int_div_zero 0
	.end_amdhsa_kernel
	.section	.text._ZN12_GLOBAL__N_120geam_min_plus_kernelIf15HIP_vector_typeIfLj2EES2_Li8ELi32ELi64ELi128ELi4ELi64ELi4ELi64ELi4ELc78ELc84ELb0ELb1ELb0EfKPKfKPfEEviiiT16_PT17_ilSA_ilS8_SA_ilPT18_ili26rocblas_geam_ex_operation_,"axG",@progbits,_ZN12_GLOBAL__N_120geam_min_plus_kernelIf15HIP_vector_typeIfLj2EES2_Li8ELi32ELi64ELi128ELi4ELi64ELi4ELi64ELi4ELc78ELc84ELb0ELb1ELb0EfKPKfKPfEEviiiT16_PT17_ilSA_ilS8_SA_ilPT18_ili26rocblas_geam_ex_operation_,comdat
.Lfunc_end44:
	.size	_ZN12_GLOBAL__N_120geam_min_plus_kernelIf15HIP_vector_typeIfLj2EES2_Li8ELi32ELi64ELi128ELi4ELi64ELi4ELi64ELi4ELc78ELc84ELb0ELb1ELb0EfKPKfKPfEEviiiT16_PT17_ilSA_ilS8_SA_ilPT18_ili26rocblas_geam_ex_operation_, .Lfunc_end44-_ZN12_GLOBAL__N_120geam_min_plus_kernelIf15HIP_vector_typeIfLj2EES2_Li8ELi32ELi64ELi128ELi4ELi64ELi4ELi64ELi4ELc78ELc84ELb0ELb1ELb0EfKPKfKPfEEviiiT16_PT17_ilSA_ilS8_SA_ilPT18_ili26rocblas_geam_ex_operation_
                                        ; -- End function
	.section	.AMDGPU.csdata,"",@progbits
; Kernel info:
; codeLenInByte = 11172
; NumSgprs: 44
; NumVgprs: 223
; NumAgprs: 0
; TotalNumVgprs: 223
; ScratchSize: 0
; MemoryBound: 0
; FloatMode: 240
; IeeeMode: 1
; LDSByteSize: 6144 bytes/workgroup (compile time only)
; SGPRBlocks: 5
; VGPRBlocks: 27
; NumSGPRsForWavesPerEU: 44
; NumVGPRsForWavesPerEU: 223
; AccumOffset: 224
; Occupancy: 2
; WaveLimiterHint : 1
; COMPUTE_PGM_RSRC2:SCRATCH_EN: 0
; COMPUTE_PGM_RSRC2:USER_SGPR: 2
; COMPUTE_PGM_RSRC2:TRAP_HANDLER: 0
; COMPUTE_PGM_RSRC2:TGID_X_EN: 1
; COMPUTE_PGM_RSRC2:TGID_Y_EN: 0
; COMPUTE_PGM_RSRC2:TGID_Z_EN: 1
; COMPUTE_PGM_RSRC2:TIDIG_COMP_CNT: 1
; COMPUTE_PGM_RSRC3_GFX90A:ACCUM_OFFSET: 55
; COMPUTE_PGM_RSRC3_GFX90A:TG_SPLIT: 0
	.section	.text._ZN12_GLOBAL__N_120geam_min_plus_kernelIf15HIP_vector_typeIfLj2EES2_Li8ELi32ELi64ELi128ELi4ELi4ELi64ELi64ELi4ELc84ELc84ELb0ELb0ELb0EPKfKS4_KPfEEviiiT16_PT17_ilSA_ilS8_SA_ilPT18_ili26rocblas_geam_ex_operation_,"axG",@progbits,_ZN12_GLOBAL__N_120geam_min_plus_kernelIf15HIP_vector_typeIfLj2EES2_Li8ELi32ELi64ELi128ELi4ELi4ELi64ELi64ELi4ELc84ELc84ELb0ELb0ELb0EPKfKS4_KPfEEviiiT16_PT17_ilSA_ilS8_SA_ilPT18_ili26rocblas_geam_ex_operation_,comdat
	.globl	_ZN12_GLOBAL__N_120geam_min_plus_kernelIf15HIP_vector_typeIfLj2EES2_Li8ELi32ELi64ELi128ELi4ELi4ELi64ELi64ELi4ELc84ELc84ELb0ELb0ELb0EPKfKS4_KPfEEviiiT16_PT17_ilSA_ilS8_SA_ilPT18_ili26rocblas_geam_ex_operation_ ; -- Begin function _ZN12_GLOBAL__N_120geam_min_plus_kernelIf15HIP_vector_typeIfLj2EES2_Li8ELi32ELi64ELi128ELi4ELi4ELi64ELi64ELi4ELc84ELc84ELb0ELb0ELb0EPKfKS4_KPfEEviiiT16_PT17_ilSA_ilS8_SA_ilPT18_ili26rocblas_geam_ex_operation_
	.p2align	8
	.type	_ZN12_GLOBAL__N_120geam_min_plus_kernelIf15HIP_vector_typeIfLj2EES2_Li8ELi32ELi64ELi128ELi4ELi4ELi64ELi64ELi4ELc84ELc84ELb0ELb0ELb0EPKfKS4_KPfEEviiiT16_PT17_ilSA_ilS8_SA_ilPT18_ili26rocblas_geam_ex_operation_,@function
_ZN12_GLOBAL__N_120geam_min_plus_kernelIf15HIP_vector_typeIfLj2EES2_Li8ELi32ELi64ELi128ELi4ELi4ELi64ELi64ELi4ELc84ELc84ELb0ELb0ELb0EPKfKS4_KPfEEviiiT16_PT17_ilSA_ilS8_SA_ilPT18_ili26rocblas_geam_ex_operation_: ; @_ZN12_GLOBAL__N_120geam_min_plus_kernelIf15HIP_vector_typeIfLj2EES2_Li8ELi32ELi64ELi128ELi4ELi4ELi64ELi64ELi4ELc84ELc84ELb0ELb0ELb0EPKfKS4_KPfEEviiiT16_PT17_ilSA_ilS8_SA_ilPT18_ili26rocblas_geam_ex_operation_
; %bb.0:
	s_load_dwordx4 s[12:15], s[0:1], 0x10
	s_load_dwordx4 s[4:7], s[0:1], 0x28
	s_mov_b32 s20, s3
	s_mov_b32 s21, 0
	s_lshl_b64 s[16:17], s[20:21], 2
	s_waitcnt lgkmcnt(0)
	s_add_u32 s18, s12, s16
	s_load_dwordx4 s[8:11], s[0:1], 0x40
	s_addc_u32 s19, s13, s17
	s_load_dword s12, s[18:19], 0x0
	s_load_dwordx2 s[22:23], s[0:1], 0x50
	s_mov_b64 s[18:19], 0
	s_waitcnt lgkmcnt(0)
	s_add_u32 s10, s10, s16
	s_addc_u32 s11, s11, s17
	v_cmp_eq_f32_e64 s[16:17], s12, 0
	v_cmp_neq_f32_e64 s[24:25], s12, 0
	s_and_b64 vcc, exec, s[16:17]
	s_mov_b64 s[16:17], 0
	s_cbranch_vccnz .LBB45_2
; %bb.1:
	s_lshl_b64 s[16:17], s[20:21], 3
	s_add_u32 s14, s14, s16
	s_addc_u32 s15, s15, s17
	s_load_dwordx2 s[14:15], s[14:15], 0x0
	s_lshl_b64 s[4:5], s[4:5], 2
	s_waitcnt lgkmcnt(0)
	s_add_u32 s16, s14, s4
	s_addc_u32 s17, s15, s5
.LBB45_2:
	s_load_dword s26, s[10:11], 0x0
	v_cndmask_b32_e64 v1, 0, 1, s[24:25]
	v_cmp_ne_u32_e64 s[4:5], 1, v1
	s_andn2_b64 vcc, exec, s[24:25]
	s_cbranch_vccnz .LBB45_4
; %bb.3:
	s_lshl_b64 s[10:11], s[20:21], 3
	s_add_u32 s6, s6, s10
	s_addc_u32 s7, s7, s11
	s_load_dwordx2 s[6:7], s[6:7], 0x0
	s_lshl_b64 s[8:9], s[8:9], 2
	s_waitcnt lgkmcnt(0)
	s_add_u32 s18, s6, s8
	s_addc_u32 s19, s7, s9
.LBB45_4:
	s_load_dwordx4 s[8:11], s[0:1], 0x60
	s_waitcnt lgkmcnt(0)
	v_cmp_eq_f32_e64 s[6:7], s26, 0
	s_and_b64 s[6:7], exec, s[6:7]
	s_mov_b64 vcc, s[6:7]
	s_cbranch_vccnz .LBB45_6
; %bb.5:
	s_lshl_b64 s[14:15], s[20:21], 3
	s_add_u32 s14, s22, s14
	s_addc_u32 s15, s23, s15
	s_load_dwordx2 s[14:15], s[14:15], 0x0
	s_lshl_b64 s[8:9], s[8:9], 2
	s_waitcnt lgkmcnt(0)
	s_add_u32 s8, s14, s8
	s_addc_u32 s9, s15, s9
	s_branch .LBB45_7
.LBB45_6:
	s_mov_b64 s[8:9], 0
.LBB45_7:
	s_load_dword s3, s[0:1], 0x0
	s_load_dword s23, s[0:1], 0x20
	s_lshl_b64 s[14:15], s[20:21], 3
	s_add_u32 s10, s10, s14
	s_addc_u32 s11, s11, s15
	s_waitcnt lgkmcnt(0)
	s_add_i32 s3, s3, -1
	s_ashr_i32 s13, s3, 31
	s_lshr_b32 s13, s13, 26
	s_add_i32 s3, s3, s13
	s_ashr_i32 s3, s3, 6
	s_add_i32 s13, s3, 1
	v_cvt_f32_u32_e32 v1, s13
	v_and_b32_e32 v202, 0x3ff, v0
	v_bfe_u32 v203, v0, 10, 10
	s_not_b32 s3, s3
	v_rcp_iflag_f32_e32 v1, v1
	v_lshl_add_u32 v2, v203, 3, v202
	v_lshrrev_b32_e32 v9, 2, v2
	v_mul_f32_e32 v0, 0x4f7ffffe, v1
	v_cvt_u32_f32_e32 v0, v0
	v_and_b32_e32 v1, 3, v202
	v_readfirstlane_b32 s14, v0
	s_mul_i32 s3, s3, s14
	s_mul_hi_u32 s3, s14, s3
	s_add_i32 s14, s14, s3
	s_mul_hi_u32 s3, s2, s14
	s_mul_i32 s14, s3, s13
	s_sub_i32 s14, s2, s14
	s_add_i32 s15, s3, 1
	s_sub_i32 s20, s14, s13
	s_cmp_ge_u32 s14, s13
	s_cselect_b32 s3, s15, s3
	s_cselect_b32 s14, s20, s14
	s_add_i32 s15, s3, 1
	s_cmp_ge_u32 s14, s13
	s_cselect_b32 s3, s15, s3
	s_mul_i32 s13, s3, s13
	s_sub_i32 s2, s2, s13
	s_lshl_b32 s20, s2, 6
	s_and_b64 vcc, exec, s[4:5]
	v_add_u32_e32 v6, s20, v9
	v_lshlrev_b32_e32 v0, 2, v1
	s_cbranch_vccnz .LBB45_9
; %bb.8:
	v_mad_i64_i32 v[4:5], s[14:15], v6, s23, 0
	v_lshl_add_u64 v[4:5], v[4:5], 2, s[16:17]
	v_mov_b32_e32 v1, 0
	v_lshl_add_u64 v[4:5], v[4:5], 0, v[0:1]
	flat_load_dword v1, v[4:5]
	s_waitcnt vmcnt(0) lgkmcnt(0)
	v_mul_f32_e32 v10, s12, v1
	s_branch .LBB45_10
.LBB45_9:
	v_mov_b32_e32 v10, 0
.LBB45_10:
	s_load_dword s14, s[0:1], 0x38
	v_and_b32_e32 v8, 63, v2
	s_lshl_b32 s21, s3, 7
	v_lshrrev_b32_e32 v7, 6, v2
	v_or_b32_e32 v2, s21, v8
	s_and_b64 vcc, exec, s[4:5]
	s_waitcnt lgkmcnt(0)
	s_ashr_i32 s15, s14, 31
	v_ashrrev_i32_e32 v3, 31, v2
	s_cbranch_vccnz .LBB45_14
; %bb.11:
	v_mad_i64_i32 v[4:5], s[2:3], s14, v7, 0
	v_lshl_add_u64 v[4:5], v[4:5], 2, s[18:19]
	v_lshl_add_u64 v[4:5], v[2:3], 2, v[4:5]
	flat_load_dword v12, v[4:5]
	flat_load_dword v13, v[4:5] offset:256
	s_waitcnt vmcnt(0) lgkmcnt(0)
	v_pk_mul_f32 v[4:5], s[12:13], v[12:13] op_sel_hi:[0,1]
	s_and_b64 vcc, exec, s[4:5]
	s_cbranch_vccnz .LBB45_15
.LBB45_12:
	v_mad_i64_i32 v[12:13], s[2:3], v6, s23, 0
	v_lshl_add_u64 v[12:13], v[12:13], 2, s[16:17]
	v_mov_b32_e32 v1, 0
	v_lshl_add_u64 v[12:13], v[12:13], 0, v[0:1]
	flat_load_dword v1, v[12:13] offset:16
	s_waitcnt vmcnt(0) lgkmcnt(0)
	v_mul_f32_e32 v1, s12, v1
	s_and_b64 vcc, exec, s[4:5]
	s_cbranch_vccnz .LBB45_16
.LBB45_13:
	v_add_u32_e32 v11, 4, v7
	v_mad_i64_i32 v[12:13], s[2:3], s14, v11, 0
	v_lshl_add_u64 v[12:13], v[12:13], 2, s[18:19]
	v_lshl_add_u64 v[2:3], v[2:3], 2, v[12:13]
	flat_load_dword v12, v[2:3]
	flat_load_dword v13, v[2:3] offset:256
	s_waitcnt vmcnt(0) lgkmcnt(0)
	v_pk_mul_f32 v[2:3], s[12:13], v[12:13] op_sel_hi:[0,1]
	s_branch .LBB45_17
.LBB45_14:
	v_mov_b32_e32 v4, 0
	v_mov_b32_e32 v5, 0
	s_and_b64 vcc, exec, s[4:5]
	s_cbranch_vccz .LBB45_12
.LBB45_15:
	v_mov_b32_e32 v1, 0
	s_and_b64 vcc, exec, s[4:5]
	s_cbranch_vccz .LBB45_13
.LBB45_16:
	v_mov_b32_e32 v2, 0
	v_mov_b32_e32 v3, 0
.LBB45_17:
	v_lshl_or_b32 v9, v9, 4, v0
	ds_write_b32 v9, v10 offset:4096
	v_lshlrev_b32_e32 v10, 2, v7
	v_lshl_add_u32 v206, v8, 4, v10
	v_lshlrev_b32_e32 v205, 4, v203
	s_load_dwordx2 s[2:3], s[10:11], 0x0
	ds_write2st64_b32 v206, v4, v5 offset1:4
	s_waitcnt lgkmcnt(0)
	s_barrier
	ds_read_b128 v[10:13], v205
	v_lshlrev_b32_e32 v204, 4, v202
	ds_read_b128 v[14:17], v204 offset:4992
	ds_read_b128 v[18:21], v205 offset:512
	;; [unrolled: 1-line block ×5, first 2 shown]
	s_waitcnt lgkmcnt(5)
	v_max_f32_e32 v52, v11, v11
	s_waitcnt lgkmcnt(4)
	v_max_f32_e32 v56, v15, v15
	v_max_f32_e32 v53, v10, v10
	;; [unrolled: 1-line block ×3, first 2 shown]
	ds_read_b128 v[34:37], v204 offset:4096
	ds_read_b128 v[38:41], v204 offset:4224
	v_max_f32_e32 v106, v13, v13
	v_max_f32_e32 v107, v12, v12
	;; [unrolled: 1-line block ×4, first 2 shown]
	ds_read_b128 v[10:13], v204 offset:4352
	ds_read_b128 v[14:17], v204 offset:4480
	s_waitcnt lgkmcnt(4)
	v_max_f32_e32 v58, v31, v31
	v_max_f32_e32 v59, v30, v30
	;; [unrolled: 1-line block ×4, first 2 shown]
	s_waitcnt lgkmcnt(2)
	v_max_f32_e32 v26, v38, v38
	v_max_f32_e32 v27, v39, v39
	s_waitcnt lgkmcnt(1)
	v_max_f32_e32 v30, v10, v10
	v_max_f32_e32 v31, v11, v11
	;; [unrolled: 3-line block ×3, first 2 shown]
	v_max_f32_e32 v73, v13, v13
	ds_read_b128 v[10:13], v204 offset:4608
	v_max_f32_e32 v39, v15, v15
	v_max_f32_e32 v76, v16, v16
	v_max_f32_e32 v77, v17, v17
	ds_read_b128 v[14:17], v204 offset:4736
	v_max_f32_e32 v54, v19, v19
	v_max_f32_e32 v55, v18, v18
	;; [unrolled: 1-line block ×4, first 2 shown]
	s_waitcnt lgkmcnt(0)
	v_max_f32_e32 v50, v14, v14
	v_max_f32_e32 v51, v15, v15
	;; [unrolled: 1-line block ×6, first 2 shown]
	v_min_f32_e32 v48, v50, v53
	v_min_f32_e32 v49, v51, v52
	;; [unrolled: 1-line block ×10, first 2 shown]
	v_max_f32_e32 v122, v21, v21
	v_max_f32_e32 v123, v20, v20
	;; [unrolled: 1-line block ×12, first 2 shown]
	v_min_f32_e32 v4, v18, v53
	v_min_f32_e32 v5, v19, v52
	;; [unrolled: 1-line block ×38, first 2 shown]
	v_pk_add_f32 v[50:51], v[50:51], 0 op_sel_hi:[1,0]
	v_min_f32_e32 v57, v120, v106
	v_min_f32_e32 v56, v121, v107
	v_pk_add_f32 v[88:89], v[56:57], v[50:51]
	v_pk_add_f32 v[50:51], v[52:53], 0 op_sel_hi:[1,0]
	v_min_f32_e32 v53, v120, v122
	v_min_f32_e32 v52, v121, v123
	v_max_f32_e32 v66, v36, v36
	v_max_f32_e32 v67, v37, v37
	v_pk_add_f32 v[74:75], v[52:53], v[50:51]
	v_pk_add_f32 v[50:51], v[54:55], 0 op_sel_hi:[1,0]
	v_min_f32_e32 v53, v120, v124
	v_min_f32_e32 v52, v121, v125
	v_max_f32_e32 v126, v29, v29
	v_max_f32_e32 v127, v28, v28
	v_min_f32_e32 v28, v30, v59
	v_min_f32_e32 v29, v31, v58
	;; [unrolled: 1-line block ×14, first 2 shown]
	v_pk_add_f32 v[60:61], v[52:53], v[50:51]
	v_pk_add_f32 v[4:5], v[4:5], 0 op_sel_hi:[1,0]
	v_min_f32_e32 v50, v66, v107
	v_min_f32_e32 v51, v67, v106
	v_pk_add_f32 v[118:119], v[50:51], v[4:5]
	v_pk_add_f32 v[4:5], v[10:11], 0 op_sel_hi:[1,0]
	v_min_f32_e32 v10, v66, v123
	v_min_f32_e32 v11, v67, v122
	;; [unrolled: 4-line block ×3, first 2 shown]
	v_min_f32_e32 v100, v70, v59
	v_min_f32_e32 v101, v71, v58
	v_pk_add_f32 v[70:71], v[10:11], v[4:5]
	v_min_f32_e32 v5, v67, v126
	v_min_f32_e32 v4, v66, v127
	v_pk_add_f32 v[10:11], v[14:15], 0 op_sel_hi:[1,0]
	s_load_dword s22, s[0:1], 0x8
	v_pk_add_f32 v[56:57], v[4:5], v[10:11]
	v_pk_add_f32 v[4:5], v[16:17], 0 op_sel_hi:[1,0]
	v_min_f32_e32 v10, v68, v107
	v_min_f32_e32 v11, v69, v106
	v_pk_add_f32 v[116:117], v[10:11], v[4:5]
	v_pk_add_f32 v[4:5], v[18:19], 0 op_sel_hi:[1,0]
	v_min_f32_e32 v10, v68, v123
	v_min_f32_e32 v11, v69, v122
	;; [unrolled: 4-line block ×3, first 2 shown]
	v_pk_add_f32 v[66:67], v[10:11], v[4:5]
	v_min_f32_e32 v5, v69, v126
	v_min_f32_e32 v4, v68, v127
	v_pk_add_f32 v[10:11], v[22:23], 0 op_sel_hi:[1,0]
	s_waitcnt lgkmcnt(0)
	s_cmp_lt_i32 s22, 9
	v_pk_add_f32 v[50:51], v[4:5], v[10:11]
	v_pk_add_f32 v[4:5], v[24:25], 0 op_sel_hi:[1,0]
	v_min_f32_e32 v10, v72, v107
	v_min_f32_e32 v11, v73, v106
	v_pk_add_f32 v[114:115], v[10:11], v[4:5]
	v_pk_add_f32 v[4:5], v[26:27], 0 op_sel_hi:[1,0]
	v_min_f32_e32 v10, v72, v123
	v_min_f32_e32 v11, v73, v122
	;; [unrolled: 4-line block ×3, first 2 shown]
	v_pk_add_f32 v[68:69], v[10:11], v[4:5]
	v_min_f32_e32 v5, v73, v126
	v_min_f32_e32 v4, v72, v127
	v_pk_add_f32 v[10:11], v[30:31], 0 op_sel_hi:[1,0]
	ds_write2st64_b32 v206, v2, v3 offset0:8 offset1:12
	ds_write_b32 v9, v1 offset:5120
	v_pk_add_f32 v[52:53], v[4:5], v[10:11]
	v_pk_add_f32 v[4:5], v[32:33], 0 op_sel_hi:[1,0]
	v_min_f32_e32 v10, v76, v107
	v_min_f32_e32 v11, v77, v106
	v_pk_add_f32 v[112:113], v[10:11], v[4:5]
	v_pk_add_f32 v[4:5], v[34:35], 0 op_sel_hi:[1,0]
	v_min_f32_e32 v10, v76, v123
	v_min_f32_e32 v11, v77, v122
	;; [unrolled: 4-line block ×3, first 2 shown]
	v_pk_add_f32 v[72:73], v[10:11], v[4:5]
	v_min_f32_e32 v5, v77, v126
	v_min_f32_e32 v4, v76, v127
	v_pk_add_f32 v[10:11], v[38:39], 0 op_sel_hi:[1,0]
	s_waitcnt lgkmcnt(0)
	v_pk_add_f32 v[54:55], v[4:5], v[10:11]
	v_pk_add_f32 v[4:5], v[40:41], 0 op_sel_hi:[1,0]
	v_min_f32_e32 v10, v78, v107
	v_min_f32_e32 v11, v79, v106
	v_pk_add_f32 v[110:111], v[10:11], v[4:5]
	v_pk_add_f32 v[4:5], v[42:43], 0 op_sel_hi:[1,0]
	v_min_f32_e32 v10, v78, v123
	v_min_f32_e32 v11, v79, v122
	;; [unrolled: 4-line block ×3, first 2 shown]
	v_pk_add_f32 v[76:77], v[10:11], v[4:5]
	v_min_f32_e32 v5, v79, v126
	v_min_f32_e32 v4, v78, v127
	v_pk_add_f32 v[10:11], v[46:47], 0 op_sel_hi:[1,0]
	s_barrier
	v_pk_add_f32 v[58:59], v[4:5], v[10:11]
	v_pk_add_f32 v[4:5], v[48:49], 0 op_sel_hi:[1,0]
	v_min_f32_e32 v10, v128, v107
	v_min_f32_e32 v11, v129, v106
	v_pk_add_f32 v[108:109], v[10:11], v[4:5]
	v_pk_add_f32 v[4:5], v[62:63], 0 op_sel_hi:[1,0]
	v_min_f32_e32 v10, v128, v123
	v_min_f32_e32 v11, v129, v122
	;; [unrolled: 4-line block ×3, first 2 shown]
	v_pk_add_f32 v[78:79], v[10:11], v[4:5]
	v_min_f32_e32 v5, v129, v126
	v_min_f32_e32 v4, v128, v127
	v_pk_add_f32 v[10:11], v[80:81], 0 op_sel_hi:[1,0]
	s_nop 0
	v_pk_add_f32 v[62:63], v[4:5], v[10:11]
	v_min_f32_e32 v4, v130, v107
	v_min_f32_e32 v5, v131, v106
	v_pk_add_f32 v[10:11], v[96:97], 0 op_sel_hi:[1,0]
	s_nop 0
	;; [unrolled: 5-line block ×6, first 2 shown]
	v_pk_add_f32 v[48:49], v[4:5], v[10:11]
	s_cbranch_scc1 .LBB45_31
; %bb.18:
	v_mov_b32_e32 v1, 0x1400
	v_lshl_add_u32 v211, v202, 4, v1
	v_mov_b32_e32 v1, 0x800
	v_lshl_add_u32 v212, v203, 4, v1
	v_add_u32_e32 v1, 12, v7
	v_mad_i64_i32 v[2:3], s[10:11], v1, s14, 0
	v_lshlrev_b64 v[98:99], 2, v[2:3]
	v_add_u32_e32 v2, s21, v8
	v_ashrrev_i32_e32 v3, 31, v2
	v_lshl_add_u64 v[100:101], v[2:3], 2, s[18:19]
	v_mad_i64_i32 v[2:3], s[18:19], s23, v6, 0
	v_mov_b32_e32 v1, 0
	v_lshl_add_u64 v[0:1], v[2:3], 2, v[0:1]
	v_lshl_add_u64 v[0:1], v[0:1], 0, s[16:17]
	v_lshl_add_u64 v[102:103], v[0:1], 0, 32
	v_add_u32_e32 v0, 8, v7
	s_lshl_b64 s[10:11], s[14:15], 5
	v_mad_i64_i32 v[0:1], s[14:15], v0, s14, 0
	v_add_u32_e32 v207, 0x1000, v9
	v_add_u32_e32 v208, 0x1000, v204
	v_add_u32_e32 v209, 0x1400, v9
	v_or_b32_e32 v210, 0x800, v206
	s_add_i32 s22, s22, -8
	s_mov_b32 s13, s12
	v_lshlrev_b64 v[104:105], 2, v[0:1]
	s_mov_b32 s14, 0
	s_branch .LBB45_21
.LBB45_19:                              ;   in Loop: Header=BB45_21 Depth=1
	v_lshl_add_u64 v[16:17], v[100:101], 0, v[98:99]
	flat_load_dword v214, v[16:17]
	flat_load_dword v215, v[16:17] offset:256
	s_waitcnt vmcnt(0) lgkmcnt(0)
	v_pk_mul_f32 v[16:17], s[12:13], v[214:215]
.LBB45_20:                              ;   in Loop: Header=BB45_21 Depth=1
	v_pk_add_f32 v[40:41], v[40:41], v[88:89]
	v_pk_add_f32 v[32:33], v[32:33], v[60:61]
	v_pk_add_f32 v[60:61], v[120:121], v[118:119]
	v_pk_add_f32 v[44:45], v[44:45], v[86:87]
	v_pk_add_f32 v[24:25], v[24:25], v[56:57]
	v_pk_add_f32 v[56:57], v[124:125], v[116:117]
	v_pk_add_f32 v[82:83], v[122:123], v[82:83]
	v_pk_add_f32 v[20:21], v[20:21], v[66:67]
	v_pk_add_f32 v[50:51], v[126:127], v[50:51]
	v_pk_add_f32 v[86:87], v[132:133], v[114:115]
	v_pk_add_f32 v[84:85], v[130:131], v[84:85]
	v_pk_add_f32 v[12:13], v[12:13], v[72:73]
	v_pk_add_f32 v[8:9], v[8:9], v[76:77]
	v_pk_add_f32 v[4:5], v[4:5], v[78:79]
	v_pk_add_f32 v[0:1], v[0:1], v[80:81]
	v_pk_add_f32 v[80:81], v[158:159], v[64:65]
	v_pk_add_f32 v[28:29], v[28:29], v[70:71]
	v_pk_add_f32 v[114:115], v[140:141], v[54:55]
	v_pk_add_f32 v[118:119], v[152:153], v[62:63]
	v_pk_add_f32 v[122:123], v[42:43], v[40:41]
	v_pk_add_f32 v[76:77], v[34:35], v[32:33]
	v_pk_add_f32 v[70:71], v[162:163], v[60:61]
	v_pk_add_f32 v[62:63], v[166:167], v[56:57]
	v_pk_add_f32 v[64:65], v[164:165], v[82:83]
	v_pk_add_f32 v[66:67], v[22:23], v[20:21]
	v_pk_add_f32 v[60:61], v[168:169], v[50:51]
	v_pk_add_f32 v[54:55], v[172:173], v[86:87]
	v_pk_add_f32 v[56:57], v[170:171], v[84:85]
	v_pk_add_f32 v[50:51], v[14:15], v[12:13]
	v_pk_add_f32 v[42:43], v[10:11], v[8:9]
	v_pk_add_f32 v[34:35], v[188:189], v[4:5]
	v_pk_add_f32 v[20:21], v[2:3], v[0:1]
	ds_read_b128 v[0:3], v205
	ds_read_b128 v[8:11], v205 offset:512
	v_pk_add_f32 v[22:23], v[6:7], v[80:81]
	ds_read_b128 v[4:7], v208 offset:896
	ds_read_b128 v[12:15], v208 offset:768
	;; [unrolled: 1-line block ×4, first 2 shown]
	v_pk_add_f32 v[88:89], v[128:129], v[68:69]
	v_pk_add_f32 v[90:91], v[136:137], v[90:91]
	;; [unrolled: 1-line block ×6, first 2 shown]
	ds_read_b128 v[88:91], v208
	v_pk_add_f32 v[36:37], v[36:37], v[74:75]
	v_pk_add_f32 v[112:113], v[138:139], v[112:113]
	;; [unrolled: 1-line block ×9, first 2 shown]
	s_waitcnt lgkmcnt(4)
	v_max_f32_e32 v113, v5, v5
	v_max_f32_e32 v115, v4, v4
	v_max_f32_e32 v116, v9, v9
	v_max_f32_e32 v117, v8, v8
	s_waitcnt lgkmcnt(1)
	v_max_f32_e32 v118, v85, v85
	v_max_f32_e32 v119, v84, v84
	v_min_f32_e32 v5, v113, v116
	v_min_f32_e32 v4, v115, v117
	v_min_f32_e32 v9, v113, v118
	v_min_f32_e32 v8, v115, v119
	v_max_f32_e32 v112, v1, v1
	v_max_f32_e32 v114, v0, v0
	v_pk_add_f32 v[4:5], v[4:5], v[78:79]
	v_pk_add_f32 v[8:9], v[8:9], v[76:77]
	ds_read_b128 v[76:79], v208 offset:128
	s_waitcnt lgkmcnt(1)
	v_max_f32_e32 v88, v88, v88
	v_max_f32_e32 v89, v89, v89
	v_min_f32_e32 v84, v88, v114
	v_min_f32_e32 v85, v89, v112
	v_pk_add_f32 v[92:93], v[142:143], v[92:93]
	v_pk_add_f32 v[84:85], v[84:85], v[70:71]
	v_min_f32_e32 v70, v88, v117
	v_min_f32_e32 v71, v89, v116
	v_pk_add_f32 v[94:95], v[148:149], v[94:95]
	v_pk_add_f32 v[40:41], v[182:183], v[92:93]
	;; [unrolled: 1-line block ×3, first 2 shown]
	v_min_f32_e32 v70, v88, v119
	v_min_f32_e32 v71, v89, v118
	v_pk_add_f32 v[32:33], v[192:193], v[94:95]
	v_pk_add_f32 v[94:95], v[70:71], v[74:75]
	v_max_f32_e32 v74, v81, v81
	v_max_f32_e32 v75, v80, v80
	v_pk_add_f32 v[68:69], v[26:27], v[24:25]
	v_min_f32_e32 v71, v89, v74
	v_min_f32_e32 v70, v88, v75
	s_waitcnt lgkmcnt(0)
	v_max_f32_e32 v72, v76, v76
	v_max_f32_e32 v73, v77, v77
	v_pk_add_f32 v[68:69], v[70:71], v[68:69]
	v_min_f32_e32 v70, v72, v114
	v_min_f32_e32 v71, v73, v112
	v_pk_add_f32 v[76:77], v[70:71], v[62:63]
	v_min_f32_e32 v62, v72, v117
	v_min_f32_e32 v63, v73, v116
	v_pk_add_f32 v[80:81], v[62:63], v[64:65]
	v_min_f32_e32 v62, v72, v119
	v_min_f32_e32 v63, v73, v118
	v_pk_add_f32 v[66:67], v[62:63], v[66:67]
	ds_read_b128 v[62:65], v208 offset:256
	v_pk_add_f32 v[96:97], v[154:155], v[96:97]
	v_min_f32_e32 v71, v73, v74
	v_min_f32_e32 v70, v72, v75
	v_pk_add_f32 v[24:25], v[198:199], v[96:97]
	v_pk_add_f32 v[96:97], v[70:71], v[60:61]
	ds_read_b128 v[70:73], v208 offset:384
	s_waitcnt lgkmcnt(1)
	v_max_f32_e32 v62, v62, v62
	v_max_f32_e32 v63, v63, v63
	v_min_f32_e32 v60, v62, v114
	v_min_f32_e32 v61, v63, v112
	v_pk_add_f32 v[106:107], v[156:157], v[106:107]
	v_pk_add_f32 v[54:55], v[60:61], v[54:55]
	v_min_f32_e32 v60, v62, v117
	v_min_f32_e32 v61, v63, v116
	v_pk_add_f32 v[52:53], v[134:135], v[52:53]
	v_pk_add_f32 v[26:27], v[200:201], v[106:107]
	;; [unrolled: 1-line block ×3, first 2 shown]
	v_min_f32_e32 v56, v62, v119
	v_min_f32_e32 v57, v63, v118
	v_pk_add_f32 v[52:53], v[174:175], v[52:53]
	v_pk_add_f32 v[58:59], v[56:57], v[58:59]
	v_min_f32_e32 v57, v63, v74
	v_min_f32_e32 v56, v62, v75
	s_waitcnt lgkmcnt(0)
	v_max_f32_e32 v60, v70, v70
	v_max_f32_e32 v61, v71, v71
	v_pk_add_f32 v[108:109], v[150:151], v[108:109]
	v_pk_add_f32 v[52:53], v[56:57], v[52:53]
	v_min_f32_e32 v56, v60, v114
	v_min_f32_e32 v57, v61, v112
	v_pk_add_f32 v[110:111], v[144:145], v[110:111]
	v_pk_add_f32 v[30:31], v[194:195], v[108:109]
	;; [unrolled: 1-line block ×3, first 2 shown]
	v_min_f32_e32 v46, v60, v117
	v_min_f32_e32 v47, v61, v116
	v_pk_add_f32 v[38:39], v[184:185], v[110:111]
	v_pk_add_f32 v[110:111], v[46:47], v[48:49]
	v_min_f32_e32 v46, v60, v119
	v_min_f32_e32 v47, v61, v118
	v_pk_add_f32 v[18:19], v[190:191], v[120:121]
	v_pk_add_f32 v[120:121], v[46:47], v[50:51]
	ds_read_b128 v[46:49], v208 offset:512
	v_min_f32_e32 v51, v61, v74
	v_min_f32_e32 v50, v60, v75
	ds_read_b128 v[60:63], v208 offset:640
	v_pk_add_f32 v[44:45], v[50:51], v[44:45]
	s_waitcnt lgkmcnt(1)
	v_max_f32_e32 v50, v46, v46
	v_max_f32_e32 v51, v47, v47
	v_min_f32_e32 v46, v50, v114
	v_min_f32_e32 v47, v51, v112
	v_pk_add_f32 v[38:39], v[46:47], v[38:39]
	v_min_f32_e32 v46, v50, v117
	v_min_f32_e32 v47, v51, v116
	v_pk_add_f32 v[40:41], v[46:47], v[40:41]
	;; [unrolled: 3-line block ×3, first 2 shown]
	v_min_f32_e32 v47, v51, v74
	v_min_f32_e32 v46, v50, v75
	s_waitcnt lgkmcnt(0)
	v_max_f32_e32 v50, v60, v60
	v_max_f32_e32 v51, v61, v61
	v_pk_add_f32 v[36:37], v[46:47], v[36:37]
	v_min_f32_e32 v46, v50, v114
	v_min_f32_e32 v47, v51, v112
	v_pk_add_f32 v[30:31], v[46:47], v[30:31]
	v_min_f32_e32 v46, v50, v117
	v_min_f32_e32 v47, v51, v116
	;; [unrolled: 3-line block ×4, first 2 shown]
	v_pk_add_f32 v[28:29], v[46:47], v[28:29]
	v_max_f32_e32 v46, v12, v12
	v_max_f32_e32 v47, v13, v13
	v_min_f32_e32 v12, v46, v114
	v_min_f32_e32 v13, v47, v112
	v_pk_add_f32 v[12:13], v[12:13], v[26:27]
	v_min_f32_e32 v26, v46, v117
	v_min_f32_e32 v27, v47, v116
	v_pk_add_f32 v[24:25], v[26:27], v[24:25]
	v_min_f32_e32 v26, v46, v119
	v_min_f32_e32 v27, v47, v118
	v_pk_add_f32 v[20:21], v[26:27], v[20:21]
	v_min_f32_e32 v27, v47, v74
	v_min_f32_e32 v26, v46, v75
	v_pk_add_f32 v[22:23], v[26:27], v[22:23]
	v_min_f32_e32 v27, v113, v74
	v_min_f32_e32 v26, v115, v75
	v_min_f32_e32 v1, v113, v112
	v_min_f32_e32 v0, v115, v114
	v_pk_add_f32 v[18:19], v[26:27], v[18:19]
	v_max_f32_e32 v26, v3, v3
	v_max_f32_e32 v7, v7, v7
	;; [unrolled: 1-line block ×4, first 2 shown]
	v_pk_add_f32 v[0:1], v[0:1], v[122:123]
	v_min_f32_e32 v3, v7, v26
	v_min_f32_e32 v2, v6, v27
	v_pk_add_f32 v[88:89], v[2:3], v[0:1]
	v_max_f32_e32 v2, v11, v11
	v_max_f32_e32 v3, v10, v10
	v_min_f32_e32 v1, v7, v2
	v_min_f32_e32 v0, v6, v3
	v_pk_add_f32 v[74:75], v[0:1], v[4:5]
	v_max_f32_e32 v4, v87, v87
	v_max_f32_e32 v5, v86, v86
	;; [unrolled: 5-line block ×3, first 2 shown]
	v_min_f32_e32 v0, v8, v27
	v_min_f32_e32 v1, v9, v26
	v_pk_add_f32 v[118:119], v[0:1], v[84:85]
	v_min_f32_e32 v0, v8, v3
	v_min_f32_e32 v1, v9, v2
	v_pk_add_f32 v[86:87], v[0:1], v[92:93]
	v_min_f32_e32 v0, v8, v5
	v_min_f32_e32 v1, v9, v4
	v_max_f32_e32 v10, v83, v83
	v_pk_add_f32 v[70:71], v[0:1], v[94:95]
	v_min_f32_e32 v1, v9, v10
	v_max_f32_e32 v9, v82, v82
	v_min_f32_e32 v0, v8, v9
	v_max_f32_e32 v8, v78, v78
	v_max_f32_e32 v11, v79, v79
	v_pk_add_f32 v[56:57], v[0:1], v[68:69]
	v_min_f32_e32 v0, v8, v27
	v_min_f32_e32 v1, v11, v26
	v_pk_add_f32 v[116:117], v[0:1], v[76:77]
	v_min_f32_e32 v0, v8, v3
	v_min_f32_e32 v1, v11, v2
	v_pk_add_f32 v[82:83], v[0:1], v[80:81]
	v_min_f32_e32 v0, v8, v5
	v_min_f32_e32 v1, v11, v4
	v_pk_add_f32 v[66:67], v[0:1], v[66:67]
	v_min_f32_e32 v1, v11, v10
	v_min_f32_e32 v0, v8, v9
	v_max_f32_e32 v8, v64, v64
	v_max_f32_e32 v11, v65, v65
	v_pk_add_f32 v[50:51], v[0:1], v[96:97]
	v_min_f32_e32 v0, v8, v27
	v_min_f32_e32 v1, v11, v26
	v_pk_add_f32 v[114:115], v[0:1], v[54:55]
	v_min_f32_e32 v0, v8, v3
	v_min_f32_e32 v1, v11, v2
	v_pk_add_f32 v[84:85], v[0:1], v[106:107]
	v_min_f32_e32 v0, v8, v5
	v_min_f32_e32 v1, v11, v4
	v_pk_add_f32 v[68:69], v[0:1], v[58:59]
	v_min_f32_e32 v1, v11, v10
	;; [unrolled: 14-line block ×6, first 2 shown]
	v_min_f32_e32 v0, v8, v9
	v_pk_add_f32 v[64:65], v[0:1], v[22:23]
	v_min_f32_e32 v1, v7, v10
	v_min_f32_e32 v0, v6, v9
	s_add_i32 s14, s14, 8
	v_pk_add_f32 v[48:49], v[0:1], v[18:19]
	v_lshl_add_u64 v[100:101], v[100:101], 0, s[10:11]
	s_cmp_ge_i32 s14, s22
	v_lshl_add_u64 v[102:103], v[102:103], 0, 32
	ds_write_b32 v209, v213
	ds_write2st64_b32 v210, v16, v17 offset1:4
	s_waitcnt lgkmcnt(0)
	s_barrier
	s_cbranch_scc1 .LBB45_31
.LBB45_21:                              ; =>This Inner Loop Header: Depth=1
	s_and_b64 vcc, exec, s[4:5]
	v_mov_b32_e32 v122, 0
	s_cbranch_vccnz .LBB45_23
; %bb.22:                               ;   in Loop: Header=BB45_21 Depth=1
	flat_load_dword v0, v[102:103]
	s_waitcnt vmcnt(0) lgkmcnt(0)
	v_mul_f32_e32 v122, s12, v0
.LBB45_23:                              ;   in Loop: Header=BB45_21 Depth=1
	s_and_b64 vcc, exec, s[4:5]
	s_cbranch_vccnz .LBB45_25
; %bb.24:                               ;   in Loop: Header=BB45_21 Depth=1
	v_lshl_add_u64 v[0:1], v[100:101], 0, v[104:105]
	flat_load_dword v2, v[0:1]
	flat_load_dword v3, v[0:1] offset:256
	s_waitcnt vmcnt(0) lgkmcnt(0)
	v_pk_mul_f32 v[120:121], s[12:13], v[2:3]
	s_branch .LBB45_26
.LBB45_25:                              ;   in Loop: Header=BB45_21 Depth=1
	v_mov_b32_e32 v120, 0
	v_mov_b32_e32 v121, 0
.LBB45_26:                              ;   in Loop: Header=BB45_21 Depth=1
	ds_read_b128 v[40:43], v212
	ds_read_b128 v[36:39], v212 offset:512
	ds_read_b128 v[24:27], v212 offset:1536
	ds_read_b128 v[32:35], v212 offset:1024
	ds_read_b128 v[28:31], v211
	ds_read_b128 v[20:23], v211 offset:128
	ds_read_b128 v[16:19], v211 offset:256
	;; [unrolled: 1-line block ×7, first 2 shown]
	s_and_b64 vcc, exec, s[4:5]
	ds_write_b32 v207, v122
	ds_write2st64_b32 v206, v120, v121 offset1:4
	s_waitcnt lgkmcnt(0)
	s_barrier
	s_cbranch_vccnz .LBB45_28
; %bb.27:                               ;   in Loop: Header=BB45_21 Depth=1
	flat_load_dword v120, v[102:103] offset:16
	s_waitcnt vmcnt(0) lgkmcnt(0)
	v_mul_f32_e32 v213, s12, v120
	s_branch .LBB45_29
.LBB45_28:                              ;   in Loop: Header=BB45_21 Depth=1
	v_mov_b32_e32 v213, 0
.LBB45_29:                              ;   in Loop: Header=BB45_21 Depth=1
	v_max_f32_e32 v154, v41, v41
	v_max_f32_e32 v155, v40, v40
	;; [unrolled: 1-line block ×10, first 2 shown]
	v_min_f32_e32 v132, v16, v155
	v_min_f32_e32 v133, v17, v154
	v_min_f32_e32 v130, v16, v159
	v_min_f32_e32 v131, v17, v158
	v_min_f32_e32 v128, v16, v163
	v_min_f32_e32 v129, v17, v161
	v_min_f32_e32 v135, v17, v164
	v_min_f32_e32 v134, v16, v165
	v_max_f32_e32 v16, v12, v12
	v_max_f32_e32 v17, v13, v13
	v_min_f32_e32 v138, v16, v155
	v_min_f32_e32 v139, v17, v154
	v_min_f32_e32 v136, v16, v159
	v_min_f32_e32 v137, v17, v158
	v_min_f32_e32 v12, v16, v163
	v_min_f32_e32 v13, v17, v161
	v_min_f32_e32 v141, v17, v164
	v_min_f32_e32 v140, v16, v165
	v_max_f32_e32 v16, v8, v8
	v_max_f32_e32 v17, v9, v9
	;; [unrolled: 10-line block ×3, first 2 shown]
	v_max_f32_e32 v160, v45, v45
	v_max_f32_e32 v162, v44, v44
	;; [unrolled: 1-line block ×6, first 2 shown]
	v_min_f32_e32 v150, v16, v155
	v_min_f32_e32 v151, v17, v154
	;; [unrolled: 1-line block ×8, first 2 shown]
	v_max_f32_e32 v16, v0, v0
	v_max_f32_e32 v17, v1, v1
	v_min_f32_e32 v41, v160, v154
	v_min_f32_e32 v40, v162, v155
	;; [unrolled: 1-line block ×17, first 2 shown]
	v_max_f32_e32 v16, v43, v43
	v_max_f32_e32 v190, v42, v42
	;; [unrolled: 1-line block ×10, first 2 shown]
	v_min_f32_e32 v36, v162, v159
	v_min_f32_e32 v33, v160, v161
	;; [unrolled: 1-line block ×14, first 2 shown]
	v_max_f32_e32 v17, v47, v47
	v_max_f32_e32 v214, v46, v46
	;; [unrolled: 1-line block ×12, first 2 shown]
	v_min_f32_e32 v194, v6, v190
	v_min_f32_e32 v195, v7, v16
	;; [unrolled: 1-line block ×8, first 2 shown]
	v_max_f32_e32 v6, v2, v2
	v_max_f32_e32 v7, v3, v3
	v_min_f32_e32 v32, v162, v163
	v_min_f32_e32 v43, v17, v16
	;; [unrolled: 1-line block ×56, first 2 shown]
	s_and_b64 vcc, exec, s[4:5]
	v_min_f32_e32 v190, v214, v218
	s_cbranch_vccz .LBB45_19
; %bb.30:                               ;   in Loop: Header=BB45_21 Depth=1
	v_mov_b32_e32 v16, 0
	v_mov_b32_e32 v17, 0
	s_branch .LBB45_20
.LBB45_31:
	s_load_dword s10, s[0:1], 0x58
	ds_read_b128 v[40:43], v205 offset:2048
	ds_read_b128 v[44:47], v204 offset:5120
	v_add_u32_e32 v102, s21, v203
	v_cmp_neq_f32_e64 s[4:5], s26, 0
	v_add_u32_e32 v98, s20, v202
	s_waitcnt lgkmcnt(0)
	v_mad_i64_i32 v[0:1], s[12:13], v102, s10, 0
	v_ashrrev_i32_e32 v99, 31, v98
	v_lshl_add_u64 v[100:101], v[0:1], 2, s[8:9]
	s_and_b64 vcc, exec, s[4:5]
	v_mov_b32_e32 v105, 0
	v_mov_b32_e32 v104, 0
	s_cbranch_vccz .LBB45_33
; %bb.32:
	v_lshl_add_u64 v[0:1], v[98:99], 2, v[100:101]
	flat_load_dword v0, v[0:1]
	s_waitcnt vmcnt(0) lgkmcnt(0)
	v_mul_f32_e32 v104, s26, v0
.LBB45_33:
	ds_read_b128 v[12:15], v204 offset:6016
	ds_read_b128 v[0:3], v205 offset:3584
	;; [unrolled: 1-line block ×6, first 2 shown]
	s_load_dword s11, s[0:1], 0x70
	s_load_dwordx2 s[12:13], s[0:1], 0x78
	v_max_f32_e32 v120, v40, v40
	v_max_f32_e32 v44, v44, v44
	;; [unrolled: 1-line block ×4, first 2 shown]
	ds_read_b128 v[28:31], v204 offset:5504
	ds_read_b128 v[24:27], v204 offset:5632
	;; [unrolled: 1-line block ×4, first 2 shown]
	v_min_f32_e32 v40, v44, v120
	v_min_f32_e32 v41, v103, v121
	v_pk_add_f32 v[40:41], v[40:41], v[118:119]
	v_max_f32_e32 v118, v42, v42
	v_max_f32_e32 v45, v46, v46
	;; [unrolled: 1-line block ×4, first 2 shown]
	s_waitcnt lgkmcnt(0)
	s_lshl_b64 s[0:1], s[12:13], 2
	v_min_f32_e32 v42, v45, v118
	v_min_f32_e32 v43, v46, v119
	s_add_u32 s2, s2, s0
	v_pk_add_f32 v[122:123], v[42:43], v[40:41]
	s_addc_u32 s3, s3, s1
	v_mad_i64_i32 v[42:43], s[0:1], v102, s11, 0
	v_add_f32_e32 v47, v122, v123
	v_add_u32_e32 v40, 8, v98
	v_lshl_add_u64 v[42:43], v[42:43], 2, s[2:3]
	v_add_f32_e32 v47, v47, v104
	v_cndmask_b32_e64 v104, 0, 1, s[4:5]
	v_ashrrev_i32_e32 v41, 31, v40
	v_lshl_add_u64 v[122:123], v[98:99], 2, v[42:43]
	v_cmp_ne_u32_e64 s[0:1], 1, v104
	s_andn2_b64 vcc, exec, s[4:5]
	global_store_dword v[122:123], v47, off
	s_cbranch_vccnz .LBB45_35
; %bb.34:
	v_lshl_add_u64 v[104:105], v[40:41], 2, v[100:101]
	flat_load_dword v47, v[104:105]
	s_waitcnt vmcnt(0) lgkmcnt(0)
	v_mul_f32_e32 v105, s26, v47
.LBB45_35:
	v_max_f32_e32 v47, v36, v36
	v_max_f32_e32 v104, v37, v37
	v_min_f32_e32 v36, v47, v120
	v_min_f32_e32 v37, v104, v121
	v_max_f32_e32 v38, v38, v38
	v_max_f32_e32 v39, v39, v39
	v_pk_add_f32 v[36:37], v[36:37], v[116:117]
	v_min_f32_e32 v116, v38, v118
	v_min_f32_e32 v117, v39, v119
	v_pk_add_f32 v[36:37], v[116:117], v[36:37]
	s_and_b64 vcc, exec, s[0:1]
	v_add_f32_e32 v116, v36, v37
	v_add_u32_e32 v36, 16, v98
	v_add_f32_e32 v105, v116, v105
	v_lshl_add_u64 v[116:117], v[40:41], 2, v[42:43]
	v_ashrrev_i32_e32 v37, 31, v36
	global_store_dword v[116:117], v105, off
	v_mov_b32_e32 v117, 0
	v_mov_b32_e32 v122, 0
	s_cbranch_vccnz .LBB45_37
; %bb.36:
	v_lshl_add_u64 v[122:123], v[36:37], 2, v[100:101]
	flat_load_dword v105, v[122:123]
	s_waitcnt vmcnt(0) lgkmcnt(0)
	v_mul_f32_e32 v122, s26, v105
.LBB45_37:
	v_max_f32_e32 v105, v32, v32
	v_max_f32_e32 v116, v33, v33
	v_min_f32_e32 v32, v105, v120
	v_min_f32_e32 v33, v116, v121
	v_max_f32_e32 v34, v34, v34
	v_max_f32_e32 v35, v35, v35
	v_pk_add_f32 v[32:33], v[32:33], v[114:115]
	v_min_f32_e32 v114, v34, v118
	v_min_f32_e32 v115, v35, v119
	v_pk_add_f32 v[32:33], v[114:115], v[32:33]
	s_and_b64 vcc, exec, s[0:1]
	v_add_f32_e32 v114, v32, v33
	v_add_u32_e32 v32, 24, v98
	v_ashrrev_i32_e32 v33, 31, v32
	v_add_f32_e32 v122, v114, v122
	v_lshl_add_u64 v[114:115], v[36:37], 2, v[42:43]
	global_store_dword v[114:115], v122, off
	s_cbranch_vccnz .LBB45_39
; %bb.38:
	v_lshl_add_u64 v[114:115], v[32:33], 2, v[100:101]
	flat_load_dword v114, v[114:115]
	s_waitcnt vmcnt(0) lgkmcnt(0)
	v_mul_f32_e32 v117, s26, v114
.LBB45_39:
	v_max_f32_e32 v114, v28, v28
	v_max_f32_e32 v115, v29, v29
	v_min_f32_e32 v28, v114, v120
	v_min_f32_e32 v29, v115, v121
	v_max_f32_e32 v30, v30, v30
	v_max_f32_e32 v31, v31, v31
	v_pk_add_f32 v[28:29], v[28:29], v[112:113]
	v_min_f32_e32 v112, v30, v118
	v_min_f32_e32 v113, v31, v119
	v_pk_add_f32 v[28:29], v[112:113], v[28:29]
	s_and_b64 vcc, exec, s[0:1]
	v_add_f32_e32 v112, v28, v29
	v_add_u32_e32 v28, 32, v98
	v_add_f32_e32 v117, v112, v117
	v_lshl_add_u64 v[112:113], v[32:33], 2, v[42:43]
	v_ashrrev_i32_e32 v29, 31, v28
	global_store_dword v[112:113], v117, off
	v_mov_b32_e32 v117, 0
	v_mov_b32_e32 v122, 0
	s_cbranch_vccnz .LBB45_41
; %bb.40:
	v_lshl_add_u64 v[112:113], v[28:29], 2, v[100:101]
	flat_load_dword v112, v[112:113]
	s_waitcnt vmcnt(0) lgkmcnt(0)
	v_mul_f32_e32 v122, s26, v112
.LBB45_41:
	v_max_f32_e32 v112, v24, v24
	v_max_f32_e32 v113, v25, v25
	v_min_f32_e32 v24, v112, v120
	v_min_f32_e32 v25, v113, v121
	v_max_f32_e32 v26, v26, v26
	v_max_f32_e32 v27, v27, v27
	v_pk_add_f32 v[24:25], v[24:25], v[110:111]
	v_min_f32_e32 v110, v26, v118
	v_min_f32_e32 v111, v27, v119
	v_pk_add_f32 v[24:25], v[110:111], v[24:25]
	s_and_b64 vcc, exec, s[0:1]
	v_add_f32_e32 v110, v24, v25
	v_add_u32_e32 v24, 40, v98
	v_ashrrev_i32_e32 v25, 31, v24
	v_add_f32_e32 v122, v110, v122
	v_lshl_add_u64 v[110:111], v[28:29], 2, v[42:43]
	global_store_dword v[110:111], v122, off
	s_cbranch_vccnz .LBB45_43
; %bb.42:
	v_lshl_add_u64 v[110:111], v[24:25], 2, v[100:101]
	flat_load_dword v110, v[110:111]
	s_waitcnt vmcnt(0) lgkmcnt(0)
	v_mul_f32_e32 v117, s26, v110
.LBB45_43:
	v_max_f32_e32 v110, v20, v20
	v_max_f32_e32 v111, v21, v21
	v_min_f32_e32 v20, v110, v120
	v_min_f32_e32 v21, v111, v121
	v_max_f32_e32 v22, v22, v22
	v_max_f32_e32 v23, v23, v23
	v_pk_add_f32 v[20:21], v[20:21], v[108:109]
	v_min_f32_e32 v108, v22, v118
	v_min_f32_e32 v109, v23, v119
	v_pk_add_f32 v[20:21], v[108:109], v[20:21]
	s_and_b64 vcc, exec, s[0:1]
	v_add_f32_e32 v108, v20, v21
	v_add_u32_e32 v20, 48, v98
	v_add_f32_e32 v117, v108, v117
	v_lshl_add_u64 v[108:109], v[24:25], 2, v[42:43]
	v_ashrrev_i32_e32 v21, 31, v20
	global_store_dword v[108:109], v117, off
	v_mov_b32_e32 v117, 0
	v_mov_b32_e32 v122, 0
	s_cbranch_vccnz .LBB45_45
; %bb.44:
	v_lshl_add_u64 v[108:109], v[20:21], 2, v[100:101]
	flat_load_dword v108, v[108:109]
	s_waitcnt vmcnt(0) lgkmcnt(0)
	v_mul_f32_e32 v122, s26, v108
.LBB45_45:
	v_max_f32_e32 v108, v16, v16
	v_max_f32_e32 v109, v17, v17
	v_min_f32_e32 v16, v108, v120
	v_min_f32_e32 v17, v109, v121
	v_pk_add_f32 v[16:17], v[16:17], v[106:107]
	v_max_f32_e32 v106, v18, v18
	v_max_f32_e32 v107, v19, v19
	v_min_f32_e32 v18, v106, v118
	v_min_f32_e32 v19, v107, v119
	v_pk_add_f32 v[16:17], v[18:19], v[16:17]
	s_and_b64 vcc, exec, s[0:1]
	v_add_f32_e32 v18, v16, v17
	v_add_u32_e32 v16, 56, v98
	v_ashrrev_i32_e32 v17, 31, v16
	v_add_f32_e32 v122, v18, v122
	v_lshl_add_u64 v[18:19], v[20:21], 2, v[42:43]
	global_store_dword v[18:19], v122, off
	s_cbranch_vccnz .LBB45_47
; %bb.46:
	v_lshl_add_u64 v[18:19], v[16:17], 2, v[100:101]
	flat_load_dword v18, v[18:19]
	s_waitcnt vmcnt(0) lgkmcnt(0)
	v_mul_f32_e32 v117, s26, v18
.LBB45_47:
	v_max_f32_e32 v18, v13, v13
	v_max_f32_e32 v19, v12, v12
	v_min_f32_e32 v13, v18, v121
	v_min_f32_e32 v12, v19, v120
	v_max_f32_e32 v15, v15, v15
	v_max_f32_e32 v14, v14, v14
	v_pk_add_f32 v[12:13], v[12:13], v[88:89]
	v_min_f32_e32 v89, v15, v119
	v_min_f32_e32 v88, v14, v118
	v_pk_add_f32 v[12:13], v[88:89], v[12:13]
	v_add_u32_e32 v89, 32, v102
	v_add_f32_e32 v12, v12, v13
	v_add_f32_e32 v88, v12, v117
	v_lshl_add_u64 v[12:13], v[16:17], 2, v[42:43]
	global_store_dword v[12:13], v88, off
	v_mad_i64_i32 v[12:13], s[4:5], v89, s10, 0
	v_lshl_add_u64 v[12:13], v[12:13], 2, s[8:9]
	s_and_b64 vcc, exec, s[0:1]
	v_mov_b32_e32 v88, 0
	v_mov_b32_e32 v100, 0
	s_cbranch_vccnz .LBB45_49
; %bb.48:
	v_lshl_add_u64 v[42:43], v[98:99], 2, v[12:13]
	flat_load_dword v42, v[42:43]
	s_waitcnt vmcnt(0) lgkmcnt(0)
	v_mul_f32_e32 v100, s26, v42
.LBB45_49:
	v_max_f32_e32 v42, v8, v8
	v_max_f32_e32 v43, v9, v9
	v_min_f32_e32 v8, v44, v42
	v_min_f32_e32 v9, v103, v43
	v_max_f32_e32 v10, v10, v10
	v_max_f32_e32 v11, v11, v11
	v_pk_add_f32 v[8:9], v[8:9], v[86:87]
	v_min_f32_e32 v86, v45, v10
	v_min_f32_e32 v87, v46, v11
	v_pk_add_f32 v[86:87], v[86:87], v[8:9]
	v_mad_i64_i32 v[8:9], s[4:5], v89, s11, 0
	v_lshl_add_u64 v[8:9], v[8:9], 2, s[2:3]
	v_add_f32_e32 v86, v86, v87
	v_add_f32_e32 v89, v86, v100
	v_lshl_add_u64 v[86:87], v[98:99], 2, v[8:9]
	s_and_b64 vcc, exec, s[0:1]
	global_store_dword v[86:87], v89, off
	s_cbranch_vccnz .LBB45_51
; %bb.50:
	v_lshl_add_u64 v[86:87], v[40:41], 2, v[12:13]
	flat_load_dword v86, v[86:87]
	s_waitcnt vmcnt(0) lgkmcnt(0)
	v_mul_f32_e32 v88, s26, v86
.LBB45_51:
	v_min_f32_e32 v86, v47, v42
	v_min_f32_e32 v87, v104, v43
	v_pk_add_f32 v[82:83], v[86:87], v[82:83]
	v_min_f32_e32 v86, v38, v10
	v_min_f32_e32 v87, v39, v11
	v_pk_add_f32 v[82:83], v[86:87], v[82:83]
	s_and_b64 vcc, exec, s[0:1]
	v_add_f32_e32 v82, v82, v83
	v_add_f32_e32 v86, v82, v88
	v_lshl_add_u64 v[82:83], v[40:41], 2, v[8:9]
	global_store_dword v[82:83], v86, off
	v_mov_b32_e32 v82, 0
	v_mov_b32_e32 v83, 0
	s_cbranch_vccnz .LBB45_53
; %bb.52:
	v_lshl_add_u64 v[86:87], v[36:37], 2, v[12:13]
	flat_load_dword v83, v[86:87]
	s_waitcnt vmcnt(0) lgkmcnt(0)
	v_mul_f32_e32 v83, s26, v83
.LBB45_53:
	v_min_f32_e32 v86, v105, v42
	v_min_f32_e32 v87, v116, v43
	v_pk_add_f32 v[84:85], v[86:87], v[84:85]
	v_min_f32_e32 v86, v34, v10
	v_min_f32_e32 v87, v35, v11
	v_pk_add_f32 v[84:85], v[86:87], v[84:85]
	s_and_b64 vcc, exec, s[0:1]
	v_add_f32_e32 v84, v84, v85
	v_add_f32_e32 v83, v84, v83
	v_lshl_add_u64 v[84:85], v[36:37], 2, v[8:9]
	global_store_dword v[84:85], v83, off
	s_cbranch_vccnz .LBB45_55
; %bb.54:
	v_lshl_add_u64 v[82:83], v[32:33], 2, v[12:13]
	flat_load_dword v82, v[82:83]
	s_waitcnt vmcnt(0) lgkmcnt(0)
	v_mul_f32_e32 v82, s26, v82
.LBB45_55:
	v_min_f32_e32 v84, v114, v42
	v_min_f32_e32 v85, v115, v43
	v_pk_add_f32 v[84:85], v[84:85], v[90:91]
	v_min_f32_e32 v86, v30, v10
	v_min_f32_e32 v87, v31, v11
	v_pk_add_f32 v[84:85], v[86:87], v[84:85]
	s_and_b64 vcc, exec, s[0:1]
	v_add_f32_e32 v83, v84, v85
	v_add_f32_e32 v84, v83, v82
	v_lshl_add_u64 v[82:83], v[32:33], 2, v[8:9]
	global_store_dword v[82:83], v84, off
	v_mov_b32_e32 v82, 0
	v_mov_b32_e32 v83, 0
	s_cbranch_vccnz .LBB45_57
; %bb.56:
	v_lshl_add_u64 v[84:85], v[28:29], 2, v[12:13]
	flat_load_dword v83, v[84:85]
	s_waitcnt vmcnt(0) lgkmcnt(0)
	v_mul_f32_e32 v83, s26, v83
.LBB45_57:
	v_min_f32_e32 v84, v112, v42
	v_min_f32_e32 v85, v113, v43
	v_pk_add_f32 v[84:85], v[84:85], v[92:93]
	v_min_f32_e32 v86, v26, v10
	v_min_f32_e32 v87, v27, v11
	v_pk_add_f32 v[84:85], v[86:87], v[84:85]
	s_and_b64 vcc, exec, s[0:1]
	v_add_f32_e32 v84, v84, v85
	v_add_f32_e32 v83, v84, v83
	v_lshl_add_u64 v[84:85], v[28:29], 2, v[8:9]
	;; [unrolled: 38-line block ×3, first 2 shown]
	global_store_dword v[84:85], v83, off
	s_cbranch_vccnz .LBB45_63
; %bb.62:
	v_lshl_add_u64 v[12:13], v[16:17], 2, v[12:13]
	flat_load_dword v12, v[12:13]
	s_waitcnt vmcnt(0) lgkmcnt(0)
	v_mul_f32_e32 v82, s26, v12
.LBB45_63:
	v_min_f32_e32 v13, v18, v43
	v_min_f32_e32 v12, v19, v42
	v_pk_add_f32 v[12:13], v[12:13], v[74:75]
	v_min_f32_e32 v11, v15, v11
	v_min_f32_e32 v10, v14, v10
	v_pk_add_f32 v[10:11], v[10:11], v[12:13]
	v_lshl_add_u64 v[8:9], v[16:17], 2, v[8:9]
	v_add_f32_e32 v10, v10, v11
	v_add_f32_e32 v10, v10, v82
	v_add_u32_e32 v13, 64, v102
	global_store_dword v[8:9], v10, off
	v_mad_i64_i32 v[8:9], s[4:5], v13, s10, 0
	v_lshl_add_u64 v[8:9], v[8:9], 2, s[8:9]
	s_and_b64 vcc, exec, s[0:1]
	v_mov_b32_e32 v12, 0
	v_mov_b32_e32 v42, 0
	s_cbranch_vccnz .LBB45_65
; %bb.64:
	v_lshl_add_u64 v[10:11], v[98:99], 2, v[8:9]
	flat_load_dword v10, v[10:11]
	s_waitcnt vmcnt(0) lgkmcnt(0)
	v_mul_f32_e32 v42, s26, v10
.LBB45_65:
	v_max_f32_e32 v10, v4, v4
	v_max_f32_e32 v11, v5, v5
	v_min_f32_e32 v4, v44, v10
	v_min_f32_e32 v5, v103, v11
	v_max_f32_e32 v6, v6, v6
	v_max_f32_e32 v7, v7, v7
	v_pk_add_f32 v[4:5], v[4:5], v[70:71]
	v_min_f32_e32 v70, v45, v6
	v_min_f32_e32 v71, v46, v7
	v_pk_add_f32 v[70:71], v[70:71], v[4:5]
	v_mad_i64_i32 v[4:5], s[4:5], v13, s11, 0
	v_lshl_add_u64 v[4:5], v[4:5], 2, s[2:3]
	v_add_f32_e32 v13, v70, v71
	v_add_f32_e32 v13, v13, v42
	v_lshl_add_u64 v[42:43], v[98:99], 2, v[4:5]
	s_and_b64 vcc, exec, s[0:1]
	global_store_dword v[42:43], v13, off
	s_cbranch_vccnz .LBB45_67
; %bb.66:
	v_lshl_add_u64 v[12:13], v[40:41], 2, v[8:9]
	flat_load_dword v12, v[12:13]
	s_waitcnt vmcnt(0) lgkmcnt(0)
	v_mul_f32_e32 v12, s26, v12
.LBB45_67:
	v_min_f32_e32 v42, v47, v10
	v_min_f32_e32 v43, v104, v11
	v_pk_add_f32 v[42:43], v[42:43], v[66:67]
	v_min_f32_e32 v66, v38, v6
	v_min_f32_e32 v67, v39, v7
	v_pk_add_f32 v[42:43], v[66:67], v[42:43]
	s_and_b64 vcc, exec, s[0:1]
	v_add_f32_e32 v13, v42, v43
	v_add_f32_e32 v42, v13, v12
	v_lshl_add_u64 v[12:13], v[40:41], 2, v[4:5]
	global_store_dword v[12:13], v42, off
	v_mov_b32_e32 v12, 0
	v_mov_b32_e32 v13, 0
	s_cbranch_vccnz .LBB45_69
; %bb.68:
	v_lshl_add_u64 v[42:43], v[36:37], 2, v[8:9]
	flat_load_dword v13, v[42:43]
	s_waitcnt vmcnt(0) lgkmcnt(0)
	v_mul_f32_e32 v13, s26, v13
.LBB45_69:
	v_min_f32_e32 v42, v105, v10
	v_min_f32_e32 v43, v116, v11
	v_pk_add_f32 v[42:43], v[42:43], v[68:69]
	v_min_f32_e32 v66, v34, v6
	v_min_f32_e32 v67, v35, v7
	v_pk_add_f32 v[42:43], v[66:67], v[42:43]
	s_and_b64 vcc, exec, s[0:1]
	v_add_f32_e32 v42, v42, v43
	v_add_f32_e32 v13, v42, v13
	v_lshl_add_u64 v[42:43], v[36:37], 2, v[4:5]
	global_store_dword v[42:43], v13, off
	s_cbranch_vccnz .LBB45_71
; %bb.70:
	v_lshl_add_u64 v[12:13], v[32:33], 2, v[8:9]
	flat_load_dword v12, v[12:13]
	s_waitcnt vmcnt(0) lgkmcnt(0)
	v_mul_f32_e32 v12, s26, v12
.LBB45_71:
	v_min_f32_e32 v42, v114, v10
	v_min_f32_e32 v43, v115, v11
	v_pk_add_f32 v[42:43], v[42:43], v[72:73]
	v_min_f32_e32 v66, v30, v6
	v_min_f32_e32 v67, v31, v7
	v_pk_add_f32 v[42:43], v[66:67], v[42:43]
	s_and_b64 vcc, exec, s[0:1]
	v_add_f32_e32 v13, v42, v43
	v_add_f32_e32 v42, v13, v12
	v_lshl_add_u64 v[12:13], v[32:33], 2, v[4:5]
	global_store_dword v[12:13], v42, off
	v_mov_b32_e32 v12, 0
	v_mov_b32_e32 v13, 0
	s_cbranch_vccnz .LBB45_73
; %bb.72:
	v_lshl_add_u64 v[42:43], v[28:29], 2, v[8:9]
	flat_load_dword v13, v[42:43]
	s_waitcnt vmcnt(0) lgkmcnt(0)
	v_mul_f32_e32 v13, s26, v13
.LBB45_73:
	v_min_f32_e32 v42, v112, v10
	v_min_f32_e32 v43, v113, v11
	v_pk_add_f32 v[42:43], v[42:43], v[76:77]
	v_min_f32_e32 v66, v26, v6
	v_min_f32_e32 v67, v27, v7
	v_pk_add_f32 v[42:43], v[66:67], v[42:43]
	s_and_b64 vcc, exec, s[0:1]
	v_add_f32_e32 v42, v42, v43
	v_add_f32_e32 v13, v42, v13
	v_lshl_add_u64 v[42:43], v[28:29], 2, v[4:5]
	;; [unrolled: 38-line block ×3, first 2 shown]
	global_store_dword v[42:43], v13, off
	s_cbranch_vccnz .LBB45_79
; %bb.78:
	v_lshl_add_u64 v[8:9], v[16:17], 2, v[8:9]
	flat_load_dword v8, v[8:9]
	s_waitcnt vmcnt(0) lgkmcnt(0)
	v_mul_f32_e32 v12, s26, v8
.LBB45_79:
	v_min_f32_e32 v9, v18, v11
	v_min_f32_e32 v8, v19, v10
	v_pk_add_f32 v[8:9], v[8:9], v[60:61]
	v_min_f32_e32 v7, v15, v7
	v_min_f32_e32 v6, v14, v6
	v_pk_add_f32 v[6:7], v[6:7], v[8:9]
	v_lshl_add_u64 v[4:5], v[16:17], 2, v[4:5]
	v_add_f32_e32 v6, v6, v7
	v_add_f32_e32 v6, v6, v12
	v_add_u32_e32 v9, 0x60, v102
	global_store_dword v[4:5], v6, off
	v_mad_i64_i32 v[4:5], s[4:5], v9, s10, 0
	v_lshl_add_u64 v[4:5], v[4:5], 2, s[8:9]
	s_and_b64 vcc, exec, s[0:1]
	v_mov_b32_e32 v8, 0
	v_mov_b32_e32 v10, 0
	s_cbranch_vccnz .LBB45_81
; %bb.80:
	v_lshl_add_u64 v[6:7], v[98:99], 2, v[4:5]
	flat_load_dword v6, v[6:7]
	s_waitcnt vmcnt(0) lgkmcnt(0)
	v_mul_f32_e32 v10, s26, v6
.LBB45_81:
	v_max_f32_e32 v6, v1, v1
	v_max_f32_e32 v7, v0, v0
	v_min_f32_e32 v1, v103, v6
	v_min_f32_e32 v0, v44, v7
	v_max_f32_e32 v3, v3, v3
	v_max_f32_e32 v2, v2, v2
	v_pk_add_f32 v[0:1], v[0:1], v[56:57]
	v_min_f32_e32 v13, v46, v3
	v_min_f32_e32 v12, v45, v2
	v_pk_add_f32 v[12:13], v[12:13], v[0:1]
	v_mad_i64_i32 v[0:1], s[4:5], v9, s11, 0
	v_lshl_add_u64 v[0:1], v[0:1], 2, s[2:3]
	v_add_f32_e32 v9, v12, v13
	v_add_f32_e32 v9, v9, v10
	v_lshl_add_u64 v[10:11], v[98:99], 2, v[0:1]
	s_and_b64 vcc, exec, s[0:1]
	global_store_dword v[10:11], v9, off
	s_cbranch_vccnz .LBB45_83
; %bb.82:
	v_lshl_add_u64 v[8:9], v[40:41], 2, v[4:5]
	flat_load_dword v8, v[8:9]
	s_waitcnt vmcnt(0) lgkmcnt(0)
	v_mul_f32_e32 v8, s26, v8
.LBB45_83:
	v_min_f32_e32 v11, v104, v6
	v_min_f32_e32 v10, v47, v7
	v_pk_add_f32 v[10:11], v[10:11], v[50:51]
	v_min_f32_e32 v13, v39, v3
	v_min_f32_e32 v12, v38, v2
	v_pk_add_f32 v[10:11], v[12:13], v[10:11]
	s_and_b64 vcc, exec, s[0:1]
	v_add_f32_e32 v9, v10, v11
	v_add_f32_e32 v10, v9, v8
	v_lshl_add_u64 v[8:9], v[40:41], 2, v[0:1]
	global_store_dword v[8:9], v10, off
	v_mov_b32_e32 v8, 0
	v_mov_b32_e32 v9, 0
	s_cbranch_vccnz .LBB45_85
; %bb.84:
	v_lshl_add_u64 v[10:11], v[36:37], 2, v[4:5]
	flat_load_dword v9, v[10:11]
	s_waitcnt vmcnt(0) lgkmcnt(0)
	v_mul_f32_e32 v9, s26, v9
.LBB45_85:
	v_min_f32_e32 v11, v116, v6
	v_min_f32_e32 v10, v105, v7
	v_pk_add_f32 v[10:11], v[10:11], v[52:53]
	v_min_f32_e32 v13, v35, v3
	v_min_f32_e32 v12, v34, v2
	v_pk_add_f32 v[10:11], v[12:13], v[10:11]
	s_and_b64 vcc, exec, s[0:1]
	v_add_f32_e32 v10, v10, v11
	v_add_f32_e32 v9, v10, v9
	v_lshl_add_u64 v[10:11], v[36:37], 2, v[0:1]
	global_store_dword v[10:11], v9, off
	s_cbranch_vccnz .LBB45_87
; %bb.86:
	v_lshl_add_u64 v[8:9], v[32:33], 2, v[4:5]
	flat_load_dword v8, v[8:9]
	s_waitcnt vmcnt(0) lgkmcnt(0)
	v_mul_f32_e32 v8, s26, v8
.LBB45_87:
	v_min_f32_e32 v11, v115, v6
	v_min_f32_e32 v10, v114, v7
	v_pk_add_f32 v[10:11], v[10:11], v[54:55]
	v_min_f32_e32 v13, v31, v3
	v_min_f32_e32 v12, v30, v2
	v_pk_add_f32 v[10:11], v[12:13], v[10:11]
	s_and_b64 vcc, exec, s[0:1]
	v_add_f32_e32 v9, v10, v11
	v_add_f32_e32 v10, v9, v8
	v_lshl_add_u64 v[8:9], v[32:33], 2, v[0:1]
	global_store_dword v[8:9], v10, off
	v_mov_b32_e32 v8, 0
	v_mov_b32_e32 v9, 0
	s_cbranch_vccnz .LBB45_89
; %bb.88:
	v_lshl_add_u64 v[10:11], v[28:29], 2, v[4:5]
	flat_load_dword v9, v[10:11]
	s_waitcnt vmcnt(0) lgkmcnt(0)
	v_mul_f32_e32 v9, s26, v9
.LBB45_89:
	v_min_f32_e32 v11, v113, v6
	v_min_f32_e32 v10, v112, v7
	v_pk_add_f32 v[10:11], v[10:11], v[58:59]
	v_min_f32_e32 v13, v27, v3
	v_min_f32_e32 v12, v26, v2
	v_pk_add_f32 v[10:11], v[12:13], v[10:11]
	s_and_b64 vcc, exec, s[0:1]
	v_add_f32_e32 v10, v10, v11
	v_add_f32_e32 v9, v10, v9
	v_lshl_add_u64 v[10:11], v[28:29], 2, v[0:1]
	global_store_dword v[10:11], v9, off
	s_cbranch_vccnz .LBB45_91
; %bb.90:
	v_lshl_add_u64 v[8:9], v[24:25], 2, v[4:5]
	flat_load_dword v8, v[8:9]
	s_waitcnt vmcnt(0) lgkmcnt(0)
	v_mul_f32_e32 v8, s26, v8
.LBB45_91:
	v_min_f32_e32 v11, v111, v6
	v_min_f32_e32 v10, v110, v7
	v_pk_add_f32 v[10:11], v[10:11], v[62:63]
	v_min_f32_e32 v13, v23, v3
	v_min_f32_e32 v12, v22, v2
	v_pk_add_f32 v[10:11], v[12:13], v[10:11]
	v_min_f32_e32 v13, v107, v3
	v_add_f32_e32 v9, v10, v11
	v_min_f32_e32 v11, v109, v6
	v_min_f32_e32 v10, v108, v7
	v_pk_add_f32 v[10:11], v[10:11], v[64:65]
	v_min_f32_e32 v12, v106, v2
	v_pk_add_f32 v[10:11], v[12:13], v[10:11]
	v_add_f32_e32 v12, v9, v8
	v_lshl_add_u64 v[8:9], v[24:25], 2, v[0:1]
	global_store_dword v[8:9], v12, off
	v_add_f32_e32 v8, v10, v11
	s_mov_b64 vcc, s[6:7]
	s_cbranch_vccz .LBB45_94
; %bb.92:
	v_add_f32_e32 v9, 0, v8
	v_lshl_add_u64 v[10:11], v[20:21], 2, v[0:1]
	s_mov_b32 s2, 0
	global_store_dword v[10:11], v9, off
	s_cbranch_execz .LBB45_95
; %bb.93:
	v_mov_b32_e32 v4, s2
	s_branch .LBB45_96
.LBB45_94:
                                        ; implicit-def: $sgpr2
.LBB45_95:
	v_lshlrev_b64 v[10:11], 2, v[20:21]
	v_lshl_add_u64 v[12:13], v[4:5], 0, v[10:11]
	flat_load_dword v9, v[12:13]
	v_lshl_add_u64 v[10:11], v[0:1], 0, v[10:11]
	v_lshl_add_u64 v[4:5], v[16:17], 2, v[4:5]
	s_waitcnt vmcnt(0) lgkmcnt(0)
	v_fmac_f32_e32 v8, s26, v9
	global_store_dword v[10:11], v8, off
	flat_load_dword v4, v[4:5]
	s_waitcnt vmcnt(0) lgkmcnt(0)
	v_mul_f32_e32 v4, s26, v4
.LBB45_96:
	v_min_f32_e32 v9, v18, v6
	v_min_f32_e32 v8, v19, v7
	;; [unrolled: 1-line block ×4, first 2 shown]
	v_pk_add_f32 v[6:7], v[8:9], v[48:49]
	v_lshl_add_u64 v[0:1], v[16:17], 2, v[0:1]
	v_pk_add_f32 v[2:3], v[2:3], v[6:7]
	s_nop 0
	v_add_f32_e32 v2, v2, v3
	v_add_f32_e32 v2, v2, v4
	global_store_dword v[0:1], v2, off
	s_endpgm
	.section	.rodata,"a",@progbits
	.p2align	6, 0x0
	.amdhsa_kernel _ZN12_GLOBAL__N_120geam_min_plus_kernelIf15HIP_vector_typeIfLj2EES2_Li8ELi32ELi64ELi128ELi4ELi4ELi64ELi64ELi4ELc84ELc84ELb0ELb0ELb0EPKfKS4_KPfEEviiiT16_PT17_ilSA_ilS8_SA_ilPT18_ili26rocblas_geam_ex_operation_
		.amdhsa_group_segment_fixed_size 6144
		.amdhsa_private_segment_fixed_size 0
		.amdhsa_kernarg_size 136
		.amdhsa_user_sgpr_count 2
		.amdhsa_user_sgpr_dispatch_ptr 0
		.amdhsa_user_sgpr_queue_ptr 0
		.amdhsa_user_sgpr_kernarg_segment_ptr 1
		.amdhsa_user_sgpr_dispatch_id 0
		.amdhsa_user_sgpr_kernarg_preload_length 0
		.amdhsa_user_sgpr_kernarg_preload_offset 0
		.amdhsa_user_sgpr_private_segment_size 0
		.amdhsa_uses_dynamic_stack 0
		.amdhsa_enable_private_segment 0
		.amdhsa_system_sgpr_workgroup_id_x 1
		.amdhsa_system_sgpr_workgroup_id_y 0
		.amdhsa_system_sgpr_workgroup_id_z 1
		.amdhsa_system_sgpr_workgroup_info 0
		.amdhsa_system_vgpr_workitem_id 1
		.amdhsa_next_free_vgpr 219
		.amdhsa_next_free_sgpr 27
		.amdhsa_accum_offset 220
		.amdhsa_reserve_vcc 1
		.amdhsa_float_round_mode_32 0
		.amdhsa_float_round_mode_16_64 0
		.amdhsa_float_denorm_mode_32 3
		.amdhsa_float_denorm_mode_16_64 3
		.amdhsa_dx10_clamp 1
		.amdhsa_ieee_mode 1
		.amdhsa_fp16_overflow 0
		.amdhsa_tg_split 0
		.amdhsa_exception_fp_ieee_invalid_op 0
		.amdhsa_exception_fp_denorm_src 0
		.amdhsa_exception_fp_ieee_div_zero 0
		.amdhsa_exception_fp_ieee_overflow 0
		.amdhsa_exception_fp_ieee_underflow 0
		.amdhsa_exception_fp_ieee_inexact 0
		.amdhsa_exception_int_div_zero 0
	.end_amdhsa_kernel
	.section	.text._ZN12_GLOBAL__N_120geam_min_plus_kernelIf15HIP_vector_typeIfLj2EES2_Li8ELi32ELi64ELi128ELi4ELi4ELi64ELi64ELi4ELc84ELc84ELb0ELb0ELb0EPKfKS4_KPfEEviiiT16_PT17_ilSA_ilS8_SA_ilPT18_ili26rocblas_geam_ex_operation_,"axG",@progbits,_ZN12_GLOBAL__N_120geam_min_plus_kernelIf15HIP_vector_typeIfLj2EES2_Li8ELi32ELi64ELi128ELi4ELi4ELi64ELi64ELi4ELc84ELc84ELb0ELb0ELb0EPKfKS4_KPfEEviiiT16_PT17_ilSA_ilS8_SA_ilPT18_ili26rocblas_geam_ex_operation_,comdat
.Lfunc_end45:
	.size	_ZN12_GLOBAL__N_120geam_min_plus_kernelIf15HIP_vector_typeIfLj2EES2_Li8ELi32ELi64ELi128ELi4ELi4ELi64ELi64ELi4ELc84ELc84ELb0ELb0ELb0EPKfKS4_KPfEEviiiT16_PT17_ilSA_ilS8_SA_ilPT18_ili26rocblas_geam_ex_operation_, .Lfunc_end45-_ZN12_GLOBAL__N_120geam_min_plus_kernelIf15HIP_vector_typeIfLj2EES2_Li8ELi32ELi64ELi128ELi4ELi4ELi64ELi64ELi4ELc84ELc84ELb0ELb0ELb0EPKfKS4_KPfEEviiiT16_PT17_ilSA_ilS8_SA_ilPT18_ili26rocblas_geam_ex_operation_
                                        ; -- End function
	.section	.AMDGPU.csdata,"",@progbits
; Kernel info:
; codeLenInByte = 8884
; NumSgprs: 33
; NumVgprs: 219
; NumAgprs: 0
; TotalNumVgprs: 219
; ScratchSize: 0
; MemoryBound: 0
; FloatMode: 240
; IeeeMode: 1
; LDSByteSize: 6144 bytes/workgroup (compile time only)
; SGPRBlocks: 4
; VGPRBlocks: 27
; NumSGPRsForWavesPerEU: 33
; NumVGPRsForWavesPerEU: 219
; AccumOffset: 220
; Occupancy: 2
; WaveLimiterHint : 1
; COMPUTE_PGM_RSRC2:SCRATCH_EN: 0
; COMPUTE_PGM_RSRC2:USER_SGPR: 2
; COMPUTE_PGM_RSRC2:TRAP_HANDLER: 0
; COMPUTE_PGM_RSRC2:TGID_X_EN: 1
; COMPUTE_PGM_RSRC2:TGID_Y_EN: 0
; COMPUTE_PGM_RSRC2:TGID_Z_EN: 1
; COMPUTE_PGM_RSRC2:TIDIG_COMP_CNT: 1
; COMPUTE_PGM_RSRC3_GFX90A:ACCUM_OFFSET: 54
; COMPUTE_PGM_RSRC3_GFX90A:TG_SPLIT: 0
	.section	.text._ZN12_GLOBAL__N_120geam_min_plus_kernelIf15HIP_vector_typeIfLj2EES2_Li8ELi32ELi64ELi128ELi4ELi4ELi64ELi64ELi4ELc84ELc84ELb1ELb0ELb0EfKPKfKPfEEviiiT16_PT17_ilSA_ilS8_SA_ilPT18_ili26rocblas_geam_ex_operation_,"axG",@progbits,_ZN12_GLOBAL__N_120geam_min_plus_kernelIf15HIP_vector_typeIfLj2EES2_Li8ELi32ELi64ELi128ELi4ELi4ELi64ELi64ELi4ELc84ELc84ELb1ELb0ELb0EfKPKfKPfEEviiiT16_PT17_ilSA_ilS8_SA_ilPT18_ili26rocblas_geam_ex_operation_,comdat
	.globl	_ZN12_GLOBAL__N_120geam_min_plus_kernelIf15HIP_vector_typeIfLj2EES2_Li8ELi32ELi64ELi128ELi4ELi4ELi64ELi64ELi4ELc84ELc84ELb1ELb0ELb0EfKPKfKPfEEviiiT16_PT17_ilSA_ilS8_SA_ilPT18_ili26rocblas_geam_ex_operation_ ; -- Begin function _ZN12_GLOBAL__N_120geam_min_plus_kernelIf15HIP_vector_typeIfLj2EES2_Li8ELi32ELi64ELi128ELi4ELi4ELi64ELi64ELi4ELc84ELc84ELb1ELb0ELb0EfKPKfKPfEEviiiT16_PT17_ilSA_ilS8_SA_ilPT18_ili26rocblas_geam_ex_operation_
	.p2align	8
	.type	_ZN12_GLOBAL__N_120geam_min_plus_kernelIf15HIP_vector_typeIfLj2EES2_Li8ELi32ELi64ELi128ELi4ELi4ELi64ELi64ELi4ELc84ELc84ELb1ELb0ELb0EfKPKfKPfEEviiiT16_PT17_ilSA_ilS8_SA_ilPT18_ili26rocblas_geam_ex_operation_,@function
_ZN12_GLOBAL__N_120geam_min_plus_kernelIf15HIP_vector_typeIfLj2EES2_Li8ELi32ELi64ELi128ELi4ELi4ELi64ELi64ELi4ELc84ELc84ELb1ELb0ELb0EfKPKfKPfEEviiiT16_PT17_ilSA_ilS8_SA_ilPT18_ili26rocblas_geam_ex_operation_: ; @_ZN12_GLOBAL__N_120geam_min_plus_kernelIf15HIP_vector_typeIfLj2EES2_Li8ELi32ELi64ELi128ELi4ELi4ELi64ELi64ELi4ELc84ELc84ELb1ELb0ELb0EfKPKfKPfEEviiiT16_PT17_ilSA_ilS8_SA_ilPT18_ili26rocblas_geam_ex_operation_
; %bb.0:
	s_load_dwordx2 s[12:13], s[0:1], 0x8
	s_load_dwordx4 s[4:7], s[0:1], 0x20
	s_mov_b32 s18, s3
	s_mov_b32 s19, 0
	s_waitcnt lgkmcnt(0)
	v_cmp_eq_f32_e64 s[8:9], s13, 0
	s_and_b64 vcc, exec, s[8:9]
	s_cbranch_vccnz .LBB46_3
; %bb.1:
	s_load_dwordx2 s[10:11], s[0:1], 0x10
	s_lshl_b64 s[14:15], s[18:19], 3
	s_waitcnt lgkmcnt(0)
	s_add_u32 s10, s10, s14
	s_addc_u32 s11, s11, s15
	s_load_dwordx2 s[10:11], s[10:11], 0x0
	s_lshl_b64 s[4:5], s[4:5], 2
	s_waitcnt lgkmcnt(0)
	s_add_u32 s14, s10, s4
	s_addc_u32 s15, s11, s5
	s_andn2_b64 vcc, exec, s[8:9]
	s_cbranch_vccnz .LBB46_4
.LBB46_2:
	s_mov_b64 s[16:17], 0
	s_cbranch_execz .LBB46_5
	s_branch .LBB46_6
.LBB46_3:
	s_mov_b64 s[14:15], 0
	s_andn2_b64 vcc, exec, s[8:9]
	s_cbranch_vccz .LBB46_2
.LBB46_4:
                                        ; implicit-def: $sgpr16_sgpr17
.LBB46_5:
	s_lshl_b64 s[8:9], s[18:19], 3
	s_add_u32 s6, s6, s8
	s_load_dwordx2 s[4:5], s[0:1], 0x38
	s_addc_u32 s7, s7, s9
	s_load_dwordx2 s[6:7], s[6:7], 0x0
	s_waitcnt lgkmcnt(0)
	s_lshl_b64 s[4:5], s[4:5], 2
	s_add_u32 s16, s6, s4
	s_addc_u32 s17, s7, s5
.LBB46_6:
	s_load_dword s13, s[0:1], 0x40
	s_load_dwordx4 s[8:11], s[0:1], 0x58
	s_waitcnt lgkmcnt(0)
	v_cmp_eq_f32_e64 s[4:5], s13, 0
	s_and_b64 s[4:5], exec, s[4:5]
	s_mov_b64 vcc, s[4:5]
	s_cbranch_vccnz .LBB46_8
; %bb.7:
	s_load_dwordx2 s[6:7], s[0:1], 0x48
	s_lshl_b64 s[20:21], s[18:19], 3
	s_waitcnt lgkmcnt(0)
	s_add_u32 s6, s6, s20
	s_addc_u32 s7, s7, s21
	s_load_dwordx2 s[6:7], s[6:7], 0x0
	s_lshl_b64 s[8:9], s[8:9], 2
	s_waitcnt lgkmcnt(0)
	s_add_u32 s6, s6, s8
	s_addc_u32 s7, s7, s9
	s_branch .LBB46_9
.LBB46_8:
	s_mov_b64 s[6:7], 0
.LBB46_9:
	s_load_dword s3, s[0:1], 0x0
	s_lshl_b64 s[8:9], s[18:19], 3
	s_add_u32 s8, s10, s8
	s_addc_u32 s9, s11, s9
	s_load_dword s11, s[0:1], 0x18
	s_load_dword s10, s[0:1], 0x30
	s_waitcnt lgkmcnt(0)
	s_add_i32 s3, s3, -1
	s_ashr_i32 s18, s3, 31
	s_lshr_b32 s18, s18, 26
	s_add_i32 s3, s3, s18
	s_ashr_i32 s3, s3, 6
	s_add_i32 s18, s3, 1
	v_cvt_f32_u32_e32 v1, s18
	s_not_b32 s3, s3
	v_and_b32_e32 v126, 0x3ff, v0
	v_bfe_u32 v127, v0, 10, 10
	v_rcp_iflag_f32_e32 v1, v1
	v_lshl_add_u32 v0, v127, 3, v126
	v_and_b32_e32 v7, 63, v0
	v_and_b32_e32 v2, 3, v126
	v_mul_f32_e32 v1, 0x4f7ffffe, v1
	v_cvt_u32_f32_e32 v1, v1
	v_lshrrev_b32_e32 v6, 2, v0
	v_lshrrev_b32_e32 v34, 6, v0
	v_lshlrev_b32_e32 v30, 2, v2
	v_readfirstlane_b32 s19, v1
	s_mul_i32 s3, s3, s19
	s_mul_hi_u32 s3, s19, s3
	s_add_i32 s19, s19, s3
	s_mul_hi_u32 s3, s2, s19
	s_mul_i32 s19, s3, s18
	s_sub_i32 s19, s2, s19
	s_add_i32 s20, s3, 1
	s_sub_i32 s21, s19, s18
	s_cmp_ge_u32 s19, s18
	s_cselect_b32 s3, s20, s3
	s_cselect_b32 s19, s21, s19
	s_add_i32 s20, s3, 1
	s_cmp_ge_u32 s19, s18
	s_cselect_b32 s3, s20, s3
	s_mul_i32 s18, s3, s18
	s_sub_i32 s2, s2, s18
	s_lshl_b32 s19, s3, 7
	s_lshl_b32 s18, s2, 6
	v_or_b32_e32 v32, s19, v7
	v_add_u32_e32 v0, s18, v6
	v_mad_i64_i32 v[2:3], s[2:3], s10, v34, 0
	v_ashrrev_i32_e32 v33, 31, v32
	v_mad_i64_i32 v[28:29], s[2:3], v0, s11, 0
	v_lshl_add_u64 v[2:3], v[2:3], 2, s[16:17]
	v_lshlrev_b64 v[4:5], 2, v[32:33]
	v_lshl_add_u64 v[0:1], v[28:29], 2, s[14:15]
	v_mov_b32_e32 v31, 0
	v_lshl_add_u64 v[2:3], v[2:3], 0, v[4:5]
	v_lshl_add_u64 v[0:1], v[0:1], 0, v[30:31]
	flat_load_dword v8, v[2:3]
	flat_load_dword v9, v[2:3] offset:256
	flat_load_dword v10, v[0:1]
	v_add_u32_e32 v2, 4, v34
	v_lshlrev_b32_e32 v3, 2, v34
	s_load_dwordx2 s[2:3], s[8:9], 0x0
	v_lshl_add_u32 v130, v7, 4, v3
	v_mad_i64_i32 v[2:3], s[8:9], s10, v2, 0
	v_lshl_add_u64 v[2:3], v[2:3], 2, s[16:17]
	v_lshl_add_u64 v[2:3], v[2:3], 0, v[4:5]
	flat_load_dword v36, v[2:3]
	flat_load_dword v38, v[2:3] offset:256
	flat_load_dword v37, v[0:1] offset:16
	v_lshlrev_b32_e32 v129, 4, v127
	v_lshlrev_b32_e32 v128, 4, v126
	v_lshl_or_b32 v35, v6, 4, v30
	s_cmp_lt_i32 s12, 9
	s_waitcnt vmcnt(0) lgkmcnt(0)
	ds_write2st64_b32 v130, v8, v9 offset1:4
	ds_write_b32 v35, v10 offset:4096
	s_waitcnt lgkmcnt(0)
	s_barrier
	ds_read_b128 v[4:7], v129
	ds_read_b128 v[8:11], v129 offset:512
	ds_read_b128 v[0:3], v129 offset:1536
	ds_read_b128 v[12:15], v129 offset:1024
	ds_read_b128 v[16:19], v128 offset:4096
	ds_read_b128 v[20:23], v128 offset:4224
	ds_read_b128 v[24:27], v128 offset:4352
	ds_read_b128 v[40:43], v128 offset:4480
	ds_read_b128 v[44:47], v128 offset:4992
	ds_read_b128 v[48:51], v128 offset:4864
	ds_read_b128 v[52:55], v128 offset:4608
	ds_read_b128 v[56:59], v128 offset:4736
	s_waitcnt lgkmcnt(11)
	v_max_f32_e32 v39, v5, v5
	s_waitcnt lgkmcnt(3)
	v_max_f32_e32 v62, v45, v45
	v_max_f32_e32 v63, v4, v4
	;; [unrolled: 1-line block ×13, first 2 shown]
	s_waitcnt lgkmcnt(1)
	v_max_f32_e32 v100, v54, v54
	v_max_f32_e32 v101, v55, v55
	s_waitcnt lgkmcnt(0)
	v_max_f32_e32 v54, v56, v56
	v_max_f32_e32 v55, v57, v57
	;; [unrolled: 1-line block ×4, first 2 shown]
	v_min_f32_e32 v49, v62, v39
	v_min_f32_e32 v48, v64, v63
	v_max_f32_e32 v120, v11, v11
	v_max_f32_e32 v121, v10, v10
	;; [unrolled: 1-line block ×11, first 2 shown]
	v_min_f32_e32 v74, v54, v63
	v_min_f32_e32 v75, v55, v39
	;; [unrolled: 1-line block ×10, first 2 shown]
	v_pk_add_f32 v[48:49], v[48:49], 0 op_sel_hi:[1,0]
	v_min_f32_e32 v55, v118, v110
	v_min_f32_e32 v54, v119, v111
	v_max_f32_e32 v6, v16, v16
	v_max_f32_e32 v122, v15, v15
	;; [unrolled: 1-line block ×15, first 2 shown]
	v_min_f32_e32 v16, v24, v63
	v_min_f32_e32 v17, v22, v39
	v_min_f32_e32 v18, v24, v66
	v_min_f32_e32 v19, v22, v65
	v_min_f32_e32 v20, v24, v68
	v_min_f32_e32 v21, v22, v67
	v_min_f32_e32 v23, v22, v69
	v_min_f32_e32 v22, v24, v70
	v_min_f32_e32 v24, v44, v63
	v_min_f32_e32 v25, v45, v39
	v_min_f32_e32 v26, v44, v66
	v_min_f32_e32 v27, v45, v65
	v_min_f32_e32 v40, v44, v68
	v_min_f32_e32 v41, v45, v67
	v_min_f32_e32 v43, v45, v69
	v_min_f32_e32 v42, v44, v70
	v_min_f32_e32 v44, v52, v63
	v_min_f32_e32 v45, v53, v39
	v_min_f32_e32 v46, v52, v66
	v_min_f32_e32 v47, v53, v65
	v_min_f32_e32 v58, v52, v68
	v_min_f32_e32 v59, v53, v67
	v_min_f32_e32 v61, v53, v69
	v_min_f32_e32 v60, v52, v70
	v_min_f32_e32 v53, v62, v67
	v_min_f32_e32 v52, v64, v68
	v_pk_add_f32 v[84:85], v[54:55], v[48:49]
	v_pk_add_f32 v[48:49], v[50:51], 0 op_sel_hi:[1,0]
	v_min_f32_e32 v51, v118, v120
	v_min_f32_e32 v50, v119, v121
	v_max_f32_e32 v125, v2, v2
	v_min_f32_e32 v0, v6, v63
	v_min_f32_e32 v1, v7, v39
	;; [unrolled: 1-line block ×11, first 2 shown]
	v_pk_add_f32 v[70:71], v[50:51], v[48:49]
	v_pk_add_f32 v[48:49], v[52:53], 0 op_sel_hi:[1,0]
	v_min_f32_e32 v51, v118, v122
	v_min_f32_e32 v50, v119, v123
	v_max_f32_e32 v124, v3, v3
	v_min_f32_e32 v3, v7, v65
	v_pk_add_f32 v[54:55], v[50:51], v[48:49]
	v_pk_add_f32 v[0:1], v[0:1], 0 op_sel_hi:[1,0]
	v_min_f32_e32 v48, v72, v111
	v_min_f32_e32 v49, v73, v110
	v_min_f32_e32 v5, v7, v67
	v_pk_add_f32 v[96:97], v[48:49], v[0:1]
	v_pk_add_f32 v[0:1], v[2:3], 0 op_sel_hi:[1,0]
	v_min_f32_e32 v2, v72, v121
	v_min_f32_e32 v3, v73, v120
	;; [unrolled: 5-line block ×3, first 2 shown]
	v_min_f32_e32 v9, v15, v39
	v_min_f32_e32 v13, v15, v67
	;; [unrolled: 1-line block ×4, first 2 shown]
	v_pk_add_f32 v[66:67], v[2:3], v[0:1]
	v_min_f32_e32 v1, v73, v124
	v_min_f32_e32 v0, v72, v125
	v_pk_add_f32 v[2:3], v[6:7], 0 op_sel_hi:[1,0]
	v_min_f32_e32 v11, v15, v65
	v_min_f32_e32 v106, v56, v63
	;; [unrolled: 1-line block ×6, first 2 shown]
	v_pk_add_f32 v[56:57], v[0:1], v[2:3]
	v_pk_add_f32 v[0:1], v[8:9], 0 op_sel_hi:[1,0]
	v_min_f32_e32 v2, v76, v111
	v_min_f32_e32 v3, v77, v110
	v_pk_add_f32 v[92:93], v[2:3], v[0:1]
	v_pk_add_f32 v[0:1], v[10:11], 0 op_sel_hi:[1,0]
	v_min_f32_e32 v2, v76, v121
	v_min_f32_e32 v3, v77, v120
	;; [unrolled: 1-line block ×3, first 2 shown]
	v_pk_add_f32 v[78:79], v[2:3], v[0:1]
	v_pk_add_f32 v[0:1], v[12:13], 0 op_sel_hi:[1,0]
	v_min_f32_e32 v2, v76, v123
	v_min_f32_e32 v3, v77, v122
	v_pk_add_f32 v[64:65], v[2:3], v[0:1]
	v_min_f32_e32 v1, v77, v124
	v_min_f32_e32 v0, v76, v125
	v_pk_add_f32 v[2:3], v[14:15], 0 op_sel_hi:[1,0]
	v_min_f32_e32 v117, v62, v69
	v_pk_add_f32 v[50:51], v[0:1], v[2:3]
	v_pk_add_f32 v[0:1], v[16:17], 0 op_sel_hi:[1,0]
	v_min_f32_e32 v2, v82, v111
	v_min_f32_e32 v3, v83, v110
	v_pk_add_f32 v[90:91], v[2:3], v[0:1]
	v_pk_add_f32 v[0:1], v[18:19], 0 op_sel_hi:[1,0]
	v_min_f32_e32 v2, v82, v121
	;; [unrolled: 4-line block ×3, first 2 shown]
	v_min_f32_e32 v3, v83, v122
	v_pk_add_f32 v[62:63], v[2:3], v[0:1]
	v_min_f32_e32 v1, v83, v124
	v_min_f32_e32 v0, v82, v125
	v_pk_add_f32 v[2:3], v[22:23], 0 op_sel_hi:[1,0]
	ds_write2st64_b32 v130, v36, v38 offset0:8 offset1:12
	ds_write_b32 v35, v37 offset:5120
	v_pk_add_f32 v[48:49], v[0:1], v[2:3]
	v_pk_add_f32 v[0:1], v[24:25], 0 op_sel_hi:[1,0]
	v_min_f32_e32 v2, v86, v111
	v_min_f32_e32 v3, v87, v110
	v_pk_add_f32 v[94:95], v[2:3], v[0:1]
	v_pk_add_f32 v[0:1], v[26:27], 0 op_sel_hi:[1,0]
	v_min_f32_e32 v2, v86, v121
	v_min_f32_e32 v3, v87, v120
	;; [unrolled: 4-line block ×3, first 2 shown]
	v_pk_add_f32 v[68:69], v[2:3], v[0:1]
	v_min_f32_e32 v1, v87, v124
	v_min_f32_e32 v0, v86, v125
	v_pk_add_f32 v[2:3], v[42:43], 0 op_sel_hi:[1,0]
	s_waitcnt lgkmcnt(0)
	v_pk_add_f32 v[52:53], v[0:1], v[2:3]
	v_pk_add_f32 v[0:1], v[44:45], 0 op_sel_hi:[1,0]
	v_min_f32_e32 v2, v100, v111
	v_min_f32_e32 v3, v101, v110
	v_pk_add_f32 v[98:99], v[2:3], v[0:1]
	v_pk_add_f32 v[0:1], v[46:47], 0 op_sel_hi:[1,0]
	v_min_f32_e32 v2, v100, v121
	v_min_f32_e32 v3, v101, v120
	;; [unrolled: 4-line block ×3, first 2 shown]
	v_pk_add_f32 v[72:73], v[2:3], v[0:1]
	v_min_f32_e32 v1, v101, v124
	v_min_f32_e32 v0, v100, v125
	v_pk_add_f32 v[2:3], v[60:61], 0 op_sel_hi:[1,0]
	s_barrier
	v_pk_add_f32 v[58:59], v[0:1], v[2:3]
	v_pk_add_f32 v[0:1], v[74:75], 0 op_sel_hi:[1,0]
	v_min_f32_e32 v2, v131, v111
	v_min_f32_e32 v3, v132, v110
	v_pk_add_f32 v[100:101], v[2:3], v[0:1]
	v_pk_add_f32 v[0:1], v[88:89], 0 op_sel_hi:[1,0]
	v_min_f32_e32 v2, v131, v121
	v_min_f32_e32 v3, v132, v120
	;; [unrolled: 4-line block ×3, first 2 shown]
	v_pk_add_f32 v[74:75], v[2:3], v[0:1]
	v_min_f32_e32 v1, v132, v124
	v_min_f32_e32 v0, v131, v125
	v_pk_add_f32 v[2:3], v[104:105], 0 op_sel_hi:[1,0]
	s_nop 0
	v_pk_add_f32 v[60:61], v[0:1], v[2:3]
	v_min_f32_e32 v0, v133, v111
	v_min_f32_e32 v1, v134, v110
	v_pk_add_f32 v[2:3], v[106:107], 0 op_sel_hi:[1,0]
	s_nop 0
	;; [unrolled: 5-line block ×6, first 2 shown]
	v_pk_add_f32 v[102:103], v[0:1], v[2:3]
	s_cbranch_scc1 .LBB46_12
; %bb.10:
	v_mov_b32_e32 v0, 0x1400
	v_lshl_add_u32 v135, v126, 4, v0
	v_mov_b32_e32 v0, 0x800
	v_lshl_add_u32 v136, v127, 4, v0
	v_add_u32_e32 v0, 12, v34
	v_mad_i64_i32 v[0:1], s[8:9], v0, s10, 0
	v_lshlrev_b64 v[40:41], 2, v[0:1]
	v_lshl_add_u64 v[0:1], v[28:29], 2, v[30:31]
	v_lshl_add_u64 v[0:1], v[0:1], 0, s[14:15]
	s_ashr_i32 s11, s10, 31
	v_lshl_add_u64 v[42:43], v[0:1], 0, 32
	v_add_u32_e32 v0, 8, v34
	s_lshl_b64 s[8:9], s[10:11], 5
	v_mad_i64_i32 v[0:1], s[10:11], v0, s10, 0
	v_add_u32_e32 v131, 0x1000, v35
	v_add_u32_e32 v132, 0x1000, v128
	;; [unrolled: 1-line block ×3, first 2 shown]
	v_or_b32_e32 v134, 0x800, v130
	s_add_i32 s12, s12, -8
	v_lshl_add_u64 v[38:39], v[32:33], 2, s[16:17]
	v_lshlrev_b64 v[44:45], 2, v[0:1]
	s_mov_b32 s10, 0
.LBB46_11:                              ; =>This Inner Loop Header: Depth=1
	v_lshl_add_u64 v[0:1], v[38:39], 0, v[44:45]
	flat_load_dword v139, v[42:43]
	flat_load_dword v137, v[0:1]
	flat_load_dword v138, v[0:1] offset:256
	ds_read_b128 v[12:15], v135 offset:896
	ds_read_b128 v[4:7], v136 offset:1536
	ds_read_b128 v[18:21], v136
	ds_read_b128 v[26:29], v135
	ds_read_b128 v[30:33], v135 offset:128
	ds_read_b128 v[22:25], v136 offset:1024
	s_waitcnt lgkmcnt(0)
	v_max_f32_e32 v141, v13, v13
	v_max_f32_e32 v140, v19, v19
	;; [unrolled: 1-line block ×3, first 2 shown]
	ds_read_b128 v[16:19], v136 offset:512
	v_max_f32_e32 v143, v12, v12
	v_min_f32_e32 v1, v141, v140
	v_min_f32_e32 v0, v143, v142
	v_pk_add_f32 v[84:85], v[0:1], v[84:85]
	s_waitcnt lgkmcnt(0)
	v_max_f32_e32 v17, v17, v17
	v_max_f32_e32 v16, v16, v16
	v_min_f32_e32 v1, v141, v17
	v_min_f32_e32 v0, v143, v16
	v_max_f32_e32 v23, v23, v23
	v_max_f32_e32 v22, v22, v22
	v_pk_add_f32 v[112:113], v[0:1], v[70:71]
	v_min_f32_e32 v1, v141, v23
	v_min_f32_e32 v0, v143, v22
	v_max_f32_e32 v2, v26, v26
	v_max_f32_e32 v3, v27, v27
	v_pk_add_f32 v[114:115], v[0:1], v[54:55]
	v_min_f32_e32 v0, v2, v142
	v_min_f32_e32 v1, v3, v140
	v_pk_add_f32 v[96:97], v[0:1], v[96:97]
	v_min_f32_e32 v0, v2, v16
	v_min_f32_e32 v1, v3, v17
	;; [unrolled: 3-line block ×3, first 2 shown]
	v_max_f32_e32 v26, v5, v5
	v_max_f32_e32 v144, v4, v4
	ds_read_b128 v[34:37], v135 offset:256
	ds_read_b128 v[10:13], v135 offset:384
	v_pk_add_f32 v[116:117], v[0:1], v[66:67]
	v_min_f32_e32 v1, v3, v26
	v_min_f32_e32 v0, v2, v144
	v_max_f32_e32 v2, v30, v30
	v_max_f32_e32 v3, v31, v31
	v_pk_add_f32 v[66:67], v[0:1], v[56:57]
	v_min_f32_e32 v0, v2, v142
	v_min_f32_e32 v1, v3, v140
	v_pk_add_f32 v[92:93], v[0:1], v[92:93]
	v_min_f32_e32 v0, v2, v16
	v_min_f32_e32 v1, v3, v17
	;; [unrolled: 3-line block ×4, first 2 shown]
	s_waitcnt lgkmcnt(0)
	v_max_f32_e32 v2, v34, v34
	v_max_f32_e32 v3, v35, v35
	v_pk_add_f32 v[120:121], v[0:1], v[50:51]
	v_min_f32_e32 v0, v2, v142
	v_min_f32_e32 v1, v3, v140
	v_pk_add_f32 v[90:91], v[0:1], v[90:91]
	v_min_f32_e32 v0, v2, v16
	v_min_f32_e32 v1, v3, v17
	v_pk_add_f32 v[76:77], v[0:1], v[76:77]
	v_min_f32_e32 v0, v2, v22
	v_min_f32_e32 v1, v3, v23
	v_pk_add_f32 v[122:123], v[0:1], v[62:63]
	v_min_f32_e32 v1, v3, v26
	v_min_f32_e32 v0, v2, v144
	v_max_f32_e32 v2, v10, v10
	v_max_f32_e32 v3, v11, v11
	ds_read_b128 v[8:11], v135 offset:512
	v_pk_add_f32 v[124:125], v[0:1], v[48:49]
	v_min_f32_e32 v0, v2, v142
	v_min_f32_e32 v1, v3, v140
	v_pk_add_f32 v[62:63], v[0:1], v[94:95]
	v_min_f32_e32 v0, v2, v16
	v_min_f32_e32 v1, v3, v17
	;; [unrolled: 3-line block ×4, first 2 shown]
	s_waitcnt lgkmcnt(0)
	v_max_f32_e32 v2, v8, v8
	v_max_f32_e32 v3, v9, v9
	v_pk_add_f32 v[70:71], v[0:1], v[52:53]
	v_min_f32_e32 v0, v2, v142
	v_min_f32_e32 v1, v3, v140
	v_pk_add_f32 v[50:51], v[0:1], v[98:99]
	v_min_f32_e32 v0, v2, v16
	v_min_f32_e32 v1, v3, v17
	;; [unrolled: 3-line block ×4, first 2 shown]
	ds_read_b128 v[2:5], v135 offset:640
	v_pk_add_f32 v[56:57], v[0:1], v[58:59]
	v_max_f32_e32 v145, v14, v14
	v_max_f32_e32 v25, v25, v25
	;; [unrolled: 1-line block ×3, first 2 shown]
	s_waitcnt lgkmcnt(0)
	v_max_f32_e32 v2, v2, v2
	v_max_f32_e32 v3, v3, v3
	v_min_f32_e32 v0, v2, v142
	v_min_f32_e32 v1, v3, v140
	v_pk_add_f32 v[30:31], v[0:1], v[100:101]
	v_min_f32_e32 v0, v2, v16
	v_min_f32_e32 v1, v3, v17
	v_pk_add_f32 v[34:35], v[0:1], v[88:89]
	;; [unrolled: 3-line block ×4, first 2 shown]
	ds_read_b128 v[0:3], v135 offset:768
	v_max_f32_e32 v28, v28, v28
	v_max_f32_e32 v29, v29, v29
	s_waitcnt vmcnt(0)
	ds_write_b32 v131, v139
	ds_write2st64_b32 v130, v137, v138 offset1:4
	s_waitcnt lgkmcnt(0)
	v_max_f32_e32 v27, v0, v0
	v_max_f32_e32 v58, v1, v1
	v_min_f32_e32 v0, v27, v142
	v_min_f32_e32 v8, v27, v16
	;; [unrolled: 1-line block ×9, first 2 shown]
	v_max_f32_e32 v144, v15, v15
	v_min_f32_e32 v1, v58, v140
	v_max_f32_e32 v140, v21, v21
	v_max_f32_e32 v141, v20, v20
	v_min_f32_e32 v21, v144, v25
	v_min_f32_e32 v20, v145, v24
	v_max_f32_e32 v142, v19, v19
	v_max_f32_e32 v143, v18, v18
	v_pk_add_f32 v[58:59], v[20:21], v[114:115]
	v_min_f32_e32 v20, v28, v141
	v_min_f32_e32 v21, v29, v140
	v_pk_add_f32 v[60:61], v[20:21], v[96:97]
	v_min_f32_e32 v20, v28, v143
	v_min_f32_e32 v21, v29, v142
	v_pk_add_f32 v[72:73], v[20:21], v[80:81]
	v_max_f32_e32 v80, v7, v7
	v_min_f32_e32 v21, v29, v25
	v_min_f32_e32 v7, v29, v80
	v_max_f32_e32 v29, v6, v6
	v_min_f32_e32 v6, v28, v29
	v_min_f32_e32 v20, v28, v24
	v_pk_add_f32 v[6:7], v[6:7], v[66:67]
	v_max_f32_e32 v28, v32, v32
	v_max_f32_e32 v66, v33, v33
	v_pk_add_f32 v[74:75], v[20:21], v[116:117]
	v_min_f32_e32 v20, v28, v141
	v_min_f32_e32 v21, v66, v140
	v_pk_add_f32 v[32:33], v[20:21], v[92:93]
	v_min_f32_e32 v20, v28, v143
	v_min_f32_e32 v21, v66, v142
	;; [unrolled: 1-line block ×4, first 2 shown]
	v_pk_add_f32 v[82:83], v[20:21], v[78:79]
	v_min_f32_e32 v20, v28, v24
	v_min_f32_e32 v21, v66, v25
	v_pk_add_f32 v[14:15], v[14:15], v[84:85]
	v_pk_add_f32 v[84:85], v[20:21], v[118:119]
	v_min_f32_e32 v21, v66, v80
	v_min_f32_e32 v20, v28, v29
	v_max_f32_e32 v28, v36, v36
	v_max_f32_e32 v66, v37, v37
	v_pk_add_f32 v[86:87], v[20:21], v[120:121]
	v_min_f32_e32 v20, v28, v141
	v_min_f32_e32 v21, v66, v140
	v_pk_add_f32 v[36:37], v[20:21], v[90:91]
	v_min_f32_e32 v20, v28, v143
	v_min_f32_e32 v21, v66, v142
	;; [unrolled: 3-line block ×4, first 2 shown]
	v_pk_add_f32 v[96:97], v[20:21], v[124:125]
	v_max_f32_e32 v20, v12, v12
	v_max_f32_e32 v21, v13, v13
	v_min_f32_e32 v12, v20, v141
	v_min_f32_e32 v13, v21, v140
	v_pk_add_f32 v[98:99], v[12:13], v[62:63]
	v_min_f32_e32 v12, v20, v143
	v_min_f32_e32 v13, v21, v142
	v_pk_add_f32 v[100:101], v[12:13], v[64:65]
	;; [unrolled: 3-line block ×3, first 2 shown]
	v_pk_add_f32 v[102:103], v[12:13], v[68:69]
	v_min_f32_e32 v13, v21, v80
	v_min_f32_e32 v12, v20, v29
	v_pk_add_f32 v[22:23], v[22:23], v[104:105]
	v_pk_add_f32 v[104:105], v[12:13], v[70:71]
	v_max_f32_e32 v12, v10, v10
	v_max_f32_e32 v13, v11, v11
	v_min_f32_e32 v10, v12, v141
	v_min_f32_e32 v11, v13, v140
	v_pk_add_f32 v[16:17], v[16:17], v[106:107]
	v_pk_add_f32 v[106:107], v[10:11], v[50:51]
	v_min_f32_e32 v10, v12, v143
	v_min_f32_e32 v11, v13, v142
	v_pk_add_f32 v[8:9], v[8:9], v[108:109]
	v_pk_add_f32 v[108:109], v[10:11], v[52:53]
	v_min_f32_e32 v10, v12, v24
	v_min_f32_e32 v11, v13, v25
	v_pk_add_f32 v[0:1], v[0:1], v[110:111]
	v_min_f32_e32 v19, v144, v142
	v_min_f32_e32 v18, v145, v143
	;; [unrolled: 3-line block ×3, first 2 shown]
	v_pk_add_f32 v[18:19], v[18:19], v[112:113]
	v_pk_add_f32 v[112:113], v[10:11], v[56:57]
	v_max_f32_e32 v10, v4, v4
	v_max_f32_e32 v11, v5, v5
	v_min_f32_e32 v4, v10, v141
	v_min_f32_e32 v5, v11, v140
	v_pk_add_f32 v[30:31], v[4:5], v[30:31]
	v_min_f32_e32 v4, v10, v143
	v_min_f32_e32 v5, v11, v142
	v_pk_add_f32 v[114:115], v[4:5], v[34:35]
	;; [unrolled: 3-line block ×4, first 2 shown]
	v_max_f32_e32 v4, v2, v2
	v_max_f32_e32 v5, v3, v3
	v_min_f32_e32 v2, v4, v141
	v_min_f32_e32 v3, v5, v140
	v_pk_add_f32 v[122:123], v[2:3], v[0:1]
	v_min_f32_e32 v0, v4, v143
	v_min_f32_e32 v1, v5, v142
	v_pk_add_f32 v[124:125], v[0:1], v[8:9]
	;; [unrolled: 3-line block ×5, first 2 shown]
	v_lshl_add_u64 v[0:1], v[38:39], 0, v[40:41]
	s_barrier
	flat_load_dword v118, v[42:43] offset:16
	flat_load_dword v119, v[0:1]
	flat_load_dword v120, v[0:1] offset:256
	ds_read_b128 v[20:23], v132 offset:896
	ds_read_b128 v[10:13], v129 offset:1536
	ds_read_b128 v[26:29], v129
	s_add_i32 s10, s10, 8
	v_lshl_add_u64 v[38:39], v[38:39], 0, s[8:9]
	s_waitcnt lgkmcnt(0)
	v_max_f32_e32 v137, v21, v21
	v_max_f32_e32 v139, v20, v20
	;; [unrolled: 1-line block ×4, first 2 shown]
	ds_read_b128 v[24:27], v129 offset:512
	v_min_f32_e32 v1, v137, v121
	v_min_f32_e32 v0, v139, v138
	v_max_f32_e32 v148, v11, v11
	v_max_f32_e32 v149, v10, v10
	ds_read_b128 v[8:11], v132 offset:256
	s_waitcnt lgkmcnt(0)
	v_max_f32_e32 v25, v25, v25
	v_max_f32_e32 v24, v24, v24
	v_pk_add_f32 v[80:81], v[0:1], v[14:15]
	v_min_f32_e32 v1, v137, v25
	v_min_f32_e32 v0, v139, v24
	v_pk_add_f32 v[70:71], v[0:1], v[18:19]
	ds_read_b128 v[18:21], v129 offset:1024
	v_max_f32_e32 v29, v29, v29
	v_max_f32_e32 v23, v23, v23
	;; [unrolled: 1-line block ×4, first 2 shown]
	s_waitcnt lgkmcnt(0)
	v_max_f32_e32 v146, v19, v19
	v_max_f32_e32 v147, v18, v18
	ds_read_b128 v[16:19], v132
	v_min_f32_e32 v1, v137, v146
	v_min_f32_e32 v0, v139, v147
	v_pk_add_f32 v[54:55], v[0:1], v[58:59]
	v_max_f32_e32 v27, v27, v27
	s_waitcnt lgkmcnt(0)
	v_max_f32_e32 v2, v16, v16
	v_max_f32_e32 v3, v17, v17
	ds_read_b128 v[14:17], v132 offset:128
	v_min_f32_e32 v0, v2, v138
	v_min_f32_e32 v1, v3, v121
	v_pk_add_f32 v[66:67], v[0:1], v[60:61]
	v_min_f32_e32 v0, v2, v24
	v_min_f32_e32 v1, v3, v25
	v_pk_add_f32 v[78:79], v[0:1], v[72:73]
	;; [unrolled: 3-line block ×3, first 2 shown]
	v_min_f32_e32 v1, v3, v148
	v_min_f32_e32 v0, v2, v149
	s_waitcnt lgkmcnt(0)
	v_max_f32_e32 v2, v14, v14
	v_max_f32_e32 v3, v15, v15
	v_pk_add_f32 v[56:57], v[0:1], v[6:7]
	v_min_f32_e32 v0, v2, v138
	v_min_f32_e32 v1, v3, v121
	v_pk_add_f32 v[50:51], v[0:1], v[32:33]
	v_min_f32_e32 v0, v2, v24
	v_min_f32_e32 v1, v3, v25
	;; [unrolled: 3-line block ×4, first 2 shown]
	v_max_f32_e32 v2, v8, v8
	v_max_f32_e32 v3, v9, v9
	ds_read_b128 v[6:9], v132 offset:384
	v_pk_add_f32 v[90:91], v[0:1], v[86:87]
	v_min_f32_e32 v0, v2, v138
	v_min_f32_e32 v1, v3, v121
	v_pk_add_f32 v[48:49], v[0:1], v[36:37]
	v_min_f32_e32 v0, v2, v24
	v_min_f32_e32 v1, v3, v25
	;; [unrolled: 3-line block ×4, first 2 shown]
	s_waitcnt lgkmcnt(0)
	v_max_f32_e32 v2, v6, v6
	v_max_f32_e32 v3, v7, v7
	v_pk_add_f32 v[94:95], v[0:1], v[96:97]
	v_min_f32_e32 v0, v2, v138
	v_min_f32_e32 v1, v3, v121
	v_pk_add_f32 v[52:53], v[0:1], v[98:99]
	v_min_f32_e32 v0, v2, v24
	v_min_f32_e32 v1, v3, v25
	;; [unrolled: 3-line block ×3, first 2 shown]
	v_max_f32_e32 v26, v26, v26
	v_max_f32_e32 v100, v18, v18
	;; [unrolled: 1-line block ×3, first 2 shown]
	v_pk_add_f32 v[84:85], v[84:85], v[80:81]
	v_min_f32_e32 v81, v23, v27
	v_min_f32_e32 v80, v22, v26
	v_max_f32_e32 v21, v21, v21
	v_max_f32_e32 v20, v20, v20
	v_min_f32_e32 v18, v100, v28
	v_min_f32_e32 v19, v101, v29
	v_pk_add_f32 v[70:71], v[80:81], v[70:71]
	v_min_f32_e32 v81, v23, v21
	v_min_f32_e32 v80, v22, v20
	v_pk_add_f32 v[96:97], v[18:19], v[66:67]
	;; [unrolled: 3-line block ×3, first 2 shown]
	v_pk_add_f32 v[80:81], v[18:19], v[78:79]
	v_min_f32_e32 v18, v100, v20
	v_min_f32_e32 v19, v101, v21
	v_max_f32_e32 v13, v13, v13
	v_max_f32_e32 v12, v12, v12
	v_pk_add_f32 v[66:67], v[18:19], v[92:93]
	v_min_f32_e32 v19, v101, v13
	v_min_f32_e32 v18, v100, v12
	ds_read_b128 v[4:7], v132 offset:512
	v_pk_add_f32 v[56:57], v[18:19], v[56:57]
	v_max_f32_e32 v18, v16, v16
	v_max_f32_e32 v19, v17, v17
	v_min_f32_e32 v16, v18, v28
	v_min_f32_e32 v17, v19, v29
	v_pk_add_f32 v[92:93], v[16:17], v[50:51]
	v_min_f32_e32 v16, v18, v26
	v_min_f32_e32 v17, v19, v27
	v_pk_add_f32 v[78:79], v[16:17], v[64:65]
	v_min_f32_e32 v16, v18, v20
	v_min_f32_e32 v17, v19, v21
	;; [unrolled: 1-line block ×4, first 2 shown]
	v_pk_add_f32 v[64:65], v[16:17], v[76:77]
	v_min_f32_e32 v17, v19, v13
	v_min_f32_e32 v16, v18, v12
	v_pk_add_f32 v[86:87], v[0:1], v[102:103]
	v_min_f32_e32 v1, v3, v148
	v_min_f32_e32 v0, v2, v149
	s_waitcnt lgkmcnt(0)
	v_max_f32_e32 v2, v4, v4
	v_max_f32_e32 v3, v5, v5
	v_pk_add_f32 v[50:51], v[16:17], v[90:91]
	v_max_f32_e32 v16, v10, v10
	v_max_f32_e32 v17, v11, v11
	v_pk_add_f32 v[98:99], v[0:1], v[104:105]
	v_min_f32_e32 v0, v2, v138
	v_min_f32_e32 v1, v3, v121
	;; [unrolled: 1-line block ×4, first 2 shown]
	v_pk_add_f32 v[58:59], v[0:1], v[106:107]
	v_min_f32_e32 v0, v2, v24
	v_min_f32_e32 v1, v3, v25
	v_pk_add_f32 v[90:91], v[10:11], v[48:49]
	v_min_f32_e32 v10, v16, v26
	v_min_f32_e32 v11, v17, v27
	;; [unrolled: 3-line block ×5, first 2 shown]
	ds_read_b128 v[2:5], v132 offset:640
	v_pk_add_f32 v[62:63], v[10:11], v[82:83]
	v_min_f32_e32 v11, v17, v13
	v_min_f32_e32 v10, v16, v12
	v_pk_add_f32 v[48:49], v[10:11], v[94:95]
	v_max_f32_e32 v10, v8, v8
	v_max_f32_e32 v11, v9, v9
	v_min_f32_e32 v8, v10, v28
	v_min_f32_e32 v9, v11, v29
	v_pk_add_f32 v[94:95], v[8:9], v[52:53]
	v_min_f32_e32 v8, v10, v26
	v_min_f32_e32 v9, v11, v27
	v_pk_add_f32 v[82:83], v[8:9], v[68:69]
	v_min_f32_e32 v8, v10, v20
	v_min_f32_e32 v9, v11, v21
	s_waitcnt lgkmcnt(0)
	v_max_f32_e32 v2, v2, v2
	v_max_f32_e32 v3, v3, v3
	v_pk_add_f32 v[68:69], v[8:9], v[86:87]
	v_min_f32_e32 v9, v11, v13
	v_min_f32_e32 v8, v10, v12
	v_pk_add_f32 v[88:89], v[0:1], v[112:113]
	v_min_f32_e32 v0, v2, v138
	v_min_f32_e32 v1, v3, v121
	v_pk_add_f32 v[52:53], v[8:9], v[98:99]
	v_max_f32_e32 v8, v6, v6
	v_max_f32_e32 v9, v7, v7
	v_pk_add_f32 v[34:35], v[0:1], v[30:31]
	v_min_f32_e32 v0, v2, v24
	v_min_f32_e32 v1, v3, v25
	;; [unrolled: 1-line block ×4, first 2 shown]
	v_pk_add_f32 v[36:37], v[0:1], v[114:115]
	v_min_f32_e32 v0, v2, v147
	v_min_f32_e32 v1, v3, v146
	v_pk_add_f32 v[98:99], v[6:7], v[58:59]
	v_min_f32_e32 v6, v8, v26
	v_min_f32_e32 v7, v9, v27
	;; [unrolled: 3-line block ×4, first 2 shown]
	v_pk_add_f32 v[60:61], v[0:1], v[116:117]
	ds_read_b128 v[0:3], v132 offset:768
	v_pk_add_f32 v[72:73], v[6:7], v[74:75]
	v_min_f32_e32 v7, v9, v13
	v_min_f32_e32 v6, v8, v12
	v_pk_add_f32 v[58:59], v[6:7], v[88:89]
	v_max_f32_e32 v6, v4, v4
	v_max_f32_e32 v7, v5, v5
	v_min_f32_e32 v4, v6, v28
	v_min_f32_e32 v5, v7, v29
	v_pk_add_f32 v[100:101], v[4:5], v[34:35]
	v_min_f32_e32 v4, v6, v26
	v_min_f32_e32 v5, v7, v27
	v_pk_add_f32 v[88:89], v[4:5], v[36:37]
	v_min_f32_e32 v4, v6, v20
	v_min_f32_e32 v5, v7, v21
	s_waitcnt lgkmcnt(0)
	v_max_f32_e32 v14, v0, v0
	v_max_f32_e32 v15, v1, v1
	v_pk_add_f32 v[74:75], v[4:5], v[46:47]
	v_min_f32_e32 v5, v7, v13
	v_min_f32_e32 v4, v6, v12
	;; [unrolled: 1-line block ×4, first 2 shown]
	v_pk_add_f32 v[60:61], v[4:5], v[60:61]
	v_max_f32_e32 v4, v2, v2
	v_max_f32_e32 v5, v3, v3
	v_pk_add_f32 v[32:33], v[0:1], v[122:123]
	v_min_f32_e32 v0, v14, v24
	v_min_f32_e32 v1, v15, v25
	;; [unrolled: 1-line block ×4, first 2 shown]
	v_pk_add_f32 v[30:31], v[0:1], v[124:125]
	v_min_f32_e32 v0, v14, v147
	v_min_f32_e32 v1, v15, v146
	v_pk_add_f32 v[110:111], v[2:3], v[32:33]
	v_min_f32_e32 v2, v4, v26
	v_min_f32_e32 v3, v5, v27
	;; [unrolled: 3-line block ×6, first 2 shown]
	v_pk_add_f32 v[0:1], v[0:1], v[144:145]
	v_pk_add_f32 v[104:105], v[2:3], v[14:15]
	v_min_f32_e32 v3, v23, v13
	v_min_f32_e32 v2, v22, v12
	v_pk_add_f32 v[102:103], v[2:3], v[0:1]
	v_lshl_add_u64 v[42:43], v[42:43], 0, 32
	s_cmp_ge_i32 s10, s12
	s_waitcnt vmcnt(0)
	ds_write_b32 v133, v118
	ds_write2st64_b32 v134, v119, v120 offset1:4
	s_waitcnt lgkmcnt(0)
	s_barrier
	s_cbranch_scc0 .LBB46_11
.LBB46_12:
	s_load_dword s10, s[0:1], 0x50
	ds_read_b128 v[40:43], v129 offset:2048
	ds_read_b128 v[44:47], v128 offset:5120
	v_add_u32_e32 v116, s19, v127
	v_cmp_neq_f32_e64 s[8:9], s13, 0
	v_add_u32_e32 v112, s18, v126
	s_waitcnt lgkmcnt(0)
	v_mad_i64_i32 v[0:1], s[14:15], v116, s10, 0
	v_ashrrev_i32_e32 v113, 31, v112
	v_lshl_add_u64 v[114:115], v[0:1], 2, s[6:7]
	s_and_b64 vcc, exec, s[8:9]
	v_mov_b32_e32 v122, 0
	v_mov_b32_e32 v123, 0
	s_cbranch_vccz .LBB46_14
; %bb.13:
	v_lshl_add_u64 v[0:1], v[112:113], 2, v[114:115]
	flat_load_dword v0, v[0:1]
	s_waitcnt vmcnt(0) lgkmcnt(0)
	v_mul_f32_e32 v123, s13, v0
.LBB46_14:
	ds_read_b128 v[12:15], v128 offset:6016
	ds_read_b128 v[0:3], v129 offset:3584
	;; [unrolled: 1-line block ×6, first 2 shown]
	s_load_dword s11, s[0:1], 0x68
	s_load_dwordx2 s[14:15], s[0:1], 0x70
	ds_read_b128 v[28:31], v128 offset:5504
	ds_read_b128 v[24:27], v128 offset:5632
	;; [unrolled: 1-line block ×4, first 2 shown]
	v_max_f32_e32 v118, v40, v40
	v_max_f32_e32 v44, v44, v44
	;; [unrolled: 1-line block ×4, first 2 shown]
	v_min_f32_e32 v40, v44, v118
	v_min_f32_e32 v41, v117, v120
	v_max_f32_e32 v119, v42, v42
	v_max_f32_e32 v45, v46, v46
	;; [unrolled: 1-line block ×4, first 2 shown]
	s_waitcnt lgkmcnt(0)
	s_lshl_b64 s[0:1], s[14:15], 2
	v_pk_add_f32 v[40:41], v[40:41], v[96:97]
	v_min_f32_e32 v42, v45, v119
	v_min_f32_e32 v43, v46, v121
	s_add_u32 s2, s2, s0
	v_pk_add_f32 v[96:97], v[42:43], v[40:41]
	s_addc_u32 s3, s3, s1
	v_mad_i64_i32 v[42:43], s[0:1], v116, s11, 0
	v_add_f32_e32 v47, v96, v97
	v_add_u32_e32 v40, 8, v112
	v_lshl_add_u64 v[42:43], v[42:43], 2, s[2:3]
	v_add_f32_e32 v47, v47, v123
	v_cndmask_b32_e64 v123, 0, 1, s[8:9]
	v_ashrrev_i32_e32 v41, 31, v40
	v_lshl_add_u64 v[96:97], v[112:113], 2, v[42:43]
	v_cmp_ne_u32_e64 s[0:1], 1, v123
	s_andn2_b64 vcc, exec, s[8:9]
	global_store_dword v[96:97], v47, off
	s_cbranch_vccnz .LBB46_16
; %bb.15:
	v_lshl_add_u64 v[96:97], v[40:41], 2, v[114:115]
	flat_load_dword v47, v[96:97]
	s_waitcnt vmcnt(0) lgkmcnt(0)
	v_mul_f32_e32 v122, s13, v47
.LBB46_16:
	v_max_f32_e32 v47, v36, v36
	v_max_f32_e32 v96, v37, v37
	v_min_f32_e32 v36, v47, v118
	v_min_f32_e32 v37, v96, v120
	v_max_f32_e32 v38, v38, v38
	v_max_f32_e32 v39, v39, v39
	v_pk_add_f32 v[36:37], v[36:37], v[92:93]
	v_min_f32_e32 v92, v38, v119
	v_min_f32_e32 v93, v39, v121
	v_pk_add_f32 v[36:37], v[92:93], v[36:37]
	s_and_b64 vcc, exec, s[0:1]
	v_add_f32_e32 v92, v36, v37
	v_add_u32_e32 v36, 16, v112
	v_add_f32_e32 v97, v92, v122
	v_lshl_add_u64 v[92:93], v[40:41], 2, v[42:43]
	v_ashrrev_i32_e32 v37, 31, v36
	global_store_dword v[92:93], v97, off
	v_mov_b32_e32 v97, 0
	v_mov_b32_e32 v122, 0
	s_cbranch_vccnz .LBB46_18
; %bb.17:
	v_lshl_add_u64 v[92:93], v[36:37], 2, v[114:115]
	flat_load_dword v92, v[92:93]
	s_waitcnt vmcnt(0) lgkmcnt(0)
	v_mul_f32_e32 v122, s13, v92
.LBB46_18:
	v_max_f32_e32 v92, v32, v32
	v_max_f32_e32 v93, v33, v33
	v_min_f32_e32 v32, v92, v118
	v_min_f32_e32 v33, v93, v120
	v_max_f32_e32 v34, v34, v34
	v_max_f32_e32 v35, v35, v35
	v_pk_add_f32 v[32:33], v[32:33], v[90:91]
	v_min_f32_e32 v90, v34, v119
	v_min_f32_e32 v91, v35, v121
	v_pk_add_f32 v[32:33], v[90:91], v[32:33]
	s_and_b64 vcc, exec, s[0:1]
	v_add_f32_e32 v90, v32, v33
	v_add_u32_e32 v32, 24, v112
	v_ashrrev_i32_e32 v33, 31, v32
	v_add_f32_e32 v122, v90, v122
	v_lshl_add_u64 v[90:91], v[36:37], 2, v[42:43]
	global_store_dword v[90:91], v122, off
	s_cbranch_vccnz .LBB46_20
; %bb.19:
	v_lshl_add_u64 v[90:91], v[32:33], 2, v[114:115]
	flat_load_dword v90, v[90:91]
	s_waitcnt vmcnt(0) lgkmcnt(0)
	v_mul_f32_e32 v97, s13, v90
.LBB46_20:
	v_max_f32_e32 v90, v28, v28
	v_max_f32_e32 v91, v29, v29
	v_min_f32_e32 v28, v90, v118
	v_min_f32_e32 v29, v91, v120
	v_max_f32_e32 v30, v30, v30
	v_max_f32_e32 v31, v31, v31
	v_pk_add_f32 v[28:29], v[28:29], v[94:95]
	v_min_f32_e32 v94, v30, v119
	v_min_f32_e32 v95, v31, v121
	v_pk_add_f32 v[28:29], v[94:95], v[28:29]
	s_and_b64 vcc, exec, s[0:1]
	v_add_f32_e32 v94, v28, v29
	v_add_u32_e32 v28, 32, v112
	v_add_f32_e32 v97, v94, v97
	v_lshl_add_u64 v[94:95], v[32:33], 2, v[42:43]
	v_ashrrev_i32_e32 v29, 31, v28
	global_store_dword v[94:95], v97, off
	v_mov_b32_e32 v122, 0
	v_mov_b32_e32 v97, 0
	s_cbranch_vccnz .LBB46_22
; %bb.21:
	v_lshl_add_u64 v[94:95], v[28:29], 2, v[114:115]
	flat_load_dword v94, v[94:95]
	s_waitcnt vmcnt(0) lgkmcnt(0)
	v_mul_f32_e32 v97, s13, v94
.LBB46_22:
	v_max_f32_e32 v94, v24, v24
	v_max_f32_e32 v95, v25, v25
	v_min_f32_e32 v24, v94, v118
	v_min_f32_e32 v25, v95, v120
	v_max_f32_e32 v26, v26, v26
	v_max_f32_e32 v27, v27, v27
	v_pk_add_f32 v[24:25], v[24:25], v[98:99]
	v_min_f32_e32 v98, v26, v119
	v_min_f32_e32 v99, v27, v121
	v_pk_add_f32 v[24:25], v[98:99], v[24:25]
	s_and_b64 vcc, exec, s[0:1]
	v_add_f32_e32 v98, v24, v25
	v_add_u32_e32 v24, 40, v112
	v_ashrrev_i32_e32 v25, 31, v24
	v_add_f32_e32 v97, v98, v97
	v_lshl_add_u64 v[98:99], v[28:29], 2, v[42:43]
	global_store_dword v[98:99], v97, off
	s_cbranch_vccnz .LBB46_24
; %bb.23:
	v_lshl_add_u64 v[98:99], v[24:25], 2, v[114:115]
	flat_load_dword v97, v[98:99]
	s_waitcnt vmcnt(0) lgkmcnt(0)
	v_mul_f32_e32 v122, s13, v97
.LBB46_24:
	v_max_f32_e32 v97, v20, v20
	v_max_f32_e32 v98, v21, v21
	v_min_f32_e32 v20, v97, v118
	v_min_f32_e32 v21, v98, v120
	v_max_f32_e32 v22, v22, v22
	v_max_f32_e32 v23, v23, v23
	v_pk_add_f32 v[20:21], v[20:21], v[100:101]
	v_min_f32_e32 v100, v22, v119
	v_min_f32_e32 v101, v23, v121
	v_pk_add_f32 v[20:21], v[100:101], v[20:21]
	v_lshl_add_u64 v[100:101], v[24:25], 2, v[42:43]
	v_add_f32_e32 v99, v20, v21
	v_add_u32_e32 v20, 48, v112
	v_ashrrev_i32_e32 v21, 31, v20
	v_add_f32_e32 v99, v99, v122
	s_and_b64 vcc, exec, s[0:1]
	v_mov_b32_e32 v122, 0
	v_mov_b32_e32 v123, 0
	global_store_dword v[100:101], v99, off
	s_cbranch_vccnz .LBB46_26
; %bb.25:
	v_lshl_add_u64 v[100:101], v[20:21], 2, v[114:115]
	flat_load_dword v99, v[100:101]
	s_waitcnt vmcnt(0) lgkmcnt(0)
	v_mul_f32_e32 v123, s13, v99
.LBB46_26:
	v_max_f32_e32 v99, v16, v16
	v_max_f32_e32 v101, v17, v17
	v_min_f32_e32 v16, v99, v118
	v_min_f32_e32 v17, v101, v120
	v_pk_add_f32 v[16:17], v[16:17], v[110:111]
	v_max_f32_e32 v100, v18, v18
	v_max_f32_e32 v110, v19, v19
	v_min_f32_e32 v18, v100, v119
	v_min_f32_e32 v19, v110, v121
	v_pk_add_f32 v[16:17], v[18:19], v[16:17]
	s_and_b64 vcc, exec, s[0:1]
	v_add_f32_e32 v18, v16, v17
	v_add_u32_e32 v16, 56, v112
	v_ashrrev_i32_e32 v17, 31, v16
	v_add_f32_e32 v111, v18, v123
	v_lshl_add_u64 v[18:19], v[20:21], 2, v[42:43]
	global_store_dword v[18:19], v111, off
	s_cbranch_vccnz .LBB46_28
; %bb.27:
	v_lshl_add_u64 v[18:19], v[16:17], 2, v[114:115]
	flat_load_dword v18, v[18:19]
	s_waitcnt vmcnt(0) lgkmcnt(0)
	v_mul_f32_e32 v122, s13, v18
.LBB46_28:
	v_max_f32_e32 v18, v13, v13
	v_max_f32_e32 v19, v12, v12
	v_min_f32_e32 v13, v18, v120
	v_min_f32_e32 v12, v19, v118
	v_max_f32_e32 v15, v15, v15
	v_max_f32_e32 v14, v14, v14
	v_pk_add_f32 v[12:13], v[12:13], v[84:85]
	v_min_f32_e32 v85, v15, v121
	v_min_f32_e32 v84, v14, v119
	v_pk_add_f32 v[12:13], v[84:85], v[12:13]
	v_add_u32_e32 v85, 32, v116
	v_add_f32_e32 v12, v12, v13
	v_add_f32_e32 v84, v12, v122
	v_lshl_add_u64 v[12:13], v[16:17], 2, v[42:43]
	global_store_dword v[12:13], v84, off
	v_mad_i64_i32 v[12:13], s[8:9], v85, s10, 0
	v_lshl_add_u64 v[12:13], v[12:13], 2, s[6:7]
	s_and_b64 vcc, exec, s[0:1]
	v_mov_b32_e32 v84, 0
	v_mov_b32_e32 v111, 0
	s_cbranch_vccnz .LBB46_30
; %bb.29:
	v_lshl_add_u64 v[42:43], v[112:113], 2, v[12:13]
	flat_load_dword v42, v[42:43]
	s_waitcnt vmcnt(0) lgkmcnt(0)
	v_mul_f32_e32 v111, s13, v42
.LBB46_30:
	v_max_f32_e32 v42, v8, v8
	v_max_f32_e32 v43, v9, v9
	v_min_f32_e32 v8, v44, v42
	v_min_f32_e32 v9, v117, v43
	v_max_f32_e32 v10, v10, v10
	v_max_f32_e32 v11, v11, v11
	v_pk_add_f32 v[8:9], v[8:9], v[80:81]
	v_min_f32_e32 v80, v45, v10
	v_min_f32_e32 v81, v46, v11
	v_pk_add_f32 v[80:81], v[80:81], v[8:9]
	v_mad_i64_i32 v[8:9], s[8:9], v85, s11, 0
	v_lshl_add_u64 v[8:9], v[8:9], 2, s[2:3]
	v_add_f32_e32 v80, v80, v81
	v_add_f32_e32 v85, v80, v111
	v_lshl_add_u64 v[80:81], v[112:113], 2, v[8:9]
	s_and_b64 vcc, exec, s[0:1]
	global_store_dword v[80:81], v85, off
	s_cbranch_vccnz .LBB46_32
; %bb.31:
	v_lshl_add_u64 v[80:81], v[40:41], 2, v[12:13]
	flat_load_dword v80, v[80:81]
	s_waitcnt vmcnt(0) lgkmcnt(0)
	v_mul_f32_e32 v84, s13, v80
.LBB46_32:
	v_min_f32_e32 v80, v47, v42
	v_min_f32_e32 v81, v96, v43
	v_pk_add_f32 v[78:79], v[80:81], v[78:79]
	v_min_f32_e32 v80, v38, v10
	v_min_f32_e32 v81, v39, v11
	v_pk_add_f32 v[78:79], v[80:81], v[78:79]
	s_and_b64 vcc, exec, s[0:1]
	v_add_f32_e32 v78, v78, v79
	v_add_f32_e32 v80, v78, v84
	v_lshl_add_u64 v[78:79], v[40:41], 2, v[8:9]
	global_store_dword v[78:79], v80, off
	v_mov_b32_e32 v78, 0
	v_mov_b32_e32 v79, 0
	s_cbranch_vccnz .LBB46_34
; %bb.33:
	v_lshl_add_u64 v[80:81], v[36:37], 2, v[12:13]
	flat_load_dword v79, v[80:81]
	s_waitcnt vmcnt(0) lgkmcnt(0)
	v_mul_f32_e32 v79, s13, v79
.LBB46_34:
	v_min_f32_e32 v80, v92, v42
	v_min_f32_e32 v81, v93, v43
	v_pk_add_f32 v[76:77], v[80:81], v[76:77]
	v_min_f32_e32 v80, v34, v10
	v_min_f32_e32 v81, v35, v11
	v_pk_add_f32 v[76:77], v[80:81], v[76:77]
	s_and_b64 vcc, exec, s[0:1]
	v_add_f32_e32 v76, v76, v77
	v_add_f32_e32 v79, v76, v79
	v_lshl_add_u64 v[76:77], v[36:37], 2, v[8:9]
	global_store_dword v[76:77], v79, off
	s_cbranch_vccnz .LBB46_36
; %bb.35:
	v_lshl_add_u64 v[76:77], v[32:33], 2, v[12:13]
	flat_load_dword v76, v[76:77]
	s_waitcnt vmcnt(0) lgkmcnt(0)
	v_mul_f32_e32 v78, s13, v76
.LBB46_36:
	v_min_f32_e32 v76, v90, v42
	v_min_f32_e32 v77, v91, v43
	v_pk_add_f32 v[76:77], v[76:77], v[82:83]
	v_min_f32_e32 v80, v30, v10
	v_min_f32_e32 v81, v31, v11
	v_pk_add_f32 v[76:77], v[80:81], v[76:77]
	s_and_b64 vcc, exec, s[0:1]
	v_add_f32_e32 v76, v76, v77
	v_add_f32_e32 v78, v76, v78
	v_lshl_add_u64 v[76:77], v[32:33], 2, v[8:9]
	global_store_dword v[76:77], v78, off
	v_mov_b32_e32 v76, 0
	v_mov_b32_e32 v77, 0
	s_cbranch_vccnz .LBB46_38
; %bb.37:
	v_lshl_add_u64 v[78:79], v[28:29], 2, v[12:13]
	flat_load_dword v77, v[78:79]
	s_waitcnt vmcnt(0) lgkmcnt(0)
	v_mul_f32_e32 v77, s13, v77
.LBB46_38:
	v_min_f32_e32 v78, v94, v42
	v_min_f32_e32 v79, v95, v43
	v_pk_add_f32 v[78:79], v[78:79], v[86:87]
	v_min_f32_e32 v80, v26, v10
	v_min_f32_e32 v81, v27, v11
	v_pk_add_f32 v[78:79], v[80:81], v[78:79]
	s_and_b64 vcc, exec, s[0:1]
	v_add_f32_e32 v78, v78, v79
	v_add_f32_e32 v77, v78, v77
	v_lshl_add_u64 v[78:79], v[28:29], 2, v[8:9]
	;; [unrolled: 38-line block ×3, first 2 shown]
	global_store_dword v[78:79], v77, off
	s_cbranch_vccnz .LBB46_44
; %bb.43:
	v_lshl_add_u64 v[12:13], v[16:17], 2, v[12:13]
	flat_load_dword v12, v[12:13]
	s_waitcnt vmcnt(0) lgkmcnt(0)
	v_mul_f32_e32 v76, s13, v12
.LBB46_44:
	v_min_f32_e32 v13, v18, v43
	v_min_f32_e32 v12, v19, v42
	v_pk_add_f32 v[12:13], v[12:13], v[70:71]
	v_min_f32_e32 v11, v15, v11
	v_min_f32_e32 v10, v14, v10
	v_pk_add_f32 v[10:11], v[10:11], v[12:13]
	v_lshl_add_u64 v[8:9], v[16:17], 2, v[8:9]
	v_add_f32_e32 v10, v10, v11
	v_add_f32_e32 v10, v10, v76
	v_add_u32_e32 v13, 64, v116
	global_store_dword v[8:9], v10, off
	v_mad_i64_i32 v[8:9], s[8:9], v13, s10, 0
	v_lshl_add_u64 v[8:9], v[8:9], 2, s[6:7]
	s_and_b64 vcc, exec, s[0:1]
	v_mov_b32_e32 v12, 0
	v_mov_b32_e32 v42, 0
	s_cbranch_vccnz .LBB46_46
; %bb.45:
	v_lshl_add_u64 v[10:11], v[112:113], 2, v[8:9]
	flat_load_dword v10, v[10:11]
	s_waitcnt vmcnt(0) lgkmcnt(0)
	v_mul_f32_e32 v42, s13, v10
.LBB46_46:
	v_max_f32_e32 v10, v4, v4
	v_max_f32_e32 v11, v5, v5
	v_min_f32_e32 v4, v44, v10
	v_min_f32_e32 v5, v117, v11
	v_max_f32_e32 v6, v6, v6
	v_max_f32_e32 v7, v7, v7
	v_pk_add_f32 v[4:5], v[4:5], v[66:67]
	v_min_f32_e32 v66, v45, v6
	v_min_f32_e32 v67, v46, v7
	v_pk_add_f32 v[66:67], v[66:67], v[4:5]
	v_mad_i64_i32 v[4:5], s[8:9], v13, s11, 0
	v_lshl_add_u64 v[4:5], v[4:5], 2, s[2:3]
	v_add_f32_e32 v13, v66, v67
	v_add_f32_e32 v13, v13, v42
	v_lshl_add_u64 v[42:43], v[112:113], 2, v[4:5]
	s_and_b64 vcc, exec, s[0:1]
	global_store_dword v[42:43], v13, off
	s_cbranch_vccnz .LBB46_48
; %bb.47:
	v_lshl_add_u64 v[12:13], v[40:41], 2, v[8:9]
	flat_load_dword v12, v[12:13]
	s_waitcnt vmcnt(0) lgkmcnt(0)
	v_mul_f32_e32 v12, s13, v12
.LBB46_48:
	v_min_f32_e32 v42, v47, v10
	v_min_f32_e32 v43, v96, v11
	v_pk_add_f32 v[42:43], v[42:43], v[64:65]
	v_min_f32_e32 v64, v38, v6
	v_min_f32_e32 v65, v39, v7
	v_pk_add_f32 v[42:43], v[64:65], v[42:43]
	s_and_b64 vcc, exec, s[0:1]
	v_add_f32_e32 v13, v42, v43
	v_add_f32_e32 v42, v13, v12
	v_lshl_add_u64 v[12:13], v[40:41], 2, v[4:5]
	global_store_dword v[12:13], v42, off
	v_mov_b32_e32 v12, 0
	v_mov_b32_e32 v13, 0
	s_cbranch_vccnz .LBB46_50
; %bb.49:
	v_lshl_add_u64 v[42:43], v[36:37], 2, v[8:9]
	flat_load_dword v13, v[42:43]
	s_waitcnt vmcnt(0) lgkmcnt(0)
	v_mul_f32_e32 v13, s13, v13
.LBB46_50:
	v_min_f32_e32 v42, v92, v10
	v_min_f32_e32 v43, v93, v11
	v_pk_add_f32 v[42:43], v[42:43], v[62:63]
	v_min_f32_e32 v62, v34, v6
	v_min_f32_e32 v63, v35, v7
	v_pk_add_f32 v[42:43], v[62:63], v[42:43]
	s_and_b64 vcc, exec, s[0:1]
	v_add_f32_e32 v42, v42, v43
	v_add_f32_e32 v13, v42, v13
	v_lshl_add_u64 v[42:43], v[36:37], 2, v[4:5]
	global_store_dword v[42:43], v13, off
	s_cbranch_vccnz .LBB46_52
; %bb.51:
	v_lshl_add_u64 v[12:13], v[32:33], 2, v[8:9]
	flat_load_dword v12, v[12:13]
	s_waitcnt vmcnt(0) lgkmcnt(0)
	v_mul_f32_e32 v12, s13, v12
.LBB46_52:
	v_min_f32_e32 v42, v90, v10
	v_min_f32_e32 v43, v91, v11
	v_pk_add_f32 v[42:43], v[42:43], v[68:69]
	v_min_f32_e32 v62, v30, v6
	v_min_f32_e32 v63, v31, v7
	v_pk_add_f32 v[42:43], v[62:63], v[42:43]
	s_and_b64 vcc, exec, s[0:1]
	v_add_f32_e32 v13, v42, v43
	v_add_f32_e32 v42, v13, v12
	v_lshl_add_u64 v[12:13], v[32:33], 2, v[4:5]
	global_store_dword v[12:13], v42, off
	v_mov_b32_e32 v12, 0
	v_mov_b32_e32 v13, 0
	s_cbranch_vccnz .LBB46_54
; %bb.53:
	v_lshl_add_u64 v[42:43], v[28:29], 2, v[8:9]
	flat_load_dword v13, v[42:43]
	s_waitcnt vmcnt(0) lgkmcnt(0)
	v_mul_f32_e32 v13, s13, v13
.LBB46_54:
	v_min_f32_e32 v42, v94, v10
	v_min_f32_e32 v43, v95, v11
	v_pk_add_f32 v[42:43], v[42:43], v[72:73]
	v_min_f32_e32 v62, v26, v6
	v_min_f32_e32 v63, v27, v7
	v_pk_add_f32 v[42:43], v[62:63], v[42:43]
	s_and_b64 vcc, exec, s[0:1]
	v_add_f32_e32 v42, v42, v43
	v_add_f32_e32 v13, v42, v13
	v_lshl_add_u64 v[42:43], v[28:29], 2, v[4:5]
	;; [unrolled: 38-line block ×3, first 2 shown]
	global_store_dword v[42:43], v13, off
	s_cbranch_vccnz .LBB46_60
; %bb.59:
	v_lshl_add_u64 v[8:9], v[16:17], 2, v[8:9]
	flat_load_dword v8, v[8:9]
	s_waitcnt vmcnt(0) lgkmcnt(0)
	v_mul_f32_e32 v12, s13, v8
.LBB46_60:
	v_min_f32_e32 v9, v18, v11
	v_min_f32_e32 v8, v19, v10
	v_pk_add_f32 v[8:9], v[8:9], v[54:55]
	v_min_f32_e32 v7, v15, v7
	v_min_f32_e32 v6, v14, v6
	v_pk_add_f32 v[6:7], v[6:7], v[8:9]
	v_lshl_add_u64 v[4:5], v[16:17], 2, v[4:5]
	v_add_f32_e32 v6, v6, v7
	v_add_f32_e32 v6, v6, v12
	v_add_u32_e32 v9, 0x60, v116
	global_store_dword v[4:5], v6, off
	v_mad_i64_i32 v[4:5], s[8:9], v9, s10, 0
	v_lshl_add_u64 v[4:5], v[4:5], 2, s[6:7]
	s_and_b64 vcc, exec, s[0:1]
	v_mov_b32_e32 v8, 0
	v_mov_b32_e32 v10, 0
	s_cbranch_vccnz .LBB46_62
; %bb.61:
	v_lshl_add_u64 v[6:7], v[112:113], 2, v[4:5]
	flat_load_dword v6, v[6:7]
	s_waitcnt vmcnt(0) lgkmcnt(0)
	v_mul_f32_e32 v10, s13, v6
.LBB46_62:
	v_max_f32_e32 v6, v1, v1
	v_max_f32_e32 v7, v0, v0
	v_min_f32_e32 v1, v117, v6
	v_min_f32_e32 v0, v44, v7
	v_max_f32_e32 v3, v3, v3
	v_max_f32_e32 v2, v2, v2
	v_pk_add_f32 v[0:1], v[0:1], v[56:57]
	v_min_f32_e32 v13, v46, v3
	v_min_f32_e32 v12, v45, v2
	v_pk_add_f32 v[12:13], v[12:13], v[0:1]
	v_mad_i64_i32 v[0:1], s[6:7], v9, s11, 0
	v_lshl_add_u64 v[0:1], v[0:1], 2, s[2:3]
	v_add_f32_e32 v9, v12, v13
	v_add_f32_e32 v9, v9, v10
	v_lshl_add_u64 v[10:11], v[112:113], 2, v[0:1]
	s_and_b64 vcc, exec, s[0:1]
	global_store_dword v[10:11], v9, off
	s_cbranch_vccnz .LBB46_64
; %bb.63:
	v_lshl_add_u64 v[8:9], v[40:41], 2, v[4:5]
	flat_load_dword v8, v[8:9]
	s_waitcnt vmcnt(0) lgkmcnt(0)
	v_mul_f32_e32 v8, s13, v8
.LBB46_64:
	v_min_f32_e32 v11, v96, v6
	v_min_f32_e32 v10, v47, v7
	v_pk_add_f32 v[10:11], v[10:11], v[50:51]
	v_min_f32_e32 v13, v39, v3
	v_min_f32_e32 v12, v38, v2
	v_pk_add_f32 v[10:11], v[12:13], v[10:11]
	s_and_b64 vcc, exec, s[0:1]
	v_add_f32_e32 v9, v10, v11
	v_add_f32_e32 v10, v9, v8
	v_lshl_add_u64 v[8:9], v[40:41], 2, v[0:1]
	global_store_dword v[8:9], v10, off
	v_mov_b32_e32 v8, 0
	v_mov_b32_e32 v9, 0
	s_cbranch_vccnz .LBB46_66
; %bb.65:
	v_lshl_add_u64 v[10:11], v[36:37], 2, v[4:5]
	flat_load_dword v9, v[10:11]
	s_waitcnt vmcnt(0) lgkmcnt(0)
	v_mul_f32_e32 v9, s13, v9
.LBB46_66:
	v_min_f32_e32 v11, v93, v6
	v_min_f32_e32 v10, v92, v7
	v_pk_add_f32 v[10:11], v[10:11], v[48:49]
	v_min_f32_e32 v13, v35, v3
	v_min_f32_e32 v12, v34, v2
	v_pk_add_f32 v[10:11], v[12:13], v[10:11]
	s_and_b64 vcc, exec, s[0:1]
	v_add_f32_e32 v10, v10, v11
	v_add_f32_e32 v9, v10, v9
	v_lshl_add_u64 v[10:11], v[36:37], 2, v[0:1]
	global_store_dword v[10:11], v9, off
	s_cbranch_vccnz .LBB46_68
; %bb.67:
	v_lshl_add_u64 v[8:9], v[32:33], 2, v[4:5]
	flat_load_dword v8, v[8:9]
	s_waitcnt vmcnt(0) lgkmcnt(0)
	v_mul_f32_e32 v8, s13, v8
.LBB46_68:
	v_min_f32_e32 v11, v91, v6
	v_min_f32_e32 v10, v90, v7
	v_pk_add_f32 v[10:11], v[10:11], v[52:53]
	v_min_f32_e32 v13, v31, v3
	v_min_f32_e32 v12, v30, v2
	v_pk_add_f32 v[10:11], v[12:13], v[10:11]
	s_and_b64 vcc, exec, s[0:1]
	v_add_f32_e32 v9, v10, v11
	v_add_f32_e32 v10, v9, v8
	v_lshl_add_u64 v[8:9], v[32:33], 2, v[0:1]
	global_store_dword v[8:9], v10, off
	v_mov_b32_e32 v8, 0
	v_mov_b32_e32 v9, 0
	s_cbranch_vccnz .LBB46_70
; %bb.69:
	v_lshl_add_u64 v[10:11], v[28:29], 2, v[4:5]
	flat_load_dword v9, v[10:11]
	s_waitcnt vmcnt(0) lgkmcnt(0)
	v_mul_f32_e32 v9, s13, v9
.LBB46_70:
	v_min_f32_e32 v11, v95, v6
	v_min_f32_e32 v10, v94, v7
	v_pk_add_f32 v[10:11], v[10:11], v[58:59]
	v_min_f32_e32 v13, v27, v3
	v_min_f32_e32 v12, v26, v2
	v_pk_add_f32 v[10:11], v[12:13], v[10:11]
	s_and_b64 vcc, exec, s[0:1]
	v_add_f32_e32 v10, v10, v11
	v_add_f32_e32 v9, v10, v9
	v_lshl_add_u64 v[10:11], v[28:29], 2, v[0:1]
	global_store_dword v[10:11], v9, off
	s_cbranch_vccnz .LBB46_72
; %bb.71:
	v_lshl_add_u64 v[8:9], v[24:25], 2, v[4:5]
	flat_load_dword v8, v[8:9]
	s_waitcnt vmcnt(0) lgkmcnt(0)
	v_mul_f32_e32 v8, s13, v8
.LBB46_72:
	v_min_f32_e32 v11, v98, v6
	v_min_f32_e32 v10, v97, v7
	v_pk_add_f32 v[10:11], v[10:11], v[60:61]
	v_min_f32_e32 v13, v23, v3
	v_min_f32_e32 v12, v22, v2
	v_pk_add_f32 v[10:11], v[12:13], v[10:11]
	v_min_f32_e32 v13, v110, v3
	v_add_f32_e32 v9, v10, v11
	v_min_f32_e32 v11, v101, v6
	v_min_f32_e32 v10, v99, v7
	v_pk_add_f32 v[10:11], v[10:11], v[104:105]
	v_min_f32_e32 v12, v100, v2
	v_pk_add_f32 v[10:11], v[12:13], v[10:11]
	v_add_f32_e32 v12, v9, v8
	v_lshl_add_u64 v[8:9], v[24:25], 2, v[0:1]
	global_store_dword v[8:9], v12, off
	v_add_f32_e32 v8, v10, v11
	s_mov_b64 vcc, s[4:5]
	s_cbranch_vccz .LBB46_75
; %bb.73:
	v_add_f32_e32 v9, 0, v8
	v_lshl_add_u64 v[10:11], v[20:21], 2, v[0:1]
	s_mov_b32 s2, 0
	global_store_dword v[10:11], v9, off
	s_cbranch_execz .LBB46_76
; %bb.74:
	v_mov_b32_e32 v4, s2
	s_branch .LBB46_77
.LBB46_75:
                                        ; implicit-def: $sgpr2
.LBB46_76:
	v_lshlrev_b64 v[10:11], 2, v[20:21]
	v_lshl_add_u64 v[12:13], v[4:5], 0, v[10:11]
	flat_load_dword v9, v[12:13]
	v_lshl_add_u64 v[10:11], v[0:1], 0, v[10:11]
	v_lshl_add_u64 v[4:5], v[16:17], 2, v[4:5]
	s_waitcnt vmcnt(0) lgkmcnt(0)
	v_fmac_f32_e32 v8, s13, v9
	global_store_dword v[10:11], v8, off
	flat_load_dword v4, v[4:5]
	s_waitcnt vmcnt(0) lgkmcnt(0)
	v_mul_f32_e32 v4, s13, v4
.LBB46_77:
	v_min_f32_e32 v9, v18, v6
	v_min_f32_e32 v8, v19, v7
	;; [unrolled: 1-line block ×4, first 2 shown]
	v_pk_add_f32 v[6:7], v[8:9], v[102:103]
	v_lshl_add_u64 v[0:1], v[16:17], 2, v[0:1]
	v_pk_add_f32 v[2:3], v[2:3], v[6:7]
	s_nop 0
	v_add_f32_e32 v2, v2, v3
	v_add_f32_e32 v2, v2, v4
	global_store_dword v[0:1], v2, off
	s_endpgm
	.section	.rodata,"a",@progbits
	.p2align	6, 0x0
	.amdhsa_kernel _ZN12_GLOBAL__N_120geam_min_plus_kernelIf15HIP_vector_typeIfLj2EES2_Li8ELi32ELi64ELi128ELi4ELi4ELi64ELi64ELi4ELc84ELc84ELb1ELb0ELb0EfKPKfKPfEEviiiT16_PT17_ilSA_ilS8_SA_ilPT18_ili26rocblas_geam_ex_operation_
		.amdhsa_group_segment_fixed_size 6144
		.amdhsa_private_segment_fixed_size 0
		.amdhsa_kernarg_size 128
		.amdhsa_user_sgpr_count 2
		.amdhsa_user_sgpr_dispatch_ptr 0
		.amdhsa_user_sgpr_queue_ptr 0
		.amdhsa_user_sgpr_kernarg_segment_ptr 1
		.amdhsa_user_sgpr_dispatch_id 0
		.amdhsa_user_sgpr_kernarg_preload_length 0
		.amdhsa_user_sgpr_kernarg_preload_offset 0
		.amdhsa_user_sgpr_private_segment_size 0
		.amdhsa_uses_dynamic_stack 0
		.amdhsa_enable_private_segment 0
		.amdhsa_system_sgpr_workgroup_id_x 1
		.amdhsa_system_sgpr_workgroup_id_y 0
		.amdhsa_system_sgpr_workgroup_id_z 1
		.amdhsa_system_sgpr_workgroup_info 0
		.amdhsa_system_vgpr_workitem_id 1
		.amdhsa_next_free_vgpr 150
		.amdhsa_next_free_sgpr 22
		.amdhsa_accum_offset 152
		.amdhsa_reserve_vcc 1
		.amdhsa_float_round_mode_32 0
		.amdhsa_float_round_mode_16_64 0
		.amdhsa_float_denorm_mode_32 3
		.amdhsa_float_denorm_mode_16_64 3
		.amdhsa_dx10_clamp 1
		.amdhsa_ieee_mode 1
		.amdhsa_fp16_overflow 0
		.amdhsa_tg_split 0
		.amdhsa_exception_fp_ieee_invalid_op 0
		.amdhsa_exception_fp_denorm_src 0
		.amdhsa_exception_fp_ieee_div_zero 0
		.amdhsa_exception_fp_ieee_overflow 0
		.amdhsa_exception_fp_ieee_underflow 0
		.amdhsa_exception_fp_ieee_inexact 0
		.amdhsa_exception_int_div_zero 0
	.end_amdhsa_kernel
	.section	.text._ZN12_GLOBAL__N_120geam_min_plus_kernelIf15HIP_vector_typeIfLj2EES2_Li8ELi32ELi64ELi128ELi4ELi4ELi64ELi64ELi4ELc84ELc84ELb1ELb0ELb0EfKPKfKPfEEviiiT16_PT17_ilSA_ilS8_SA_ilPT18_ili26rocblas_geam_ex_operation_,"axG",@progbits,_ZN12_GLOBAL__N_120geam_min_plus_kernelIf15HIP_vector_typeIfLj2EES2_Li8ELi32ELi64ELi128ELi4ELi4ELi64ELi64ELi4ELc84ELc84ELb1ELb0ELb0EfKPKfKPfEEviiiT16_PT17_ilSA_ilS8_SA_ilPT18_ili26rocblas_geam_ex_operation_,comdat
.Lfunc_end46:
	.size	_ZN12_GLOBAL__N_120geam_min_plus_kernelIf15HIP_vector_typeIfLj2EES2_Li8ELi32ELi64ELi128ELi4ELi4ELi64ELi64ELi4ELc84ELc84ELb1ELb0ELb0EfKPKfKPfEEviiiT16_PT17_ilSA_ilS8_SA_ilPT18_ili26rocblas_geam_ex_operation_, .Lfunc_end46-_ZN12_GLOBAL__N_120geam_min_plus_kernelIf15HIP_vector_typeIfLj2EES2_Li8ELi32ELi64ELi128ELi4ELi4ELi64ELi64ELi4ELc84ELc84ELb1ELb0ELb0EfKPKfKPfEEviiiT16_PT17_ilSA_ilS8_SA_ilPT18_ili26rocblas_geam_ex_operation_
                                        ; -- End function
	.section	.AMDGPU.csdata,"",@progbits
; Kernel info:
; codeLenInByte = 8592
; NumSgprs: 28
; NumVgprs: 150
; NumAgprs: 0
; TotalNumVgprs: 150
; ScratchSize: 0
; MemoryBound: 0
; FloatMode: 240
; IeeeMode: 1
; LDSByteSize: 6144 bytes/workgroup (compile time only)
; SGPRBlocks: 3
; VGPRBlocks: 18
; NumSGPRsForWavesPerEU: 28
; NumVGPRsForWavesPerEU: 150
; AccumOffset: 152
; Occupancy: 3
; WaveLimiterHint : 1
; COMPUTE_PGM_RSRC2:SCRATCH_EN: 0
; COMPUTE_PGM_RSRC2:USER_SGPR: 2
; COMPUTE_PGM_RSRC2:TRAP_HANDLER: 0
; COMPUTE_PGM_RSRC2:TGID_X_EN: 1
; COMPUTE_PGM_RSRC2:TGID_Y_EN: 0
; COMPUTE_PGM_RSRC2:TGID_Z_EN: 1
; COMPUTE_PGM_RSRC2:TIDIG_COMP_CNT: 1
; COMPUTE_PGM_RSRC3_GFX90A:ACCUM_OFFSET: 37
; COMPUTE_PGM_RSRC3_GFX90A:TG_SPLIT: 0
	.section	.text._ZN12_GLOBAL__N_120geam_min_plus_kernelIf15HIP_vector_typeIfLj2EES2_Li8ELi32ELi64ELi128ELi4ELi4ELi64ELi64ELi4ELc84ELc84ELb0ELb0ELb0EfKPKfKPfEEviiiT16_PT17_ilSA_ilS8_SA_ilPT18_ili26rocblas_geam_ex_operation_,"axG",@progbits,_ZN12_GLOBAL__N_120geam_min_plus_kernelIf15HIP_vector_typeIfLj2EES2_Li8ELi32ELi64ELi128ELi4ELi4ELi64ELi64ELi4ELc84ELc84ELb0ELb0ELb0EfKPKfKPfEEviiiT16_PT17_ilSA_ilS8_SA_ilPT18_ili26rocblas_geam_ex_operation_,comdat
	.globl	_ZN12_GLOBAL__N_120geam_min_plus_kernelIf15HIP_vector_typeIfLj2EES2_Li8ELi32ELi64ELi128ELi4ELi4ELi64ELi64ELi4ELc84ELc84ELb0ELb0ELb0EfKPKfKPfEEviiiT16_PT17_ilSA_ilS8_SA_ilPT18_ili26rocblas_geam_ex_operation_ ; -- Begin function _ZN12_GLOBAL__N_120geam_min_plus_kernelIf15HIP_vector_typeIfLj2EES2_Li8ELi32ELi64ELi128ELi4ELi4ELi64ELi64ELi4ELc84ELc84ELb0ELb0ELb0EfKPKfKPfEEviiiT16_PT17_ilSA_ilS8_SA_ilPT18_ili26rocblas_geam_ex_operation_
	.p2align	8
	.type	_ZN12_GLOBAL__N_120geam_min_plus_kernelIf15HIP_vector_typeIfLj2EES2_Li8ELi32ELi64ELi128ELi4ELi4ELi64ELi64ELi4ELc84ELc84ELb0ELb0ELb0EfKPKfKPfEEviiiT16_PT17_ilSA_ilS8_SA_ilPT18_ili26rocblas_geam_ex_operation_,@function
_ZN12_GLOBAL__N_120geam_min_plus_kernelIf15HIP_vector_typeIfLj2EES2_Li8ELi32ELi64ELi128ELi4ELi4ELi64ELi64ELi4ELc84ELc84ELb0ELb0ELb0EfKPKfKPfEEviiiT16_PT17_ilSA_ilS8_SA_ilPT18_ili26rocblas_geam_ex_operation_: ; @_ZN12_GLOBAL__N_120geam_min_plus_kernelIf15HIP_vector_typeIfLj2EES2_Li8ELi32ELi64ELi128ELi4ELi4ELi64ELi64ELi4ELc84ELc84ELb0ELb0ELb0EfKPKfKPfEEviiiT16_PT17_ilSA_ilS8_SA_ilPT18_ili26rocblas_geam_ex_operation_
; %bb.0:
	s_load_dwordx2 s[12:13], s[0:1], 0x8
	s_load_dwordx4 s[4:7], s[0:1], 0x20
	s_mov_b32 s18, s3
	s_mov_b32 s19, 0
	s_waitcnt lgkmcnt(0)
	v_cmp_eq_f32_e64 s[8:9], s13, 0
	s_and_b64 vcc, exec, s[8:9]
	s_cbranch_vccnz .LBB47_3
; %bb.1:
	s_load_dwordx2 s[10:11], s[0:1], 0x10
	s_lshl_b64 s[14:15], s[18:19], 3
	s_waitcnt lgkmcnt(0)
	s_add_u32 s10, s10, s14
	s_addc_u32 s11, s11, s15
	s_load_dwordx2 s[10:11], s[10:11], 0x0
	s_lshl_b64 s[4:5], s[4:5], 2
	s_waitcnt lgkmcnt(0)
	s_add_u32 s14, s10, s4
	s_addc_u32 s15, s11, s5
	s_andn2_b64 vcc, exec, s[8:9]
	s_cbranch_vccnz .LBB47_4
.LBB47_2:
	s_mov_b64 s[16:17], 0
	s_cbranch_execz .LBB47_5
	s_branch .LBB47_6
.LBB47_3:
	s_mov_b64 s[14:15], 0
	s_andn2_b64 vcc, exec, s[8:9]
	s_cbranch_vccz .LBB47_2
.LBB47_4:
                                        ; implicit-def: $sgpr16_sgpr17
.LBB47_5:
	s_lshl_b64 s[8:9], s[18:19], 3
	s_add_u32 s6, s6, s8
	s_load_dwordx2 s[4:5], s[0:1], 0x38
	s_addc_u32 s7, s7, s9
	s_load_dwordx2 s[6:7], s[6:7], 0x0
	s_waitcnt lgkmcnt(0)
	s_lshl_b64 s[4:5], s[4:5], 2
	s_add_u32 s16, s6, s4
	s_addc_u32 s17, s7, s5
.LBB47_6:
	s_load_dword s22, s[0:1], 0x40
	s_load_dwordx4 s[8:11], s[0:1], 0x58
	v_cmp_neq_f32_e64 s[20:21], s13, 0
	s_waitcnt lgkmcnt(0)
	v_cmp_eq_f32_e64 s[4:5], s22, 0
	s_and_b64 s[6:7], exec, s[4:5]
	s_mov_b64 vcc, s[6:7]
	s_cbranch_vccnz .LBB47_8
; %bb.7:
	s_load_dwordx2 s[4:5], s[0:1], 0x48
	s_lshl_b64 s[24:25], s[18:19], 3
	s_waitcnt lgkmcnt(0)
	s_add_u32 s4, s4, s24
	s_addc_u32 s5, s5, s25
	s_load_dwordx2 s[4:5], s[4:5], 0x0
	s_lshl_b64 s[8:9], s[8:9], 2
	s_waitcnt lgkmcnt(0)
	s_add_u32 s8, s4, s8
	s_addc_u32 s9, s5, s9
	s_branch .LBB47_9
.LBB47_8:
	s_mov_b64 s[8:9], 0
.LBB47_9:
	s_load_dword s3, s[0:1], 0x0
	s_load_dword s24, s[0:1], 0x18
	s_lshl_b64 s[4:5], s[18:19], 3
	s_add_u32 s10, s10, s4
	s_addc_u32 s11, s11, s5
	s_waitcnt lgkmcnt(0)
	s_add_i32 s3, s3, -1
	s_ashr_i32 s4, s3, 31
	s_lshr_b32 s4, s4, 26
	s_add_i32 s3, s3, s4
	s_ashr_i32 s3, s3, 6
	s_add_i32 s4, s3, 1
	v_cvt_f32_u32_e32 v1, s4
	s_not_b32 s3, s3
	v_and_b32_e32 v202, 0x3ff, v0
	v_bfe_u32 v203, v0, 10, 10
	v_rcp_iflag_f32_e32 v1, v1
	v_lshl_add_u32 v2, v203, 3, v202
	v_cndmask_b32_e64 v0, 0, 1, s[20:21]
	v_and_b32_e32 v3, 3, v202
	v_mul_f32_e32 v1, 0x4f7ffffe, v1
	v_cvt_u32_f32_e32 v1, v1
	v_lshrrev_b32_e32 v9, 2, v2
	v_readfirstlane_b32 s5, v1
	s_mul_i32 s3, s3, s5
	s_mul_hi_u32 s3, s5, s3
	s_add_i32 s5, s5, s3
	s_mul_hi_u32 s3, s2, s5
	s_mul_i32 s5, s3, s4
	s_sub_i32 s5, s2, s5
	s_add_i32 s18, s3, 1
	s_sub_i32 s19, s5, s4
	s_cmp_ge_u32 s5, s4
	s_cselect_b32 s3, s18, s3
	s_cselect_b32 s5, s19, s5
	s_add_i32 s18, s3, 1
	s_cmp_ge_u32 s5, s4
	s_cselect_b32 s3, s18, s3
	s_mul_i32 s4, s3, s4
	s_sub_i32 s2, s2, s4
	s_lshl_b32 s23, s2, 6
	v_cmp_ne_u32_e64 s[4:5], 1, v0
	s_andn2_b64 vcc, exec, s[20:21]
	v_add_u32_e32 v6, s23, v9
	v_lshlrev_b32_e32 v0, 2, v3
	s_cbranch_vccnz .LBB47_11
; %bb.10:
	v_mad_i64_i32 v[4:5], s[18:19], v6, s24, 0
	v_lshl_add_u64 v[4:5], v[4:5], 2, s[14:15]
	v_mov_b32_e32 v1, 0
	v_lshl_add_u64 v[4:5], v[4:5], 0, v[0:1]
	flat_load_dword v1, v[4:5]
	s_waitcnt vmcnt(0) lgkmcnt(0)
	v_mul_f32_e32 v10, s13, v1
	s_branch .LBB47_12
.LBB47_11:
	v_mov_b32_e32 v10, 0
.LBB47_12:
	s_load_dword s18, s[0:1], 0x30
	v_and_b32_e32 v8, 63, v2
	s_lshl_b32 s20, s3, 7
	v_lshrrev_b32_e32 v7, 6, v2
	v_or_b32_e32 v2, s20, v8
	s_and_b64 vcc, exec, s[4:5]
	s_waitcnt lgkmcnt(0)
	s_ashr_i32 s19, s18, 31
	v_ashrrev_i32_e32 v3, 31, v2
	s_cbranch_vccnz .LBB47_16
; %bb.13:
	v_mad_i64_i32 v[4:5], s[2:3], s18, v7, 0
	v_lshl_add_u64 v[4:5], v[4:5], 2, s[16:17]
	v_lshl_add_u64 v[4:5], v[2:3], 2, v[4:5]
	flat_load_dword v12, v[4:5]
	flat_load_dword v13, v[4:5] offset:256
	s_mov_b32 s2, s13
	s_waitcnt vmcnt(0) lgkmcnt(0)
	v_pk_mul_f32 v[4:5], v[12:13], s[2:3] op_sel_hi:[1,0]
	s_and_b64 vcc, exec, s[4:5]
	s_cbranch_vccnz .LBB47_17
.LBB47_14:
	v_mad_i64_i32 v[12:13], s[2:3], v6, s24, 0
	v_lshl_add_u64 v[12:13], v[12:13], 2, s[14:15]
	v_mov_b32_e32 v1, 0
	v_lshl_add_u64 v[12:13], v[12:13], 0, v[0:1]
	flat_load_dword v1, v[12:13] offset:16
	s_waitcnt vmcnt(0) lgkmcnt(0)
	v_mul_f32_e32 v1, s13, v1
	s_and_b64 vcc, exec, s[4:5]
	s_cbranch_vccnz .LBB47_18
.LBB47_15:
	v_add_u32_e32 v11, 4, v7
	v_mad_i64_i32 v[12:13], s[2:3], s18, v11, 0
	v_lshl_add_u64 v[12:13], v[12:13], 2, s[16:17]
	v_lshl_add_u64 v[2:3], v[2:3], 2, v[12:13]
	flat_load_dword v12, v[2:3]
	flat_load_dword v13, v[2:3] offset:256
	s_mov_b32 s2, s13
	s_waitcnt vmcnt(0) lgkmcnt(0)
	v_pk_mul_f32 v[2:3], v[12:13], s[2:3] op_sel_hi:[1,0]
	s_branch .LBB47_19
.LBB47_16:
	v_mov_b32_e32 v4, 0
	v_mov_b32_e32 v5, 0
	s_and_b64 vcc, exec, s[4:5]
	s_cbranch_vccz .LBB47_14
.LBB47_17:
	v_mov_b32_e32 v1, 0
	s_and_b64 vcc, exec, s[4:5]
	s_cbranch_vccz .LBB47_15
.LBB47_18:
	v_mov_b32_e32 v2, 0
	v_mov_b32_e32 v3, 0
.LBB47_19:
	v_lshl_or_b32 v9, v9, 4, v0
	ds_write_b32 v9, v10 offset:4096
	v_lshlrev_b32_e32 v10, 2, v7
	v_lshl_add_u32 v206, v8, 4, v10
	v_lshlrev_b32_e32 v205, 4, v203
	s_load_dwordx2 s[2:3], s[10:11], 0x0
	ds_write2st64_b32 v206, v4, v5 offset1:4
	s_waitcnt lgkmcnt(0)
	s_barrier
	ds_read_b128 v[10:13], v205
	v_lshlrev_b32_e32 v204, 4, v202
	ds_read_b128 v[14:17], v204 offset:4992
	ds_read_b128 v[18:21], v205 offset:512
	;; [unrolled: 1-line block ×5, first 2 shown]
	s_waitcnt lgkmcnt(5)
	v_max_f32_e32 v52, v11, v11
	s_waitcnt lgkmcnt(4)
	v_max_f32_e32 v56, v15, v15
	v_max_f32_e32 v53, v10, v10
	;; [unrolled: 1-line block ×3, first 2 shown]
	ds_read_b128 v[34:37], v204 offset:4096
	ds_read_b128 v[38:41], v204 offset:4224
	v_max_f32_e32 v106, v13, v13
	v_max_f32_e32 v107, v12, v12
	;; [unrolled: 1-line block ×4, first 2 shown]
	ds_read_b128 v[10:13], v204 offset:4352
	ds_read_b128 v[14:17], v204 offset:4480
	s_waitcnt lgkmcnt(4)
	v_max_f32_e32 v58, v31, v31
	v_max_f32_e32 v59, v30, v30
	;; [unrolled: 1-line block ×4, first 2 shown]
	s_waitcnt lgkmcnt(2)
	v_max_f32_e32 v26, v38, v38
	v_max_f32_e32 v27, v39, v39
	s_waitcnt lgkmcnt(1)
	v_max_f32_e32 v30, v10, v10
	v_max_f32_e32 v31, v11, v11
	;; [unrolled: 3-line block ×3, first 2 shown]
	v_max_f32_e32 v73, v13, v13
	ds_read_b128 v[10:13], v204 offset:4608
	v_max_f32_e32 v39, v15, v15
	v_max_f32_e32 v76, v16, v16
	;; [unrolled: 1-line block ×3, first 2 shown]
	ds_read_b128 v[14:17], v204 offset:4736
	v_max_f32_e32 v54, v19, v19
	v_max_f32_e32 v55, v18, v18
	;; [unrolled: 1-line block ×4, first 2 shown]
	s_waitcnt lgkmcnt(0)
	v_max_f32_e32 v50, v14, v14
	v_max_f32_e32 v51, v15, v15
	;; [unrolled: 1-line block ×6, first 2 shown]
	v_min_f32_e32 v48, v50, v53
	v_min_f32_e32 v49, v51, v52
	;; [unrolled: 1-line block ×10, first 2 shown]
	v_max_f32_e32 v122, v21, v21
	v_max_f32_e32 v123, v20, v20
	;; [unrolled: 1-line block ×12, first 2 shown]
	v_min_f32_e32 v4, v18, v53
	v_min_f32_e32 v5, v19, v52
	;; [unrolled: 1-line block ×38, first 2 shown]
	v_pk_add_f32 v[50:51], v[50:51], 0 op_sel_hi:[1,0]
	v_min_f32_e32 v57, v120, v106
	v_min_f32_e32 v56, v121, v107
	v_pk_add_f32 v[88:89], v[56:57], v[50:51]
	v_pk_add_f32 v[50:51], v[52:53], 0 op_sel_hi:[1,0]
	v_min_f32_e32 v53, v120, v122
	v_min_f32_e32 v52, v121, v123
	v_max_f32_e32 v66, v36, v36
	v_max_f32_e32 v67, v37, v37
	v_pk_add_f32 v[74:75], v[52:53], v[50:51]
	v_pk_add_f32 v[50:51], v[54:55], 0 op_sel_hi:[1,0]
	v_min_f32_e32 v53, v120, v124
	v_min_f32_e32 v52, v121, v125
	v_max_f32_e32 v126, v29, v29
	v_max_f32_e32 v127, v28, v28
	v_min_f32_e32 v28, v30, v59
	v_min_f32_e32 v29, v31, v58
	;; [unrolled: 1-line block ×14, first 2 shown]
	v_pk_add_f32 v[60:61], v[52:53], v[50:51]
	v_pk_add_f32 v[4:5], v[4:5], 0 op_sel_hi:[1,0]
	v_min_f32_e32 v50, v66, v107
	v_min_f32_e32 v51, v67, v106
	v_pk_add_f32 v[118:119], v[50:51], v[4:5]
	v_pk_add_f32 v[4:5], v[10:11], 0 op_sel_hi:[1,0]
	v_min_f32_e32 v10, v66, v123
	v_min_f32_e32 v11, v67, v122
	;; [unrolled: 4-line block ×3, first 2 shown]
	v_min_f32_e32 v100, v70, v59
	v_min_f32_e32 v101, v71, v58
	v_pk_add_f32 v[70:71], v[10:11], v[4:5]
	v_min_f32_e32 v5, v67, v126
	v_min_f32_e32 v4, v66, v127
	v_pk_add_f32 v[10:11], v[14:15], 0 op_sel_hi:[1,0]
	s_cmp_lt_i32 s12, 9
	v_pk_add_f32 v[56:57], v[4:5], v[10:11]
	v_pk_add_f32 v[4:5], v[16:17], 0 op_sel_hi:[1,0]
	v_min_f32_e32 v10, v68, v107
	v_min_f32_e32 v11, v69, v106
	v_pk_add_f32 v[116:117], v[10:11], v[4:5]
	v_pk_add_f32 v[4:5], v[18:19], 0 op_sel_hi:[1,0]
	v_min_f32_e32 v10, v68, v123
	v_min_f32_e32 v11, v69, v122
	;; [unrolled: 4-line block ×3, first 2 shown]
	v_pk_add_f32 v[66:67], v[10:11], v[4:5]
	v_min_f32_e32 v5, v69, v126
	v_min_f32_e32 v4, v68, v127
	v_pk_add_f32 v[10:11], v[22:23], 0 op_sel_hi:[1,0]
	ds_write2st64_b32 v206, v2, v3 offset0:8 offset1:12
	ds_write_b32 v9, v1 offset:5120
	v_pk_add_f32 v[50:51], v[4:5], v[10:11]
	v_pk_add_f32 v[4:5], v[24:25], 0 op_sel_hi:[1,0]
	v_min_f32_e32 v10, v72, v107
	v_min_f32_e32 v11, v73, v106
	v_pk_add_f32 v[114:115], v[10:11], v[4:5]
	v_pk_add_f32 v[4:5], v[26:27], 0 op_sel_hi:[1,0]
	v_min_f32_e32 v10, v72, v123
	v_min_f32_e32 v11, v73, v122
	;; [unrolled: 4-line block ×3, first 2 shown]
	v_pk_add_f32 v[68:69], v[10:11], v[4:5]
	v_min_f32_e32 v5, v73, v126
	v_min_f32_e32 v4, v72, v127
	v_pk_add_f32 v[10:11], v[30:31], 0 op_sel_hi:[1,0]
	s_waitcnt lgkmcnt(0)
	v_pk_add_f32 v[52:53], v[4:5], v[10:11]
	v_pk_add_f32 v[4:5], v[32:33], 0 op_sel_hi:[1,0]
	v_min_f32_e32 v10, v76, v107
	v_min_f32_e32 v11, v77, v106
	v_pk_add_f32 v[112:113], v[10:11], v[4:5]
	v_pk_add_f32 v[4:5], v[34:35], 0 op_sel_hi:[1,0]
	v_min_f32_e32 v10, v76, v123
	v_min_f32_e32 v11, v77, v122
	;; [unrolled: 4-line block ×3, first 2 shown]
	v_pk_add_f32 v[72:73], v[10:11], v[4:5]
	v_min_f32_e32 v5, v77, v126
	v_min_f32_e32 v4, v76, v127
	v_pk_add_f32 v[10:11], v[38:39], 0 op_sel_hi:[1,0]
	s_barrier
	v_pk_add_f32 v[54:55], v[4:5], v[10:11]
	v_pk_add_f32 v[4:5], v[40:41], 0 op_sel_hi:[1,0]
	v_min_f32_e32 v10, v78, v107
	v_min_f32_e32 v11, v79, v106
	v_pk_add_f32 v[110:111], v[10:11], v[4:5]
	v_pk_add_f32 v[4:5], v[42:43], 0 op_sel_hi:[1,0]
	v_min_f32_e32 v10, v78, v123
	v_min_f32_e32 v11, v79, v122
	;; [unrolled: 4-line block ×3, first 2 shown]
	v_pk_add_f32 v[76:77], v[10:11], v[4:5]
	v_min_f32_e32 v5, v79, v126
	v_min_f32_e32 v4, v78, v127
	v_pk_add_f32 v[10:11], v[46:47], 0 op_sel_hi:[1,0]
	s_nop 0
	v_pk_add_f32 v[58:59], v[4:5], v[10:11]
	v_pk_add_f32 v[4:5], v[48:49], 0 op_sel_hi:[1,0]
	v_min_f32_e32 v10, v128, v107
	v_min_f32_e32 v11, v129, v106
	v_pk_add_f32 v[108:109], v[10:11], v[4:5]
	v_pk_add_f32 v[4:5], v[62:63], 0 op_sel_hi:[1,0]
	v_min_f32_e32 v10, v128, v123
	v_min_f32_e32 v11, v129, v122
	;; [unrolled: 4-line block ×3, first 2 shown]
	v_pk_add_f32 v[78:79], v[10:11], v[4:5]
	v_min_f32_e32 v5, v129, v126
	v_min_f32_e32 v4, v128, v127
	v_pk_add_f32 v[10:11], v[80:81], 0 op_sel_hi:[1,0]
	s_nop 0
	v_pk_add_f32 v[62:63], v[4:5], v[10:11]
	v_min_f32_e32 v4, v130, v107
	v_min_f32_e32 v5, v131, v106
	v_pk_add_f32 v[10:11], v[96:97], 0 op_sel_hi:[1,0]
	s_nop 0
	v_pk_add_f32 v[106:107], v[4:5], v[10:11]
	v_min_f32_e32 v4, v130, v123
	v_min_f32_e32 v5, v131, v122
	v_pk_add_f32 v[10:11], v[98:99], 0 op_sel_hi:[1,0]
	s_nop 0
	v_pk_add_f32 v[96:97], v[4:5], v[10:11]
	v_min_f32_e32 v4, v130, v125
	v_min_f32_e32 v5, v131, v124
	v_pk_add_f32 v[10:11], v[100:101], 0 op_sel_hi:[1,0]
	s_nop 0
	v_pk_add_f32 v[80:81], v[4:5], v[10:11]
	v_min_f32_e32 v5, v131, v126
	v_min_f32_e32 v4, v130, v127
	v_pk_add_f32 v[10:11], v[102:103], 0 op_sel_hi:[1,0]
	s_nop 0
	v_pk_add_f32 v[64:65], v[4:5], v[10:11]
	v_min_f32_e32 v5, v120, v126
	v_min_f32_e32 v4, v121, v127
	v_pk_add_f32 v[10:11], v[104:105], 0 op_sel_hi:[1,0]
	s_nop 0
	v_pk_add_f32 v[48:49], v[4:5], v[10:11]
	s_cbranch_scc1 .LBB47_33
; %bb.20:
	v_mov_b32_e32 v1, 0x1400
	v_lshl_add_u32 v211, v202, 4, v1
	v_mov_b32_e32 v1, 0x800
	v_lshl_add_u32 v212, v203, 4, v1
	v_add_u32_e32 v1, 12, v7
	v_mad_i64_i32 v[2:3], s[10:11], v1, s18, 0
	v_lshlrev_b64 v[98:99], 2, v[2:3]
	v_add_u32_e32 v2, s20, v8
	v_ashrrev_i32_e32 v3, 31, v2
	v_lshl_add_u64 v[100:101], v[2:3], 2, s[16:17]
	v_mad_i64_i32 v[2:3], s[16:17], s24, v6, 0
	v_mov_b32_e32 v1, 0
	v_lshl_add_u64 v[0:1], v[2:3], 2, v[0:1]
	v_lshl_add_u64 v[0:1], v[0:1], 0, s[14:15]
	;; [unrolled: 1-line block ×3, first 2 shown]
	v_add_u32_e32 v0, 8, v7
	v_mad_i64_i32 v[0:1], s[14:15], v0, s18, 0
	v_add_u32_e32 v207, 0x1000, v9
	v_add_u32_e32 v208, 0x1000, v204
	;; [unrolled: 1-line block ×3, first 2 shown]
	v_or_b32_e32 v210, 0x800, v206
	s_add_i32 s21, s12, -8
	s_mov_b32 s12, s13
	s_lshl_b64 s[10:11], s[18:19], 5
	v_lshlrev_b64 v[104:105], 2, v[0:1]
	s_mov_b32 s14, 0
	s_branch .LBB47_23
.LBB47_21:                              ;   in Loop: Header=BB47_23 Depth=1
	v_lshl_add_u64 v[16:17], v[100:101], 0, v[98:99]
	flat_load_dword v214, v[16:17]
	flat_load_dword v215, v[16:17] offset:256
	s_waitcnt vmcnt(0) lgkmcnt(0)
	v_pk_mul_f32 v[16:17], v[214:215], s[12:13]
.LBB47_22:                              ;   in Loop: Header=BB47_23 Depth=1
	v_pk_add_f32 v[40:41], v[40:41], v[88:89]
	v_pk_add_f32 v[32:33], v[32:33], v[60:61]
	;; [unrolled: 1-line block ×32, first 2 shown]
	ds_read_b128 v[0:3], v205
	ds_read_b128 v[8:11], v205 offset:512
	v_pk_add_f32 v[22:23], v[6:7], v[80:81]
	ds_read_b128 v[4:7], v208 offset:896
	ds_read_b128 v[12:15], v208 offset:768
	;; [unrolled: 1-line block ×4, first 2 shown]
	v_pk_add_f32 v[88:89], v[128:129], v[68:69]
	v_pk_add_f32 v[90:91], v[136:137], v[90:91]
	;; [unrolled: 1-line block ×6, first 2 shown]
	ds_read_b128 v[88:91], v208
	v_pk_add_f32 v[36:37], v[36:37], v[74:75]
	v_pk_add_f32 v[112:113], v[138:139], v[112:113]
	;; [unrolled: 1-line block ×9, first 2 shown]
	s_waitcnt lgkmcnt(4)
	v_max_f32_e32 v113, v5, v5
	v_max_f32_e32 v115, v4, v4
	;; [unrolled: 1-line block ×4, first 2 shown]
	s_waitcnt lgkmcnt(1)
	v_max_f32_e32 v118, v85, v85
	v_max_f32_e32 v119, v84, v84
	v_min_f32_e32 v5, v113, v116
	v_min_f32_e32 v4, v115, v117
	;; [unrolled: 1-line block ×4, first 2 shown]
	v_max_f32_e32 v112, v1, v1
	v_max_f32_e32 v114, v0, v0
	v_pk_add_f32 v[4:5], v[4:5], v[78:79]
	v_pk_add_f32 v[8:9], v[8:9], v[76:77]
	ds_read_b128 v[76:79], v208 offset:128
	s_waitcnt lgkmcnt(1)
	v_max_f32_e32 v88, v88, v88
	v_max_f32_e32 v89, v89, v89
	v_min_f32_e32 v84, v88, v114
	v_min_f32_e32 v85, v89, v112
	v_pk_add_f32 v[92:93], v[142:143], v[92:93]
	v_pk_add_f32 v[84:85], v[84:85], v[70:71]
	v_min_f32_e32 v70, v88, v117
	v_min_f32_e32 v71, v89, v116
	v_pk_add_f32 v[94:95], v[148:149], v[94:95]
	v_pk_add_f32 v[40:41], v[182:183], v[92:93]
	;; [unrolled: 1-line block ×3, first 2 shown]
	v_min_f32_e32 v70, v88, v119
	v_min_f32_e32 v71, v89, v118
	v_pk_add_f32 v[32:33], v[192:193], v[94:95]
	v_pk_add_f32 v[94:95], v[70:71], v[74:75]
	v_max_f32_e32 v74, v81, v81
	v_max_f32_e32 v75, v80, v80
	v_pk_add_f32 v[68:69], v[26:27], v[24:25]
	v_min_f32_e32 v71, v89, v74
	v_min_f32_e32 v70, v88, v75
	s_waitcnt lgkmcnt(0)
	v_max_f32_e32 v72, v76, v76
	v_max_f32_e32 v73, v77, v77
	v_pk_add_f32 v[68:69], v[70:71], v[68:69]
	v_min_f32_e32 v70, v72, v114
	v_min_f32_e32 v71, v73, v112
	v_pk_add_f32 v[76:77], v[70:71], v[62:63]
	v_min_f32_e32 v62, v72, v117
	v_min_f32_e32 v63, v73, v116
	;; [unrolled: 3-line block ×3, first 2 shown]
	v_pk_add_f32 v[66:67], v[62:63], v[66:67]
	ds_read_b128 v[62:65], v208 offset:256
	v_pk_add_f32 v[96:97], v[154:155], v[96:97]
	v_min_f32_e32 v71, v73, v74
	v_min_f32_e32 v70, v72, v75
	v_pk_add_f32 v[24:25], v[198:199], v[96:97]
	v_pk_add_f32 v[96:97], v[70:71], v[60:61]
	ds_read_b128 v[70:73], v208 offset:384
	s_waitcnt lgkmcnt(1)
	v_max_f32_e32 v62, v62, v62
	v_max_f32_e32 v63, v63, v63
	v_min_f32_e32 v60, v62, v114
	v_min_f32_e32 v61, v63, v112
	v_pk_add_f32 v[106:107], v[156:157], v[106:107]
	v_pk_add_f32 v[54:55], v[60:61], v[54:55]
	v_min_f32_e32 v60, v62, v117
	v_min_f32_e32 v61, v63, v116
	v_pk_add_f32 v[52:53], v[134:135], v[52:53]
	v_pk_add_f32 v[26:27], v[200:201], v[106:107]
	;; [unrolled: 1-line block ×3, first 2 shown]
	v_min_f32_e32 v56, v62, v119
	v_min_f32_e32 v57, v63, v118
	v_pk_add_f32 v[52:53], v[174:175], v[52:53]
	v_pk_add_f32 v[58:59], v[56:57], v[58:59]
	v_min_f32_e32 v57, v63, v74
	v_min_f32_e32 v56, v62, v75
	s_waitcnt lgkmcnt(0)
	v_max_f32_e32 v60, v70, v70
	v_max_f32_e32 v61, v71, v71
	v_pk_add_f32 v[108:109], v[150:151], v[108:109]
	v_pk_add_f32 v[52:53], v[56:57], v[52:53]
	v_min_f32_e32 v56, v60, v114
	v_min_f32_e32 v57, v61, v112
	v_pk_add_f32 v[110:111], v[144:145], v[110:111]
	v_pk_add_f32 v[30:31], v[194:195], v[108:109]
	;; [unrolled: 1-line block ×3, first 2 shown]
	v_min_f32_e32 v46, v60, v117
	v_min_f32_e32 v47, v61, v116
	v_pk_add_f32 v[38:39], v[184:185], v[110:111]
	v_pk_add_f32 v[110:111], v[46:47], v[48:49]
	v_min_f32_e32 v46, v60, v119
	v_min_f32_e32 v47, v61, v118
	v_pk_add_f32 v[18:19], v[190:191], v[120:121]
	v_pk_add_f32 v[120:121], v[46:47], v[50:51]
	ds_read_b128 v[46:49], v208 offset:512
	v_min_f32_e32 v51, v61, v74
	v_min_f32_e32 v50, v60, v75
	ds_read_b128 v[60:63], v208 offset:640
	v_pk_add_f32 v[44:45], v[50:51], v[44:45]
	s_waitcnt lgkmcnt(1)
	v_max_f32_e32 v50, v46, v46
	v_max_f32_e32 v51, v47, v47
	v_min_f32_e32 v46, v50, v114
	v_min_f32_e32 v47, v51, v112
	v_pk_add_f32 v[38:39], v[46:47], v[38:39]
	v_min_f32_e32 v46, v50, v117
	v_min_f32_e32 v47, v51, v116
	v_pk_add_f32 v[40:41], v[46:47], v[40:41]
	;; [unrolled: 3-line block ×3, first 2 shown]
	v_min_f32_e32 v47, v51, v74
	v_min_f32_e32 v46, v50, v75
	s_waitcnt lgkmcnt(0)
	v_max_f32_e32 v50, v60, v60
	v_max_f32_e32 v51, v61, v61
	v_pk_add_f32 v[36:37], v[46:47], v[36:37]
	v_min_f32_e32 v46, v50, v114
	v_min_f32_e32 v47, v51, v112
	v_pk_add_f32 v[30:31], v[46:47], v[30:31]
	v_min_f32_e32 v46, v50, v117
	v_min_f32_e32 v47, v51, v116
	;; [unrolled: 3-line block ×4, first 2 shown]
	v_pk_add_f32 v[28:29], v[46:47], v[28:29]
	v_max_f32_e32 v46, v12, v12
	v_max_f32_e32 v47, v13, v13
	v_min_f32_e32 v12, v46, v114
	v_min_f32_e32 v13, v47, v112
	v_pk_add_f32 v[12:13], v[12:13], v[26:27]
	v_min_f32_e32 v26, v46, v117
	v_min_f32_e32 v27, v47, v116
	v_pk_add_f32 v[24:25], v[26:27], v[24:25]
	;; [unrolled: 3-line block ×4, first 2 shown]
	v_min_f32_e32 v27, v113, v74
	v_min_f32_e32 v26, v115, v75
	;; [unrolled: 1-line block ×4, first 2 shown]
	v_pk_add_f32 v[18:19], v[26:27], v[18:19]
	v_max_f32_e32 v26, v3, v3
	v_max_f32_e32 v7, v7, v7
	;; [unrolled: 1-line block ×4, first 2 shown]
	v_pk_add_f32 v[0:1], v[0:1], v[122:123]
	v_min_f32_e32 v3, v7, v26
	v_min_f32_e32 v2, v6, v27
	v_pk_add_f32 v[88:89], v[2:3], v[0:1]
	v_max_f32_e32 v2, v11, v11
	v_max_f32_e32 v3, v10, v10
	v_min_f32_e32 v1, v7, v2
	v_min_f32_e32 v0, v6, v3
	v_pk_add_f32 v[74:75], v[0:1], v[4:5]
	v_max_f32_e32 v4, v87, v87
	v_max_f32_e32 v5, v86, v86
	;; [unrolled: 5-line block ×3, first 2 shown]
	v_min_f32_e32 v0, v8, v27
	v_min_f32_e32 v1, v9, v26
	v_pk_add_f32 v[118:119], v[0:1], v[84:85]
	v_min_f32_e32 v0, v8, v3
	v_min_f32_e32 v1, v9, v2
	v_pk_add_f32 v[86:87], v[0:1], v[92:93]
	v_min_f32_e32 v0, v8, v5
	v_min_f32_e32 v1, v9, v4
	v_max_f32_e32 v10, v83, v83
	v_pk_add_f32 v[70:71], v[0:1], v[94:95]
	v_min_f32_e32 v1, v9, v10
	v_max_f32_e32 v9, v82, v82
	v_min_f32_e32 v0, v8, v9
	v_max_f32_e32 v8, v78, v78
	v_max_f32_e32 v11, v79, v79
	v_pk_add_f32 v[56:57], v[0:1], v[68:69]
	v_min_f32_e32 v0, v8, v27
	v_min_f32_e32 v1, v11, v26
	v_pk_add_f32 v[116:117], v[0:1], v[76:77]
	v_min_f32_e32 v0, v8, v3
	v_min_f32_e32 v1, v11, v2
	v_pk_add_f32 v[82:83], v[0:1], v[80:81]
	v_min_f32_e32 v0, v8, v5
	v_min_f32_e32 v1, v11, v4
	v_pk_add_f32 v[66:67], v[0:1], v[66:67]
	v_min_f32_e32 v1, v11, v10
	v_min_f32_e32 v0, v8, v9
	v_max_f32_e32 v8, v64, v64
	v_max_f32_e32 v11, v65, v65
	v_pk_add_f32 v[50:51], v[0:1], v[96:97]
	v_min_f32_e32 v0, v8, v27
	v_min_f32_e32 v1, v11, v26
	v_pk_add_f32 v[114:115], v[0:1], v[54:55]
	v_min_f32_e32 v0, v8, v3
	v_min_f32_e32 v1, v11, v2
	v_pk_add_f32 v[84:85], v[0:1], v[106:107]
	v_min_f32_e32 v0, v8, v5
	v_min_f32_e32 v1, v11, v4
	v_pk_add_f32 v[68:69], v[0:1], v[58:59]
	v_min_f32_e32 v1, v11, v10
	;; [unrolled: 14-line block ×6, first 2 shown]
	v_min_f32_e32 v0, v8, v9
	v_pk_add_f32 v[64:65], v[0:1], v[22:23]
	v_min_f32_e32 v1, v7, v10
	v_min_f32_e32 v0, v6, v9
	s_add_i32 s14, s14, 8
	v_pk_add_f32 v[48:49], v[0:1], v[18:19]
	v_lshl_add_u64 v[100:101], v[100:101], 0, s[10:11]
	s_cmp_ge_i32 s14, s21
	v_lshl_add_u64 v[102:103], v[102:103], 0, 32
	ds_write_b32 v209, v213
	ds_write2st64_b32 v210, v16, v17 offset1:4
	s_waitcnt lgkmcnt(0)
	s_barrier
	s_cbranch_scc1 .LBB47_33
.LBB47_23:                              ; =>This Inner Loop Header: Depth=1
	s_and_b64 vcc, exec, s[4:5]
	v_mov_b32_e32 v122, 0
	s_cbranch_vccnz .LBB47_25
; %bb.24:                               ;   in Loop: Header=BB47_23 Depth=1
	flat_load_dword v0, v[102:103]
	s_waitcnt vmcnt(0) lgkmcnt(0)
	v_mul_f32_e32 v122, s13, v0
.LBB47_25:                              ;   in Loop: Header=BB47_23 Depth=1
	s_and_b64 vcc, exec, s[4:5]
	s_cbranch_vccnz .LBB47_27
; %bb.26:                               ;   in Loop: Header=BB47_23 Depth=1
	v_lshl_add_u64 v[0:1], v[100:101], 0, v[104:105]
	flat_load_dword v2, v[0:1]
	flat_load_dword v3, v[0:1] offset:256
	s_waitcnt vmcnt(0) lgkmcnt(0)
	v_pk_mul_f32 v[120:121], v[2:3], s[12:13]
	s_branch .LBB47_28
.LBB47_27:                              ;   in Loop: Header=BB47_23 Depth=1
	v_mov_b32_e32 v120, 0
	v_mov_b32_e32 v121, 0
.LBB47_28:                              ;   in Loop: Header=BB47_23 Depth=1
	ds_read_b128 v[40:43], v212
	ds_read_b128 v[36:39], v212 offset:512
	ds_read_b128 v[24:27], v212 offset:1536
	;; [unrolled: 1-line block ×3, first 2 shown]
	ds_read_b128 v[28:31], v211
	ds_read_b128 v[20:23], v211 offset:128
	ds_read_b128 v[16:19], v211 offset:256
	;; [unrolled: 1-line block ×7, first 2 shown]
	s_and_b64 vcc, exec, s[4:5]
	ds_write_b32 v207, v122
	ds_write2st64_b32 v206, v120, v121 offset1:4
	s_waitcnt lgkmcnt(0)
	s_barrier
	s_cbranch_vccnz .LBB47_30
; %bb.29:                               ;   in Loop: Header=BB47_23 Depth=1
	flat_load_dword v120, v[102:103] offset:16
	s_waitcnt vmcnt(0) lgkmcnt(0)
	v_mul_f32_e32 v213, s13, v120
	s_branch .LBB47_31
.LBB47_30:                              ;   in Loop: Header=BB47_23 Depth=1
	v_mov_b32_e32 v213, 0
.LBB47_31:                              ;   in Loop: Header=BB47_23 Depth=1
	v_max_f32_e32 v154, v41, v41
	v_max_f32_e32 v155, v40, v40
	;; [unrolled: 1-line block ×10, first 2 shown]
	v_min_f32_e32 v132, v16, v155
	v_min_f32_e32 v133, v17, v154
	v_min_f32_e32 v130, v16, v159
	v_min_f32_e32 v131, v17, v158
	v_min_f32_e32 v128, v16, v163
	v_min_f32_e32 v129, v17, v161
	v_min_f32_e32 v135, v17, v164
	v_min_f32_e32 v134, v16, v165
	v_max_f32_e32 v16, v12, v12
	v_max_f32_e32 v17, v13, v13
	v_min_f32_e32 v138, v16, v155
	v_min_f32_e32 v139, v17, v154
	v_min_f32_e32 v136, v16, v159
	v_min_f32_e32 v137, v17, v158
	v_min_f32_e32 v12, v16, v163
	v_min_f32_e32 v13, v17, v161
	v_min_f32_e32 v141, v17, v164
	v_min_f32_e32 v140, v16, v165
	v_max_f32_e32 v16, v8, v8
	v_max_f32_e32 v17, v9, v9
	;; [unrolled: 10-line block ×3, first 2 shown]
	v_max_f32_e32 v160, v45, v45
	v_max_f32_e32 v162, v44, v44
	;; [unrolled: 1-line block ×6, first 2 shown]
	v_min_f32_e32 v150, v16, v155
	v_min_f32_e32 v151, v17, v154
	;; [unrolled: 1-line block ×8, first 2 shown]
	v_max_f32_e32 v16, v0, v0
	v_max_f32_e32 v17, v1, v1
	v_min_f32_e32 v41, v160, v154
	v_min_f32_e32 v40, v162, v155
	;; [unrolled: 1-line block ×17, first 2 shown]
	v_max_f32_e32 v16, v43, v43
	v_max_f32_e32 v190, v42, v42
	;; [unrolled: 1-line block ×10, first 2 shown]
	v_min_f32_e32 v36, v162, v159
	v_min_f32_e32 v33, v160, v161
	;; [unrolled: 1-line block ×14, first 2 shown]
	v_max_f32_e32 v17, v47, v47
	v_max_f32_e32 v214, v46, v46
	;; [unrolled: 1-line block ×12, first 2 shown]
	v_min_f32_e32 v194, v6, v190
	v_min_f32_e32 v195, v7, v16
	;; [unrolled: 1-line block ×8, first 2 shown]
	v_max_f32_e32 v6, v2, v2
	v_max_f32_e32 v7, v3, v3
	v_min_f32_e32 v32, v162, v163
	v_min_f32_e32 v43, v17, v16
	;; [unrolled: 1-line block ×56, first 2 shown]
	s_and_b64 vcc, exec, s[4:5]
	v_min_f32_e32 v190, v214, v218
	s_cbranch_vccz .LBB47_21
; %bb.32:                               ;   in Loop: Header=BB47_23 Depth=1
	v_mov_b32_e32 v16, 0
	v_mov_b32_e32 v17, 0
	s_branch .LBB47_22
.LBB47_33:
	s_load_dword s10, s[0:1], 0x50
	ds_read_b128 v[40:43], v205 offset:2048
	ds_read_b128 v[44:47], v204 offset:5120
	v_add_u32_e32 v102, s20, v203
	v_cmp_neq_f32_e64 s[4:5], s22, 0
	v_add_u32_e32 v98, s23, v202
	s_waitcnt lgkmcnt(0)
	v_mad_i64_i32 v[0:1], s[12:13], v102, s10, 0
	v_ashrrev_i32_e32 v99, 31, v98
	v_lshl_add_u64 v[100:101], v[0:1], 2, s[8:9]
	s_and_b64 vcc, exec, s[4:5]
	v_mov_b32_e32 v105, 0
	v_mov_b32_e32 v104, 0
	s_cbranch_vccz .LBB47_35
; %bb.34:
	v_lshl_add_u64 v[0:1], v[98:99], 2, v[100:101]
	flat_load_dword v0, v[0:1]
	s_waitcnt vmcnt(0) lgkmcnt(0)
	v_mul_f32_e32 v104, s22, v0
.LBB47_35:
	ds_read_b128 v[12:15], v204 offset:6016
	ds_read_b128 v[0:3], v205 offset:3584
	;; [unrolled: 1-line block ×6, first 2 shown]
	s_load_dword s11, s[0:1], 0x68
	s_load_dwordx2 s[12:13], s[0:1], 0x70
	v_max_f32_e32 v120, v40, v40
	v_max_f32_e32 v44, v44, v44
	;; [unrolled: 1-line block ×4, first 2 shown]
	ds_read_b128 v[28:31], v204 offset:5504
	ds_read_b128 v[24:27], v204 offset:5632
	;; [unrolled: 1-line block ×4, first 2 shown]
	v_min_f32_e32 v40, v44, v120
	v_min_f32_e32 v41, v103, v121
	v_pk_add_f32 v[40:41], v[40:41], v[118:119]
	v_max_f32_e32 v118, v42, v42
	v_max_f32_e32 v45, v46, v46
	;; [unrolled: 1-line block ×4, first 2 shown]
	s_waitcnt lgkmcnt(0)
	s_lshl_b64 s[0:1], s[12:13], 2
	v_min_f32_e32 v42, v45, v118
	v_min_f32_e32 v43, v46, v119
	s_add_u32 s2, s2, s0
	v_pk_add_f32 v[122:123], v[42:43], v[40:41]
	s_addc_u32 s3, s3, s1
	v_mad_i64_i32 v[42:43], s[0:1], v102, s11, 0
	v_add_f32_e32 v47, v122, v123
	v_add_u32_e32 v40, 8, v98
	v_lshl_add_u64 v[42:43], v[42:43], 2, s[2:3]
	v_add_f32_e32 v47, v47, v104
	v_cndmask_b32_e64 v104, 0, 1, s[4:5]
	v_ashrrev_i32_e32 v41, 31, v40
	v_lshl_add_u64 v[122:123], v[98:99], 2, v[42:43]
	v_cmp_ne_u32_e64 s[0:1], 1, v104
	s_andn2_b64 vcc, exec, s[4:5]
	global_store_dword v[122:123], v47, off
	s_cbranch_vccnz .LBB47_37
; %bb.36:
	v_lshl_add_u64 v[104:105], v[40:41], 2, v[100:101]
	flat_load_dword v47, v[104:105]
	s_waitcnt vmcnt(0) lgkmcnt(0)
	v_mul_f32_e32 v105, s22, v47
.LBB47_37:
	v_max_f32_e32 v47, v36, v36
	v_max_f32_e32 v104, v37, v37
	v_min_f32_e32 v36, v47, v120
	v_min_f32_e32 v37, v104, v121
	v_max_f32_e32 v38, v38, v38
	v_max_f32_e32 v39, v39, v39
	v_pk_add_f32 v[36:37], v[36:37], v[116:117]
	v_min_f32_e32 v116, v38, v118
	v_min_f32_e32 v117, v39, v119
	v_pk_add_f32 v[36:37], v[116:117], v[36:37]
	s_and_b64 vcc, exec, s[0:1]
	v_add_f32_e32 v116, v36, v37
	v_add_u32_e32 v36, 16, v98
	v_add_f32_e32 v105, v116, v105
	v_lshl_add_u64 v[116:117], v[40:41], 2, v[42:43]
	v_ashrrev_i32_e32 v37, 31, v36
	global_store_dword v[116:117], v105, off
	v_mov_b32_e32 v117, 0
	v_mov_b32_e32 v122, 0
	s_cbranch_vccnz .LBB47_39
; %bb.38:
	v_lshl_add_u64 v[122:123], v[36:37], 2, v[100:101]
	flat_load_dword v105, v[122:123]
	s_waitcnt vmcnt(0) lgkmcnt(0)
	v_mul_f32_e32 v122, s22, v105
.LBB47_39:
	v_max_f32_e32 v105, v32, v32
	v_max_f32_e32 v116, v33, v33
	v_min_f32_e32 v32, v105, v120
	v_min_f32_e32 v33, v116, v121
	v_max_f32_e32 v34, v34, v34
	v_max_f32_e32 v35, v35, v35
	v_pk_add_f32 v[32:33], v[32:33], v[114:115]
	v_min_f32_e32 v114, v34, v118
	v_min_f32_e32 v115, v35, v119
	v_pk_add_f32 v[32:33], v[114:115], v[32:33]
	s_and_b64 vcc, exec, s[0:1]
	v_add_f32_e32 v114, v32, v33
	v_add_u32_e32 v32, 24, v98
	v_ashrrev_i32_e32 v33, 31, v32
	v_add_f32_e32 v122, v114, v122
	v_lshl_add_u64 v[114:115], v[36:37], 2, v[42:43]
	global_store_dword v[114:115], v122, off
	s_cbranch_vccnz .LBB47_41
; %bb.40:
	v_lshl_add_u64 v[114:115], v[32:33], 2, v[100:101]
	flat_load_dword v114, v[114:115]
	s_waitcnt vmcnt(0) lgkmcnt(0)
	v_mul_f32_e32 v117, s22, v114
.LBB47_41:
	v_max_f32_e32 v114, v28, v28
	v_max_f32_e32 v115, v29, v29
	v_min_f32_e32 v28, v114, v120
	v_min_f32_e32 v29, v115, v121
	v_max_f32_e32 v30, v30, v30
	v_max_f32_e32 v31, v31, v31
	v_pk_add_f32 v[28:29], v[28:29], v[112:113]
	v_min_f32_e32 v112, v30, v118
	v_min_f32_e32 v113, v31, v119
	v_pk_add_f32 v[28:29], v[112:113], v[28:29]
	s_and_b64 vcc, exec, s[0:1]
	v_add_f32_e32 v112, v28, v29
	v_add_u32_e32 v28, 32, v98
	v_add_f32_e32 v117, v112, v117
	v_lshl_add_u64 v[112:113], v[32:33], 2, v[42:43]
	v_ashrrev_i32_e32 v29, 31, v28
	global_store_dword v[112:113], v117, off
	v_mov_b32_e32 v117, 0
	v_mov_b32_e32 v122, 0
	s_cbranch_vccnz .LBB47_43
; %bb.42:
	v_lshl_add_u64 v[112:113], v[28:29], 2, v[100:101]
	flat_load_dword v112, v[112:113]
	s_waitcnt vmcnt(0) lgkmcnt(0)
	v_mul_f32_e32 v122, s22, v112
.LBB47_43:
	v_max_f32_e32 v112, v24, v24
	v_max_f32_e32 v113, v25, v25
	v_min_f32_e32 v24, v112, v120
	v_min_f32_e32 v25, v113, v121
	v_max_f32_e32 v26, v26, v26
	v_max_f32_e32 v27, v27, v27
	v_pk_add_f32 v[24:25], v[24:25], v[110:111]
	v_min_f32_e32 v110, v26, v118
	v_min_f32_e32 v111, v27, v119
	v_pk_add_f32 v[24:25], v[110:111], v[24:25]
	s_and_b64 vcc, exec, s[0:1]
	v_add_f32_e32 v110, v24, v25
	v_add_u32_e32 v24, 40, v98
	v_ashrrev_i32_e32 v25, 31, v24
	v_add_f32_e32 v122, v110, v122
	v_lshl_add_u64 v[110:111], v[28:29], 2, v[42:43]
	global_store_dword v[110:111], v122, off
	s_cbranch_vccnz .LBB47_45
; %bb.44:
	v_lshl_add_u64 v[110:111], v[24:25], 2, v[100:101]
	flat_load_dword v110, v[110:111]
	s_waitcnt vmcnt(0) lgkmcnt(0)
	v_mul_f32_e32 v117, s22, v110
.LBB47_45:
	v_max_f32_e32 v110, v20, v20
	v_max_f32_e32 v111, v21, v21
	v_min_f32_e32 v20, v110, v120
	v_min_f32_e32 v21, v111, v121
	v_max_f32_e32 v22, v22, v22
	v_max_f32_e32 v23, v23, v23
	v_pk_add_f32 v[20:21], v[20:21], v[108:109]
	v_min_f32_e32 v108, v22, v118
	v_min_f32_e32 v109, v23, v119
	v_pk_add_f32 v[20:21], v[108:109], v[20:21]
	s_and_b64 vcc, exec, s[0:1]
	v_add_f32_e32 v108, v20, v21
	v_add_u32_e32 v20, 48, v98
	v_add_f32_e32 v117, v108, v117
	v_lshl_add_u64 v[108:109], v[24:25], 2, v[42:43]
	v_ashrrev_i32_e32 v21, 31, v20
	global_store_dword v[108:109], v117, off
	v_mov_b32_e32 v117, 0
	v_mov_b32_e32 v122, 0
	s_cbranch_vccnz .LBB47_47
; %bb.46:
	v_lshl_add_u64 v[108:109], v[20:21], 2, v[100:101]
	flat_load_dword v108, v[108:109]
	s_waitcnt vmcnt(0) lgkmcnt(0)
	v_mul_f32_e32 v122, s22, v108
.LBB47_47:
	v_max_f32_e32 v108, v16, v16
	v_max_f32_e32 v109, v17, v17
	v_min_f32_e32 v16, v108, v120
	v_min_f32_e32 v17, v109, v121
	v_pk_add_f32 v[16:17], v[16:17], v[106:107]
	v_max_f32_e32 v106, v18, v18
	v_max_f32_e32 v107, v19, v19
	v_min_f32_e32 v18, v106, v118
	v_min_f32_e32 v19, v107, v119
	v_pk_add_f32 v[16:17], v[18:19], v[16:17]
	s_and_b64 vcc, exec, s[0:1]
	v_add_f32_e32 v18, v16, v17
	v_add_u32_e32 v16, 56, v98
	v_ashrrev_i32_e32 v17, 31, v16
	v_add_f32_e32 v122, v18, v122
	v_lshl_add_u64 v[18:19], v[20:21], 2, v[42:43]
	global_store_dword v[18:19], v122, off
	s_cbranch_vccnz .LBB47_49
; %bb.48:
	v_lshl_add_u64 v[18:19], v[16:17], 2, v[100:101]
	flat_load_dword v18, v[18:19]
	s_waitcnt vmcnt(0) lgkmcnt(0)
	v_mul_f32_e32 v117, s22, v18
.LBB47_49:
	v_max_f32_e32 v18, v13, v13
	v_max_f32_e32 v19, v12, v12
	v_min_f32_e32 v13, v18, v121
	v_min_f32_e32 v12, v19, v120
	v_max_f32_e32 v15, v15, v15
	v_max_f32_e32 v14, v14, v14
	v_pk_add_f32 v[12:13], v[12:13], v[88:89]
	v_min_f32_e32 v89, v15, v119
	v_min_f32_e32 v88, v14, v118
	v_pk_add_f32 v[12:13], v[88:89], v[12:13]
	v_add_u32_e32 v89, 32, v102
	v_add_f32_e32 v12, v12, v13
	v_add_f32_e32 v88, v12, v117
	v_lshl_add_u64 v[12:13], v[16:17], 2, v[42:43]
	global_store_dword v[12:13], v88, off
	v_mad_i64_i32 v[12:13], s[4:5], v89, s10, 0
	v_lshl_add_u64 v[12:13], v[12:13], 2, s[8:9]
	s_and_b64 vcc, exec, s[0:1]
	v_mov_b32_e32 v88, 0
	v_mov_b32_e32 v100, 0
	s_cbranch_vccnz .LBB47_51
; %bb.50:
	v_lshl_add_u64 v[42:43], v[98:99], 2, v[12:13]
	flat_load_dword v42, v[42:43]
	s_waitcnt vmcnt(0) lgkmcnt(0)
	v_mul_f32_e32 v100, s22, v42
.LBB47_51:
	v_max_f32_e32 v42, v8, v8
	v_max_f32_e32 v43, v9, v9
	v_min_f32_e32 v8, v44, v42
	v_min_f32_e32 v9, v103, v43
	v_max_f32_e32 v10, v10, v10
	v_max_f32_e32 v11, v11, v11
	v_pk_add_f32 v[8:9], v[8:9], v[86:87]
	v_min_f32_e32 v86, v45, v10
	v_min_f32_e32 v87, v46, v11
	v_pk_add_f32 v[86:87], v[86:87], v[8:9]
	v_mad_i64_i32 v[8:9], s[4:5], v89, s11, 0
	v_lshl_add_u64 v[8:9], v[8:9], 2, s[2:3]
	v_add_f32_e32 v86, v86, v87
	v_add_f32_e32 v89, v86, v100
	v_lshl_add_u64 v[86:87], v[98:99], 2, v[8:9]
	s_and_b64 vcc, exec, s[0:1]
	global_store_dword v[86:87], v89, off
	s_cbranch_vccnz .LBB47_53
; %bb.52:
	v_lshl_add_u64 v[86:87], v[40:41], 2, v[12:13]
	flat_load_dword v86, v[86:87]
	s_waitcnt vmcnt(0) lgkmcnt(0)
	v_mul_f32_e32 v88, s22, v86
.LBB47_53:
	v_min_f32_e32 v86, v47, v42
	v_min_f32_e32 v87, v104, v43
	v_pk_add_f32 v[82:83], v[86:87], v[82:83]
	v_min_f32_e32 v86, v38, v10
	v_min_f32_e32 v87, v39, v11
	v_pk_add_f32 v[82:83], v[86:87], v[82:83]
	s_and_b64 vcc, exec, s[0:1]
	v_add_f32_e32 v82, v82, v83
	v_add_f32_e32 v86, v82, v88
	v_lshl_add_u64 v[82:83], v[40:41], 2, v[8:9]
	global_store_dword v[82:83], v86, off
	v_mov_b32_e32 v82, 0
	v_mov_b32_e32 v83, 0
	s_cbranch_vccnz .LBB47_55
; %bb.54:
	v_lshl_add_u64 v[86:87], v[36:37], 2, v[12:13]
	flat_load_dword v83, v[86:87]
	s_waitcnt vmcnt(0) lgkmcnt(0)
	v_mul_f32_e32 v83, s22, v83
.LBB47_55:
	v_min_f32_e32 v86, v105, v42
	v_min_f32_e32 v87, v116, v43
	v_pk_add_f32 v[84:85], v[86:87], v[84:85]
	v_min_f32_e32 v86, v34, v10
	v_min_f32_e32 v87, v35, v11
	v_pk_add_f32 v[84:85], v[86:87], v[84:85]
	s_and_b64 vcc, exec, s[0:1]
	v_add_f32_e32 v84, v84, v85
	v_add_f32_e32 v83, v84, v83
	v_lshl_add_u64 v[84:85], v[36:37], 2, v[8:9]
	global_store_dword v[84:85], v83, off
	s_cbranch_vccnz .LBB47_57
; %bb.56:
	v_lshl_add_u64 v[82:83], v[32:33], 2, v[12:13]
	flat_load_dword v82, v[82:83]
	s_waitcnt vmcnt(0) lgkmcnt(0)
	v_mul_f32_e32 v82, s22, v82
.LBB47_57:
	v_min_f32_e32 v84, v114, v42
	v_min_f32_e32 v85, v115, v43
	v_pk_add_f32 v[84:85], v[84:85], v[90:91]
	v_min_f32_e32 v86, v30, v10
	v_min_f32_e32 v87, v31, v11
	v_pk_add_f32 v[84:85], v[86:87], v[84:85]
	s_and_b64 vcc, exec, s[0:1]
	v_add_f32_e32 v83, v84, v85
	v_add_f32_e32 v84, v83, v82
	v_lshl_add_u64 v[82:83], v[32:33], 2, v[8:9]
	global_store_dword v[82:83], v84, off
	v_mov_b32_e32 v82, 0
	v_mov_b32_e32 v83, 0
	s_cbranch_vccnz .LBB47_59
; %bb.58:
	v_lshl_add_u64 v[84:85], v[28:29], 2, v[12:13]
	flat_load_dword v83, v[84:85]
	s_waitcnt vmcnt(0) lgkmcnt(0)
	v_mul_f32_e32 v83, s22, v83
.LBB47_59:
	v_min_f32_e32 v84, v112, v42
	v_min_f32_e32 v85, v113, v43
	v_pk_add_f32 v[84:85], v[84:85], v[92:93]
	v_min_f32_e32 v86, v26, v10
	v_min_f32_e32 v87, v27, v11
	v_pk_add_f32 v[84:85], v[86:87], v[84:85]
	s_and_b64 vcc, exec, s[0:1]
	v_add_f32_e32 v84, v84, v85
	v_add_f32_e32 v83, v84, v83
	v_lshl_add_u64 v[84:85], v[28:29], 2, v[8:9]
	;; [unrolled: 38-line block ×3, first 2 shown]
	global_store_dword v[84:85], v83, off
	s_cbranch_vccnz .LBB47_65
; %bb.64:
	v_lshl_add_u64 v[12:13], v[16:17], 2, v[12:13]
	flat_load_dword v12, v[12:13]
	s_waitcnt vmcnt(0) lgkmcnt(0)
	v_mul_f32_e32 v82, s22, v12
.LBB47_65:
	v_min_f32_e32 v13, v18, v43
	v_min_f32_e32 v12, v19, v42
	v_pk_add_f32 v[12:13], v[12:13], v[74:75]
	v_min_f32_e32 v11, v15, v11
	v_min_f32_e32 v10, v14, v10
	v_pk_add_f32 v[10:11], v[10:11], v[12:13]
	v_lshl_add_u64 v[8:9], v[16:17], 2, v[8:9]
	v_add_f32_e32 v10, v10, v11
	v_add_f32_e32 v10, v10, v82
	v_add_u32_e32 v13, 64, v102
	global_store_dword v[8:9], v10, off
	v_mad_i64_i32 v[8:9], s[4:5], v13, s10, 0
	v_lshl_add_u64 v[8:9], v[8:9], 2, s[8:9]
	s_and_b64 vcc, exec, s[0:1]
	v_mov_b32_e32 v12, 0
	v_mov_b32_e32 v42, 0
	s_cbranch_vccnz .LBB47_67
; %bb.66:
	v_lshl_add_u64 v[10:11], v[98:99], 2, v[8:9]
	flat_load_dword v10, v[10:11]
	s_waitcnt vmcnt(0) lgkmcnt(0)
	v_mul_f32_e32 v42, s22, v10
.LBB47_67:
	v_max_f32_e32 v10, v4, v4
	v_max_f32_e32 v11, v5, v5
	v_min_f32_e32 v4, v44, v10
	v_min_f32_e32 v5, v103, v11
	v_max_f32_e32 v6, v6, v6
	v_max_f32_e32 v7, v7, v7
	v_pk_add_f32 v[4:5], v[4:5], v[70:71]
	v_min_f32_e32 v70, v45, v6
	v_min_f32_e32 v71, v46, v7
	v_pk_add_f32 v[70:71], v[70:71], v[4:5]
	v_mad_i64_i32 v[4:5], s[4:5], v13, s11, 0
	v_lshl_add_u64 v[4:5], v[4:5], 2, s[2:3]
	v_add_f32_e32 v13, v70, v71
	v_add_f32_e32 v13, v13, v42
	v_lshl_add_u64 v[42:43], v[98:99], 2, v[4:5]
	s_and_b64 vcc, exec, s[0:1]
	global_store_dword v[42:43], v13, off
	s_cbranch_vccnz .LBB47_69
; %bb.68:
	v_lshl_add_u64 v[12:13], v[40:41], 2, v[8:9]
	flat_load_dword v12, v[12:13]
	s_waitcnt vmcnt(0) lgkmcnt(0)
	v_mul_f32_e32 v12, s22, v12
.LBB47_69:
	v_min_f32_e32 v42, v47, v10
	v_min_f32_e32 v43, v104, v11
	v_pk_add_f32 v[42:43], v[42:43], v[66:67]
	v_min_f32_e32 v66, v38, v6
	v_min_f32_e32 v67, v39, v7
	v_pk_add_f32 v[42:43], v[66:67], v[42:43]
	s_and_b64 vcc, exec, s[0:1]
	v_add_f32_e32 v13, v42, v43
	v_add_f32_e32 v42, v13, v12
	v_lshl_add_u64 v[12:13], v[40:41], 2, v[4:5]
	global_store_dword v[12:13], v42, off
	v_mov_b32_e32 v12, 0
	v_mov_b32_e32 v13, 0
	s_cbranch_vccnz .LBB47_71
; %bb.70:
	v_lshl_add_u64 v[42:43], v[36:37], 2, v[8:9]
	flat_load_dword v13, v[42:43]
	s_waitcnt vmcnt(0) lgkmcnt(0)
	v_mul_f32_e32 v13, s22, v13
.LBB47_71:
	v_min_f32_e32 v42, v105, v10
	v_min_f32_e32 v43, v116, v11
	v_pk_add_f32 v[42:43], v[42:43], v[68:69]
	v_min_f32_e32 v66, v34, v6
	v_min_f32_e32 v67, v35, v7
	v_pk_add_f32 v[42:43], v[66:67], v[42:43]
	s_and_b64 vcc, exec, s[0:1]
	v_add_f32_e32 v42, v42, v43
	v_add_f32_e32 v13, v42, v13
	v_lshl_add_u64 v[42:43], v[36:37], 2, v[4:5]
	global_store_dword v[42:43], v13, off
	s_cbranch_vccnz .LBB47_73
; %bb.72:
	v_lshl_add_u64 v[12:13], v[32:33], 2, v[8:9]
	flat_load_dword v12, v[12:13]
	s_waitcnt vmcnt(0) lgkmcnt(0)
	v_mul_f32_e32 v12, s22, v12
.LBB47_73:
	v_min_f32_e32 v42, v114, v10
	v_min_f32_e32 v43, v115, v11
	v_pk_add_f32 v[42:43], v[42:43], v[72:73]
	v_min_f32_e32 v66, v30, v6
	v_min_f32_e32 v67, v31, v7
	v_pk_add_f32 v[42:43], v[66:67], v[42:43]
	s_and_b64 vcc, exec, s[0:1]
	v_add_f32_e32 v13, v42, v43
	v_add_f32_e32 v42, v13, v12
	v_lshl_add_u64 v[12:13], v[32:33], 2, v[4:5]
	global_store_dword v[12:13], v42, off
	v_mov_b32_e32 v12, 0
	v_mov_b32_e32 v13, 0
	s_cbranch_vccnz .LBB47_75
; %bb.74:
	v_lshl_add_u64 v[42:43], v[28:29], 2, v[8:9]
	flat_load_dword v13, v[42:43]
	s_waitcnt vmcnt(0) lgkmcnt(0)
	v_mul_f32_e32 v13, s22, v13
.LBB47_75:
	v_min_f32_e32 v42, v112, v10
	v_min_f32_e32 v43, v113, v11
	v_pk_add_f32 v[42:43], v[42:43], v[76:77]
	v_min_f32_e32 v66, v26, v6
	v_min_f32_e32 v67, v27, v7
	v_pk_add_f32 v[42:43], v[66:67], v[42:43]
	s_and_b64 vcc, exec, s[0:1]
	v_add_f32_e32 v42, v42, v43
	v_add_f32_e32 v13, v42, v13
	v_lshl_add_u64 v[42:43], v[28:29], 2, v[4:5]
	;; [unrolled: 38-line block ×3, first 2 shown]
	global_store_dword v[42:43], v13, off
	s_cbranch_vccnz .LBB47_81
; %bb.80:
	v_lshl_add_u64 v[8:9], v[16:17], 2, v[8:9]
	flat_load_dword v8, v[8:9]
	s_waitcnt vmcnt(0) lgkmcnt(0)
	v_mul_f32_e32 v12, s22, v8
.LBB47_81:
	v_min_f32_e32 v9, v18, v11
	v_min_f32_e32 v8, v19, v10
	v_pk_add_f32 v[8:9], v[8:9], v[60:61]
	v_min_f32_e32 v7, v15, v7
	v_min_f32_e32 v6, v14, v6
	v_pk_add_f32 v[6:7], v[6:7], v[8:9]
	v_lshl_add_u64 v[4:5], v[16:17], 2, v[4:5]
	v_add_f32_e32 v6, v6, v7
	v_add_f32_e32 v6, v6, v12
	v_add_u32_e32 v9, 0x60, v102
	global_store_dword v[4:5], v6, off
	v_mad_i64_i32 v[4:5], s[4:5], v9, s10, 0
	v_lshl_add_u64 v[4:5], v[4:5], 2, s[8:9]
	s_and_b64 vcc, exec, s[0:1]
	v_mov_b32_e32 v8, 0
	v_mov_b32_e32 v10, 0
	s_cbranch_vccnz .LBB47_83
; %bb.82:
	v_lshl_add_u64 v[6:7], v[98:99], 2, v[4:5]
	flat_load_dword v6, v[6:7]
	s_waitcnt vmcnt(0) lgkmcnt(0)
	v_mul_f32_e32 v10, s22, v6
.LBB47_83:
	v_max_f32_e32 v6, v1, v1
	v_max_f32_e32 v7, v0, v0
	v_min_f32_e32 v1, v103, v6
	v_min_f32_e32 v0, v44, v7
	v_max_f32_e32 v3, v3, v3
	v_max_f32_e32 v2, v2, v2
	v_pk_add_f32 v[0:1], v[0:1], v[56:57]
	v_min_f32_e32 v13, v46, v3
	v_min_f32_e32 v12, v45, v2
	v_pk_add_f32 v[12:13], v[12:13], v[0:1]
	v_mad_i64_i32 v[0:1], s[4:5], v9, s11, 0
	v_lshl_add_u64 v[0:1], v[0:1], 2, s[2:3]
	v_add_f32_e32 v9, v12, v13
	v_add_f32_e32 v9, v9, v10
	v_lshl_add_u64 v[10:11], v[98:99], 2, v[0:1]
	s_and_b64 vcc, exec, s[0:1]
	global_store_dword v[10:11], v9, off
	s_cbranch_vccnz .LBB47_85
; %bb.84:
	v_lshl_add_u64 v[8:9], v[40:41], 2, v[4:5]
	flat_load_dword v8, v[8:9]
	s_waitcnt vmcnt(0) lgkmcnt(0)
	v_mul_f32_e32 v8, s22, v8
.LBB47_85:
	v_min_f32_e32 v11, v104, v6
	v_min_f32_e32 v10, v47, v7
	v_pk_add_f32 v[10:11], v[10:11], v[50:51]
	v_min_f32_e32 v13, v39, v3
	v_min_f32_e32 v12, v38, v2
	v_pk_add_f32 v[10:11], v[12:13], v[10:11]
	s_and_b64 vcc, exec, s[0:1]
	v_add_f32_e32 v9, v10, v11
	v_add_f32_e32 v10, v9, v8
	v_lshl_add_u64 v[8:9], v[40:41], 2, v[0:1]
	global_store_dword v[8:9], v10, off
	v_mov_b32_e32 v8, 0
	v_mov_b32_e32 v9, 0
	s_cbranch_vccnz .LBB47_87
; %bb.86:
	v_lshl_add_u64 v[10:11], v[36:37], 2, v[4:5]
	flat_load_dword v9, v[10:11]
	s_waitcnt vmcnt(0) lgkmcnt(0)
	v_mul_f32_e32 v9, s22, v9
.LBB47_87:
	v_min_f32_e32 v11, v116, v6
	v_min_f32_e32 v10, v105, v7
	v_pk_add_f32 v[10:11], v[10:11], v[52:53]
	v_min_f32_e32 v13, v35, v3
	v_min_f32_e32 v12, v34, v2
	v_pk_add_f32 v[10:11], v[12:13], v[10:11]
	s_and_b64 vcc, exec, s[0:1]
	v_add_f32_e32 v10, v10, v11
	v_add_f32_e32 v9, v10, v9
	v_lshl_add_u64 v[10:11], v[36:37], 2, v[0:1]
	global_store_dword v[10:11], v9, off
	s_cbranch_vccnz .LBB47_89
; %bb.88:
	v_lshl_add_u64 v[8:9], v[32:33], 2, v[4:5]
	flat_load_dword v8, v[8:9]
	s_waitcnt vmcnt(0) lgkmcnt(0)
	v_mul_f32_e32 v8, s22, v8
.LBB47_89:
	v_min_f32_e32 v11, v115, v6
	v_min_f32_e32 v10, v114, v7
	v_pk_add_f32 v[10:11], v[10:11], v[54:55]
	v_min_f32_e32 v13, v31, v3
	v_min_f32_e32 v12, v30, v2
	v_pk_add_f32 v[10:11], v[12:13], v[10:11]
	s_and_b64 vcc, exec, s[0:1]
	v_add_f32_e32 v9, v10, v11
	v_add_f32_e32 v10, v9, v8
	v_lshl_add_u64 v[8:9], v[32:33], 2, v[0:1]
	global_store_dword v[8:9], v10, off
	v_mov_b32_e32 v8, 0
	v_mov_b32_e32 v9, 0
	s_cbranch_vccnz .LBB47_91
; %bb.90:
	v_lshl_add_u64 v[10:11], v[28:29], 2, v[4:5]
	flat_load_dword v9, v[10:11]
	s_waitcnt vmcnt(0) lgkmcnt(0)
	v_mul_f32_e32 v9, s22, v9
.LBB47_91:
	v_min_f32_e32 v11, v113, v6
	v_min_f32_e32 v10, v112, v7
	v_pk_add_f32 v[10:11], v[10:11], v[58:59]
	v_min_f32_e32 v13, v27, v3
	v_min_f32_e32 v12, v26, v2
	v_pk_add_f32 v[10:11], v[12:13], v[10:11]
	s_and_b64 vcc, exec, s[0:1]
	v_add_f32_e32 v10, v10, v11
	v_add_f32_e32 v9, v10, v9
	v_lshl_add_u64 v[10:11], v[28:29], 2, v[0:1]
	global_store_dword v[10:11], v9, off
	s_cbranch_vccnz .LBB47_93
; %bb.92:
	v_lshl_add_u64 v[8:9], v[24:25], 2, v[4:5]
	flat_load_dword v8, v[8:9]
	s_waitcnt vmcnt(0) lgkmcnt(0)
	v_mul_f32_e32 v8, s22, v8
.LBB47_93:
	v_min_f32_e32 v11, v111, v6
	v_min_f32_e32 v10, v110, v7
	v_pk_add_f32 v[10:11], v[10:11], v[62:63]
	v_min_f32_e32 v13, v23, v3
	v_min_f32_e32 v12, v22, v2
	v_pk_add_f32 v[10:11], v[12:13], v[10:11]
	v_min_f32_e32 v13, v107, v3
	v_add_f32_e32 v9, v10, v11
	v_min_f32_e32 v11, v109, v6
	v_min_f32_e32 v10, v108, v7
	v_pk_add_f32 v[10:11], v[10:11], v[64:65]
	v_min_f32_e32 v12, v106, v2
	v_pk_add_f32 v[10:11], v[12:13], v[10:11]
	v_add_f32_e32 v12, v9, v8
	v_lshl_add_u64 v[8:9], v[24:25], 2, v[0:1]
	global_store_dword v[8:9], v12, off
	v_add_f32_e32 v8, v10, v11
	s_mov_b64 vcc, s[6:7]
	s_cbranch_vccz .LBB47_96
; %bb.94:
	v_add_f32_e32 v9, 0, v8
	v_lshl_add_u64 v[10:11], v[20:21], 2, v[0:1]
	s_mov_b32 s2, 0
	global_store_dword v[10:11], v9, off
	s_cbranch_execz .LBB47_97
; %bb.95:
	v_mov_b32_e32 v4, s2
	s_branch .LBB47_98
.LBB47_96:
                                        ; implicit-def: $sgpr2
.LBB47_97:
	v_lshlrev_b64 v[10:11], 2, v[20:21]
	v_lshl_add_u64 v[12:13], v[4:5], 0, v[10:11]
	flat_load_dword v9, v[12:13]
	v_lshl_add_u64 v[10:11], v[0:1], 0, v[10:11]
	v_lshl_add_u64 v[4:5], v[16:17], 2, v[4:5]
	s_waitcnt vmcnt(0) lgkmcnt(0)
	v_fmac_f32_e32 v8, s22, v9
	global_store_dword v[10:11], v8, off
	flat_load_dword v4, v[4:5]
	s_waitcnt vmcnt(0) lgkmcnt(0)
	v_mul_f32_e32 v4, s22, v4
.LBB47_98:
	v_min_f32_e32 v9, v18, v6
	v_min_f32_e32 v8, v19, v7
	;; [unrolled: 1-line block ×4, first 2 shown]
	v_pk_add_f32 v[6:7], v[8:9], v[48:49]
	v_lshl_add_u64 v[0:1], v[16:17], 2, v[0:1]
	v_pk_add_f32 v[2:3], v[2:3], v[6:7]
	s_nop 0
	v_add_f32_e32 v2, v2, v3
	v_add_f32_e32 v2, v2, v4
	global_store_dword v[0:1], v2, off
	s_endpgm
	.section	.rodata,"a",@progbits
	.p2align	6, 0x0
	.amdhsa_kernel _ZN12_GLOBAL__N_120geam_min_plus_kernelIf15HIP_vector_typeIfLj2EES2_Li8ELi32ELi64ELi128ELi4ELi4ELi64ELi64ELi4ELc84ELc84ELb0ELb0ELb0EfKPKfKPfEEviiiT16_PT17_ilSA_ilS8_SA_ilPT18_ili26rocblas_geam_ex_operation_
		.amdhsa_group_segment_fixed_size 6144
		.amdhsa_private_segment_fixed_size 0
		.amdhsa_kernarg_size 128
		.amdhsa_user_sgpr_count 2
		.amdhsa_user_sgpr_dispatch_ptr 0
		.amdhsa_user_sgpr_queue_ptr 0
		.amdhsa_user_sgpr_kernarg_segment_ptr 1
		.amdhsa_user_sgpr_dispatch_id 0
		.amdhsa_user_sgpr_kernarg_preload_length 0
		.amdhsa_user_sgpr_kernarg_preload_offset 0
		.amdhsa_user_sgpr_private_segment_size 0
		.amdhsa_uses_dynamic_stack 0
		.amdhsa_enable_private_segment 0
		.amdhsa_system_sgpr_workgroup_id_x 1
		.amdhsa_system_sgpr_workgroup_id_y 0
		.amdhsa_system_sgpr_workgroup_id_z 1
		.amdhsa_system_sgpr_workgroup_info 0
		.amdhsa_system_vgpr_workitem_id 1
		.amdhsa_next_free_vgpr 219
		.amdhsa_next_free_sgpr 26
		.amdhsa_accum_offset 220
		.amdhsa_reserve_vcc 1
		.amdhsa_float_round_mode_32 0
		.amdhsa_float_round_mode_16_64 0
		.amdhsa_float_denorm_mode_32 3
		.amdhsa_float_denorm_mode_16_64 3
		.amdhsa_dx10_clamp 1
		.amdhsa_ieee_mode 1
		.amdhsa_fp16_overflow 0
		.amdhsa_tg_split 0
		.amdhsa_exception_fp_ieee_invalid_op 0
		.amdhsa_exception_fp_denorm_src 0
		.amdhsa_exception_fp_ieee_div_zero 0
		.amdhsa_exception_fp_ieee_overflow 0
		.amdhsa_exception_fp_ieee_underflow 0
		.amdhsa_exception_fp_ieee_inexact 0
		.amdhsa_exception_int_div_zero 0
	.end_amdhsa_kernel
	.section	.text._ZN12_GLOBAL__N_120geam_min_plus_kernelIf15HIP_vector_typeIfLj2EES2_Li8ELi32ELi64ELi128ELi4ELi4ELi64ELi64ELi4ELc84ELc84ELb0ELb0ELb0EfKPKfKPfEEviiiT16_PT17_ilSA_ilS8_SA_ilPT18_ili26rocblas_geam_ex_operation_,"axG",@progbits,_ZN12_GLOBAL__N_120geam_min_plus_kernelIf15HIP_vector_typeIfLj2EES2_Li8ELi32ELi64ELi128ELi4ELi4ELi64ELi64ELi4ELc84ELc84ELb0ELb0ELb0EfKPKfKPfEEviiiT16_PT17_ilSA_ilS8_SA_ilPT18_ili26rocblas_geam_ex_operation_,comdat
.Lfunc_end47:
	.size	_ZN12_GLOBAL__N_120geam_min_plus_kernelIf15HIP_vector_typeIfLj2EES2_Li8ELi32ELi64ELi128ELi4ELi4ELi64ELi64ELi4ELc84ELc84ELb0ELb0ELb0EfKPKfKPfEEviiiT16_PT17_ilSA_ilS8_SA_ilPT18_ili26rocblas_geam_ex_operation_, .Lfunc_end47-_ZN12_GLOBAL__N_120geam_min_plus_kernelIf15HIP_vector_typeIfLj2EES2_Li8ELi32ELi64ELi128ELi4ELi4ELi64ELi64ELi4ELc84ELc84ELb0ELb0ELb0EfKPKfKPfEEviiiT16_PT17_ilSA_ilS8_SA_ilPT18_ili26rocblas_geam_ex_operation_
                                        ; -- End function
	.section	.AMDGPU.csdata,"",@progbits
; Kernel info:
; codeLenInByte = 8884
; NumSgprs: 32
; NumVgprs: 219
; NumAgprs: 0
; TotalNumVgprs: 219
; ScratchSize: 0
; MemoryBound: 0
; FloatMode: 240
; IeeeMode: 1
; LDSByteSize: 6144 bytes/workgroup (compile time only)
; SGPRBlocks: 3
; VGPRBlocks: 27
; NumSGPRsForWavesPerEU: 32
; NumVGPRsForWavesPerEU: 219
; AccumOffset: 220
; Occupancy: 2
; WaveLimiterHint : 1
; COMPUTE_PGM_RSRC2:SCRATCH_EN: 0
; COMPUTE_PGM_RSRC2:USER_SGPR: 2
; COMPUTE_PGM_RSRC2:TRAP_HANDLER: 0
; COMPUTE_PGM_RSRC2:TGID_X_EN: 1
; COMPUTE_PGM_RSRC2:TGID_Y_EN: 0
; COMPUTE_PGM_RSRC2:TGID_Z_EN: 1
; COMPUTE_PGM_RSRC2:TIDIG_COMP_CNT: 1
; COMPUTE_PGM_RSRC3_GFX90A:ACCUM_OFFSET: 54
; COMPUTE_PGM_RSRC3_GFX90A:TG_SPLIT: 0
	.section	.text._ZN12_GLOBAL__N_120geam_min_plus_kernelIf15HIP_vector_typeIfLj2EES2_Li8ELi32ELi64ELi128ELi4ELi4ELi64ELi64ELi4ELc84ELc84ELb0ELb1ELb0EPKfKS4_KPfEEviiiT16_PT17_ilSA_ilS8_SA_ilPT18_ili26rocblas_geam_ex_operation_,"axG",@progbits,_ZN12_GLOBAL__N_120geam_min_plus_kernelIf15HIP_vector_typeIfLj2EES2_Li8ELi32ELi64ELi128ELi4ELi4ELi64ELi64ELi4ELc84ELc84ELb0ELb1ELb0EPKfKS4_KPfEEviiiT16_PT17_ilSA_ilS8_SA_ilPT18_ili26rocblas_geam_ex_operation_,comdat
	.globl	_ZN12_GLOBAL__N_120geam_min_plus_kernelIf15HIP_vector_typeIfLj2EES2_Li8ELi32ELi64ELi128ELi4ELi4ELi64ELi64ELi4ELc84ELc84ELb0ELb1ELb0EPKfKS4_KPfEEviiiT16_PT17_ilSA_ilS8_SA_ilPT18_ili26rocblas_geam_ex_operation_ ; -- Begin function _ZN12_GLOBAL__N_120geam_min_plus_kernelIf15HIP_vector_typeIfLj2EES2_Li8ELi32ELi64ELi128ELi4ELi4ELi64ELi64ELi4ELc84ELc84ELb0ELb1ELb0EPKfKS4_KPfEEviiiT16_PT17_ilSA_ilS8_SA_ilPT18_ili26rocblas_geam_ex_operation_
	.p2align	8
	.type	_ZN12_GLOBAL__N_120geam_min_plus_kernelIf15HIP_vector_typeIfLj2EES2_Li8ELi32ELi64ELi128ELi4ELi4ELi64ELi64ELi4ELc84ELc84ELb0ELb1ELb0EPKfKS4_KPfEEviiiT16_PT17_ilSA_ilS8_SA_ilPT18_ili26rocblas_geam_ex_operation_,@function
_ZN12_GLOBAL__N_120geam_min_plus_kernelIf15HIP_vector_typeIfLj2EES2_Li8ELi32ELi64ELi128ELi4ELi4ELi64ELi64ELi4ELc84ELc84ELb0ELb1ELb0EPKfKS4_KPfEEviiiT16_PT17_ilSA_ilS8_SA_ilPT18_ili26rocblas_geam_ex_operation_: ; @_ZN12_GLOBAL__N_120geam_min_plus_kernelIf15HIP_vector_typeIfLj2EES2_Li8ELi32ELi64ELi128ELi4ELi4ELi64ELi64ELi4ELc84ELc84ELb0ELb1ELb0EPKfKS4_KPfEEviiiT16_PT17_ilSA_ilS8_SA_ilPT18_ili26rocblas_geam_ex_operation_
; %bb.0:
	s_load_dwordx4 s[12:15], s[0:1], 0x10
	s_load_dwordx4 s[4:7], s[0:1], 0x28
	s_mov_b32 s26, s3
	s_mov_b32 s27, 0
	s_lshl_b64 s[16:17], s[26:27], 2
	s_waitcnt lgkmcnt(0)
	s_add_u32 s18, s12, s16
	s_load_dwordx4 s[8:11], s[0:1], 0x40
	s_addc_u32 s19, s13, s17
	s_load_dword s29, s[18:19], 0x0
	s_load_dwordx2 s[12:13], s[0:1], 0x50
	s_waitcnt lgkmcnt(0)
	s_add_u32 s20, s10, s16
	v_cmp_eq_f32_e64 s[18:19], s29, 0
	s_addc_u32 s21, s11, s17
	v_cmp_neq_f32_e64 s[10:11], s29, 0
	s_mov_b64 s[16:17], 0
	s_and_b64 vcc, exec, s[18:19]
	s_mov_b64 s[18:19], 0
	s_cbranch_vccnz .LBB48_2
; %bb.1:
	s_lshl_b64 s[18:19], s[26:27], 3
	s_add_u32 s14, s14, s18
	s_addc_u32 s15, s15, s19
	s_load_dwordx2 s[14:15], s[14:15], 0x0
	s_lshl_b64 s[4:5], s[4:5], 2
	s_waitcnt lgkmcnt(0)
	s_add_u32 s18, s14, s4
	s_addc_u32 s19, s15, s5
.LBB48_2:
	s_load_dword s28, s[20:21], 0x0
	s_andn2_b64 vcc, exec, s[10:11]
	s_cbranch_vccnz .LBB48_4
; %bb.3:
	s_lshl_b64 s[4:5], s[26:27], 3
	s_add_u32 s4, s6, s4
	s_addc_u32 s5, s7, s5
	s_load_dwordx2 s[4:5], s[4:5], 0x0
	s_lshl_b64 s[6:7], s[8:9], 2
	s_waitcnt lgkmcnt(0)
	s_add_u32 s16, s4, s6
	s_addc_u32 s17, s5, s7
.LBB48_4:
	s_load_dwordx4 s[4:7], s[0:1], 0x60
	s_waitcnt lgkmcnt(0)
	v_cmp_eq_f32_e64 s[14:15], s28, 0
	v_cmp_neq_f32_e64 s[8:9], s28, 0
	s_and_b64 vcc, exec, s[14:15]
	s_cbranch_vccnz .LBB48_6
; %bb.5:
	s_lshl_b64 s[14:15], s[26:27], 3
	s_add_u32 s12, s12, s14
	s_addc_u32 s13, s13, s15
	s_load_dwordx2 s[12:13], s[12:13], 0x0
	s_lshl_b64 s[4:5], s[4:5], 2
	s_waitcnt lgkmcnt(0)
	s_add_u32 s24, s12, s4
	s_addc_u32 s25, s13, s5
	s_branch .LBB48_7
.LBB48_6:
	s_mov_b64 s[24:25], 0
.LBB48_7:
	s_load_dwordx4 s[20:23], s[0:1], 0x0
	s_load_dword s34, s[0:1], 0x20
	s_lshl_b64 s[4:5], s[26:27], 3
	s_add_u32 s4, s6, s4
	s_addc_u32 s5, s7, s5
	s_waitcnt lgkmcnt(0)
	s_add_i32 s3, s20, -1
	s_ashr_i32 s6, s3, 31
	s_lshr_b32 s6, s6, 26
	s_add_i32 s3, s3, s6
	s_ashr_i32 s3, s3, 6
	s_add_i32 s6, s3, 1
	v_cvt_f32_u32_e32 v1, s6
	v_and_b32_e32 v198, 0x3ff, v0
	v_bfe_u32 v199, v0, 10, 10
	s_load_dwordx2 s[12:13], s[4:5], 0x0
	v_rcp_iflag_f32_e32 v1, v1
	s_not_b32 s3, s3
	v_lshl_add_u32 v2, v199, 3, v198
	v_lshrrev_b32_e32 v7, 2, v2
	v_mul_f32_e32 v0, 0x4f7ffffe, v1
	v_cvt_u32_f32_e32 v0, v0
	v_and_b32_e32 v200, 3, v198
	v_mov_b32_e32 v8, 0
	v_mov_b32_e32 v9, 0
	v_readfirstlane_b32 s4, v0
	s_mul_i32 s3, s3, s4
	s_mul_hi_u32 s3, s4, s3
	s_add_i32 s4, s4, s3
	s_mul_hi_u32 s3, s2, s4
	s_mul_i32 s4, s3, s6
	s_sub_i32 s4, s2, s4
	s_add_i32 s5, s3, 1
	s_sub_i32 s7, s4, s6
	s_cmp_ge_u32 s4, s6
	s_cselect_b32 s3, s5, s3
	s_cselect_b32 s4, s7, s4
	s_add_i32 s5, s3, 1
	s_cmp_ge_u32 s4, s6
	s_cselect_b32 s4, s5, s3
	s_mul_i32 s3, s4, s6
	s_sub_i32 s2, s2, s3
	s_lshl_b32 s30, s2, 6
	v_add_u32_e32 v4, s30, v7
	v_cmp_gt_i32_e64 s[2:3], s22, v200
	v_cmp_gt_i32_e32 vcc, s20, v4
	s_and_b64 s[2:3], s[2:3], vcc
	s_and_b64 s[6:7], s[10:11], s[2:3]
	v_lshlrev_b32_e32 v0, 2, v200
	s_and_saveexec_b64 s[2:3], s[6:7]
	s_cbranch_execz .LBB48_9
; %bb.8:
	v_mad_i64_i32 v[10:11], s[6:7], v4, s34, 0
	v_lshl_add_u64 v[10:11], v[10:11], 2, s[18:19]
	v_mov_b32_e32 v1, 0
	v_lshl_add_u64 v[10:11], v[10:11], 0, v[0:1]
	flat_load_dword v1, v[10:11]
	s_waitcnt vmcnt(0) lgkmcnt(0)
	v_mul_f32_e32 v9, s29, v1
.LBB48_9:
	s_or_b64 exec, exec, s[2:3]
	s_load_dword s23, s[0:1], 0x38
	v_lshrrev_b32_e32 v201, 6, v2
	s_add_i32 s33, s22, -1
	v_and_b32_e32 v10, 63, v2
	s_lshl_b32 s31, s4, 7
	v_min_i32_e32 v1, s33, v201
	v_or_b32_e32 v72, s31, v10
	s_waitcnt lgkmcnt(0)
	v_mad_i64_i32 v[2:3], s[2:3], s23, v1, 0
	v_cmp_le_i32_e64 s[6:7], s22, v201
	v_cmp_le_i32_e64 s[2:3], s21, v72
	s_or_b64 s[4:5], s[2:3], s[6:7]
	s_xor_b64 s[14:15], s[10:11], -1
	s_or_b64 s[4:5], s[4:5], s[14:15]
	v_lshl_add_u64 v[2:3], v[2:3], 2, s[16:17]
	s_xor_b64 s[26:27], s[4:5], -1
	v_ashrrev_i32_e32 v73, 31, v72
	s_and_saveexec_b64 s[4:5], s[26:27]
	s_cbranch_execz .LBB48_11
; %bb.10:
	v_lshl_add_u64 v[12:13], v[72:73], 2, v[2:3]
	flat_load_dword v1, v[12:13]
	s_waitcnt vmcnt(0) lgkmcnt(0)
	v_mul_f32_e32 v8, s29, v1
.LBB48_11:
	s_or_b64 exec, exec, s[4:5]
	v_or_b32_e32 v1, 64, v72
	v_cmp_le_i32_e64 s[4:5], s21, v1
	s_or_b64 s[6:7], s[4:5], s[6:7]
	s_or_b64 s[6:7], s[6:7], s[14:15]
	s_xor_b64 s[26:27], s[6:7], -1
	v_mov_b32_e32 v1, 0
	v_mov_b32_e32 v11, 0
	s_and_saveexec_b64 s[6:7], s[26:27]
	s_cbranch_execz .LBB48_13
; %bb.12:
	v_lshl_add_u64 v[2:3], v[72:73], 2, v[2:3]
	flat_load_dword v2, v[2:3] offset:256
	s_waitcnt vmcnt(0) lgkmcnt(0)
	v_mul_f32_e32 v11, s29, v2
.LBB48_13:
	s_or_b64 exec, exec, s[6:7]
	v_or_b32_e32 v2, 4, v200
	v_cmp_gt_i32_e64 s[6:7], s22, v2
	s_and_b64 s[6:7], s[6:7], vcc
	s_and_b64 s[26:27], s[10:11], s[6:7]
	s_and_saveexec_b64 s[6:7], s[26:27]
	s_cbranch_execz .LBB48_15
; %bb.14:
	v_mad_i64_i32 v[2:3], s[26:27], v4, s34, 0
	v_lshl_add_u64 v[2:3], v[2:3], 2, s[18:19]
	v_mov_b32_e32 v1, 0
	v_lshl_add_u64 v[2:3], v[2:3], 0, v[0:1]
	flat_load_dword v1, v[2:3] offset:16
	s_waitcnt vmcnt(0) lgkmcnt(0)
	v_mul_f32_e32 v1, s29, v1
.LBB48_15:
	s_or_b64 exec, exec, s[6:7]
	v_add_u32_e32 v2, 4, v201
	v_cmp_le_i32_e64 s[6:7], s22, v2
	v_min_i32_e32 v2, s33, v2
	v_mad_i64_i32 v[2:3], s[26:27], s23, v2, 0
	s_or_b64 s[26:27], s[2:3], s[6:7]
	s_or_b64 s[26:27], s[26:27], s[14:15]
	v_lshl_add_u64 v[2:3], v[2:3], 2, s[16:17]
	s_xor_b64 s[36:37], s[26:27], -1
	v_mov_b32_e32 v5, 0
	v_mov_b32_e32 v6, 0
	s_and_saveexec_b64 s[26:27], s[36:37]
	s_cbranch_execz .LBB48_17
; %bb.16:
	v_lshl_add_u64 v[12:13], v[72:73], 2, v[2:3]
	flat_load_dword v6, v[12:13]
	s_waitcnt vmcnt(0) lgkmcnt(0)
	v_mul_f32_e32 v6, s29, v6
.LBB48_17:
	s_or_b64 exec, exec, s[26:27]
	s_or_b64 s[6:7], s[4:5], s[6:7]
	s_or_b64 s[6:7], s[6:7], s[14:15]
	s_xor_b64 s[26:27], s[6:7], -1
	s_and_saveexec_b64 s[6:7], s[26:27]
	s_cbranch_execz .LBB48_19
; %bb.18:
	v_lshl_add_u64 v[2:3], v[72:73], 2, v[2:3]
	flat_load_dword v2, v[2:3] offset:256
	s_waitcnt vmcnt(0) lgkmcnt(0)
	v_mul_f32_e32 v5, s29, v2
.LBB48_19:
	s_or_b64 exec, exec, s[6:7]
	v_lshlrev_b32_e32 v3, 2, v201
	v_lshl_or_b32 v2, v7, 4, v0
	v_lshl_add_u32 v204, v10, 4, v3
	v_lshlrev_b32_e32 v203, 4, v199
	ds_write_b32 v2, v9 offset:4096
	ds_write2st64_b32 v204, v8, v11 offset1:4
	s_waitcnt lgkmcnt(0)
	s_barrier
	ds_read_b128 v[8:11], v203
	v_lshlrev_b32_e32 v202, 4, v198
	ds_read_b128 v[12:15], v202 offset:4992
	ds_read_b128 v[16:19], v203 offset:512
	;; [unrolled: 1-line block ×5, first 2 shown]
	s_waitcnt lgkmcnt(5)
	v_max_f32_e32 v3, v9, v9
	s_waitcnt lgkmcnt(4)
	v_max_f32_e32 v7, v13, v13
	v_max_f32_e32 v56, v8, v8
	;; [unrolled: 1-line block ×3, first 2 shown]
	ds_read_b128 v[32:35], v202 offset:4096
	ds_read_b128 v[36:39], v202 offset:4224
	v_max_f32_e32 v112, v11, v11
	v_max_f32_e32 v122, v15, v15
	v_max_f32_e32 v113, v10, v10
	v_max_f32_e32 v123, v14, v14
	ds_read_b128 v[8:11], v202 offset:4352
	ds_read_b128 v[12:15], v202 offset:4480
	s_waitcnt lgkmcnt(4)
	v_max_f32_e32 v126, v31, v31
	v_max_f32_e32 v127, v30, v30
	s_waitcnt lgkmcnt(2)
	v_max_f32_e32 v70, v38, v38
	s_waitcnt lgkmcnt(1)
	v_max_f32_e32 v30, v8, v8
	v_max_f32_e32 v31, v9, v9
	s_waitcnt lgkmcnt(0)
	v_max_f32_e32 v40, v12, v12
	v_max_f32_e32 v74, v10, v10
	;; [unrolled: 1-line block ×3, first 2 shown]
	ds_read_b128 v[8:11], v202 offset:4608
	v_max_f32_e32 v38, v13, v13
	v_max_f32_e32 v86, v14, v14
	;; [unrolled: 1-line block ×3, first 2 shown]
	ds_read_b128 v[12:15], v202 offset:4736
	v_max_f32_e32 v58, v17, v17
	v_max_f32_e32 v59, v16, v16
	;; [unrolled: 1-line block ×6, first 2 shown]
	s_waitcnt lgkmcnt(0)
	v_max_f32_e32 v54, v12, v12
	v_max_f32_e32 v55, v13, v13
	;; [unrolled: 1-line block ×10, first 2 shown]
	v_min_f32_e32 v48, v54, v56
	v_min_f32_e32 v49, v55, v3
	v_min_f32_e32 v50, v54, v59
	v_min_f32_e32 v51, v55, v58
	v_min_f32_e32 v52, v54, v62
	v_min_f32_e32 v53, v55, v61
	v_min_f32_e32 v67, v55, v63
	v_min_f32_e32 v66, v54, v64
	v_min_f32_e32 v55, v7, v3
	v_min_f32_e32 v54, v60, v56
	v_max_f32_e32 v124, v19, v19
	v_max_f32_e32 v125, v18, v18
	;; [unrolled: 1-line block ×11, first 2 shown]
	v_min_f32_e32 v8, v16, v56
	v_min_f32_e32 v10, v16, v59
	;; [unrolled: 1-line block ×37, first 2 shown]
	v_pk_add_f32 v[54:55], v[54:55], 0 op_sel_hi:[1,0]
	v_min_f32_e32 v61, v122, v112
	v_min_f32_e32 v60, v123, v113
	v_pk_add_f32 v[98:99], v[54:55], v[60:61]
	v_pk_add_f32 v[54:55], v[56:57], 0 op_sel_hi:[1,0]
	v_min_f32_e32 v57, v122, v124
	v_min_f32_e32 v56, v123, v125
	;; [unrolled: 1-line block ×3, first 2 shown]
	v_pk_add_f32 v[82:83], v[54:55], v[56:57]
	v_pk_add_f32 v[54:55], v[58:59], 0 op_sel_hi:[1,0]
	v_min_f32_e32 v57, v122, v126
	v_min_f32_e32 v56, v123, v127
	;; [unrolled: 1-line block ×8, first 2 shown]
	v_pk_add_f32 v[64:65], v[54:55], v[56:57]
	v_pk_add_f32 v[8:9], v[8:9], 0 op_sel_hi:[1,0]
	v_min_f32_e32 v54, v68, v113
	v_min_f32_e32 v55, v69, v112
	v_pk_add_f32 v[114:115], v[8:9], v[54:55]
	v_pk_add_f32 v[8:9], v[10:11], 0 op_sel_hi:[1,0]
	v_min_f32_e32 v10, v68, v125
	v_min_f32_e32 v11, v69, v124
	v_max_f32_e32 v131, v15, v15
	v_min_f32_e32 v15, v17, v63
	v_pk_add_f32 v[96:97], v[8:9], v[10:11]
	v_pk_add_f32 v[8:9], v[12:13], 0 op_sel_hi:[1,0]
	v_min_f32_e32 v10, v68, v127
	v_min_f32_e32 v11, v69, v126
	;; [unrolled: 1-line block ×3, first 2 shown]
	v_pk_add_f32 v[80:81], v[8:9], v[10:11]
	v_min_f32_e32 v9, v69, v128
	v_min_f32_e32 v8, v68, v129
	v_pk_add_f32 v[10:11], v[14:15], 0 op_sel_hi:[1,0]
	v_max_f32_e32 v133, v23, v23
	v_min_f32_e32 v23, v25, v63
	v_min_f32_e32 v25, v31, v3
	;; [unrolled: 1-line block ×7, first 2 shown]
	v_pk_add_f32 v[62:63], v[10:11], v[8:9]
	v_pk_add_f32 v[8:9], v[16:17], 0 op_sel_hi:[1,0]
	v_min_f32_e32 v10, v70, v113
	v_min_f32_e32 v11, v71, v112
	v_pk_add_f32 v[102:103], v[8:9], v[10:11]
	v_pk_add_f32 v[8:9], v[18:19], 0 op_sel_hi:[1,0]
	v_min_f32_e32 v10, v70, v125
	v_min_f32_e32 v11, v71, v124
	;; [unrolled: 4-line block ×3, first 2 shown]
	v_pk_add_f32 v[78:79], v[8:9], v[10:11]
	v_min_f32_e32 v9, v71, v128
	v_min_f32_e32 v8, v70, v129
	v_pk_add_f32 v[10:11], v[22:23], 0 op_sel_hi:[1,0]
	v_min_f32_e32 v85, v76, v3
	v_pk_add_f32 v[60:61], v[10:11], v[8:9]
	v_pk_add_f32 v[8:9], v[24:25], 0 op_sel_hi:[1,0]
	v_min_f32_e32 v10, v74, v113
	v_min_f32_e32 v11, v75, v112
	v_pk_add_f32 v[104:105], v[8:9], v[10:11]
	v_pk_add_f32 v[8:9], v[26:27], 0 op_sel_hi:[1,0]
	v_min_f32_e32 v10, v74, v125
	;; [unrolled: 4-line block ×3, first 2 shown]
	v_min_f32_e32 v11, v75, v126
	v_pk_add_f32 v[76:77], v[8:9], v[10:11]
	v_min_f32_e32 v9, v75, v128
	v_min_f32_e32 v8, v74, v129
	v_pk_add_f32 v[10:11], v[30:31], 0 op_sel_hi:[1,0]
	s_cmp_lt_i32 s22, 9
	v_pk_add_f32 v[58:59], v[10:11], v[8:9]
	v_pk_add_f32 v[8:9], v[32:33], 0 op_sel_hi:[1,0]
	v_min_f32_e32 v10, v86, v113
	v_min_f32_e32 v11, v87, v112
	v_pk_add_f32 v[106:107], v[8:9], v[10:11]
	v_pk_add_f32 v[8:9], v[34:35], 0 op_sel_hi:[1,0]
	v_min_f32_e32 v10, v86, v125
	v_min_f32_e32 v11, v87, v124
	;; [unrolled: 4-line block ×3, first 2 shown]
	v_pk_add_f32 v[74:75], v[8:9], v[10:11]
	v_min_f32_e32 v9, v87, v128
	v_min_f32_e32 v8, v86, v129
	v_pk_add_f32 v[10:11], v[38:39], 0 op_sel_hi:[1,0]
	ds_write2st64_b32 v204, v6, v5 offset0:8 offset1:12
	ds_write_b32 v2, v1 offset:5120
	v_pk_add_f32 v[56:57], v[10:11], v[8:9]
	v_pk_add_f32 v[8:9], v[40:41], 0 op_sel_hi:[1,0]
	v_min_f32_e32 v10, v110, v113
	v_min_f32_e32 v11, v111, v112
	v_pk_add_f32 v[108:109], v[8:9], v[10:11]
	v_pk_add_f32 v[8:9], v[42:43], 0 op_sel_hi:[1,0]
	v_min_f32_e32 v10, v110, v125
	v_min_f32_e32 v11, v111, v124
	;; [unrolled: 4-line block ×3, first 2 shown]
	v_pk_add_f32 v[70:71], v[8:9], v[10:11]
	v_min_f32_e32 v9, v111, v128
	v_min_f32_e32 v8, v110, v129
	v_pk_add_f32 v[10:11], v[46:47], 0 op_sel_hi:[1,0]
	s_waitcnt lgkmcnt(0)
	v_pk_add_f32 v[54:55], v[10:11], v[8:9]
	v_pk_add_f32 v[8:9], v[48:49], 0 op_sel_hi:[1,0]
	v_min_f32_e32 v10, v130, v113
	v_min_f32_e32 v11, v131, v112
	v_pk_add_f32 v[110:111], v[8:9], v[10:11]
	v_pk_add_f32 v[8:9], v[50:51], 0 op_sel_hi:[1,0]
	v_min_f32_e32 v10, v130, v125
	v_min_f32_e32 v11, v131, v124
	;; [unrolled: 4-line block ×3, first 2 shown]
	v_pk_add_f32 v[68:69], v[8:9], v[10:11]
	v_min_f32_e32 v9, v131, v128
	v_min_f32_e32 v8, v130, v129
	v_pk_add_f32 v[10:11], v[66:67], 0 op_sel_hi:[1,0]
	s_barrier
	v_pk_add_f32 v[52:53], v[10:11], v[8:9]
	v_min_f32_e32 v8, v132, v113
	v_min_f32_e32 v9, v133, v112
	v_pk_add_f32 v[10:11], v[84:85], 0 op_sel_hi:[1,0]
	s_nop 0
	v_pk_add_f32 v[112:113], v[10:11], v[8:9]
	v_min_f32_e32 v8, v132, v125
	v_min_f32_e32 v9, v133, v124
	v_pk_add_f32 v[10:11], v[100:101], 0 op_sel_hi:[1,0]
	s_nop 0
	;; [unrolled: 5-line block ×5, first 2 shown]
	v_pk_add_f32 v[48:49], v[10:11], v[8:9]
	s_cbranch_scc1 .LBB48_34
; %bb.20:
	v_mov_b32_e32 v1, 0x1400
	v_lshl_add_u32 v209, v198, 4, v1
	v_mov_b32_e32 v1, 0x800
	v_add_u32_e32 v205, 0x1000, v2
	v_add_u32_e32 v207, 0x1400, v2
	v_lshl_add_u32 v210, v199, 4, v1
	v_mad_i64_i32 v[2:3], s[6:7], s34, v4, 0
	v_mov_b32_e32 v1, 0
	v_lshl_add_u64 v[0:1], v[2:3], 2, v[0:1]
	v_lshl_add_u64 v[0:1], v[0:1], 0, s[18:19]
	v_add_u32_e32 v206, 0x1000, v202
	v_or_b32_e32 v208, 0x800, v204
	s_add_i32 s26, s22, -8
	v_lshl_add_u64 v[100:101], v[0:1], 0, 48
	s_mov_b32 s27, 0
	s_branch .LBB48_22
.LBB48_21:                              ;   in Loop: Header=BB48_22 Depth=1
	s_or_b64 exec, exec, s[6:7]
	v_pk_add_f32 v[40:41], v[98:99], v[40:41]
	v_pk_add_f32 v[32:33], v[64:65], v[32:33]
	;; [unrolled: 1-line block ×20, first 2 shown]
	ds_read_b128 v[0:3], v203
	ds_read_b128 v[8:11], v203 offset:512
	v_pk_add_f32 v[20:21], v[114:115], v[6:7]
	ds_read_b128 v[4:7], v206 offset:896
	v_pk_add_f32 v[44:45], v[96:97], v[44:45]
	v_pk_add_f32 v[28:29], v[80:81], v[28:29]
	;; [unrolled: 1-line block ×21, first 2 shown]
	ds_read_b128 v[12:15], v206 offset:768
	s_waitcnt lgkmcnt(1)
	v_max_f32_e32 v95, v5, v5
	v_max_f32_e32 v97, v4, v4
	;; [unrolled: 1-line block ×4, first 2 shown]
	v_pk_add_f32 v[78:79], v[36:37], v[38:39]
	v_pk_add_f32 v[74:75], v[28:29], v[30:31]
	;; [unrolled: 1-line block ×6, first 2 shown]
	ds_read_b128 v[82:85], v203 offset:1536
	ds_read_b128 v[86:89], v203 offset:1024
	v_min_f32_e32 v5, v95, v98
	v_min_f32_e32 v4, v97, v99
	v_pk_add_f32 v[60:61], v[62:63], v[162:163]
	v_pk_add_f32 v[62:63], v[80:81], v[160:161]
	v_pk_add_f32 v[4:5], v[78:79], v[4:5]
	ds_read_b128 v[78:81], v206
	v_pk_add_f32 v[92:93], v[92:93], v[126:127]
	v_pk_add_f32 v[90:91], v[90:91], v[132:133]
	;; [unrolled: 1-line block ×3, first 2 shown]
	s_waitcnt lgkmcnt(1)
	v_max_f32_e32 v102, v87, v87
	v_max_f32_e32 v103, v86, v86
	v_pk_add_f32 v[106:107], v[54:55], v[142:143]
	v_pk_add_f32 v[54:55], v[92:93], v[166:167]
	;; [unrolled: 1-line block ×3, first 2 shown]
	ds_read_b128 v[90:93], v206 offset:128
	v_max_f32_e32 v94, v1, v1
	v_max_f32_e32 v96, v0, v0
	v_min_f32_e32 v9, v95, v102
	v_min_f32_e32 v8, v97, v103
	s_waitcnt lgkmcnt(1)
	v_max_f32_e32 v86, v78, v78
	v_max_f32_e32 v87, v79, v79
	v_pk_add_f32 v[8:9], v[76:77], v[8:9]
	v_min_f32_e32 v76, v86, v96
	v_min_f32_e32 v77, v87, v94
	v_pk_add_f32 v[76:77], v[68:69], v[76:77]
	v_min_f32_e32 v68, v86, v99
	v_min_f32_e32 v69, v87, v98
	;; [unrolled: 3-line block ×3, first 2 shown]
	v_max_f32_e32 v83, v83, v83
	v_max_f32_e32 v82, v82, v82
	v_pk_add_f32 v[66:67], v[24:25], v[26:27]
	v_pk_add_f32 v[74:75], v[74:75], v[68:69]
	v_min_f32_e32 v69, v87, v83
	v_min_f32_e32 v68, v86, v82
	v_pk_add_f32 v[86:87], v[66:67], v[68:69]
	s_waitcnt lgkmcnt(0)
	v_max_f32_e32 v68, v90, v90
	v_max_f32_e32 v69, v91, v91
	v_min_f32_e32 v66, v68, v96
	v_min_f32_e32 v67, v69, v94
	v_pk_add_f32 v[60:61], v[60:61], v[66:67]
	v_min_f32_e32 v66, v68, v99
	v_min_f32_e32 v67, v69, v98
	v_pk_add_f32 v[90:91], v[62:63], v[66:67]
	;; [unrolled: 3-line block ×3, first 2 shown]
	v_pk_add_f32 v[104:105], v[64:65], v[62:63]
	ds_read_b128 v[64:67], v206 offset:256
	v_min_f32_e32 v63, v69, v83
	v_min_f32_e32 v62, v68, v82
	ds_read_b128 v[68:71], v206 offset:384
	v_pk_add_f32 v[58:59], v[58:59], v[62:63]
	s_waitcnt lgkmcnt(1)
	v_max_f32_e32 v64, v64, v64
	v_max_f32_e32 v65, v65, v65
	v_min_f32_e32 v62, v64, v96
	v_min_f32_e32 v63, v65, v94
	v_pk_add_f32 v[52:53], v[52:53], v[62:63]
	v_min_f32_e32 v62, v64, v99
	v_min_f32_e32 v63, v65, v98
	v_pk_add_f32 v[54:55], v[54:55], v[62:63]
	;; [unrolled: 3-line block ×4, first 2 shown]
	v_pk_add_f32 v[106:107], v[50:51], v[62:63]
	s_waitcnt lgkmcnt(0)
	v_max_f32_e32 v62, v68, v68
	v_max_f32_e32 v63, v69, v69
	v_min_f32_e32 v50, v62, v96
	v_min_f32_e32 v51, v63, v94
	v_pk_add_f32 v[68:69], v[44:45], v[50:51]
	v_min_f32_e32 v44, v62, v99
	v_min_f32_e32 v45, v63, v98
	v_pk_add_f32 v[28:29], v[108:109], v[190:191]
	v_pk_add_f32 v[108:109], v[46:47], v[44:45]
	v_min_f32_e32 v44, v62, v103
	v_min_f32_e32 v45, v63, v102
	v_pk_add_f32 v[26:27], v[110:111], v[192:193]
	v_pk_add_f32 v[110:111], v[48:49], v[44:45]
	ds_read_b128 v[44:47], v206 offset:512
	v_min_f32_e32 v49, v63, v83
	v_min_f32_e32 v48, v62, v82
	v_pk_add_f32 v[42:43], v[42:43], v[48:49]
	ds_read_b128 v[48:51], v206 offset:640
	s_waitcnt lgkmcnt(1)
	v_max_f32_e32 v62, v44, v44
	v_max_f32_e32 v63, v45, v45
	v_min_f32_e32 v44, v62, v96
	v_min_f32_e32 v45, v63, v94
	v_pk_add_f32 v[36:37], v[36:37], v[44:45]
	v_min_f32_e32 v44, v62, v99
	v_min_f32_e32 v45, v63, v98
	v_pk_add_f32 v[38:39], v[38:39], v[44:45]
	;; [unrolled: 3-line block ×3, first 2 shown]
	v_min_f32_e32 v45, v63, v83
	v_min_f32_e32 v44, v62, v82
	s_waitcnt lgkmcnt(0)
	v_max_f32_e32 v48, v48, v48
	v_max_f32_e32 v49, v49, v49
	v_pk_add_f32 v[34:35], v[34:35], v[44:45]
	v_min_f32_e32 v44, v48, v96
	v_min_f32_e32 v45, v49, v94
	v_pk_add_f32 v[28:29], v[28:29], v[44:45]
	v_min_f32_e32 v44, v48, v99
	v_min_f32_e32 v45, v49, v98
	;; [unrolled: 3-line block ×4, first 2 shown]
	v_pk_add_f32 v[112:113], v[112:113], v[152:153]
	v_pk_add_f32 v[26:27], v[26:27], v[44:45]
	v_max_f32_e32 v44, v12, v12
	v_max_f32_e32 v45, v13, v13
	v_pk_add_f32 v[24:25], v[112:113], v[196:197]
	v_min_f32_e32 v12, v44, v96
	v_min_f32_e32 v13, v45, v94
	v_pk_add_f32 v[12:13], v[24:25], v[12:13]
	v_min_f32_e32 v24, v44, v99
	v_min_f32_e32 v25, v45, v98
	;; [unrolled: 3-line block ×4, first 2 shown]
	v_pk_add_f32 v[16:17], v[116:117], v[186:187]
	v_pk_add_f32 v[20:21], v[20:21], v[24:25]
	v_min_f32_e32 v25, v95, v83
	v_min_f32_e32 v24, v97, v82
	;; [unrolled: 1-line block ×4, first 2 shown]
	v_pk_add_f32 v[16:17], v[16:17], v[24:25]
	v_max_f32_e32 v24, v3, v3
	v_max_f32_e32 v7, v7, v7
	;; [unrolled: 1-line block ×4, first 2 shown]
	v_pk_add_f32 v[0:1], v[118:119], v[0:1]
	v_min_f32_e32 v3, v7, v24
	v_min_f32_e32 v2, v6, v25
	v_pk_add_f32 v[98:99], v[0:1], v[2:3]
	v_max_f32_e32 v2, v11, v11
	v_max_f32_e32 v3, v10, v10
	v_min_f32_e32 v1, v7, v2
	v_min_f32_e32 v0, v6, v3
	v_pk_add_f32 v[82:83], v[4:5], v[0:1]
	v_max_f32_e32 v4, v89, v89
	v_max_f32_e32 v5, v88, v88
	;; [unrolled: 5-line block ×3, first 2 shown]
	v_min_f32_e32 v0, v8, v25
	v_min_f32_e32 v1, v9, v24
	v_pk_add_f32 v[114:115], v[76:77], v[0:1]
	v_min_f32_e32 v0, v8, v3
	v_min_f32_e32 v1, v9, v2
	v_pk_add_f32 v[96:97], v[78:79], v[0:1]
	v_min_f32_e32 v0, v8, v5
	v_min_f32_e32 v1, v9, v4
	v_max_f32_e32 v10, v85, v85
	v_pk_add_f32 v[80:81], v[74:75], v[0:1]
	v_min_f32_e32 v1, v9, v10
	v_max_f32_e32 v9, v84, v84
	v_min_f32_e32 v0, v8, v9
	v_max_f32_e32 v8, v92, v92
	v_max_f32_e32 v11, v93, v93
	v_pk_add_f32 v[62:63], v[86:87], v[0:1]
	v_min_f32_e32 v0, v8, v25
	v_min_f32_e32 v1, v11, v24
	v_pk_add_f32 v[102:103], v[60:61], v[0:1]
	v_min_f32_e32 v0, v8, v3
	v_min_f32_e32 v1, v11, v2
	v_pk_add_f32 v[94:95], v[90:91], v[0:1]
	v_min_f32_e32 v0, v8, v5
	v_min_f32_e32 v1, v11, v4
	v_pk_add_f32 v[78:79], v[104:105], v[0:1]
	v_min_f32_e32 v1, v11, v10
	v_min_f32_e32 v0, v8, v9
	v_max_f32_e32 v8, v66, v66
	v_max_f32_e32 v11, v67, v67
	v_pk_add_f32 v[60:61], v[58:59], v[0:1]
	v_min_f32_e32 v0, v8, v25
	v_min_f32_e32 v1, v11, v24
	v_pk_add_f32 v[104:105], v[52:53], v[0:1]
	v_min_f32_e32 v0, v8, v3
	v_min_f32_e32 v1, v11, v2
	v_pk_add_f32 v[92:93], v[54:55], v[0:1]
	v_min_f32_e32 v0, v8, v5
	v_min_f32_e32 v1, v11, v4
	v_pk_add_f32 v[76:77], v[56:57], v[0:1]
	v_min_f32_e32 v1, v11, v10
	;; [unrolled: 14-line block ×6, first 2 shown]
	v_min_f32_e32 v0, v8, v9
	v_pk_add_f32 v[50:51], v[20:21], v[0:1]
	v_min_f32_e32 v1, v7, v10
	v_min_f32_e32 v0, v6, v9
	s_add_i32 s27, s27, 8
	v_pk_add_f32 v[48:49], v[16:17], v[0:1]
	s_cmp_ge_i32 s27, s26
	v_lshl_add_u64 v[100:101], v[100:101], 0, 32
	ds_write_b32 v207, v212
	ds_write2st64_b32 v208, v211, v213 offset1:4
	s_waitcnt lgkmcnt(0)
	s_barrier
	s_cbranch_scc1 .LBB48_34
.LBB48_22:                              ; =>This Inner Loop Header: Depth=1
	v_add_u32_e32 v116, s27, v200
	v_add_u32_e32 v0, 8, v116
	v_cmp_gt_i32_e64 s[6:7], s22, v0
	s_and_b64 s[6:7], s[6:7], vcc
	s_and_b64 s[6:7], s[10:11], s[6:7]
	v_mov_b32_e32 v118, 0
	s_and_saveexec_b64 s[18:19], s[6:7]
	s_cbranch_execz .LBB48_24
; %bb.23:                               ;   in Loop: Header=BB48_22 Depth=1
	v_add_co_u32_e64 v0, s[6:7], -16, v100
	s_nop 1
	v_addc_co_u32_e64 v1, s[6:7], -1, v101, s[6:7]
	flat_load_dword v0, v[0:1]
	s_waitcnt vmcnt(0) lgkmcnt(0)
	v_mul_f32_e32 v118, s29, v0
.LBB48_24:                              ;   in Loop: Header=BB48_22 Depth=1
	s_or_b64 exec, exec, s[18:19]
	v_add_u32_e32 v117, s27, v201
	v_add_u32_e32 v0, 8, v117
	v_cmp_le_i32_e64 s[6:7], s22, v0
	v_min_i32_e32 v0, s33, v0
	v_mad_i64_i32 v[0:1], s[18:19], v0, s23, 0
	s_or_b64 s[18:19], s[2:3], s[6:7]
	v_lshl_add_u64 v[0:1], v[0:1], 2, s[16:17]
	s_or_b64 s[18:19], s[18:19], s[14:15]
	s_xor_b64 s[34:35], s[18:19], -1
	v_mov_b32_e32 v119, 0
	v_lshl_add_u64 v[0:1], v[72:73], 2, v[0:1]
	v_mov_b32_e32 v120, 0
	s_and_saveexec_b64 s[18:19], s[34:35]
	s_cbranch_execz .LBB48_26
; %bb.25:                               ;   in Loop: Header=BB48_22 Depth=1
	flat_load_dword v2, v[0:1]
	s_waitcnt vmcnt(0) lgkmcnt(0)
	v_mul_f32_e32 v120, s29, v2
.LBB48_26:                              ;   in Loop: Header=BB48_22 Depth=1
	s_or_b64 exec, exec, s[18:19]
	s_or_b64 s[6:7], s[4:5], s[6:7]
	s_or_b64 s[6:7], s[6:7], s[14:15]
	s_xor_b64 s[18:19], s[6:7], -1
	s_and_saveexec_b64 s[6:7], s[18:19]
	s_cbranch_execz .LBB48_28
; %bb.27:                               ;   in Loop: Header=BB48_22 Depth=1
	flat_load_dword v0, v[0:1] offset:256
	s_waitcnt vmcnt(0) lgkmcnt(0)
	v_mul_f32_e32 v119, s29, v0
.LBB48_28:                              ;   in Loop: Header=BB48_22 Depth=1
	s_or_b64 exec, exec, s[6:7]
	ds_read_b128 v[40:43], v210
	ds_read_b128 v[36:39], v210 offset:512
	ds_read_b128 v[24:27], v210 offset:1536
	;; [unrolled: 1-line block ×3, first 2 shown]
	ds_read_b128 v[28:31], v209
	ds_read_b128 v[20:23], v209 offset:128
	ds_read_b128 v[16:19], v209 offset:256
	;; [unrolled: 1-line block ×7, first 2 shown]
	v_add_u32_e32 v116, 12, v116
	v_cmp_gt_i32_e64 s[6:7], s22, v116
	s_and_b64 s[6:7], s[6:7], vcc
	s_and_b64 s[18:19], s[10:11], s[6:7]
	v_mov_b32_e32 v211, 0
	v_mov_b32_e32 v212, 0
	ds_write_b32 v205, v118
	ds_write2st64_b32 v204, v120, v119 offset1:4
	s_waitcnt lgkmcnt(0)
	s_barrier
	s_and_saveexec_b64 s[6:7], s[18:19]
	s_cbranch_execz .LBB48_30
; %bb.29:                               ;   in Loop: Header=BB48_22 Depth=1
	flat_load_dword v116, v[100:101]
	s_waitcnt vmcnt(0) lgkmcnt(0)
	v_mul_f32_e32 v212, s29, v116
.LBB48_30:                              ;   in Loop: Header=BB48_22 Depth=1
	s_or_b64 exec, exec, s[6:7]
	v_add_u32_e32 v116, 12, v117
	v_cmp_le_i32_e64 s[6:7], s22, v116
	v_min_i32_e32 v116, s33, v116
	v_mad_i64_i32 v[116:117], s[18:19], v116, s23, 0
	s_or_b64 s[18:19], s[2:3], s[6:7]
	v_lshl_add_u64 v[116:117], v[116:117], 2, s[16:17]
	s_or_b64 s[18:19], s[18:19], s[14:15]
	s_xor_b64 s[34:35], s[18:19], -1
	v_lshl_add_u64 v[116:117], v[72:73], 2, v[116:117]
	s_and_saveexec_b64 s[18:19], s[34:35]
	s_cbranch_execz .LBB48_32
; %bb.31:                               ;   in Loop: Header=BB48_22 Depth=1
	flat_load_dword v118, v[116:117]
	s_waitcnt vmcnt(0) lgkmcnt(0)
	v_mul_f32_e32 v211, s29, v118
.LBB48_32:                              ;   in Loop: Header=BB48_22 Depth=1
	s_or_b64 exec, exec, s[18:19]
	v_max_f32_e32 v150, v41, v41
	v_max_f32_e32 v156, v45, v45
	;; [unrolled: 1-line block ×34, first 2 shown]
	s_or_b64 s[6:7], s[4:5], s[6:7]
	v_min_f32_e32 v41, v156, v150
	v_min_f32_e32 v40, v158, v151
	;; [unrolled: 1-line block ×62, first 2 shown]
	v_max_f32_e32 v187, v47, v47
	v_max_f32_e32 v213, v46, v46
	;; [unrolled: 1-line block ×12, first 2 shown]
	v_min_f32_e32 v190, v6, v194
	v_min_f32_e32 v191, v7, v186
	;; [unrolled: 1-line block ×8, first 2 shown]
	v_max_f32_e32 v6, v2, v2
	v_max_f32_e32 v7, v3, v3
	s_or_b64 s[6:7], s[6:7], s[14:15]
	v_min_f32_e32 v32, v158, v159
	v_min_f32_e32 v0, v162, v159
	;; [unrolled: 1-line block ×58, first 2 shown]
	s_xor_b64 s[18:19], s[6:7], -1
	v_mov_b32_e32 v213, 0
	s_and_saveexec_b64 s[6:7], s[18:19]
	s_cbranch_execz .LBB48_21
; %bb.33:                               ;   in Loop: Header=BB48_22 Depth=1
	flat_load_dword v116, v[116:117] offset:256
	s_waitcnt vmcnt(0) lgkmcnt(0)
	v_mul_f32_e32 v213, s29, v116
	s_branch .LBB48_21
.LBB48_34:
	s_load_dwordx2 s[2:3], s[0:1], 0x78
	s_load_dword s33, s[0:1], 0x58
	s_load_dword s29, s[0:1], 0x70
	ds_read_b128 v[44:47], v203 offset:2048
	ds_read_b128 v[40:43], v203 offset:2560
	ds_read_b128 v[0:3], v203 offset:3584
	ds_read_b128 v[36:39], v203 offset:3072
	ds_read_b128 v[32:35], v202 offset:5120
	ds_read_b128 v[28:31], v202 offset:5248
	ds_read_b128 v[24:27], v202 offset:5376
	ds_read_b128 v[20:23], v202 offset:5504
	ds_read_b128 v[16:19], v202 offset:5632
	ds_read_b128 v[12:15], v202 offset:5760
	ds_read_b128 v[4:7], v202 offset:6016
	ds_read_b128 v[8:11], v202 offset:5888
	s_waitcnt lgkmcnt(0)
	s_lshl_b64 s[0:1], s[2:3], 2
	s_add_u32 s22, s12, s0
	v_add_u32_e32 v120, s31, v199
	s_addc_u32 s23, s13, s1
	v_mad_i64_i32 v[100:101], s[0:1], v120, s33, 0
	v_add_u32_e32 v72, s30, v198
	v_lshl_add_u64 v[118:119], v[100:101], 2, s[24:25]
	v_mad_i64_i32 v[100:101], s[0:1], v120, s29, 0
	v_cmp_gt_i32_e64 s[18:19], s21, v120
	v_lshl_add_u64 v[116:117], v[100:101], 2, s[22:23]
	v_cmp_gt_i32_e64 s[2:3], s20, v72
	v_cndmask_b32_e64 v100, 0, 1, s[8:9]
	s_and_b64 s[6:7], s[2:3], s[18:19]
	v_ashrrev_i32_e32 v73, 31, v72
	v_cmp_ne_u32_e64 s[0:1], 1, v100
	s_and_saveexec_b64 s[4:5], s[6:7]
	s_cbranch_execz .LBB48_39
; %bb.35:
	s_and_b64 vcc, exec, s[0:1]
	s_cbranch_vccnz .LBB48_37
; %bb.36:
	v_lshl_add_u64 v[100:101], v[72:73], 2, v[118:119]
	flat_load_dword v100, v[100:101]
	s_waitcnt vmcnt(0) lgkmcnt(0)
	v_mul_f32_e32 v100, s28, v100
	s_branch .LBB48_38
.LBB48_37:
	v_mov_b32_e32 v100, 0
.LBB48_38:
	v_max_f32_e32 v101, v44, v44
	v_max_f32_e32 v121, v32, v32
	v_min_f32_e32 v122, v121, v101
	v_max_f32_e32 v101, v45, v45
	v_max_f32_e32 v121, v33, v33
	v_min_f32_e32 v123, v121, v101
	v_max_f32_e32 v101, v46, v46
	v_max_f32_e32 v121, v34, v34
	v_pk_add_f32 v[114:115], v[114:115], v[122:123]
	v_min_f32_e32 v122, v121, v101
	v_max_f32_e32 v101, v47, v47
	v_max_f32_e32 v121, v35, v35
	v_min_f32_e32 v123, v121, v101
	v_pk_add_f32 v[114:115], v[114:115], v[122:123]
	s_nop 0
	v_add_f32_e32 v101, v114, v115
	v_add_f32_e32 v114, v101, v100
	v_lshl_add_u64 v[100:101], v[72:73], 2, v[116:117]
	global_store_dword v[100:101], v114, off
.LBB48_39:
	s_or_b64 exec, exec, s[4:5]
	v_add_u32_e32 v100, 8, v72
	v_cmp_gt_i32_e64 s[4:5], s20, v100
	s_and_b64 s[8:9], s[4:5], s[18:19]
	v_ashrrev_i32_e32 v101, 31, v100
	s_and_saveexec_b64 s[6:7], s[8:9]
	s_cbranch_execz .LBB48_44
; %bb.40:
	s_and_b64 vcc, exec, s[0:1]
	s_cbranch_vccnz .LBB48_42
; %bb.41:
	v_lshl_add_u64 v[114:115], v[100:101], 2, v[118:119]
	flat_load_dword v114, v[114:115]
	s_waitcnt vmcnt(0) lgkmcnt(0)
	v_mul_f32_e32 v114, s28, v114
	s_branch .LBB48_43
.LBB48_42:
	v_mov_b32_e32 v114, 0
.LBB48_43:
	v_max_f32_e32 v115, v44, v44
	v_max_f32_e32 v121, v28, v28
	v_min_f32_e32 v122, v121, v115
	v_max_f32_e32 v115, v45, v45
	v_max_f32_e32 v121, v29, v29
	v_min_f32_e32 v123, v121, v115
	v_max_f32_e32 v115, v46, v46
	v_max_f32_e32 v121, v30, v30
	v_pk_add_f32 v[102:103], v[102:103], v[122:123]
	v_min_f32_e32 v122, v121, v115
	v_max_f32_e32 v115, v47, v47
	v_max_f32_e32 v121, v31, v31
	v_min_f32_e32 v123, v121, v115
	v_pk_add_f32 v[102:103], v[102:103], v[122:123]
	s_nop 0
	v_add_f32_e32 v102, v102, v103
	v_add_f32_e32 v114, v102, v114
	v_lshl_add_u64 v[102:103], v[100:101], 2, v[116:117]
	global_store_dword v[102:103], v114, off
.LBB48_44:
	s_or_b64 exec, exec, s[6:7]
	v_add_u32_e32 v102, 16, v72
	v_cmp_gt_i32_e64 s[6:7], s20, v102
	s_and_b64 s[10:11], s[6:7], s[18:19]
	v_ashrrev_i32_e32 v103, 31, v102
	;; [unrolled: 39-line block ×7, first 2 shown]
	s_and_saveexec_b64 s[18:19], s[26:27]
	s_cbranch_execz .LBB48_74
; %bb.70:
	s_and_b64 vcc, exec, s[0:1]
	s_cbranch_vccnz .LBB48_72
; %bb.71:
	v_lshl_add_u64 v[114:115], v[112:113], 2, v[118:119]
	flat_load_dword v114, v[114:115]
	s_waitcnt vmcnt(0) lgkmcnt(0)
	v_mul_f32_e32 v114, s28, v114
	s_branch .LBB48_73
.LBB48_72:
	v_mov_b32_e32 v114, 0
.LBB48_73:
	v_max_f32_e32 v45, v45, v45
	v_max_f32_e32 v115, v5, v5
	v_min_f32_e32 v45, v115, v45
	v_max_f32_e32 v44, v44, v44
	v_max_f32_e32 v115, v4, v4
	v_min_f32_e32 v44, v115, v44
	v_pk_add_f32 v[44:45], v[98:99], v[44:45]
	v_max_f32_e32 v47, v47, v47
	v_max_f32_e32 v98, v7, v7
	v_min_f32_e32 v47, v98, v47
	v_max_f32_e32 v46, v46, v46
	v_max_f32_e32 v98, v6, v6
	v_min_f32_e32 v46, v98, v46
	v_pk_add_f32 v[44:45], v[44:45], v[46:47]
	s_nop 0
	v_add_f32_e32 v44, v44, v45
	v_add_f32_e32 v46, v44, v114
	v_lshl_add_u64 v[44:45], v[112:113], 2, v[116:117]
	global_store_dword v[44:45], v46, off
.LBB48_74:
	s_or_b64 exec, exec, s[18:19]
	v_add_u32_e32 v98, 32, v120
	v_mad_i64_i32 v[44:45], s[26:27], v98, s33, 0
	v_cmp_gt_i32_e64 s[18:19], s21, v98
	v_lshl_add_u64 v[46:47], v[44:45], 2, s[24:25]
	v_mad_i64_i32 v[44:45], s[26:27], v98, s29, 0
	v_lshl_add_u64 v[44:45], v[44:45], 2, s[22:23]
	s_and_b64 s[30:31], s[2:3], s[18:19]
	s_and_saveexec_b64 s[26:27], s[30:31]
	s_cbranch_execnz .LBB48_82
; %bb.75:
	s_or_b64 exec, exec, s[26:27]
	s_and_b64 s[30:31], s[4:5], s[18:19]
	s_and_saveexec_b64 s[26:27], s[30:31]
	s_cbranch_execnz .LBB48_86
.LBB48_76:
	s_or_b64 exec, exec, s[26:27]
	s_and_b64 s[30:31], s[6:7], s[18:19]
	s_and_saveexec_b64 s[26:27], s[30:31]
	s_cbranch_execnz .LBB48_90
.LBB48_77:
	s_or_b64 exec, exec, s[26:27]
	s_and_b64 s[30:31], s[8:9], s[18:19]
	s_and_saveexec_b64 s[26:27], s[30:31]
	s_cbranch_execnz .LBB48_94
.LBB48_78:
	s_or_b64 exec, exec, s[26:27]
	s_and_b64 s[30:31], s[10:11], s[18:19]
	s_and_saveexec_b64 s[26:27], s[30:31]
	s_cbranch_execnz .LBB48_98
.LBB48_79:
	s_or_b64 exec, exec, s[26:27]
	s_and_b64 s[30:31], s[12:13], s[18:19]
	s_and_saveexec_b64 s[26:27], s[30:31]
	s_cbranch_execnz .LBB48_102
.LBB48_80:
	s_or_b64 exec, exec, s[26:27]
	s_and_b64 s[30:31], s[14:15], s[18:19]
	s_and_saveexec_b64 s[26:27], s[30:31]
	s_cbranch_execnz .LBB48_106
.LBB48_81:
	s_or_b64 exec, exec, s[26:27]
	s_and_b64 s[26:27], s[16:17], s[18:19]
	s_and_saveexec_b64 s[18:19], s[26:27]
	s_cbranch_execnz .LBB48_110
	s_branch .LBB48_114
.LBB48_82:
	s_and_b64 vcc, exec, s[0:1]
	s_cbranch_vccnz .LBB48_84
; %bb.83:
	v_lshl_add_u64 v[98:99], v[72:73], 2, v[46:47]
	flat_load_dword v98, v[98:99]
	s_waitcnt vmcnt(0) lgkmcnt(0)
	v_mul_f32_e32 v98, s28, v98
	s_branch .LBB48_85
.LBB48_84:
	v_mov_b32_e32 v98, 0
.LBB48_85:
	v_max_f32_e32 v99, v40, v40
	v_max_f32_e32 v114, v32, v32
	v_min_f32_e32 v114, v114, v99
	v_max_f32_e32 v99, v41, v41
	v_max_f32_e32 v115, v33, v33
	v_min_f32_e32 v115, v115, v99
	v_pk_add_f32 v[96:97], v[96:97], v[114:115]
	v_max_f32_e32 v99, v42, v42
	v_max_f32_e32 v114, v34, v34
	v_min_f32_e32 v114, v114, v99
	v_max_f32_e32 v99, v43, v43
	v_max_f32_e32 v115, v35, v35
	v_min_f32_e32 v115, v115, v99
	v_pk_add_f32 v[96:97], v[96:97], v[114:115]
	s_nop 0
	v_add_f32_e32 v96, v96, v97
	v_add_f32_e32 v98, v96, v98
	v_lshl_add_u64 v[96:97], v[72:73], 2, v[44:45]
	global_store_dword v[96:97], v98, off
	s_or_b64 exec, exec, s[26:27]
	s_and_b64 s[30:31], s[4:5], s[18:19]
	s_and_saveexec_b64 s[26:27], s[30:31]
	s_cbranch_execz .LBB48_76
.LBB48_86:
	s_and_b64 vcc, exec, s[0:1]
	s_cbranch_vccnz .LBB48_88
; %bb.87:
	v_lshl_add_u64 v[96:97], v[100:101], 2, v[46:47]
	flat_load_dword v96, v[96:97]
	s_waitcnt vmcnt(0) lgkmcnt(0)
	v_mul_f32_e32 v96, s28, v96
	s_branch .LBB48_89
.LBB48_88:
	v_mov_b32_e32 v96, 0
.LBB48_89:
	v_max_f32_e32 v97, v40, v40
	v_max_f32_e32 v98, v28, v28
	v_min_f32_e32 v98, v98, v97
	v_max_f32_e32 v97, v41, v41
	v_max_f32_e32 v99, v29, v29
	v_min_f32_e32 v99, v99, v97
	v_pk_add_f32 v[94:95], v[94:95], v[98:99]
	v_max_f32_e32 v97, v42, v42
	v_max_f32_e32 v98, v30, v30
	v_min_f32_e32 v98, v98, v97
	v_max_f32_e32 v97, v43, v43
	v_max_f32_e32 v99, v31, v31
	v_min_f32_e32 v99, v99, v97
	v_pk_add_f32 v[94:95], v[94:95], v[98:99]
	s_nop 0
	v_add_f32_e32 v94, v94, v95
	v_add_f32_e32 v96, v94, v96
	v_lshl_add_u64 v[94:95], v[100:101], 2, v[44:45]
	global_store_dword v[94:95], v96, off
	s_or_b64 exec, exec, s[26:27]
	s_and_b64 s[30:31], s[6:7], s[18:19]
	s_and_saveexec_b64 s[26:27], s[30:31]
	s_cbranch_execz .LBB48_77
.LBB48_90:
	s_and_b64 vcc, exec, s[0:1]
	s_cbranch_vccnz .LBB48_92
; %bb.91:
	v_lshl_add_u64 v[94:95], v[102:103], 2, v[46:47]
	flat_load_dword v94, v[94:95]
	s_waitcnt vmcnt(0) lgkmcnt(0)
	v_mul_f32_e32 v94, s28, v94
	s_branch .LBB48_93
.LBB48_92:
	v_mov_b32_e32 v94, 0
.LBB48_93:
	v_max_f32_e32 v95, v40, v40
	v_max_f32_e32 v96, v24, v24
	v_min_f32_e32 v96, v96, v95
	v_max_f32_e32 v95, v41, v41
	v_max_f32_e32 v97, v25, v25
	v_min_f32_e32 v97, v97, v95
	v_pk_add_f32 v[92:93], v[92:93], v[96:97]
	v_max_f32_e32 v95, v42, v42
	v_max_f32_e32 v96, v26, v26
	v_min_f32_e32 v96, v96, v95
	v_max_f32_e32 v95, v43, v43
	v_max_f32_e32 v97, v27, v27
	v_min_f32_e32 v97, v97, v95
	v_pk_add_f32 v[92:93], v[92:93], v[96:97]
	s_nop 0
	v_add_f32_e32 v92, v92, v93
	v_add_f32_e32 v94, v92, v94
	v_lshl_add_u64 v[92:93], v[102:103], 2, v[44:45]
	global_store_dword v[92:93], v94, off
	s_or_b64 exec, exec, s[26:27]
	s_and_b64 s[30:31], s[8:9], s[18:19]
	s_and_saveexec_b64 s[26:27], s[30:31]
	s_cbranch_execz .LBB48_78
.LBB48_94:
	s_and_b64 vcc, exec, s[0:1]
	s_cbranch_vccnz .LBB48_96
; %bb.95:
	v_lshl_add_u64 v[92:93], v[104:105], 2, v[46:47]
	flat_load_dword v92, v[92:93]
	s_waitcnt vmcnt(0) lgkmcnt(0)
	v_mul_f32_e32 v92, s28, v92
	s_branch .LBB48_97
.LBB48_96:
	v_mov_b32_e32 v92, 0
.LBB48_97:
	v_max_f32_e32 v93, v40, v40
	v_max_f32_e32 v94, v20, v20
	v_min_f32_e32 v94, v94, v93
	v_max_f32_e32 v93, v41, v41
	v_max_f32_e32 v95, v21, v21
	v_min_f32_e32 v95, v95, v93
	v_pk_add_f32 v[90:91], v[90:91], v[94:95]
	v_max_f32_e32 v93, v42, v42
	v_max_f32_e32 v94, v22, v22
	v_min_f32_e32 v94, v94, v93
	v_max_f32_e32 v93, v43, v43
	v_max_f32_e32 v95, v23, v23
	v_min_f32_e32 v95, v95, v93
	v_pk_add_f32 v[90:91], v[90:91], v[94:95]
	s_nop 0
	v_add_f32_e32 v90, v90, v91
	v_add_f32_e32 v92, v90, v92
	v_lshl_add_u64 v[90:91], v[104:105], 2, v[44:45]
	global_store_dword v[90:91], v92, off
	s_or_b64 exec, exec, s[26:27]
	s_and_b64 s[30:31], s[10:11], s[18:19]
	s_and_saveexec_b64 s[26:27], s[30:31]
	s_cbranch_execz .LBB48_79
.LBB48_98:
	s_and_b64 vcc, exec, s[0:1]
	s_cbranch_vccnz .LBB48_100
; %bb.99:
	v_lshl_add_u64 v[90:91], v[106:107], 2, v[46:47]
	flat_load_dword v90, v[90:91]
	s_waitcnt vmcnt(0) lgkmcnt(0)
	v_mul_f32_e32 v90, s28, v90
	s_branch .LBB48_101
.LBB48_100:
	v_mov_b32_e32 v90, 0
.LBB48_101:
	v_max_f32_e32 v91, v40, v40
	v_max_f32_e32 v92, v16, v16
	v_min_f32_e32 v92, v92, v91
	v_max_f32_e32 v91, v41, v41
	v_max_f32_e32 v93, v17, v17
	v_min_f32_e32 v93, v93, v91
	v_pk_add_f32 v[88:89], v[88:89], v[92:93]
	v_max_f32_e32 v91, v42, v42
	v_max_f32_e32 v92, v18, v18
	v_min_f32_e32 v92, v92, v91
	v_max_f32_e32 v91, v43, v43
	v_max_f32_e32 v93, v19, v19
	v_min_f32_e32 v93, v93, v91
	v_pk_add_f32 v[88:89], v[88:89], v[92:93]
	s_nop 0
	v_add_f32_e32 v88, v88, v89
	v_add_f32_e32 v90, v88, v90
	v_lshl_add_u64 v[88:89], v[106:107], 2, v[44:45]
	global_store_dword v[88:89], v90, off
	s_or_b64 exec, exec, s[26:27]
	s_and_b64 s[30:31], s[12:13], s[18:19]
	s_and_saveexec_b64 s[26:27], s[30:31]
	s_cbranch_execz .LBB48_80
.LBB48_102:
	s_and_b64 vcc, exec, s[0:1]
	s_cbranch_vccnz .LBB48_104
; %bb.103:
	v_lshl_add_u64 v[88:89], v[108:109], 2, v[46:47]
	flat_load_dword v88, v[88:89]
	s_waitcnt vmcnt(0) lgkmcnt(0)
	v_mul_f32_e32 v88, s28, v88
	s_branch .LBB48_105
.LBB48_104:
	v_mov_b32_e32 v88, 0
.LBB48_105:
	v_max_f32_e32 v89, v40, v40
	v_max_f32_e32 v90, v12, v12
	v_min_f32_e32 v90, v90, v89
	v_max_f32_e32 v89, v41, v41
	v_max_f32_e32 v91, v13, v13
	v_min_f32_e32 v91, v91, v89
	v_pk_add_f32 v[86:87], v[86:87], v[90:91]
	v_max_f32_e32 v89, v42, v42
	v_max_f32_e32 v90, v14, v14
	v_min_f32_e32 v90, v90, v89
	v_max_f32_e32 v89, v43, v43
	v_max_f32_e32 v91, v15, v15
	v_min_f32_e32 v91, v91, v89
	v_pk_add_f32 v[86:87], v[86:87], v[90:91]
	s_nop 0
	v_add_f32_e32 v86, v86, v87
	v_add_f32_e32 v88, v86, v88
	v_lshl_add_u64 v[86:87], v[108:109], 2, v[44:45]
	global_store_dword v[86:87], v88, off
	s_or_b64 exec, exec, s[26:27]
	s_and_b64 s[30:31], s[14:15], s[18:19]
	s_and_saveexec_b64 s[26:27], s[30:31]
	s_cbranch_execz .LBB48_81
.LBB48_106:
	s_and_b64 vcc, exec, s[0:1]
	s_cbranch_vccnz .LBB48_108
; %bb.107:
	v_lshl_add_u64 v[86:87], v[110:111], 2, v[46:47]
	flat_load_dword v86, v[86:87]
	s_waitcnt vmcnt(0) lgkmcnt(0)
	v_mul_f32_e32 v86, s28, v86
	s_branch .LBB48_109
.LBB48_108:
	v_mov_b32_e32 v86, 0
.LBB48_109:
	v_max_f32_e32 v87, v40, v40
	v_max_f32_e32 v88, v8, v8
	v_min_f32_e32 v88, v88, v87
	v_max_f32_e32 v87, v41, v41
	v_max_f32_e32 v89, v9, v9
	v_min_f32_e32 v89, v89, v87
	v_pk_add_f32 v[84:85], v[84:85], v[88:89]
	v_max_f32_e32 v87, v42, v42
	v_max_f32_e32 v88, v10, v10
	v_min_f32_e32 v88, v88, v87
	v_max_f32_e32 v87, v43, v43
	v_max_f32_e32 v89, v11, v11
	v_min_f32_e32 v89, v89, v87
	v_pk_add_f32 v[84:85], v[84:85], v[88:89]
	s_nop 0
	v_add_f32_e32 v84, v84, v85
	v_add_f32_e32 v86, v84, v86
	v_lshl_add_u64 v[84:85], v[110:111], 2, v[44:45]
	global_store_dword v[84:85], v86, off
	s_or_b64 exec, exec, s[26:27]
	s_and_b64 s[26:27], s[16:17], s[18:19]
	s_and_saveexec_b64 s[18:19], s[26:27]
	s_cbranch_execz .LBB48_114
.LBB48_110:
	s_and_b64 vcc, exec, s[0:1]
	s_cbranch_vccnz .LBB48_112
; %bb.111:
	v_lshl_add_u64 v[46:47], v[112:113], 2, v[46:47]
	flat_load_dword v46, v[46:47]
	s_waitcnt vmcnt(0) lgkmcnt(0)
	v_mul_f32_e32 v46, s28, v46
	s_branch .LBB48_113
.LBB48_112:
	v_mov_b32_e32 v46, 0
.LBB48_113:
	v_max_f32_e32 v41, v41, v41
	v_max_f32_e32 v47, v5, v5
	v_min_f32_e32 v41, v47, v41
	v_max_f32_e32 v40, v40, v40
	v_max_f32_e32 v47, v4, v4
	v_min_f32_e32 v40, v47, v40
	;; [unrolled: 3-line block ×3, first 2 shown]
	v_max_f32_e32 v42, v42, v42
	v_max_f32_e32 v47, v6, v6
	v_pk_add_f32 v[40:41], v[82:83], v[40:41]
	v_min_f32_e32 v42, v47, v42
	v_pk_add_f32 v[40:41], v[40:41], v[42:43]
	s_nop 0
	v_add_f32_e32 v40, v40, v41
	v_add_f32_e32 v42, v40, v46
	v_lshl_add_u64 v[40:41], v[112:113], 2, v[44:45]
	global_store_dword v[40:41], v42, off
.LBB48_114:
	s_or_b64 exec, exec, s[18:19]
	v_add_u32_e32 v44, 64, v120
	v_mad_i64_i32 v[40:41], s[26:27], v44, s33, 0
	v_cmp_gt_i32_e64 s[18:19], s21, v44
	v_lshl_add_u64 v[42:43], v[40:41], 2, s[24:25]
	v_mad_i64_i32 v[40:41], s[26:27], v44, s29, 0
	v_lshl_add_u64 v[40:41], v[40:41], 2, s[22:23]
	s_and_b64 s[30:31], s[2:3], s[18:19]
	s_and_saveexec_b64 s[26:27], s[30:31]
	s_cbranch_execnz .LBB48_122
; %bb.115:
	s_or_b64 exec, exec, s[26:27]
	s_and_b64 s[30:31], s[4:5], s[18:19]
	s_and_saveexec_b64 s[26:27], s[30:31]
	s_cbranch_execnz .LBB48_126
.LBB48_116:
	s_or_b64 exec, exec, s[26:27]
	s_and_b64 s[30:31], s[6:7], s[18:19]
	s_and_saveexec_b64 s[26:27], s[30:31]
	s_cbranch_execnz .LBB48_130
.LBB48_117:
	s_or_b64 exec, exec, s[26:27]
	s_and_b64 s[30:31], s[8:9], s[18:19]
	s_and_saveexec_b64 s[26:27], s[30:31]
	s_cbranch_execnz .LBB48_134
.LBB48_118:
	s_or_b64 exec, exec, s[26:27]
	s_and_b64 s[30:31], s[10:11], s[18:19]
	s_and_saveexec_b64 s[26:27], s[30:31]
	s_cbranch_execnz .LBB48_138
.LBB48_119:
	s_or_b64 exec, exec, s[26:27]
	s_and_b64 s[30:31], s[12:13], s[18:19]
	s_and_saveexec_b64 s[26:27], s[30:31]
	s_cbranch_execnz .LBB48_142
.LBB48_120:
	s_or_b64 exec, exec, s[26:27]
	s_and_b64 s[30:31], s[14:15], s[18:19]
	s_and_saveexec_b64 s[26:27], s[30:31]
	s_cbranch_execnz .LBB48_146
.LBB48_121:
	s_or_b64 exec, exec, s[26:27]
	s_and_b64 s[26:27], s[16:17], s[18:19]
	s_and_saveexec_b64 s[18:19], s[26:27]
	s_cbranch_execnz .LBB48_150
	s_branch .LBB48_154
.LBB48_122:
	s_and_b64 vcc, exec, s[0:1]
	s_cbranch_vccnz .LBB48_124
; %bb.123:
	v_lshl_add_u64 v[44:45], v[72:73], 2, v[42:43]
	flat_load_dword v44, v[44:45]
	s_waitcnt vmcnt(0) lgkmcnt(0)
	v_mul_f32_e32 v44, s28, v44
	s_branch .LBB48_125
.LBB48_124:
	v_mov_b32_e32 v44, 0
.LBB48_125:
	v_max_f32_e32 v45, v36, v36
	v_max_f32_e32 v46, v32, v32
	v_min_f32_e32 v46, v46, v45
	v_max_f32_e32 v45, v37, v37
	v_max_f32_e32 v47, v33, v33
	v_min_f32_e32 v47, v47, v45
	v_pk_add_f32 v[46:47], v[80:81], v[46:47]
	v_max_f32_e32 v45, v38, v38
	v_max_f32_e32 v80, v34, v34
	v_min_f32_e32 v80, v80, v45
	v_max_f32_e32 v45, v39, v39
	v_max_f32_e32 v81, v35, v35
	v_min_f32_e32 v81, v81, v45
	v_pk_add_f32 v[46:47], v[46:47], v[80:81]
	s_nop 0
	v_add_f32_e32 v45, v46, v47
	v_add_f32_e32 v46, v45, v44
	v_lshl_add_u64 v[44:45], v[72:73], 2, v[40:41]
	global_store_dword v[44:45], v46, off
	s_or_b64 exec, exec, s[26:27]
	s_and_b64 s[30:31], s[4:5], s[18:19]
	s_and_saveexec_b64 s[26:27], s[30:31]
	s_cbranch_execz .LBB48_116
.LBB48_126:
	s_and_b64 vcc, exec, s[0:1]
	s_cbranch_vccnz .LBB48_128
; %bb.127:
	v_lshl_add_u64 v[44:45], v[100:101], 2, v[42:43]
	flat_load_dword v44, v[44:45]
	s_waitcnt vmcnt(0) lgkmcnt(0)
	v_mul_f32_e32 v44, s28, v44
	s_branch .LBB48_129
.LBB48_128:
	v_mov_b32_e32 v44, 0
.LBB48_129:
	v_max_f32_e32 v45, v36, v36
	v_max_f32_e32 v46, v28, v28
	v_min_f32_e32 v46, v46, v45
	v_max_f32_e32 v45, v37, v37
	v_max_f32_e32 v47, v29, v29
	v_min_f32_e32 v47, v47, v45
	v_pk_add_f32 v[46:47], v[78:79], v[46:47]
	v_max_f32_e32 v45, v38, v38
	v_max_f32_e32 v78, v30, v30
	v_min_f32_e32 v78, v78, v45
	v_max_f32_e32 v45, v39, v39
	v_max_f32_e32 v79, v31, v31
	v_min_f32_e32 v79, v79, v45
	v_pk_add_f32 v[46:47], v[46:47], v[78:79]
	s_nop 0
	v_add_f32_e32 v45, v46, v47
	v_add_f32_e32 v46, v45, v44
	v_lshl_add_u64 v[44:45], v[100:101], 2, v[40:41]
	global_store_dword v[44:45], v46, off
	s_or_b64 exec, exec, s[26:27]
	s_and_b64 s[30:31], s[6:7], s[18:19]
	s_and_saveexec_b64 s[26:27], s[30:31]
	s_cbranch_execz .LBB48_117
.LBB48_130:
	s_and_b64 vcc, exec, s[0:1]
	s_cbranch_vccnz .LBB48_132
; %bb.131:
	v_lshl_add_u64 v[44:45], v[102:103], 2, v[42:43]
	flat_load_dword v44, v[44:45]
	s_waitcnt vmcnt(0) lgkmcnt(0)
	v_mul_f32_e32 v44, s28, v44
	s_branch .LBB48_133
.LBB48_132:
	v_mov_b32_e32 v44, 0
.LBB48_133:
	v_max_f32_e32 v45, v36, v36
	v_max_f32_e32 v46, v24, v24
	v_min_f32_e32 v46, v46, v45
	v_max_f32_e32 v45, v37, v37
	v_max_f32_e32 v47, v25, v25
	v_min_f32_e32 v47, v47, v45
	v_pk_add_f32 v[46:47], v[76:77], v[46:47]
	v_max_f32_e32 v45, v38, v38
	v_max_f32_e32 v76, v26, v26
	v_min_f32_e32 v76, v76, v45
	v_max_f32_e32 v45, v39, v39
	v_max_f32_e32 v77, v27, v27
	v_min_f32_e32 v77, v77, v45
	v_pk_add_f32 v[46:47], v[46:47], v[76:77]
	s_nop 0
	v_add_f32_e32 v45, v46, v47
	v_add_f32_e32 v46, v45, v44
	v_lshl_add_u64 v[44:45], v[102:103], 2, v[40:41]
	global_store_dword v[44:45], v46, off
	s_or_b64 exec, exec, s[26:27]
	s_and_b64 s[30:31], s[8:9], s[18:19]
	s_and_saveexec_b64 s[26:27], s[30:31]
	s_cbranch_execz .LBB48_118
.LBB48_134:
	s_and_b64 vcc, exec, s[0:1]
	s_cbranch_vccnz .LBB48_136
; %bb.135:
	v_lshl_add_u64 v[44:45], v[104:105], 2, v[42:43]
	flat_load_dword v44, v[44:45]
	s_waitcnt vmcnt(0) lgkmcnt(0)
	v_mul_f32_e32 v44, s28, v44
	s_branch .LBB48_137
.LBB48_136:
	v_mov_b32_e32 v44, 0
.LBB48_137:
	v_max_f32_e32 v45, v36, v36
	v_max_f32_e32 v46, v20, v20
	v_min_f32_e32 v46, v46, v45
	v_max_f32_e32 v45, v37, v37
	v_max_f32_e32 v47, v21, v21
	v_min_f32_e32 v47, v47, v45
	v_pk_add_f32 v[46:47], v[74:75], v[46:47]
	v_max_f32_e32 v45, v38, v38
	v_max_f32_e32 v74, v22, v22
	v_min_f32_e32 v74, v74, v45
	v_max_f32_e32 v45, v39, v39
	v_max_f32_e32 v75, v23, v23
	v_min_f32_e32 v75, v75, v45
	v_pk_add_f32 v[46:47], v[46:47], v[74:75]
	s_nop 0
	v_add_f32_e32 v45, v46, v47
	v_add_f32_e32 v46, v45, v44
	v_lshl_add_u64 v[44:45], v[104:105], 2, v[40:41]
	global_store_dword v[44:45], v46, off
	s_or_b64 exec, exec, s[26:27]
	s_and_b64 s[30:31], s[10:11], s[18:19]
	s_and_saveexec_b64 s[26:27], s[30:31]
	s_cbranch_execz .LBB48_119
.LBB48_138:
	s_and_b64 vcc, exec, s[0:1]
	s_cbranch_vccnz .LBB48_140
; %bb.139:
	v_lshl_add_u64 v[44:45], v[106:107], 2, v[42:43]
	flat_load_dword v44, v[44:45]
	s_waitcnt vmcnt(0) lgkmcnt(0)
	v_mul_f32_e32 v44, s28, v44
	s_branch .LBB48_141
.LBB48_140:
	v_mov_b32_e32 v44, 0
.LBB48_141:
	v_max_f32_e32 v45, v36, v36
	v_max_f32_e32 v46, v16, v16
	v_min_f32_e32 v46, v46, v45
	v_max_f32_e32 v45, v37, v37
	v_max_f32_e32 v47, v17, v17
	v_min_f32_e32 v47, v47, v45
	v_pk_add_f32 v[46:47], v[70:71], v[46:47]
	v_max_f32_e32 v45, v38, v38
	v_max_f32_e32 v70, v18, v18
	v_min_f32_e32 v70, v70, v45
	v_max_f32_e32 v45, v39, v39
	v_max_f32_e32 v71, v19, v19
	v_min_f32_e32 v71, v71, v45
	v_pk_add_f32 v[46:47], v[46:47], v[70:71]
	s_nop 0
	v_add_f32_e32 v45, v46, v47
	v_add_f32_e32 v46, v45, v44
	v_lshl_add_u64 v[44:45], v[106:107], 2, v[40:41]
	global_store_dword v[44:45], v46, off
	s_or_b64 exec, exec, s[26:27]
	s_and_b64 s[30:31], s[12:13], s[18:19]
	s_and_saveexec_b64 s[26:27], s[30:31]
	s_cbranch_execz .LBB48_120
.LBB48_142:
	s_and_b64 vcc, exec, s[0:1]
	s_cbranch_vccnz .LBB48_144
; %bb.143:
	v_lshl_add_u64 v[44:45], v[108:109], 2, v[42:43]
	flat_load_dword v44, v[44:45]
	s_waitcnt vmcnt(0) lgkmcnt(0)
	v_mul_f32_e32 v44, s28, v44
	s_branch .LBB48_145
.LBB48_144:
	v_mov_b32_e32 v44, 0
.LBB48_145:
	v_max_f32_e32 v45, v36, v36
	v_max_f32_e32 v46, v12, v12
	v_min_f32_e32 v46, v46, v45
	v_max_f32_e32 v45, v37, v37
	v_max_f32_e32 v47, v13, v13
	v_min_f32_e32 v47, v47, v45
	v_pk_add_f32 v[46:47], v[68:69], v[46:47]
	v_max_f32_e32 v45, v38, v38
	v_max_f32_e32 v68, v14, v14
	v_min_f32_e32 v68, v68, v45
	v_max_f32_e32 v45, v39, v39
	v_max_f32_e32 v69, v15, v15
	v_min_f32_e32 v69, v69, v45
	v_pk_add_f32 v[46:47], v[46:47], v[68:69]
	s_nop 0
	v_add_f32_e32 v45, v46, v47
	v_add_f32_e32 v46, v45, v44
	v_lshl_add_u64 v[44:45], v[108:109], 2, v[40:41]
	global_store_dword v[44:45], v46, off
	s_or_b64 exec, exec, s[26:27]
	s_and_b64 s[30:31], s[14:15], s[18:19]
	s_and_saveexec_b64 s[26:27], s[30:31]
	s_cbranch_execz .LBB48_121
.LBB48_146:
	s_and_b64 vcc, exec, s[0:1]
	s_cbranch_vccnz .LBB48_148
; %bb.147:
	v_lshl_add_u64 v[44:45], v[110:111], 2, v[42:43]
	flat_load_dword v44, v[44:45]
	s_waitcnt vmcnt(0) lgkmcnt(0)
	v_mul_f32_e32 v44, s28, v44
	s_branch .LBB48_149
.LBB48_148:
	v_mov_b32_e32 v44, 0
.LBB48_149:
	v_max_f32_e32 v45, v36, v36
	v_max_f32_e32 v46, v8, v8
	v_min_f32_e32 v46, v46, v45
	v_max_f32_e32 v45, v37, v37
	v_max_f32_e32 v47, v9, v9
	v_min_f32_e32 v47, v47, v45
	v_pk_add_f32 v[46:47], v[66:67], v[46:47]
	v_max_f32_e32 v45, v38, v38
	v_max_f32_e32 v66, v10, v10
	v_min_f32_e32 v66, v66, v45
	v_max_f32_e32 v45, v39, v39
	v_max_f32_e32 v67, v11, v11
	v_min_f32_e32 v67, v67, v45
	v_pk_add_f32 v[46:47], v[46:47], v[66:67]
	s_nop 0
	v_add_f32_e32 v45, v46, v47
	v_add_f32_e32 v46, v45, v44
	v_lshl_add_u64 v[44:45], v[110:111], 2, v[40:41]
	global_store_dword v[44:45], v46, off
	s_or_b64 exec, exec, s[26:27]
	s_and_b64 s[26:27], s[16:17], s[18:19]
	s_and_saveexec_b64 s[18:19], s[26:27]
	s_cbranch_execz .LBB48_154
.LBB48_150:
	s_and_b64 vcc, exec, s[0:1]
	s_cbranch_vccnz .LBB48_152
; %bb.151:
	v_lshl_add_u64 v[42:43], v[112:113], 2, v[42:43]
	flat_load_dword v42, v[42:43]
	s_waitcnt vmcnt(0) lgkmcnt(0)
	v_mul_f32_e32 v42, s28, v42
	s_branch .LBB48_153
.LBB48_152:
	v_mov_b32_e32 v42, 0
.LBB48_153:
	v_max_f32_e32 v37, v37, v37
	v_max_f32_e32 v43, v5, v5
	v_min_f32_e32 v37, v43, v37
	v_max_f32_e32 v36, v36, v36
	v_max_f32_e32 v43, v4, v4
	v_min_f32_e32 v36, v43, v36
	;; [unrolled: 3-line block ×3, first 2 shown]
	v_max_f32_e32 v38, v38, v38
	v_max_f32_e32 v43, v6, v6
	v_pk_add_f32 v[36:37], v[64:65], v[36:37]
	v_min_f32_e32 v38, v43, v38
	v_pk_add_f32 v[36:37], v[36:37], v[38:39]
	s_nop 0
	v_add_f32_e32 v36, v36, v37
	v_add_f32_e32 v38, v36, v42
	v_lshl_add_u64 v[36:37], v[112:113], 2, v[40:41]
	global_store_dword v[36:37], v38, off
.LBB48_154:
	s_or_b64 exec, exec, s[18:19]
	v_add_u32_e32 v40, 0x60, v120
	v_cmp_gt_i32_e64 s[18:19], s21, v40
	v_mad_i64_i32 v[36:37], s[20:21], v40, s33, 0
	v_lshl_add_u64 v[38:39], v[36:37], 2, s[24:25]
	v_mad_i64_i32 v[36:37], s[20:21], v40, s29, 0
	v_lshl_add_u64 v[36:37], v[36:37], 2, s[22:23]
	s_and_b64 s[20:21], s[2:3], s[18:19]
	s_and_saveexec_b64 s[2:3], s[20:21]
	s_cbranch_execnz .LBB48_163
; %bb.155:
	s_or_b64 exec, exec, s[2:3]
	s_and_b64 s[4:5], s[4:5], s[18:19]
	s_and_saveexec_b64 s[2:3], s[4:5]
	s_cbranch_execnz .LBB48_167
.LBB48_156:
	s_or_b64 exec, exec, s[2:3]
	s_and_b64 s[4:5], s[6:7], s[18:19]
	s_and_saveexec_b64 s[2:3], s[4:5]
	s_cbranch_execnz .LBB48_171
.LBB48_157:
	s_or_b64 exec, exec, s[2:3]
	s_and_b64 s[4:5], s[8:9], s[18:19]
	s_and_saveexec_b64 s[2:3], s[4:5]
	s_cbranch_execnz .LBB48_175
.LBB48_158:
	s_or_b64 exec, exec, s[2:3]
	s_and_b64 s[4:5], s[10:11], s[18:19]
	s_and_saveexec_b64 s[2:3], s[4:5]
	s_cbranch_execnz .LBB48_179
.LBB48_159:
	s_or_b64 exec, exec, s[2:3]
	s_and_b64 s[4:5], s[12:13], s[18:19]
	s_and_saveexec_b64 s[2:3], s[4:5]
	s_cbranch_execnz .LBB48_183
.LBB48_160:
	s_or_b64 exec, exec, s[2:3]
	s_and_b64 s[4:5], s[14:15], s[18:19]
	s_and_saveexec_b64 s[2:3], s[4:5]
	s_cbranch_execnz .LBB48_187
.LBB48_161:
	s_or_b64 exec, exec, s[2:3]
	s_and_b64 s[2:3], s[16:17], s[18:19]
	s_and_saveexec_b64 s[4:5], s[2:3]
	s_cbranch_execnz .LBB48_191
.LBB48_162:
	s_endpgm
.LBB48_163:
	s_and_b64 vcc, exec, s[0:1]
	s_cbranch_vccnz .LBB48_165
; %bb.164:
	v_lshl_add_u64 v[40:41], v[72:73], 2, v[38:39]
	flat_load_dword v40, v[40:41]
	s_waitcnt vmcnt(0) lgkmcnt(0)
	v_mul_f32_e32 v40, s28, v40
	s_branch .LBB48_166
.LBB48_165:
	v_mov_b32_e32 v40, 0
.LBB48_166:
	v_max_f32_e32 v41, v1, v1
	v_max_f32_e32 v33, v33, v33
	v_min_f32_e32 v33, v33, v41
	v_max_f32_e32 v41, v0, v0
	v_max_f32_e32 v32, v32, v32
	v_min_f32_e32 v32, v32, v41
	;; [unrolled: 3-line block ×3, first 2 shown]
	v_max_f32_e32 v41, v2, v2
	v_max_f32_e32 v34, v34, v34
	v_pk_add_f32 v[32:33], v[62:63], v[32:33]
	v_min_f32_e32 v34, v34, v41
	v_pk_add_f32 v[32:33], v[32:33], v[34:35]
	s_nop 0
	v_add_f32_e32 v32, v32, v33
	v_add_f32_e32 v34, v32, v40
	v_lshl_add_u64 v[32:33], v[72:73], 2, v[36:37]
	global_store_dword v[32:33], v34, off
	s_or_b64 exec, exec, s[2:3]
	s_and_b64 s[4:5], s[4:5], s[18:19]
	s_and_saveexec_b64 s[2:3], s[4:5]
	s_cbranch_execz .LBB48_156
.LBB48_167:
	s_and_b64 vcc, exec, s[0:1]
	s_cbranch_vccnz .LBB48_169
; %bb.168:
	v_lshl_add_u64 v[32:33], v[100:101], 2, v[38:39]
	flat_load_dword v32, v[32:33]
	s_waitcnt vmcnt(0) lgkmcnt(0)
	v_mul_f32_e32 v32, s28, v32
	s_branch .LBB48_170
.LBB48_169:
	v_mov_b32_e32 v32, 0
.LBB48_170:
	v_max_f32_e32 v33, v1, v1
	v_max_f32_e32 v29, v29, v29
	v_min_f32_e32 v29, v29, v33
	v_max_f32_e32 v33, v0, v0
	v_max_f32_e32 v28, v28, v28
	v_min_f32_e32 v28, v28, v33
	;; [unrolled: 3-line block ×3, first 2 shown]
	v_max_f32_e32 v33, v2, v2
	v_max_f32_e32 v30, v30, v30
	v_pk_add_f32 v[28:29], v[60:61], v[28:29]
	v_min_f32_e32 v30, v30, v33
	v_pk_add_f32 v[28:29], v[28:29], v[30:31]
	s_nop 0
	v_add_f32_e32 v28, v28, v29
	v_add_f32_e32 v30, v28, v32
	v_lshl_add_u64 v[28:29], v[100:101], 2, v[36:37]
	global_store_dword v[28:29], v30, off
	s_or_b64 exec, exec, s[2:3]
	s_and_b64 s[4:5], s[6:7], s[18:19]
	s_and_saveexec_b64 s[2:3], s[4:5]
	s_cbranch_execz .LBB48_157
.LBB48_171:
	s_and_b64 vcc, exec, s[0:1]
	s_cbranch_vccnz .LBB48_173
; %bb.172:
	v_lshl_add_u64 v[28:29], v[102:103], 2, v[38:39]
	flat_load_dword v28, v[28:29]
	s_waitcnt vmcnt(0) lgkmcnt(0)
	v_mul_f32_e32 v28, s28, v28
	s_branch .LBB48_174
.LBB48_173:
	v_mov_b32_e32 v28, 0
.LBB48_174:
	v_max_f32_e32 v29, v1, v1
	v_max_f32_e32 v25, v25, v25
	v_min_f32_e32 v25, v25, v29
	v_max_f32_e32 v29, v0, v0
	v_max_f32_e32 v24, v24, v24
	v_min_f32_e32 v24, v24, v29
	;; [unrolled: 3-line block ×3, first 2 shown]
	v_max_f32_e32 v29, v2, v2
	v_max_f32_e32 v26, v26, v26
	v_pk_add_f32 v[24:25], v[58:59], v[24:25]
	v_min_f32_e32 v26, v26, v29
	v_pk_add_f32 v[24:25], v[24:25], v[26:27]
	s_nop 0
	v_add_f32_e32 v24, v24, v25
	v_add_f32_e32 v26, v24, v28
	v_lshl_add_u64 v[24:25], v[102:103], 2, v[36:37]
	global_store_dword v[24:25], v26, off
	s_or_b64 exec, exec, s[2:3]
	s_and_b64 s[4:5], s[8:9], s[18:19]
	s_and_saveexec_b64 s[2:3], s[4:5]
	s_cbranch_execz .LBB48_158
.LBB48_175:
	s_and_b64 vcc, exec, s[0:1]
	s_cbranch_vccnz .LBB48_177
; %bb.176:
	v_lshl_add_u64 v[24:25], v[104:105], 2, v[38:39]
	flat_load_dword v24, v[24:25]
	s_waitcnt vmcnt(0) lgkmcnt(0)
	v_mul_f32_e32 v24, s28, v24
	s_branch .LBB48_178
.LBB48_177:
	v_mov_b32_e32 v24, 0
.LBB48_178:
	v_max_f32_e32 v25, v1, v1
	v_max_f32_e32 v21, v21, v21
	v_min_f32_e32 v21, v21, v25
	v_max_f32_e32 v25, v0, v0
	v_max_f32_e32 v20, v20, v20
	v_min_f32_e32 v20, v20, v25
	;; [unrolled: 3-line block ×3, first 2 shown]
	v_max_f32_e32 v25, v2, v2
	v_max_f32_e32 v22, v22, v22
	v_pk_add_f32 v[20:21], v[56:57], v[20:21]
	v_min_f32_e32 v22, v22, v25
	v_pk_add_f32 v[20:21], v[20:21], v[22:23]
	s_nop 0
	v_add_f32_e32 v20, v20, v21
	v_add_f32_e32 v22, v20, v24
	v_lshl_add_u64 v[20:21], v[104:105], 2, v[36:37]
	global_store_dword v[20:21], v22, off
	s_or_b64 exec, exec, s[2:3]
	s_and_b64 s[4:5], s[10:11], s[18:19]
	s_and_saveexec_b64 s[2:3], s[4:5]
	s_cbranch_execz .LBB48_159
.LBB48_179:
	s_and_b64 vcc, exec, s[0:1]
	s_cbranch_vccnz .LBB48_181
; %bb.180:
	v_lshl_add_u64 v[20:21], v[106:107], 2, v[38:39]
	flat_load_dword v20, v[20:21]
	s_waitcnt vmcnt(0) lgkmcnt(0)
	v_mul_f32_e32 v20, s28, v20
	s_branch .LBB48_182
.LBB48_181:
	v_mov_b32_e32 v20, 0
.LBB48_182:
	v_max_f32_e32 v21, v1, v1
	v_max_f32_e32 v17, v17, v17
	v_min_f32_e32 v17, v17, v21
	v_max_f32_e32 v21, v0, v0
	v_max_f32_e32 v16, v16, v16
	v_min_f32_e32 v16, v16, v21
	v_max_f32_e32 v21, v3, v3
	v_max_f32_e32 v19, v19, v19
	v_min_f32_e32 v19, v19, v21
	v_max_f32_e32 v21, v2, v2
	v_max_f32_e32 v18, v18, v18
	v_pk_add_f32 v[16:17], v[54:55], v[16:17]
	v_min_f32_e32 v18, v18, v21
	v_pk_add_f32 v[16:17], v[16:17], v[18:19]
	s_nop 0
	v_add_f32_e32 v16, v16, v17
	v_add_f32_e32 v18, v16, v20
	v_lshl_add_u64 v[16:17], v[106:107], 2, v[36:37]
	global_store_dword v[16:17], v18, off
	s_or_b64 exec, exec, s[2:3]
	s_and_b64 s[4:5], s[12:13], s[18:19]
	s_and_saveexec_b64 s[2:3], s[4:5]
	s_cbranch_execz .LBB48_160
.LBB48_183:
	s_and_b64 vcc, exec, s[0:1]
	s_cbranch_vccnz .LBB48_185
; %bb.184:
	v_lshl_add_u64 v[16:17], v[108:109], 2, v[38:39]
	flat_load_dword v16, v[16:17]
	s_waitcnt vmcnt(0) lgkmcnt(0)
	v_mul_f32_e32 v16, s28, v16
	s_branch .LBB48_186
.LBB48_185:
	v_mov_b32_e32 v16, 0
.LBB48_186:
	v_max_f32_e32 v17, v1, v1
	v_max_f32_e32 v13, v13, v13
	v_min_f32_e32 v13, v13, v17
	v_max_f32_e32 v17, v0, v0
	v_max_f32_e32 v12, v12, v12
	v_min_f32_e32 v12, v12, v17
	;; [unrolled: 3-line block ×3, first 2 shown]
	v_max_f32_e32 v17, v2, v2
	v_max_f32_e32 v14, v14, v14
	v_pk_add_f32 v[12:13], v[52:53], v[12:13]
	v_min_f32_e32 v14, v14, v17
	v_pk_add_f32 v[12:13], v[12:13], v[14:15]
	s_nop 0
	v_add_f32_e32 v12, v12, v13
	v_add_f32_e32 v14, v12, v16
	v_lshl_add_u64 v[12:13], v[108:109], 2, v[36:37]
	global_store_dword v[12:13], v14, off
	s_or_b64 exec, exec, s[2:3]
	s_and_b64 s[4:5], s[14:15], s[18:19]
	s_and_saveexec_b64 s[2:3], s[4:5]
	s_cbranch_execz .LBB48_161
.LBB48_187:
	s_and_b64 vcc, exec, s[0:1]
	s_cbranch_vccnz .LBB48_189
; %bb.188:
	v_lshl_add_u64 v[12:13], v[110:111], 2, v[38:39]
	flat_load_dword v12, v[12:13]
	s_waitcnt vmcnt(0) lgkmcnt(0)
	v_mul_f32_e32 v12, s28, v12
	s_branch .LBB48_190
.LBB48_189:
	v_mov_b32_e32 v12, 0
.LBB48_190:
	v_max_f32_e32 v13, v1, v1
	v_max_f32_e32 v9, v9, v9
	v_min_f32_e32 v9, v9, v13
	v_max_f32_e32 v13, v0, v0
	v_max_f32_e32 v8, v8, v8
	v_min_f32_e32 v8, v8, v13
	;; [unrolled: 3-line block ×3, first 2 shown]
	v_max_f32_e32 v13, v2, v2
	v_max_f32_e32 v10, v10, v10
	v_pk_add_f32 v[8:9], v[50:51], v[8:9]
	v_min_f32_e32 v10, v10, v13
	v_pk_add_f32 v[8:9], v[8:9], v[10:11]
	s_nop 0
	v_add_f32_e32 v8, v8, v9
	v_add_f32_e32 v10, v8, v12
	v_lshl_add_u64 v[8:9], v[110:111], 2, v[36:37]
	global_store_dword v[8:9], v10, off
	s_or_b64 exec, exec, s[2:3]
	s_and_b64 s[2:3], s[16:17], s[18:19]
	s_and_saveexec_b64 s[4:5], s[2:3]
	s_cbranch_execz .LBB48_162
.LBB48_191:
	s_and_b64 vcc, exec, s[0:1]
	s_cbranch_vccnz .LBB48_193
; %bb.192:
	v_lshl_add_u64 v[8:9], v[112:113], 2, v[38:39]
	flat_load_dword v8, v[8:9]
	s_waitcnt vmcnt(0) lgkmcnt(0)
	v_mul_f32_e32 v8, s28, v8
	s_branch .LBB48_194
.LBB48_193:
	v_mov_b32_e32 v8, 0
.LBB48_194:
	v_max_f32_e32 v0, v0, v0
	v_max_f32_e32 v4, v4, v4
	;; [unrolled: 1-line block ×4, first 2 shown]
	v_min_f32_e32 v0, v4, v0
	v_max_f32_e32 v3, v3, v3
	v_max_f32_e32 v4, v7, v7
	v_min_f32_e32 v1, v5, v1
	v_min_f32_e32 v3, v4, v3
	v_max_f32_e32 v2, v2, v2
	v_max_f32_e32 v4, v6, v6
	v_pk_add_f32 v[0:1], v[48:49], v[0:1]
	v_min_f32_e32 v2, v4, v2
	v_pk_add_f32 v[0:1], v[0:1], v[2:3]
	s_nop 0
	v_add_f32_e32 v0, v0, v1
	v_add_f32_e32 v2, v0, v8
	v_lshl_add_u64 v[0:1], v[112:113], 2, v[36:37]
	global_store_dword v[0:1], v2, off
	s_endpgm
	.section	.rodata,"a",@progbits
	.p2align	6, 0x0
	.amdhsa_kernel _ZN12_GLOBAL__N_120geam_min_plus_kernelIf15HIP_vector_typeIfLj2EES2_Li8ELi32ELi64ELi128ELi4ELi4ELi64ELi64ELi4ELc84ELc84ELb0ELb1ELb0EPKfKS4_KPfEEviiiT16_PT17_ilSA_ilS8_SA_ilPT18_ili26rocblas_geam_ex_operation_
		.amdhsa_group_segment_fixed_size 6144
		.amdhsa_private_segment_fixed_size 0
		.amdhsa_kernarg_size 136
		.amdhsa_user_sgpr_count 2
		.amdhsa_user_sgpr_dispatch_ptr 0
		.amdhsa_user_sgpr_queue_ptr 0
		.amdhsa_user_sgpr_kernarg_segment_ptr 1
		.amdhsa_user_sgpr_dispatch_id 0
		.amdhsa_user_sgpr_kernarg_preload_length 0
		.amdhsa_user_sgpr_kernarg_preload_offset 0
		.amdhsa_user_sgpr_private_segment_size 0
		.amdhsa_uses_dynamic_stack 0
		.amdhsa_enable_private_segment 0
		.amdhsa_system_sgpr_workgroup_id_x 1
		.amdhsa_system_sgpr_workgroup_id_y 0
		.amdhsa_system_sgpr_workgroup_id_z 1
		.amdhsa_system_sgpr_workgroup_info 0
		.amdhsa_system_vgpr_workitem_id 1
		.amdhsa_next_free_vgpr 219
		.amdhsa_next_free_sgpr 38
		.amdhsa_accum_offset 220
		.amdhsa_reserve_vcc 1
		.amdhsa_float_round_mode_32 0
		.amdhsa_float_round_mode_16_64 0
		.amdhsa_float_denorm_mode_32 3
		.amdhsa_float_denorm_mode_16_64 3
		.amdhsa_dx10_clamp 1
		.amdhsa_ieee_mode 1
		.amdhsa_fp16_overflow 0
		.amdhsa_tg_split 0
		.amdhsa_exception_fp_ieee_invalid_op 0
		.amdhsa_exception_fp_denorm_src 0
		.amdhsa_exception_fp_ieee_div_zero 0
		.amdhsa_exception_fp_ieee_overflow 0
		.amdhsa_exception_fp_ieee_underflow 0
		.amdhsa_exception_fp_ieee_inexact 0
		.amdhsa_exception_int_div_zero 0
	.end_amdhsa_kernel
	.section	.text._ZN12_GLOBAL__N_120geam_min_plus_kernelIf15HIP_vector_typeIfLj2EES2_Li8ELi32ELi64ELi128ELi4ELi4ELi64ELi64ELi4ELc84ELc84ELb0ELb1ELb0EPKfKS4_KPfEEviiiT16_PT17_ilSA_ilS8_SA_ilPT18_ili26rocblas_geam_ex_operation_,"axG",@progbits,_ZN12_GLOBAL__N_120geam_min_plus_kernelIf15HIP_vector_typeIfLj2EES2_Li8ELi32ELi64ELi128ELi4ELi4ELi64ELi64ELi4ELc84ELc84ELb0ELb1ELb0EPKfKS4_KPfEEviiiT16_PT17_ilSA_ilS8_SA_ilPT18_ili26rocblas_geam_ex_operation_,comdat
.Lfunc_end48:
	.size	_ZN12_GLOBAL__N_120geam_min_plus_kernelIf15HIP_vector_typeIfLj2EES2_Li8ELi32ELi64ELi128ELi4ELi4ELi64ELi64ELi4ELc84ELc84ELb0ELb1ELb0EPKfKS4_KPfEEviiiT16_PT17_ilSA_ilS8_SA_ilPT18_ili26rocblas_geam_ex_operation_, .Lfunc_end48-_ZN12_GLOBAL__N_120geam_min_plus_kernelIf15HIP_vector_typeIfLj2EES2_Li8ELi32ELi64ELi128ELi4ELi4ELi64ELi64ELi4ELc84ELc84ELb0ELb1ELb0EPKfKS4_KPfEEviiiT16_PT17_ilSA_ilS8_SA_ilPT18_ili26rocblas_geam_ex_operation_
                                        ; -- End function
	.section	.AMDGPU.csdata,"",@progbits
; Kernel info:
; codeLenInByte = 11180
; NumSgprs: 44
; NumVgprs: 219
; NumAgprs: 0
; TotalNumVgprs: 219
; ScratchSize: 0
; MemoryBound: 0
; FloatMode: 240
; IeeeMode: 1
; LDSByteSize: 6144 bytes/workgroup (compile time only)
; SGPRBlocks: 5
; VGPRBlocks: 27
; NumSGPRsForWavesPerEU: 44
; NumVGPRsForWavesPerEU: 219
; AccumOffset: 220
; Occupancy: 2
; WaveLimiterHint : 1
; COMPUTE_PGM_RSRC2:SCRATCH_EN: 0
; COMPUTE_PGM_RSRC2:USER_SGPR: 2
; COMPUTE_PGM_RSRC2:TRAP_HANDLER: 0
; COMPUTE_PGM_RSRC2:TGID_X_EN: 1
; COMPUTE_PGM_RSRC2:TGID_Y_EN: 0
; COMPUTE_PGM_RSRC2:TGID_Z_EN: 1
; COMPUTE_PGM_RSRC2:TIDIG_COMP_CNT: 1
; COMPUTE_PGM_RSRC3_GFX90A:ACCUM_OFFSET: 54
; COMPUTE_PGM_RSRC3_GFX90A:TG_SPLIT: 0
	.section	.text._ZN12_GLOBAL__N_120geam_min_plus_kernelIf15HIP_vector_typeIfLj2EES2_Li8ELi32ELi64ELi128ELi4ELi4ELi64ELi64ELi4ELc84ELc84ELb1ELb1ELb0EfKPKfKPfEEviiiT16_PT17_ilSA_ilS8_SA_ilPT18_ili26rocblas_geam_ex_operation_,"axG",@progbits,_ZN12_GLOBAL__N_120geam_min_plus_kernelIf15HIP_vector_typeIfLj2EES2_Li8ELi32ELi64ELi128ELi4ELi4ELi64ELi64ELi4ELc84ELc84ELb1ELb1ELb0EfKPKfKPfEEviiiT16_PT17_ilSA_ilS8_SA_ilPT18_ili26rocblas_geam_ex_operation_,comdat
	.globl	_ZN12_GLOBAL__N_120geam_min_plus_kernelIf15HIP_vector_typeIfLj2EES2_Li8ELi32ELi64ELi128ELi4ELi4ELi64ELi64ELi4ELc84ELc84ELb1ELb1ELb0EfKPKfKPfEEviiiT16_PT17_ilSA_ilS8_SA_ilPT18_ili26rocblas_geam_ex_operation_ ; -- Begin function _ZN12_GLOBAL__N_120geam_min_plus_kernelIf15HIP_vector_typeIfLj2EES2_Li8ELi32ELi64ELi128ELi4ELi4ELi64ELi64ELi4ELc84ELc84ELb1ELb1ELb0EfKPKfKPfEEviiiT16_PT17_ilSA_ilS8_SA_ilPT18_ili26rocblas_geam_ex_operation_
	.p2align	8
	.type	_ZN12_GLOBAL__N_120geam_min_plus_kernelIf15HIP_vector_typeIfLj2EES2_Li8ELi32ELi64ELi128ELi4ELi4ELi64ELi64ELi4ELc84ELc84ELb1ELb1ELb0EfKPKfKPfEEviiiT16_PT17_ilSA_ilS8_SA_ilPT18_ili26rocblas_geam_ex_operation_,@function
_ZN12_GLOBAL__N_120geam_min_plus_kernelIf15HIP_vector_typeIfLj2EES2_Li8ELi32ELi64ELi128ELi4ELi4ELi64ELi64ELi4ELc84ELc84ELb1ELb1ELb0EfKPKfKPfEEviiiT16_PT17_ilSA_ilS8_SA_ilPT18_ili26rocblas_geam_ex_operation_: ; @_ZN12_GLOBAL__N_120geam_min_plus_kernelIf15HIP_vector_typeIfLj2EES2_Li8ELi32ELi64ELi128ELi4ELi4ELi64ELi64ELi4ELc84ELc84ELb1ELb1ELb0EfKPKfKPfEEviiiT16_PT17_ilSA_ilS8_SA_ilPT18_ili26rocblas_geam_ex_operation_
; %bb.0:
	s_load_dwordx4 s[20:23], s[0:1], 0x0
	s_load_dwordx4 s[4:7], s[0:1], 0x20
	s_mov_b32 s10, s3
	s_mov_b32 s11, 0
	s_waitcnt lgkmcnt(0)
	v_cmp_eq_f32_e64 s[8:9], s23, 0
	s_and_b64 vcc, exec, s[8:9]
	s_cbranch_vccnz .LBB49_3
; %bb.1:
	s_load_dwordx2 s[12:13], s[0:1], 0x10
	s_lshl_b64 s[14:15], s[10:11], 3
	s_waitcnt lgkmcnt(0)
	s_add_u32 s12, s12, s14
	s_addc_u32 s13, s13, s15
	s_load_dwordx2 s[12:13], s[12:13], 0x0
	s_lshl_b64 s[4:5], s[4:5], 2
	s_waitcnt lgkmcnt(0)
	s_add_u32 s14, s12, s4
	s_addc_u32 s15, s13, s5
	s_andn2_b64 vcc, exec, s[8:9]
	s_cbranch_vccnz .LBB49_4
.LBB49_2:
	s_mov_b64 s[12:13], 0
	s_cbranch_execz .LBB49_5
	s_branch .LBB49_6
.LBB49_3:
	s_mov_b64 s[14:15], 0
	s_andn2_b64 vcc, exec, s[8:9]
	s_cbranch_vccz .LBB49_2
.LBB49_4:
                                        ; implicit-def: $sgpr12_sgpr13
.LBB49_5:
	s_lshl_b64 s[8:9], s[10:11], 3
	s_add_u32 s6, s6, s8
	s_load_dwordx2 s[4:5], s[0:1], 0x38
	s_addc_u32 s7, s7, s9
	s_load_dwordx2 s[6:7], s[6:7], 0x0
	s_waitcnt lgkmcnt(0)
	s_lshl_b64 s[4:5], s[4:5], 2
	s_add_u32 s12, s6, s4
	s_addc_u32 s13, s7, s5
.LBB49_6:
	s_load_dword s28, s[0:1], 0x40
	s_load_dwordx4 s[4:7], s[0:1], 0x58
	s_waitcnt lgkmcnt(0)
	v_cmp_eq_f32_e64 s[16:17], s28, 0
	v_cmp_neq_f32_e64 s[8:9], s28, 0
	s_and_b64 vcc, exec, s[16:17]
	s_cbranch_vccnz .LBB49_8
; %bb.7:
	s_load_dwordx2 s[16:17], s[0:1], 0x48
	s_lshl_b64 s[18:19], s[10:11], 3
	s_waitcnt lgkmcnt(0)
	s_add_u32 s16, s16, s18
	s_addc_u32 s17, s17, s19
	s_load_dwordx2 s[16:17], s[16:17], 0x0
	s_lshl_b64 s[4:5], s[4:5], 2
	s_waitcnt lgkmcnt(0)
	s_add_u32 s24, s16, s4
	s_addc_u32 s25, s17, s5
	s_branch .LBB49_9
.LBB49_8:
	s_mov_b64 s[24:25], 0
.LBB49_9:
	s_lshl_b64 s[4:5], s[10:11], 3
	s_add_u32 s4, s6, s4
	s_addc_u32 s5, s7, s5
	s_add_i32 s3, s20, -1
	s_ashr_i32 s6, s3, 31
	s_lshr_b32 s6, s6, 26
	s_add_i32 s3, s3, s6
	s_ashr_i32 s3, s3, 6
	s_add_i32 s10, s3, 1
	v_cvt_f32_u32_e32 v1, s10
	v_and_b32_e32 v202, 0x3ff, v0
	v_bfe_u32 v203, v0, 10, 10
	s_load_dwordx2 s[6:7], s[4:5], 0x0
	v_rcp_iflag_f32_e32 v1, v1
	s_not_b32 s3, s3
	v_lshl_add_u32 v2, v203, 3, v202
	s_load_dword s23, s[0:1], 0x18
	v_mul_f32_e32 v0, 0x4f7ffffe, v1
	v_cvt_u32_f32_e32 v0, v0
	v_lshrrev_b32_e32 v9, 2, v2
	v_and_b32_e32 v204, 3, v202
	v_cmp_gt_i32_e32 vcc, s22, v204
	v_readfirstlane_b32 s4, v0
	s_mul_i32 s3, s3, s4
	s_mul_hi_u32 s3, s4, s3
	s_add_i32 s4, s4, s3
	s_mul_hi_u32 s3, s2, s4
	s_mul_i32 s4, s3, s10
	s_sub_i32 s4, s2, s4
	s_add_i32 s5, s3, 1
	s_sub_i32 s11, s4, s10
	s_cmp_ge_u32 s4, s10
	s_cselect_b32 s3, s5, s3
	s_cselect_b32 s4, s11, s4
	s_add_i32 s5, s3, 1
	s_cmp_ge_u32 s4, s10
	s_cselect_b32 s4, s5, s3
	s_mul_i32 s3, s4, s10
	s_sub_i32 s2, s2, s3
	s_lshl_b32 s26, s2, 6
	v_add_u32_e32 v6, s26, v9
	v_cmp_le_i32_e64 s[2:3], s20, v6
	s_xor_b64 s[10:11], s[2:3], -1
	s_and_b64 s[16:17], vcc, s[10:11]
	v_mov_b32_e32 v10, 0
	v_lshlrev_b32_e32 v0, 2, v204
	v_mov_b32_e32 v11, 0
	s_and_saveexec_b64 s[2:3], s[16:17]
	s_cbranch_execz .LBB49_11
; %bb.10:
	s_waitcnt lgkmcnt(0)
	v_mad_i64_i32 v[4:5], s[16:17], v6, s23, 0
	v_lshl_add_u64 v[4:5], v[4:5], 2, s[14:15]
	v_mov_b32_e32 v1, 0
	v_lshl_add_u64 v[4:5], v[4:5], 0, v[0:1]
	flat_load_dword v11, v[4:5]
.LBB49_11:
	s_or_b64 exec, exec, s[2:3]
	s_load_dword s16, s[0:1], 0x30
	v_and_b32_e32 v12, 63, v2
	s_lshl_b32 s27, s4, 7
	v_lshrrev_b32_e32 v207, 6, v2
	v_or_b32_e32 v2, s27, v12
	v_cmp_le_i32_e64 s[4:5], s22, v207
	s_waitcnt lgkmcnt(0)
	v_mad_i64_i32 v[4:5], s[2:3], s16, v207, 0
	v_cmp_le_i32_e32 vcc, s21, v2
	s_or_b64 s[2:3], vcc, s[4:5]
	s_ashr_i32 s17, s16, 31
	v_lshl_add_u64 v[4:5], v[4:5], 2, s[12:13]
	s_xor_b64 s[18:19], s[2:3], -1
	v_ashrrev_i32_e32 v3, 31, v2
	s_and_saveexec_b64 s[2:3], s[18:19]
	s_cbranch_execz .LBB49_13
; %bb.12:
	v_lshl_add_u64 v[14:15], v[2:3], 2, v[4:5]
	flat_load_dword v10, v[14:15]
.LBB49_13:
	s_or_b64 exec, exec, s[2:3]
	v_or_b32_e32 v1, 64, v2
	v_cmp_le_i32_e64 s[2:3], s21, v1
	s_or_b64 s[4:5], s[2:3], s[4:5]
	s_xor_b64 s[18:19], s[4:5], -1
	v_mov_b32_e32 v1, 0
	v_mov_b32_e32 v13, 0
	s_and_saveexec_b64 s[4:5], s[18:19]
	s_cbranch_execz .LBB49_15
; %bb.14:
	v_lshl_add_u64 v[4:5], v[2:3], 2, v[4:5]
	flat_load_dword v13, v[4:5] offset:256
.LBB49_15:
	s_or_b64 exec, exec, s[4:5]
	v_or_b32_e32 v4, 4, v204
	v_cmp_gt_i32_e64 s[4:5], s22, v4
	s_and_b64 s[18:19], s[4:5], s[10:11]
	s_and_saveexec_b64 s[4:5], s[18:19]
	s_cbranch_execz .LBB49_17
; %bb.16:
	v_mad_i64_i32 v[4:5], s[18:19], v6, s23, 0
	v_lshl_add_u64 v[4:5], v[4:5], 2, s[14:15]
	v_mov_b32_e32 v1, 0
	v_lshl_add_u64 v[4:5], v[4:5], 0, v[0:1]
	flat_load_dword v1, v[4:5] offset:16
.LBB49_17:
	s_or_b64 exec, exec, s[4:5]
	v_add_u32_e32 v4, 4, v207
	v_cmp_le_i32_e64 s[4:5], s22, v4
	v_mad_i64_i32 v[4:5], s[18:19], s16, v4, 0
	s_or_b64 s[18:19], vcc, s[4:5]
	v_lshl_add_u64 v[4:5], v[4:5], 2, s[12:13]
	s_xor_b64 s[30:31], s[18:19], -1
	v_mov_b32_e32 v7, 0
	v_mov_b32_e32 v8, 0
	s_and_saveexec_b64 s[18:19], s[30:31]
	s_cbranch_execz .LBB49_19
; %bb.18:
	v_lshl_add_u64 v[14:15], v[2:3], 2, v[4:5]
	flat_load_dword v8, v[14:15]
.LBB49_19:
	s_or_b64 exec, exec, s[18:19]
	s_or_b64 s[4:5], s[2:3], s[4:5]
	s_xor_b64 s[18:19], s[4:5], -1
	s_and_saveexec_b64 s[4:5], s[18:19]
	s_cbranch_execz .LBB49_21
; %bb.20:
	v_lshl_add_u64 v[4:5], v[2:3], 2, v[4:5]
	flat_load_dword v7, v[4:5] offset:256
.LBB49_21:
	s_or_b64 exec, exec, s[4:5]
	v_lshlrev_b32_e32 v5, 2, v207
	v_lshl_or_b32 v4, v9, 4, v0
	v_lshl_add_u32 v208, v12, 4, v5
	v_lshlrev_b32_e32 v206, 4, v203
	s_waitcnt vmcnt(0)
	ds_write_b32 v4, v11 offset:4096
	s_waitcnt lgkmcnt(0)
	ds_write2st64_b32 v208, v10, v13 offset1:4
	s_waitcnt lgkmcnt(0)
	s_barrier
	ds_read_b128 v[10:13], v206
	v_lshlrev_b32_e32 v205, 4, v202
	ds_read_b128 v[14:17], v205 offset:4992
	ds_read_b128 v[18:21], v206 offset:512
	;; [unrolled: 1-line block ×5, first 2 shown]
	s_waitcnt lgkmcnt(5)
	v_max_f32_e32 v5, v11, v11
	s_waitcnt lgkmcnt(4)
	v_max_f32_e32 v9, v15, v15
	v_max_f32_e32 v56, v10, v10
	;; [unrolled: 1-line block ×3, first 2 shown]
	ds_read_b128 v[34:37], v205 offset:4096
	ds_read_b128 v[38:41], v205 offset:4224
	v_max_f32_e32 v112, v13, v13
	v_max_f32_e32 v122, v17, v17
	v_max_f32_e32 v113, v12, v12
	v_max_f32_e32 v123, v16, v16
	ds_read_b128 v[10:13], v205 offset:4352
	ds_read_b128 v[14:17], v205 offset:4480
	s_waitcnt lgkmcnt(4)
	v_max_f32_e32 v126, v33, v33
	v_max_f32_e32 v127, v32, v32
	s_waitcnt lgkmcnt(2)
	v_max_f32_e32 v70, v40, v40
	s_waitcnt lgkmcnt(1)
	v_max_f32_e32 v32, v10, v10
	v_max_f32_e32 v33, v11, v11
	s_waitcnt lgkmcnt(0)
	v_max_f32_e32 v42, v14, v14
	v_max_f32_e32 v72, v12, v12
	;; [unrolled: 1-line block ×3, first 2 shown]
	ds_read_b128 v[10:13], v205 offset:4608
	v_max_f32_e32 v40, v15, v15
	v_max_f32_e32 v84, v16, v16
	;; [unrolled: 1-line block ×3, first 2 shown]
	ds_read_b128 v[14:17], v205 offset:4736
	v_max_f32_e32 v58, v19, v19
	v_max_f32_e32 v59, v18, v18
	;; [unrolled: 1-line block ×6, first 2 shown]
	s_waitcnt lgkmcnt(0)
	v_max_f32_e32 v54, v14, v14
	v_max_f32_e32 v55, v15, v15
	;; [unrolled: 1-line block ×10, first 2 shown]
	v_min_f32_e32 v50, v54, v56
	v_min_f32_e32 v51, v55, v5
	;; [unrolled: 1-line block ×10, first 2 shown]
	v_max_f32_e32 v124, v21, v21
	v_max_f32_e32 v125, v20, v20
	;; [unrolled: 1-line block ×11, first 2 shown]
	v_min_f32_e32 v10, v18, v56
	v_min_f32_e32 v12, v18, v59
	;; [unrolled: 1-line block ×37, first 2 shown]
	v_pk_add_f32 v[54:55], v[54:55], 0 op_sel_hi:[1,0]
	v_min_f32_e32 v61, v122, v112
	v_min_f32_e32 v60, v123, v113
	v_pk_add_f32 v[96:97], v[54:55], v[60:61]
	v_pk_add_f32 v[54:55], v[56:57], 0 op_sel_hi:[1,0]
	v_min_f32_e32 v57, v122, v124
	v_min_f32_e32 v56, v123, v125
	;; [unrolled: 1-line block ×3, first 2 shown]
	v_pk_add_f32 v[80:81], v[54:55], v[56:57]
	v_pk_add_f32 v[54:55], v[58:59], 0 op_sel_hi:[1,0]
	v_min_f32_e32 v57, v122, v126
	v_min_f32_e32 v56, v123, v127
	;; [unrolled: 1-line block ×8, first 2 shown]
	v_pk_add_f32 v[64:65], v[54:55], v[56:57]
	v_pk_add_f32 v[10:11], v[10:11], 0 op_sel_hi:[1,0]
	v_min_f32_e32 v54, v68, v113
	v_min_f32_e32 v55, v69, v112
	v_pk_add_f32 v[118:119], v[10:11], v[54:55]
	v_pk_add_f32 v[10:11], v[12:13], 0 op_sel_hi:[1,0]
	v_min_f32_e32 v12, v68, v125
	v_min_f32_e32 v13, v69, v124
	v_max_f32_e32 v131, v17, v17
	v_min_f32_e32 v17, v19, v63
	v_pk_add_f32 v[94:95], v[10:11], v[12:13]
	v_pk_add_f32 v[10:11], v[14:15], 0 op_sel_hi:[1,0]
	v_min_f32_e32 v12, v68, v127
	v_min_f32_e32 v13, v69, v126
	;; [unrolled: 1-line block ×3, first 2 shown]
	v_pk_add_f32 v[78:79], v[10:11], v[12:13]
	v_min_f32_e32 v11, v69, v128
	v_min_f32_e32 v10, v68, v129
	v_pk_add_f32 v[12:13], v[16:17], 0 op_sel_hi:[1,0]
	v_max_f32_e32 v133, v25, v25
	v_min_f32_e32 v25, v27, v63
	v_min_f32_e32 v27, v33, v5
	;; [unrolled: 1-line block ×7, first 2 shown]
	v_pk_add_f32 v[62:63], v[12:13], v[10:11]
	v_pk_add_f32 v[10:11], v[18:19], 0 op_sel_hi:[1,0]
	v_min_f32_e32 v12, v70, v113
	v_min_f32_e32 v13, v71, v112
	v_pk_add_f32 v[116:117], v[10:11], v[12:13]
	v_pk_add_f32 v[10:11], v[20:21], 0 op_sel_hi:[1,0]
	v_min_f32_e32 v12, v70, v125
	v_min_f32_e32 v13, v71, v124
	;; [unrolled: 4-line block ×3, first 2 shown]
	v_pk_add_f32 v[76:77], v[10:11], v[12:13]
	v_min_f32_e32 v11, v71, v128
	v_min_f32_e32 v10, v70, v129
	v_pk_add_f32 v[12:13], v[24:25], 0 op_sel_hi:[1,0]
	v_min_f32_e32 v99, v74, v5
	v_pk_add_f32 v[60:61], v[12:13], v[10:11]
	v_pk_add_f32 v[10:11], v[26:27], 0 op_sel_hi:[1,0]
	v_min_f32_e32 v12, v72, v113
	v_min_f32_e32 v13, v73, v112
	v_pk_add_f32 v[114:115], v[10:11], v[12:13]
	v_pk_add_f32 v[10:11], v[28:29], 0 op_sel_hi:[1,0]
	v_min_f32_e32 v12, v72, v125
	;; [unrolled: 4-line block ×3, first 2 shown]
	v_min_f32_e32 v13, v73, v126
	v_pk_add_f32 v[74:75], v[10:11], v[12:13]
	v_min_f32_e32 v11, v73, v128
	v_min_f32_e32 v10, v72, v129
	v_pk_add_f32 v[12:13], v[32:33], 0 op_sel_hi:[1,0]
	s_cmp_lt_i32 s22, 9
	v_pk_add_f32 v[58:59], v[12:13], v[10:11]
	v_pk_add_f32 v[10:11], v[34:35], 0 op_sel_hi:[1,0]
	v_min_f32_e32 v12, v84, v113
	v_min_f32_e32 v13, v85, v112
	v_pk_add_f32 v[106:107], v[10:11], v[12:13]
	v_pk_add_f32 v[10:11], v[36:37], 0 op_sel_hi:[1,0]
	v_min_f32_e32 v12, v84, v125
	v_min_f32_e32 v13, v85, v124
	;; [unrolled: 4-line block ×3, first 2 shown]
	v_pk_add_f32 v[72:73], v[10:11], v[12:13]
	v_min_f32_e32 v11, v85, v128
	v_min_f32_e32 v10, v84, v129
	v_pk_add_f32 v[12:13], v[40:41], 0 op_sel_hi:[1,0]
	ds_write2st64_b32 v208, v8, v7 offset0:8 offset1:12
	ds_write_b32 v4, v1 offset:5120
	v_pk_add_f32 v[56:57], v[12:13], v[10:11]
	v_pk_add_f32 v[10:11], v[42:43], 0 op_sel_hi:[1,0]
	v_min_f32_e32 v12, v110, v113
	v_min_f32_e32 v13, v111, v112
	v_pk_add_f32 v[108:109], v[10:11], v[12:13]
	v_pk_add_f32 v[10:11], v[44:45], 0 op_sel_hi:[1,0]
	v_min_f32_e32 v12, v110, v125
	v_min_f32_e32 v13, v111, v124
	v_pk_add_f32 v[86:87], v[10:11], v[12:13]
	v_pk_add_f32 v[10:11], v[46:47], 0 op_sel_hi:[1,0]
	v_min_f32_e32 v12, v110, v127
	v_min_f32_e32 v13, v111, v126
	v_pk_add_f32 v[70:71], v[10:11], v[12:13]
	v_min_f32_e32 v11, v111, v128
	v_min_f32_e32 v10, v110, v129
	v_pk_add_f32 v[12:13], v[48:49], 0 op_sel_hi:[1,0]
	s_waitcnt lgkmcnt(0)
	v_pk_add_f32 v[54:55], v[12:13], v[10:11]
	v_pk_add_f32 v[10:11], v[50:51], 0 op_sel_hi:[1,0]
	v_min_f32_e32 v12, v130, v113
	v_min_f32_e32 v13, v131, v112
	v_pk_add_f32 v[110:111], v[10:11], v[12:13]
	v_pk_add_f32 v[10:11], v[52:53], 0 op_sel_hi:[1,0]
	v_min_f32_e32 v12, v130, v125
	v_min_f32_e32 v13, v131, v124
	;; [unrolled: 4-line block ×3, first 2 shown]
	v_pk_add_f32 v[68:69], v[10:11], v[12:13]
	v_min_f32_e32 v11, v131, v128
	v_min_f32_e32 v10, v130, v129
	v_pk_add_f32 v[12:13], v[82:83], 0 op_sel_hi:[1,0]
	s_barrier
	v_pk_add_f32 v[52:53], v[12:13], v[10:11]
	v_min_f32_e32 v10, v132, v113
	v_min_f32_e32 v11, v133, v112
	v_pk_add_f32 v[12:13], v[98:99], 0 op_sel_hi:[1,0]
	s_nop 0
	v_pk_add_f32 v[112:113], v[12:13], v[10:11]
	v_min_f32_e32 v10, v132, v125
	v_min_f32_e32 v11, v133, v124
	v_pk_add_f32 v[12:13], v[100:101], 0 op_sel_hi:[1,0]
	s_nop 0
	;; [unrolled: 5-line block ×5, first 2 shown]
	v_pk_add_f32 v[48:49], v[12:13], v[10:11]
	s_cbranch_scc1 .LBB49_36
; %bb.22:
	v_mov_b32_e32 v1, 0x1400
	v_lshl_add_u32 v213, v202, 4, v1
	v_mov_b32_e32 v1, 0x800
	v_lshl_add_u32 v214, v203, 4, v1
	v_add_u32_e32 v1, 8, v207
	v_add_u32_e32 v209, 0x1000, v4
	v_add_u32_e32 v211, 0x1400, v4
	v_mad_i64_i32 v[4:5], s[4:5], v1, s16, 0
	v_lshl_add_u64 v[100:101], v[2:3], 2, s[12:13]
	v_mad_i64_i32 v[2:3], s[4:5], s23, v6, 0
	v_mov_b32_e32 v1, 0
	v_lshl_add_u64 v[0:1], v[2:3], 2, v[0:1]
	v_lshl_add_u64 v[0:1], v[0:1], 0, s[14:15]
	;; [unrolled: 1-line block ×3, first 2 shown]
	v_add_u32_e32 v0, 12, v207
	v_mad_i64_i32 v[0:1], s[4:5], v0, s16, 0
	v_add_u32_e32 v210, 0x1000, v205
	v_or_b32_e32 v212, 0x800, v208
	s_add_i32 s18, s22, -8
	v_lshlrev_b64 v[98:99], 2, v[4:5]
	s_lshl_b64 s[12:13], s[16:17], 5
	v_lshlrev_b64 v[104:105], 2, v[0:1]
	s_mov_b32 s16, 0
	s_branch .LBB49_24
.LBB49_23:                              ;   in Loop: Header=BB49_24 Depth=1
	s_or_b64 exec, exec, s[4:5]
	v_pk_add_f32 v[40:41], v[96:97], v[40:41]
	v_pk_add_f32 v[32:33], v[64:65], v[32:33]
	;; [unrolled: 1-line block ×19, first 2 shown]
	ds_read_b128 v[0:3], v206
	ds_read_b128 v[8:11], v206 offset:512
	v_pk_add_f32 v[20:21], v[118:119], v[6:7]
	ds_read_b128 v[4:7], v210 offset:896
	v_pk_add_f32 v[44:45], v[94:95], v[44:45]
	v_pk_add_f32 v[28:29], v[78:79], v[28:29]
	;; [unrolled: 1-line block ×20, first 2 shown]
	ds_read_b128 v[12:15], v210 offset:768
	s_waitcnt lgkmcnt(0)
	v_max_f32_e32 v93, v5, v5
	v_max_f32_e32 v95, v4, v4
	;; [unrolled: 1-line block ×4, first 2 shown]
	v_pk_add_f32 v[76:77], v[36:37], v[38:39]
	v_pk_add_f32 v[72:73], v[28:29], v[30:31]
	;; [unrolled: 1-line block ×6, first 2 shown]
	ds_read_b128 v[80:83], v206 offset:1536
	ds_read_b128 v[84:87], v206 offset:1024
	v_min_f32_e32 v5, v93, v96
	v_min_f32_e32 v4, v95, v97
	v_pk_add_f32 v[60:61], v[62:63], v[166:167]
	v_pk_add_f32 v[62:63], v[78:79], v[164:165]
	;; [unrolled: 1-line block ×3, first 2 shown]
	ds_read_b128 v[76:79], v210
	v_pk_add_f32 v[114:115], v[54:55], v[146:147]
	v_pk_add_f32 v[90:91], v[90:91], v[130:131]
	;; [unrolled: 1-line block ×4, first 2 shown]
	s_waitcnt lgkmcnt(0)
	v_max_f32_e32 v114, v85, v85
	v_max_f32_e32 v115, v84, v84
	v_pk_add_f32 v[54:55], v[90:91], v[170:171]
	v_pk_add_f32 v[46:47], v[88:89], v[176:177]
	ds_read_b128 v[88:91], v210 offset:128
	v_max_f32_e32 v92, v1, v1
	v_max_f32_e32 v94, v0, v0
	v_min_f32_e32 v9, v93, v114
	v_min_f32_e32 v8, v95, v115
	v_max_f32_e32 v84, v76, v76
	v_max_f32_e32 v85, v77, v77
	v_pk_add_f32 v[8:9], v[74:75], v[8:9]
	v_min_f32_e32 v74, v84, v94
	v_min_f32_e32 v75, v85, v92
	v_pk_add_f32 v[74:75], v[68:69], v[74:75]
	v_min_f32_e32 v68, v84, v97
	v_min_f32_e32 v69, v85, v96
	;; [unrolled: 3-line block ×3, first 2 shown]
	v_max_f32_e32 v81, v81, v81
	v_max_f32_e32 v80, v80, v80
	v_pk_add_f32 v[66:67], v[24:25], v[26:27]
	v_pk_add_f32 v[72:73], v[72:73], v[68:69]
	v_min_f32_e32 v69, v85, v81
	v_min_f32_e32 v68, v84, v80
	v_pk_add_f32 v[84:85], v[66:67], v[68:69]
	s_waitcnt lgkmcnt(0)
	v_max_f32_e32 v68, v88, v88
	v_max_f32_e32 v69, v89, v89
	v_min_f32_e32 v66, v68, v94
	v_min_f32_e32 v67, v69, v92
	v_pk_add_f32 v[60:61], v[60:61], v[66:67]
	v_min_f32_e32 v66, v68, v97
	v_min_f32_e32 v67, v69, v96
	v_pk_add_f32 v[88:89], v[62:63], v[66:67]
	;; [unrolled: 3-line block ×3, first 2 shown]
	v_pk_add_f32 v[106:107], v[64:65], v[62:63]
	ds_read_b128 v[64:67], v210 offset:256
	v_min_f32_e32 v63, v69, v81
	v_min_f32_e32 v62, v68, v80
	ds_read_b128 v[68:71], v210 offset:384
	v_pk_add_f32 v[58:59], v[58:59], v[62:63]
	s_waitcnt lgkmcnt(0)
	v_max_f32_e32 v64, v64, v64
	v_max_f32_e32 v65, v65, v65
	v_min_f32_e32 v62, v64, v94
	v_min_f32_e32 v63, v65, v92
	v_pk_add_f32 v[52:53], v[52:53], v[62:63]
	v_min_f32_e32 v62, v64, v97
	v_min_f32_e32 v63, v65, v96
	v_pk_add_f32 v[54:55], v[54:55], v[62:63]
	;; [unrolled: 3-line block ×3, first 2 shown]
	v_pk_add_f32 v[56:57], v[56:57], v[62:63]
	v_min_f32_e32 v63, v65, v81
	v_min_f32_e32 v62, v64, v80
	v_pk_add_f32 v[36:37], v[108:109], v[184:185]
	v_pk_add_f32 v[108:109], v[50:51], v[62:63]
	v_max_f32_e32 v62, v68, v68
	v_max_f32_e32 v63, v69, v69
	v_min_f32_e32 v50, v62, v94
	v_min_f32_e32 v51, v63, v92
	v_pk_add_f32 v[110:111], v[110:111], v[150:151]
	v_pk_add_f32 v[68:69], v[44:45], v[50:51]
	v_min_f32_e32 v44, v62, v97
	v_min_f32_e32 v45, v63, v96
	v_pk_add_f32 v[112:113], v[112:113], v[156:157]
	v_pk_add_f32 v[28:29], v[110:111], v[194:195]
	;; [unrolled: 1-line block ×3, first 2 shown]
	v_min_f32_e32 v44, v62, v115
	v_min_f32_e32 v45, v63, v114
	v_pk_add_f32 v[24:25], v[112:113], v[200:201]
	v_pk_add_f32 v[112:113], v[48:49], v[44:45]
	ds_read_b128 v[44:47], v210 offset:512
	v_min_f32_e32 v49, v63, v81
	v_min_f32_e32 v48, v62, v80
	v_pk_add_f32 v[42:43], v[42:43], v[48:49]
	ds_read_b128 v[48:51], v210 offset:640
	s_waitcnt lgkmcnt(0)
	v_max_f32_e32 v62, v44, v44
	v_max_f32_e32 v63, v45, v45
	v_min_f32_e32 v44, v62, v94
	v_min_f32_e32 v45, v63, v92
	v_pk_add_f32 v[36:37], v[36:37], v[44:45]
	v_min_f32_e32 v44, v62, v97
	v_min_f32_e32 v45, v63, v96
	v_pk_add_f32 v[38:39], v[38:39], v[44:45]
	;; [unrolled: 3-line block ×3, first 2 shown]
	v_min_f32_e32 v45, v63, v81
	v_min_f32_e32 v44, v62, v80
	v_max_f32_e32 v48, v48, v48
	v_max_f32_e32 v49, v49, v49
	v_pk_add_f32 v[34:35], v[34:35], v[44:45]
	v_min_f32_e32 v44, v48, v94
	v_min_f32_e32 v45, v49, v92
	v_pk_add_f32 v[28:29], v[28:29], v[44:45]
	v_min_f32_e32 v44, v48, v97
	v_min_f32_e32 v45, v49, v96
	;; [unrolled: 3-line block ×3, first 2 shown]
	v_pk_add_f32 v[26:27], v[116:117], v[196:197]
	v_pk_add_f32 v[32:33], v[32:33], v[44:45]
	v_min_f32_e32 v45, v49, v81
	v_min_f32_e32 v44, v48, v80
	v_pk_add_f32 v[26:27], v[26:27], v[44:45]
	v_max_f32_e32 v44, v12, v12
	v_max_f32_e32 v45, v13, v13
	v_min_f32_e32 v12, v44, v94
	v_min_f32_e32 v13, v45, v92
	v_pk_add_f32 v[12:13], v[24:25], v[12:13]
	v_min_f32_e32 v24, v44, v97
	v_min_f32_e32 v25, v45, v96
	v_pk_add_f32 v[22:23], v[22:23], v[24:25]
	;; [unrolled: 3-line block ×4, first 2 shown]
	v_pk_add_f32 v[20:21], v[20:21], v[24:25]
	v_min_f32_e32 v25, v93, v81
	v_min_f32_e32 v24, v95, v80
	;; [unrolled: 1-line block ×4, first 2 shown]
	v_pk_add_f32 v[16:17], v[16:17], v[24:25]
	v_max_f32_e32 v24, v3, v3
	v_max_f32_e32 v7, v7, v7
	;; [unrolled: 1-line block ×4, first 2 shown]
	v_pk_add_f32 v[0:1], v[122:123], v[0:1]
	v_min_f32_e32 v3, v7, v24
	v_min_f32_e32 v2, v6, v25
	v_pk_add_f32 v[96:97], v[0:1], v[2:3]
	v_max_f32_e32 v2, v11, v11
	v_max_f32_e32 v3, v10, v10
	v_min_f32_e32 v1, v7, v2
	v_min_f32_e32 v0, v6, v3
	v_pk_add_f32 v[80:81], v[4:5], v[0:1]
	v_max_f32_e32 v4, v87, v87
	v_max_f32_e32 v5, v86, v86
	;; [unrolled: 5-line block ×3, first 2 shown]
	v_min_f32_e32 v0, v8, v25
	v_min_f32_e32 v1, v9, v24
	v_pk_add_f32 v[118:119], v[74:75], v[0:1]
	v_min_f32_e32 v0, v8, v3
	v_min_f32_e32 v1, v9, v2
	v_pk_add_f32 v[94:95], v[76:77], v[0:1]
	v_min_f32_e32 v0, v8, v5
	v_min_f32_e32 v1, v9, v4
	v_max_f32_e32 v10, v83, v83
	v_pk_add_f32 v[78:79], v[72:73], v[0:1]
	v_min_f32_e32 v1, v9, v10
	v_max_f32_e32 v9, v82, v82
	v_min_f32_e32 v0, v8, v9
	v_max_f32_e32 v8, v90, v90
	v_max_f32_e32 v11, v91, v91
	v_pk_add_f32 v[62:63], v[84:85], v[0:1]
	v_min_f32_e32 v0, v8, v25
	v_min_f32_e32 v1, v11, v24
	v_pk_add_f32 v[116:117], v[60:61], v[0:1]
	v_min_f32_e32 v0, v8, v3
	v_min_f32_e32 v1, v11, v2
	v_pk_add_f32 v[92:93], v[88:89], v[0:1]
	v_min_f32_e32 v0, v8, v5
	v_min_f32_e32 v1, v11, v4
	v_pk_add_f32 v[76:77], v[106:107], v[0:1]
	v_min_f32_e32 v1, v11, v10
	v_min_f32_e32 v0, v8, v9
	v_max_f32_e32 v8, v66, v66
	v_max_f32_e32 v11, v67, v67
	v_pk_add_f32 v[60:61], v[58:59], v[0:1]
	v_min_f32_e32 v0, v8, v25
	v_min_f32_e32 v1, v11, v24
	v_pk_add_f32 v[114:115], v[52:53], v[0:1]
	v_min_f32_e32 v0, v8, v3
	v_min_f32_e32 v1, v11, v2
	v_pk_add_f32 v[90:91], v[54:55], v[0:1]
	v_min_f32_e32 v0, v8, v5
	v_min_f32_e32 v1, v11, v4
	v_pk_add_f32 v[74:75], v[56:57], v[0:1]
	v_min_f32_e32 v1, v11, v10
	;; [unrolled: 14-line block ×6, first 2 shown]
	v_min_f32_e32 v0, v8, v9
	v_pk_add_f32 v[50:51], v[20:21], v[0:1]
	v_min_f32_e32 v1, v7, v10
	v_min_f32_e32 v0, v6, v9
	s_add_i32 s16, s16, 8
	v_pk_add_f32 v[48:49], v[16:17], v[0:1]
	v_lshl_add_u64 v[100:101], v[100:101], 0, s[12:13]
	s_cmp_ge_i32 s16, s18
	v_lshl_add_u64 v[102:103], v[102:103], 0, 32
	s_waitcnt vmcnt(0)
	ds_write_b32 v211, v216
	ds_write2st64_b32 v212, v215, v217 offset1:4
	s_waitcnt lgkmcnt(0)
	s_barrier
	s_cbranch_scc1 .LBB49_36
.LBB49_24:                              ; =>This Inner Loop Header: Depth=1
	v_add_u32_e32 v120, s16, v204
	v_add_u32_e32 v0, 8, v120
	v_cmp_gt_i32_e64 s[4:5], s22, v0
	s_and_b64 s[14:15], s[4:5], s[10:11]
	v_mov_b32_e32 v122, 0
	s_and_saveexec_b64 s[4:5], s[14:15]
	s_cbranch_execz .LBB49_26
; %bb.25:                               ;   in Loop: Header=BB49_24 Depth=1
	flat_load_dword v122, v[102:103]
.LBB49_26:                              ;   in Loop: Header=BB49_24 Depth=1
	s_or_b64 exec, exec, s[4:5]
	v_add_u32_e32 v121, s16, v207
	v_add_u32_e32 v0, 8, v121
	v_cmp_le_i32_e64 s[4:5], s22, v0
	s_or_b64 s[14:15], vcc, s[4:5]
	s_xor_b64 s[30:31], s[14:15], -1
	v_mov_b32_e32 v123, 0
	v_lshl_add_u64 v[0:1], v[100:101], 0, v[98:99]
	v_mov_b32_e32 v124, 0
	s_and_saveexec_b64 s[14:15], s[30:31]
	s_cbranch_execz .LBB49_28
; %bb.27:                               ;   in Loop: Header=BB49_24 Depth=1
	flat_load_dword v124, v[0:1]
.LBB49_28:                              ;   in Loop: Header=BB49_24 Depth=1
	s_or_b64 exec, exec, s[14:15]
	s_or_b64 s[4:5], s[2:3], s[4:5]
	s_xor_b64 s[14:15], s[4:5], -1
	s_and_saveexec_b64 s[4:5], s[14:15]
	s_cbranch_execz .LBB49_30
; %bb.29:                               ;   in Loop: Header=BB49_24 Depth=1
	flat_load_dword v123, v[0:1] offset:256
.LBB49_30:                              ;   in Loop: Header=BB49_24 Depth=1
	s_or_b64 exec, exec, s[4:5]
	ds_read_b128 v[40:43], v214
	ds_read_b128 v[36:39], v214 offset:512
	ds_read_b128 v[24:27], v214 offset:1536
	;; [unrolled: 1-line block ×3, first 2 shown]
	ds_read_b128 v[28:31], v213
	ds_read_b128 v[20:23], v213 offset:128
	ds_read_b128 v[16:19], v213 offset:256
	;; [unrolled: 1-line block ×7, first 2 shown]
	v_add_u32_e32 v120, 12, v120
	v_cmp_gt_i32_e64 s[4:5], s22, v120
	s_and_b64 s[14:15], s[4:5], s[10:11]
	v_mov_b32_e32 v215, 0
	v_mov_b32_e32 v216, 0
	s_waitcnt vmcnt(0) lgkmcnt(0)
	ds_write_b32 v209, v122
	ds_write2st64_b32 v208, v124, v123 offset1:4
	s_waitcnt lgkmcnt(0)
	s_barrier
	s_and_saveexec_b64 s[4:5], s[14:15]
	s_cbranch_execz .LBB49_32
; %bb.31:                               ;   in Loop: Header=BB49_24 Depth=1
	flat_load_dword v216, v[102:103] offset:16
.LBB49_32:                              ;   in Loop: Header=BB49_24 Depth=1
	s_or_b64 exec, exec, s[4:5]
	v_add_u32_e32 v120, 12, v121
	v_cmp_le_i32_e64 s[4:5], s22, v120
	s_or_b64 s[14:15], vcc, s[4:5]
	s_xor_b64 s[30:31], s[14:15], -1
	v_lshl_add_u64 v[120:121], v[100:101], 0, v[104:105]
	s_and_saveexec_b64 s[14:15], s[30:31]
	s_cbranch_execz .LBB49_34
; %bb.33:                               ;   in Loop: Header=BB49_24 Depth=1
	flat_load_dword v215, v[120:121]
.LBB49_34:                              ;   in Loop: Header=BB49_24 Depth=1
	s_or_b64 exec, exec, s[14:15]
	v_max_f32_e32 v154, v41, v41
	v_max_f32_e32 v160, v45, v45
	;; [unrolled: 1-line block ×34, first 2 shown]
	v_min_f32_e32 v41, v160, v154
	v_min_f32_e32 v40, v162, v155
	;; [unrolled: 1-line block ×62, first 2 shown]
	v_max_f32_e32 v191, v47, v47
	v_max_f32_e32 v217, v46, v46
	;; [unrolled: 1-line block ×12, first 2 shown]
	v_min_f32_e32 v194, v6, v198
	v_min_f32_e32 v195, v7, v190
	;; [unrolled: 1-line block ×8, first 2 shown]
	v_max_f32_e32 v6, v2, v2
	v_max_f32_e32 v7, v3, v3
	s_or_b64 s[4:5], s[2:3], s[4:5]
	v_min_f32_e32 v32, v162, v163
	v_min_f32_e32 v0, v166, v163
	;; [unrolled: 1-line block ×58, first 2 shown]
	s_xor_b64 s[14:15], s[4:5], -1
	v_mov_b32_e32 v217, 0
	s_and_saveexec_b64 s[4:5], s[14:15]
	s_cbranch_execz .LBB49_23
; %bb.35:                               ;   in Loop: Header=BB49_24 Depth=1
	flat_load_dword v217, v[120:121] offset:256
	s_branch .LBB49_23
.LBB49_36:
	s_load_dwordx2 s[2:3], s[0:1], 0x70
	s_load_dword s30, s[0:1], 0x50
	s_load_dword s29, s[0:1], 0x68
	ds_read_b128 v[44:47], v206 offset:2048
	ds_read_b128 v[40:43], v206 offset:2560
	;; [unrolled: 1-line block ×12, first 2 shown]
	s_waitcnt lgkmcnt(0)
	s_lshl_b64 s[0:1], s[2:3], 2
	s_add_u32 s22, s6, s0
	v_add_u32_e32 v124, s27, v203
	s_addc_u32 s23, s7, s1
	v_mad_i64_i32 v[100:101], s[0:1], v124, s30, 0
	v_add_u32_e32 v98, s26, v202
	v_lshl_add_u64 v[122:123], v[100:101], 2, s[24:25]
	v_mad_i64_i32 v[100:101], s[0:1], v124, s29, 0
	v_cmp_gt_i32_e64 s[18:19], s21, v124
	v_lshl_add_u64 v[120:121], v[100:101], 2, s[22:23]
	v_cmp_gt_i32_e64 s[2:3], s20, v98
	v_cndmask_b32_e64 v100, 0, 1, s[8:9]
	s_and_b64 s[6:7], s[2:3], s[18:19]
	v_ashrrev_i32_e32 v99, 31, v98
	v_cmp_ne_u32_e64 s[0:1], 1, v100
	s_and_saveexec_b64 s[4:5], s[6:7]
	s_cbranch_execz .LBB49_41
; %bb.37:
	s_and_b64 vcc, exec, s[0:1]
	s_cbranch_vccnz .LBB49_39
; %bb.38:
	v_lshl_add_u64 v[100:101], v[98:99], 2, v[122:123]
	flat_load_dword v100, v[100:101]
	s_waitcnt vmcnt(0) lgkmcnt(0)
	v_mul_f32_e32 v100, s28, v100
	s_branch .LBB49_40
.LBB49_39:
	v_mov_b32_e32 v100, 0
.LBB49_40:
	v_max_f32_e32 v101, v44, v44
	v_max_f32_e32 v102, v32, v32
	v_min_f32_e32 v102, v102, v101
	v_max_f32_e32 v101, v45, v45
	v_max_f32_e32 v103, v33, v33
	v_min_f32_e32 v103, v103, v101
	;; [unrolled: 3-line block ×3, first 2 shown]
	v_max_f32_e32 v101, v47, v47
	v_max_f32_e32 v105, v35, v35
	v_pk_add_f32 v[102:103], v[118:119], v[102:103]
	v_min_f32_e32 v105, v105, v101
	v_pk_add_f32 v[102:103], v[102:103], v[104:105]
	s_nop 0
	v_add_f32_e32 v101, v102, v103
	v_add_f32_e32 v102, v101, v100
	v_lshl_add_u64 v[100:101], v[98:99], 2, v[120:121]
	global_store_dword v[100:101], v102, off
.LBB49_41:
	s_or_b64 exec, exec, s[4:5]
	v_add_u32_e32 v100, 8, v98
	v_cmp_gt_i32_e64 s[4:5], s20, v100
	s_and_b64 s[8:9], s[4:5], s[18:19]
	v_ashrrev_i32_e32 v101, 31, v100
	s_and_saveexec_b64 s[6:7], s[8:9]
	s_cbranch_execz .LBB49_46
; %bb.42:
	s_and_b64 vcc, exec, s[0:1]
	s_cbranch_vccnz .LBB49_44
; %bb.43:
	v_lshl_add_u64 v[102:103], v[100:101], 2, v[122:123]
	flat_load_dword v102, v[102:103]
	s_waitcnt vmcnt(0) lgkmcnt(0)
	v_mul_f32_e32 v102, s28, v102
	s_branch .LBB49_45
.LBB49_44:
	v_mov_b32_e32 v102, 0
.LBB49_45:
	v_max_f32_e32 v103, v44, v44
	v_max_f32_e32 v104, v28, v28
	v_min_f32_e32 v104, v104, v103
	v_max_f32_e32 v103, v45, v45
	v_max_f32_e32 v105, v29, v29
	v_min_f32_e32 v105, v105, v103
	v_pk_add_f32 v[104:105], v[116:117], v[104:105]
	v_max_f32_e32 v103, v46, v46
	v_max_f32_e32 v116, v30, v30
	v_min_f32_e32 v116, v116, v103
	v_max_f32_e32 v103, v47, v47
	v_max_f32_e32 v117, v31, v31
	v_min_f32_e32 v117, v117, v103
	v_pk_add_f32 v[104:105], v[104:105], v[116:117]
	s_nop 0
	v_add_f32_e32 v103, v104, v105
	v_add_f32_e32 v104, v103, v102
	v_lshl_add_u64 v[102:103], v[100:101], 2, v[120:121]
	global_store_dword v[102:103], v104, off
.LBB49_46:
	s_or_b64 exec, exec, s[6:7]
	v_add_u32_e32 v102, 16, v98
	v_cmp_gt_i32_e64 s[6:7], s20, v102
	s_and_b64 s[10:11], s[6:7], s[18:19]
	v_ashrrev_i32_e32 v103, 31, v102
	s_and_saveexec_b64 s[8:9], s[10:11]
	s_cbranch_execz .LBB49_51
; %bb.47:
	s_and_b64 vcc, exec, s[0:1]
	s_cbranch_vccnz .LBB49_49
; %bb.48:
	v_lshl_add_u64 v[104:105], v[102:103], 2, v[122:123]
	flat_load_dword v104, v[104:105]
	s_waitcnt vmcnt(0) lgkmcnt(0)
	v_mul_f32_e32 v104, s28, v104
	s_branch .LBB49_50
.LBB49_49:
	v_mov_b32_e32 v104, 0
.LBB49_50:
	v_max_f32_e32 v105, v44, v44
	v_max_f32_e32 v116, v24, v24
	v_min_f32_e32 v116, v116, v105
	v_max_f32_e32 v105, v45, v45
	v_max_f32_e32 v117, v25, v25
	v_min_f32_e32 v117, v117, v105
	v_pk_add_f32 v[114:115], v[114:115], v[116:117]
	v_max_f32_e32 v105, v46, v46
	v_max_f32_e32 v116, v26, v26
	v_min_f32_e32 v116, v116, v105
	v_max_f32_e32 v105, v47, v47
	v_max_f32_e32 v117, v27, v27
	v_min_f32_e32 v117, v117, v105
	v_pk_add_f32 v[114:115], v[114:115], v[116:117]
	s_nop 0
	v_add_f32_e32 v105, v114, v115
	v_add_f32_e32 v114, v105, v104
	v_lshl_add_u64 v[104:105], v[102:103], 2, v[120:121]
	global_store_dword v[104:105], v114, off
.LBB49_51:
	;; [unrolled: 39-line block ×7, first 2 shown]
	s_or_b64 exec, exec, s[18:19]
	v_add_u32_e32 v96, 32, v124
	v_mad_i64_i32 v[44:45], s[26:27], v96, s30, 0
	v_cmp_gt_i32_e64 s[18:19], s21, v96
	v_lshl_add_u64 v[46:47], v[44:45], 2, s[24:25]
	v_mad_i64_i32 v[44:45], s[26:27], v96, s29, 0
	v_lshl_add_u64 v[44:45], v[44:45], 2, s[22:23]
	s_and_b64 s[34:35], s[2:3], s[18:19]
	s_and_saveexec_b64 s[26:27], s[34:35]
	s_cbranch_execnz .LBB49_84
; %bb.77:
	s_or_b64 exec, exec, s[26:27]
	s_and_b64 s[34:35], s[4:5], s[18:19]
	s_and_saveexec_b64 s[26:27], s[34:35]
	s_cbranch_execnz .LBB49_88
.LBB49_78:
	s_or_b64 exec, exec, s[26:27]
	s_and_b64 s[34:35], s[6:7], s[18:19]
	s_and_saveexec_b64 s[26:27], s[34:35]
	s_cbranch_execnz .LBB49_92
.LBB49_79:
	s_or_b64 exec, exec, s[26:27]
	s_and_b64 s[34:35], s[8:9], s[18:19]
	s_and_saveexec_b64 s[26:27], s[34:35]
	s_cbranch_execnz .LBB49_96
.LBB49_80:
	s_or_b64 exec, exec, s[26:27]
	s_and_b64 s[34:35], s[10:11], s[18:19]
	s_and_saveexec_b64 s[26:27], s[34:35]
	s_cbranch_execnz .LBB49_100
.LBB49_81:
	s_or_b64 exec, exec, s[26:27]
	s_and_b64 s[34:35], s[12:13], s[18:19]
	s_and_saveexec_b64 s[26:27], s[34:35]
	s_cbranch_execnz .LBB49_104
.LBB49_82:
	s_or_b64 exec, exec, s[26:27]
	s_and_b64 s[34:35], s[14:15], s[18:19]
	s_and_saveexec_b64 s[26:27], s[34:35]
	s_cbranch_execnz .LBB49_108
.LBB49_83:
	s_or_b64 exec, exec, s[26:27]
	s_and_b64 s[26:27], s[16:17], s[18:19]
	s_and_saveexec_b64 s[18:19], s[26:27]
	s_cbranch_execnz .LBB49_112
	s_branch .LBB49_116
.LBB49_84:
	s_and_b64 vcc, exec, s[0:1]
	s_cbranch_vccnz .LBB49_86
; %bb.85:
	v_lshl_add_u64 v[96:97], v[98:99], 2, v[46:47]
	flat_load_dword v96, v[96:97]
	s_waitcnt vmcnt(0) lgkmcnt(0)
	v_mul_f32_e32 v96, s28, v96
	s_branch .LBB49_87
.LBB49_86:
	v_mov_b32_e32 v96, 0
.LBB49_87:
	v_max_f32_e32 v97, v40, v40
	v_max_f32_e32 v114, v32, v32
	v_min_f32_e32 v114, v114, v97
	v_max_f32_e32 v97, v41, v41
	v_max_f32_e32 v115, v33, v33
	v_min_f32_e32 v115, v115, v97
	v_pk_add_f32 v[94:95], v[94:95], v[114:115]
	v_max_f32_e32 v97, v42, v42
	v_max_f32_e32 v114, v34, v34
	v_min_f32_e32 v114, v114, v97
	v_max_f32_e32 v97, v43, v43
	v_max_f32_e32 v115, v35, v35
	v_min_f32_e32 v115, v115, v97
	v_pk_add_f32 v[94:95], v[94:95], v[114:115]
	s_nop 0
	v_add_f32_e32 v94, v94, v95
	v_add_f32_e32 v96, v94, v96
	v_lshl_add_u64 v[94:95], v[98:99], 2, v[44:45]
	global_store_dword v[94:95], v96, off
	s_or_b64 exec, exec, s[26:27]
	s_and_b64 s[34:35], s[4:5], s[18:19]
	s_and_saveexec_b64 s[26:27], s[34:35]
	s_cbranch_execz .LBB49_78
.LBB49_88:
	s_and_b64 vcc, exec, s[0:1]
	s_cbranch_vccnz .LBB49_90
; %bb.89:
	v_lshl_add_u64 v[94:95], v[100:101], 2, v[46:47]
	flat_load_dword v94, v[94:95]
	s_waitcnt vmcnt(0) lgkmcnt(0)
	v_mul_f32_e32 v94, s28, v94
	s_branch .LBB49_91
.LBB49_90:
	v_mov_b32_e32 v94, 0
.LBB49_91:
	v_max_f32_e32 v95, v40, v40
	v_max_f32_e32 v96, v28, v28
	v_min_f32_e32 v96, v96, v95
	v_max_f32_e32 v95, v41, v41
	v_max_f32_e32 v97, v29, v29
	v_min_f32_e32 v97, v97, v95
	v_pk_add_f32 v[92:93], v[92:93], v[96:97]
	v_max_f32_e32 v95, v42, v42
	v_max_f32_e32 v96, v30, v30
	v_min_f32_e32 v96, v96, v95
	v_max_f32_e32 v95, v43, v43
	v_max_f32_e32 v97, v31, v31
	v_min_f32_e32 v97, v97, v95
	v_pk_add_f32 v[92:93], v[92:93], v[96:97]
	s_nop 0
	v_add_f32_e32 v92, v92, v93
	v_add_f32_e32 v94, v92, v94
	v_lshl_add_u64 v[92:93], v[100:101], 2, v[44:45]
	global_store_dword v[92:93], v94, off
	s_or_b64 exec, exec, s[26:27]
	s_and_b64 s[34:35], s[6:7], s[18:19]
	s_and_saveexec_b64 s[26:27], s[34:35]
	s_cbranch_execz .LBB49_79
.LBB49_92:
	s_and_b64 vcc, exec, s[0:1]
	s_cbranch_vccnz .LBB49_94
; %bb.93:
	v_lshl_add_u64 v[92:93], v[102:103], 2, v[46:47]
	flat_load_dword v92, v[92:93]
	s_waitcnt vmcnt(0) lgkmcnt(0)
	v_mul_f32_e32 v92, s28, v92
	s_branch .LBB49_95
.LBB49_94:
	v_mov_b32_e32 v92, 0
.LBB49_95:
	v_max_f32_e32 v93, v40, v40
	v_max_f32_e32 v94, v24, v24
	v_min_f32_e32 v94, v94, v93
	v_max_f32_e32 v93, v41, v41
	v_max_f32_e32 v95, v25, v25
	v_min_f32_e32 v95, v95, v93
	v_pk_add_f32 v[90:91], v[90:91], v[94:95]
	v_max_f32_e32 v93, v42, v42
	v_max_f32_e32 v94, v26, v26
	v_min_f32_e32 v94, v94, v93
	v_max_f32_e32 v93, v43, v43
	v_max_f32_e32 v95, v27, v27
	v_min_f32_e32 v95, v95, v93
	v_pk_add_f32 v[90:91], v[90:91], v[94:95]
	s_nop 0
	v_add_f32_e32 v90, v90, v91
	v_add_f32_e32 v92, v90, v92
	v_lshl_add_u64 v[90:91], v[102:103], 2, v[44:45]
	global_store_dword v[90:91], v92, off
	s_or_b64 exec, exec, s[26:27]
	s_and_b64 s[34:35], s[8:9], s[18:19]
	s_and_saveexec_b64 s[26:27], s[34:35]
	s_cbranch_execz .LBB49_80
.LBB49_96:
	s_and_b64 vcc, exec, s[0:1]
	s_cbranch_vccnz .LBB49_98
; %bb.97:
	v_lshl_add_u64 v[90:91], v[104:105], 2, v[46:47]
	flat_load_dword v90, v[90:91]
	s_waitcnt vmcnt(0) lgkmcnt(0)
	v_mul_f32_e32 v90, s28, v90
	s_branch .LBB49_99
.LBB49_98:
	v_mov_b32_e32 v90, 0
.LBB49_99:
	v_max_f32_e32 v91, v40, v40
	v_max_f32_e32 v92, v20, v20
	v_min_f32_e32 v92, v92, v91
	v_max_f32_e32 v91, v41, v41
	v_max_f32_e32 v93, v21, v21
	v_min_f32_e32 v93, v93, v91
	v_pk_add_f32 v[88:89], v[88:89], v[92:93]
	v_max_f32_e32 v91, v42, v42
	v_max_f32_e32 v92, v22, v22
	v_min_f32_e32 v92, v92, v91
	v_max_f32_e32 v91, v43, v43
	v_max_f32_e32 v93, v23, v23
	v_min_f32_e32 v93, v93, v91
	v_pk_add_f32 v[88:89], v[88:89], v[92:93]
	s_nop 0
	v_add_f32_e32 v88, v88, v89
	v_add_f32_e32 v90, v88, v90
	v_lshl_add_u64 v[88:89], v[104:105], 2, v[44:45]
	global_store_dword v[88:89], v90, off
	s_or_b64 exec, exec, s[26:27]
	s_and_b64 s[34:35], s[10:11], s[18:19]
	s_and_saveexec_b64 s[26:27], s[34:35]
	s_cbranch_execz .LBB49_81
.LBB49_100:
	s_and_b64 vcc, exec, s[0:1]
	s_cbranch_vccnz .LBB49_102
; %bb.101:
	v_lshl_add_u64 v[88:89], v[106:107], 2, v[46:47]
	flat_load_dword v88, v[88:89]
	s_waitcnt vmcnt(0) lgkmcnt(0)
	v_mul_f32_e32 v88, s28, v88
	s_branch .LBB49_103
.LBB49_102:
	v_mov_b32_e32 v88, 0
.LBB49_103:
	v_max_f32_e32 v89, v40, v40
	v_max_f32_e32 v90, v16, v16
	v_min_f32_e32 v90, v90, v89
	v_max_f32_e32 v89, v41, v41
	v_max_f32_e32 v91, v17, v17
	v_min_f32_e32 v91, v91, v89
	v_pk_add_f32 v[86:87], v[86:87], v[90:91]
	v_max_f32_e32 v89, v42, v42
	v_max_f32_e32 v90, v18, v18
	v_min_f32_e32 v90, v90, v89
	v_max_f32_e32 v89, v43, v43
	v_max_f32_e32 v91, v19, v19
	v_min_f32_e32 v91, v91, v89
	v_pk_add_f32 v[86:87], v[86:87], v[90:91]
	s_nop 0
	v_add_f32_e32 v86, v86, v87
	v_add_f32_e32 v88, v86, v88
	v_lshl_add_u64 v[86:87], v[106:107], 2, v[44:45]
	global_store_dword v[86:87], v88, off
	s_or_b64 exec, exec, s[26:27]
	s_and_b64 s[34:35], s[12:13], s[18:19]
	s_and_saveexec_b64 s[26:27], s[34:35]
	s_cbranch_execz .LBB49_82
.LBB49_104:
	s_and_b64 vcc, exec, s[0:1]
	s_cbranch_vccnz .LBB49_106
; %bb.105:
	v_lshl_add_u64 v[86:87], v[108:109], 2, v[46:47]
	flat_load_dword v86, v[86:87]
	s_waitcnt vmcnt(0) lgkmcnt(0)
	v_mul_f32_e32 v86, s28, v86
	s_branch .LBB49_107
.LBB49_106:
	v_mov_b32_e32 v86, 0
.LBB49_107:
	v_max_f32_e32 v87, v40, v40
	v_max_f32_e32 v88, v12, v12
	v_min_f32_e32 v88, v88, v87
	v_max_f32_e32 v87, v41, v41
	v_max_f32_e32 v89, v13, v13
	v_min_f32_e32 v89, v89, v87
	v_pk_add_f32 v[84:85], v[84:85], v[88:89]
	v_max_f32_e32 v87, v42, v42
	v_max_f32_e32 v88, v14, v14
	v_min_f32_e32 v88, v88, v87
	v_max_f32_e32 v87, v43, v43
	v_max_f32_e32 v89, v15, v15
	v_min_f32_e32 v89, v89, v87
	v_pk_add_f32 v[84:85], v[84:85], v[88:89]
	s_nop 0
	v_add_f32_e32 v84, v84, v85
	v_add_f32_e32 v86, v84, v86
	v_lshl_add_u64 v[84:85], v[108:109], 2, v[44:45]
	global_store_dword v[84:85], v86, off
	s_or_b64 exec, exec, s[26:27]
	s_and_b64 s[34:35], s[14:15], s[18:19]
	s_and_saveexec_b64 s[26:27], s[34:35]
	s_cbranch_execz .LBB49_83
.LBB49_108:
	s_and_b64 vcc, exec, s[0:1]
	s_cbranch_vccnz .LBB49_110
; %bb.109:
	v_lshl_add_u64 v[84:85], v[110:111], 2, v[46:47]
	flat_load_dword v84, v[84:85]
	s_waitcnt vmcnt(0) lgkmcnt(0)
	v_mul_f32_e32 v84, s28, v84
	s_branch .LBB49_111
.LBB49_110:
	v_mov_b32_e32 v84, 0
.LBB49_111:
	v_max_f32_e32 v85, v40, v40
	v_max_f32_e32 v86, v8, v8
	v_min_f32_e32 v86, v86, v85
	v_max_f32_e32 v85, v41, v41
	v_max_f32_e32 v87, v9, v9
	v_min_f32_e32 v87, v87, v85
	v_pk_add_f32 v[82:83], v[82:83], v[86:87]
	v_max_f32_e32 v85, v42, v42
	v_max_f32_e32 v86, v10, v10
	v_min_f32_e32 v86, v86, v85
	v_max_f32_e32 v85, v43, v43
	v_max_f32_e32 v87, v11, v11
	v_min_f32_e32 v87, v87, v85
	v_pk_add_f32 v[82:83], v[82:83], v[86:87]
	s_nop 0
	v_add_f32_e32 v82, v82, v83
	v_add_f32_e32 v84, v82, v84
	v_lshl_add_u64 v[82:83], v[110:111], 2, v[44:45]
	global_store_dword v[82:83], v84, off
	s_or_b64 exec, exec, s[26:27]
	s_and_b64 s[26:27], s[16:17], s[18:19]
	s_and_saveexec_b64 s[18:19], s[26:27]
	s_cbranch_execz .LBB49_116
.LBB49_112:
	s_and_b64 vcc, exec, s[0:1]
	s_cbranch_vccnz .LBB49_114
; %bb.113:
	v_lshl_add_u64 v[46:47], v[112:113], 2, v[46:47]
	flat_load_dword v46, v[46:47]
	s_waitcnt vmcnt(0) lgkmcnt(0)
	v_mul_f32_e32 v46, s28, v46
	s_branch .LBB49_115
.LBB49_114:
	v_mov_b32_e32 v46, 0
.LBB49_115:
	v_max_f32_e32 v41, v41, v41
	v_max_f32_e32 v47, v5, v5
	v_min_f32_e32 v41, v47, v41
	v_max_f32_e32 v40, v40, v40
	v_max_f32_e32 v47, v4, v4
	v_min_f32_e32 v40, v47, v40
	;; [unrolled: 3-line block ×3, first 2 shown]
	v_max_f32_e32 v42, v42, v42
	v_max_f32_e32 v47, v6, v6
	v_pk_add_f32 v[40:41], v[80:81], v[40:41]
	v_min_f32_e32 v42, v47, v42
	v_pk_add_f32 v[40:41], v[40:41], v[42:43]
	s_nop 0
	v_add_f32_e32 v40, v40, v41
	v_add_f32_e32 v42, v40, v46
	v_lshl_add_u64 v[40:41], v[112:113], 2, v[44:45]
	global_store_dword v[40:41], v42, off
.LBB49_116:
	s_or_b64 exec, exec, s[18:19]
	v_add_u32_e32 v44, 64, v124
	v_mad_i64_i32 v[40:41], s[26:27], v44, s30, 0
	v_cmp_gt_i32_e64 s[18:19], s21, v44
	v_lshl_add_u64 v[42:43], v[40:41], 2, s[24:25]
	v_mad_i64_i32 v[40:41], s[26:27], v44, s29, 0
	v_lshl_add_u64 v[40:41], v[40:41], 2, s[22:23]
	s_and_b64 s[34:35], s[2:3], s[18:19]
	s_and_saveexec_b64 s[26:27], s[34:35]
	s_cbranch_execnz .LBB49_124
; %bb.117:
	s_or_b64 exec, exec, s[26:27]
	s_and_b64 s[34:35], s[4:5], s[18:19]
	s_and_saveexec_b64 s[26:27], s[34:35]
	s_cbranch_execnz .LBB49_128
.LBB49_118:
	s_or_b64 exec, exec, s[26:27]
	s_and_b64 s[34:35], s[6:7], s[18:19]
	s_and_saveexec_b64 s[26:27], s[34:35]
	s_cbranch_execnz .LBB49_132
.LBB49_119:
	s_or_b64 exec, exec, s[26:27]
	s_and_b64 s[34:35], s[8:9], s[18:19]
	s_and_saveexec_b64 s[26:27], s[34:35]
	s_cbranch_execnz .LBB49_136
.LBB49_120:
	s_or_b64 exec, exec, s[26:27]
	s_and_b64 s[34:35], s[10:11], s[18:19]
	s_and_saveexec_b64 s[26:27], s[34:35]
	s_cbranch_execnz .LBB49_140
.LBB49_121:
	s_or_b64 exec, exec, s[26:27]
	s_and_b64 s[34:35], s[12:13], s[18:19]
	s_and_saveexec_b64 s[26:27], s[34:35]
	s_cbranch_execnz .LBB49_144
.LBB49_122:
	s_or_b64 exec, exec, s[26:27]
	s_and_b64 s[34:35], s[14:15], s[18:19]
	s_and_saveexec_b64 s[26:27], s[34:35]
	s_cbranch_execnz .LBB49_148
.LBB49_123:
	s_or_b64 exec, exec, s[26:27]
	s_and_b64 s[26:27], s[16:17], s[18:19]
	s_and_saveexec_b64 s[18:19], s[26:27]
	s_cbranch_execnz .LBB49_152
	s_branch .LBB49_156
.LBB49_124:
	s_and_b64 vcc, exec, s[0:1]
	s_cbranch_vccnz .LBB49_126
; %bb.125:
	v_lshl_add_u64 v[44:45], v[98:99], 2, v[42:43]
	flat_load_dword v44, v[44:45]
	s_waitcnt vmcnt(0) lgkmcnt(0)
	v_mul_f32_e32 v44, s28, v44
	s_branch .LBB49_127
.LBB49_126:
	v_mov_b32_e32 v44, 0
.LBB49_127:
	v_max_f32_e32 v45, v36, v36
	v_max_f32_e32 v46, v32, v32
	v_min_f32_e32 v46, v46, v45
	v_max_f32_e32 v45, v37, v37
	v_max_f32_e32 v47, v33, v33
	v_min_f32_e32 v47, v47, v45
	v_pk_add_f32 v[46:47], v[78:79], v[46:47]
	v_max_f32_e32 v45, v38, v38
	v_max_f32_e32 v78, v34, v34
	v_min_f32_e32 v78, v78, v45
	v_max_f32_e32 v45, v39, v39
	v_max_f32_e32 v79, v35, v35
	v_min_f32_e32 v79, v79, v45
	v_pk_add_f32 v[46:47], v[46:47], v[78:79]
	s_nop 0
	v_add_f32_e32 v45, v46, v47
	v_add_f32_e32 v46, v45, v44
	v_lshl_add_u64 v[44:45], v[98:99], 2, v[40:41]
	global_store_dword v[44:45], v46, off
	s_or_b64 exec, exec, s[26:27]
	s_and_b64 s[34:35], s[4:5], s[18:19]
	s_and_saveexec_b64 s[26:27], s[34:35]
	s_cbranch_execz .LBB49_118
.LBB49_128:
	s_and_b64 vcc, exec, s[0:1]
	s_cbranch_vccnz .LBB49_130
; %bb.129:
	v_lshl_add_u64 v[44:45], v[100:101], 2, v[42:43]
	flat_load_dword v44, v[44:45]
	s_waitcnt vmcnt(0) lgkmcnt(0)
	v_mul_f32_e32 v44, s28, v44
	s_branch .LBB49_131
.LBB49_130:
	v_mov_b32_e32 v44, 0
.LBB49_131:
	v_max_f32_e32 v45, v36, v36
	v_max_f32_e32 v46, v28, v28
	v_min_f32_e32 v46, v46, v45
	v_max_f32_e32 v45, v37, v37
	v_max_f32_e32 v47, v29, v29
	v_min_f32_e32 v47, v47, v45
	v_pk_add_f32 v[46:47], v[76:77], v[46:47]
	v_max_f32_e32 v45, v38, v38
	v_max_f32_e32 v76, v30, v30
	v_min_f32_e32 v76, v76, v45
	v_max_f32_e32 v45, v39, v39
	v_max_f32_e32 v77, v31, v31
	v_min_f32_e32 v77, v77, v45
	v_pk_add_f32 v[46:47], v[46:47], v[76:77]
	s_nop 0
	v_add_f32_e32 v45, v46, v47
	v_add_f32_e32 v46, v45, v44
	v_lshl_add_u64 v[44:45], v[100:101], 2, v[40:41]
	global_store_dword v[44:45], v46, off
	s_or_b64 exec, exec, s[26:27]
	s_and_b64 s[34:35], s[6:7], s[18:19]
	s_and_saveexec_b64 s[26:27], s[34:35]
	s_cbranch_execz .LBB49_119
.LBB49_132:
	s_and_b64 vcc, exec, s[0:1]
	s_cbranch_vccnz .LBB49_134
; %bb.133:
	v_lshl_add_u64 v[44:45], v[102:103], 2, v[42:43]
	flat_load_dword v44, v[44:45]
	s_waitcnt vmcnt(0) lgkmcnt(0)
	v_mul_f32_e32 v44, s28, v44
	s_branch .LBB49_135
.LBB49_134:
	v_mov_b32_e32 v44, 0
.LBB49_135:
	v_max_f32_e32 v45, v36, v36
	v_max_f32_e32 v46, v24, v24
	v_min_f32_e32 v46, v46, v45
	v_max_f32_e32 v45, v37, v37
	v_max_f32_e32 v47, v25, v25
	v_min_f32_e32 v47, v47, v45
	v_pk_add_f32 v[46:47], v[74:75], v[46:47]
	v_max_f32_e32 v45, v38, v38
	v_max_f32_e32 v74, v26, v26
	v_min_f32_e32 v74, v74, v45
	v_max_f32_e32 v45, v39, v39
	v_max_f32_e32 v75, v27, v27
	v_min_f32_e32 v75, v75, v45
	v_pk_add_f32 v[46:47], v[46:47], v[74:75]
	s_nop 0
	v_add_f32_e32 v45, v46, v47
	v_add_f32_e32 v46, v45, v44
	v_lshl_add_u64 v[44:45], v[102:103], 2, v[40:41]
	global_store_dword v[44:45], v46, off
	s_or_b64 exec, exec, s[26:27]
	s_and_b64 s[34:35], s[8:9], s[18:19]
	s_and_saveexec_b64 s[26:27], s[34:35]
	s_cbranch_execz .LBB49_120
.LBB49_136:
	s_and_b64 vcc, exec, s[0:1]
	s_cbranch_vccnz .LBB49_138
; %bb.137:
	v_lshl_add_u64 v[44:45], v[104:105], 2, v[42:43]
	flat_load_dword v44, v[44:45]
	s_waitcnt vmcnt(0) lgkmcnt(0)
	v_mul_f32_e32 v44, s28, v44
	s_branch .LBB49_139
.LBB49_138:
	v_mov_b32_e32 v44, 0
.LBB49_139:
	v_max_f32_e32 v45, v36, v36
	v_max_f32_e32 v46, v20, v20
	v_min_f32_e32 v46, v46, v45
	v_max_f32_e32 v45, v37, v37
	v_max_f32_e32 v47, v21, v21
	v_min_f32_e32 v47, v47, v45
	v_pk_add_f32 v[46:47], v[72:73], v[46:47]
	v_max_f32_e32 v45, v38, v38
	v_max_f32_e32 v72, v22, v22
	v_min_f32_e32 v72, v72, v45
	v_max_f32_e32 v45, v39, v39
	v_max_f32_e32 v73, v23, v23
	v_min_f32_e32 v73, v73, v45
	v_pk_add_f32 v[46:47], v[46:47], v[72:73]
	s_nop 0
	v_add_f32_e32 v45, v46, v47
	v_add_f32_e32 v46, v45, v44
	v_lshl_add_u64 v[44:45], v[104:105], 2, v[40:41]
	global_store_dword v[44:45], v46, off
	s_or_b64 exec, exec, s[26:27]
	s_and_b64 s[34:35], s[10:11], s[18:19]
	s_and_saveexec_b64 s[26:27], s[34:35]
	s_cbranch_execz .LBB49_121
.LBB49_140:
	s_and_b64 vcc, exec, s[0:1]
	s_cbranch_vccnz .LBB49_142
; %bb.141:
	v_lshl_add_u64 v[44:45], v[106:107], 2, v[42:43]
	flat_load_dword v44, v[44:45]
	s_waitcnt vmcnt(0) lgkmcnt(0)
	v_mul_f32_e32 v44, s28, v44
	s_branch .LBB49_143
.LBB49_142:
	v_mov_b32_e32 v44, 0
.LBB49_143:
	v_max_f32_e32 v45, v36, v36
	v_max_f32_e32 v46, v16, v16
	v_min_f32_e32 v46, v46, v45
	v_max_f32_e32 v45, v37, v37
	v_max_f32_e32 v47, v17, v17
	v_min_f32_e32 v47, v47, v45
	v_pk_add_f32 v[46:47], v[70:71], v[46:47]
	v_max_f32_e32 v45, v38, v38
	v_max_f32_e32 v70, v18, v18
	v_min_f32_e32 v70, v70, v45
	v_max_f32_e32 v45, v39, v39
	v_max_f32_e32 v71, v19, v19
	v_min_f32_e32 v71, v71, v45
	v_pk_add_f32 v[46:47], v[46:47], v[70:71]
	s_nop 0
	v_add_f32_e32 v45, v46, v47
	v_add_f32_e32 v46, v45, v44
	v_lshl_add_u64 v[44:45], v[106:107], 2, v[40:41]
	global_store_dword v[44:45], v46, off
	s_or_b64 exec, exec, s[26:27]
	s_and_b64 s[34:35], s[12:13], s[18:19]
	s_and_saveexec_b64 s[26:27], s[34:35]
	s_cbranch_execz .LBB49_122
.LBB49_144:
	s_and_b64 vcc, exec, s[0:1]
	s_cbranch_vccnz .LBB49_146
; %bb.145:
	v_lshl_add_u64 v[44:45], v[108:109], 2, v[42:43]
	flat_load_dword v44, v[44:45]
	s_waitcnt vmcnt(0) lgkmcnt(0)
	v_mul_f32_e32 v44, s28, v44
	s_branch .LBB49_147
.LBB49_146:
	v_mov_b32_e32 v44, 0
.LBB49_147:
	v_max_f32_e32 v45, v36, v36
	v_max_f32_e32 v46, v12, v12
	v_min_f32_e32 v46, v46, v45
	v_max_f32_e32 v45, v37, v37
	v_max_f32_e32 v47, v13, v13
	v_min_f32_e32 v47, v47, v45
	v_pk_add_f32 v[46:47], v[68:69], v[46:47]
	v_max_f32_e32 v45, v38, v38
	v_max_f32_e32 v68, v14, v14
	v_min_f32_e32 v68, v68, v45
	v_max_f32_e32 v45, v39, v39
	v_max_f32_e32 v69, v15, v15
	v_min_f32_e32 v69, v69, v45
	v_pk_add_f32 v[46:47], v[46:47], v[68:69]
	s_nop 0
	v_add_f32_e32 v45, v46, v47
	v_add_f32_e32 v46, v45, v44
	v_lshl_add_u64 v[44:45], v[108:109], 2, v[40:41]
	global_store_dword v[44:45], v46, off
	s_or_b64 exec, exec, s[26:27]
	s_and_b64 s[34:35], s[14:15], s[18:19]
	s_and_saveexec_b64 s[26:27], s[34:35]
	s_cbranch_execz .LBB49_123
.LBB49_148:
	s_and_b64 vcc, exec, s[0:1]
	s_cbranch_vccnz .LBB49_150
; %bb.149:
	v_lshl_add_u64 v[44:45], v[110:111], 2, v[42:43]
	flat_load_dword v44, v[44:45]
	s_waitcnt vmcnt(0) lgkmcnt(0)
	v_mul_f32_e32 v44, s28, v44
	s_branch .LBB49_151
.LBB49_150:
	v_mov_b32_e32 v44, 0
.LBB49_151:
	v_max_f32_e32 v45, v36, v36
	v_max_f32_e32 v46, v8, v8
	v_min_f32_e32 v46, v46, v45
	v_max_f32_e32 v45, v37, v37
	v_max_f32_e32 v47, v9, v9
	v_min_f32_e32 v47, v47, v45
	v_pk_add_f32 v[46:47], v[66:67], v[46:47]
	v_max_f32_e32 v45, v38, v38
	v_max_f32_e32 v66, v10, v10
	v_min_f32_e32 v66, v66, v45
	v_max_f32_e32 v45, v39, v39
	v_max_f32_e32 v67, v11, v11
	v_min_f32_e32 v67, v67, v45
	v_pk_add_f32 v[46:47], v[46:47], v[66:67]
	s_nop 0
	v_add_f32_e32 v45, v46, v47
	v_add_f32_e32 v46, v45, v44
	v_lshl_add_u64 v[44:45], v[110:111], 2, v[40:41]
	global_store_dword v[44:45], v46, off
	s_or_b64 exec, exec, s[26:27]
	s_and_b64 s[26:27], s[16:17], s[18:19]
	s_and_saveexec_b64 s[18:19], s[26:27]
	s_cbranch_execz .LBB49_156
.LBB49_152:
	s_and_b64 vcc, exec, s[0:1]
	s_cbranch_vccnz .LBB49_154
; %bb.153:
	v_lshl_add_u64 v[42:43], v[112:113], 2, v[42:43]
	flat_load_dword v42, v[42:43]
	s_waitcnt vmcnt(0) lgkmcnt(0)
	v_mul_f32_e32 v42, s28, v42
	s_branch .LBB49_155
.LBB49_154:
	v_mov_b32_e32 v42, 0
.LBB49_155:
	v_max_f32_e32 v37, v37, v37
	v_max_f32_e32 v43, v5, v5
	v_min_f32_e32 v37, v43, v37
	v_max_f32_e32 v36, v36, v36
	v_max_f32_e32 v43, v4, v4
	v_min_f32_e32 v36, v43, v36
	;; [unrolled: 3-line block ×3, first 2 shown]
	v_max_f32_e32 v38, v38, v38
	v_max_f32_e32 v43, v6, v6
	v_pk_add_f32 v[36:37], v[64:65], v[36:37]
	v_min_f32_e32 v38, v43, v38
	v_pk_add_f32 v[36:37], v[36:37], v[38:39]
	s_nop 0
	v_add_f32_e32 v36, v36, v37
	v_add_f32_e32 v38, v36, v42
	v_lshl_add_u64 v[36:37], v[112:113], 2, v[40:41]
	global_store_dword v[36:37], v38, off
.LBB49_156:
	s_or_b64 exec, exec, s[18:19]
	v_add_u32_e32 v40, 0x60, v124
	v_cmp_gt_i32_e64 s[18:19], s21, v40
	v_mad_i64_i32 v[36:37], s[20:21], v40, s30, 0
	v_lshl_add_u64 v[38:39], v[36:37], 2, s[24:25]
	v_mad_i64_i32 v[36:37], s[20:21], v40, s29, 0
	v_lshl_add_u64 v[36:37], v[36:37], 2, s[22:23]
	s_and_b64 s[20:21], s[2:3], s[18:19]
	s_and_saveexec_b64 s[2:3], s[20:21]
	s_cbranch_execnz .LBB49_165
; %bb.157:
	s_or_b64 exec, exec, s[2:3]
	s_and_b64 s[4:5], s[4:5], s[18:19]
	s_and_saveexec_b64 s[2:3], s[4:5]
	s_cbranch_execnz .LBB49_169
.LBB49_158:
	s_or_b64 exec, exec, s[2:3]
	s_and_b64 s[4:5], s[6:7], s[18:19]
	s_and_saveexec_b64 s[2:3], s[4:5]
	s_cbranch_execnz .LBB49_173
.LBB49_159:
	s_or_b64 exec, exec, s[2:3]
	s_and_b64 s[4:5], s[8:9], s[18:19]
	s_and_saveexec_b64 s[2:3], s[4:5]
	s_cbranch_execnz .LBB49_177
.LBB49_160:
	s_or_b64 exec, exec, s[2:3]
	s_and_b64 s[4:5], s[10:11], s[18:19]
	s_and_saveexec_b64 s[2:3], s[4:5]
	s_cbranch_execnz .LBB49_181
.LBB49_161:
	s_or_b64 exec, exec, s[2:3]
	s_and_b64 s[4:5], s[12:13], s[18:19]
	s_and_saveexec_b64 s[2:3], s[4:5]
	s_cbranch_execnz .LBB49_185
.LBB49_162:
	s_or_b64 exec, exec, s[2:3]
	s_and_b64 s[4:5], s[14:15], s[18:19]
	s_and_saveexec_b64 s[2:3], s[4:5]
	s_cbranch_execnz .LBB49_189
.LBB49_163:
	s_or_b64 exec, exec, s[2:3]
	s_and_b64 s[2:3], s[16:17], s[18:19]
	s_and_saveexec_b64 s[4:5], s[2:3]
	s_cbranch_execnz .LBB49_193
.LBB49_164:
	s_endpgm
.LBB49_165:
	s_and_b64 vcc, exec, s[0:1]
	s_cbranch_vccnz .LBB49_167
; %bb.166:
	v_lshl_add_u64 v[40:41], v[98:99], 2, v[38:39]
	flat_load_dword v40, v[40:41]
	s_waitcnt vmcnt(0) lgkmcnt(0)
	v_mul_f32_e32 v40, s28, v40
	s_branch .LBB49_168
.LBB49_167:
	v_mov_b32_e32 v40, 0
.LBB49_168:
	v_max_f32_e32 v41, v1, v1
	v_max_f32_e32 v33, v33, v33
	v_min_f32_e32 v33, v33, v41
	v_max_f32_e32 v41, v0, v0
	v_max_f32_e32 v32, v32, v32
	v_min_f32_e32 v32, v32, v41
	;; [unrolled: 3-line block ×3, first 2 shown]
	v_max_f32_e32 v41, v2, v2
	v_max_f32_e32 v34, v34, v34
	v_pk_add_f32 v[32:33], v[62:63], v[32:33]
	v_min_f32_e32 v34, v34, v41
	v_pk_add_f32 v[32:33], v[32:33], v[34:35]
	s_nop 0
	v_add_f32_e32 v32, v32, v33
	v_add_f32_e32 v34, v32, v40
	v_lshl_add_u64 v[32:33], v[98:99], 2, v[36:37]
	global_store_dword v[32:33], v34, off
	s_or_b64 exec, exec, s[2:3]
	s_and_b64 s[4:5], s[4:5], s[18:19]
	s_and_saveexec_b64 s[2:3], s[4:5]
	s_cbranch_execz .LBB49_158
.LBB49_169:
	s_and_b64 vcc, exec, s[0:1]
	s_cbranch_vccnz .LBB49_171
; %bb.170:
	v_lshl_add_u64 v[32:33], v[100:101], 2, v[38:39]
	flat_load_dword v32, v[32:33]
	s_waitcnt vmcnt(0) lgkmcnt(0)
	v_mul_f32_e32 v32, s28, v32
	s_branch .LBB49_172
.LBB49_171:
	v_mov_b32_e32 v32, 0
.LBB49_172:
	v_max_f32_e32 v33, v1, v1
	v_max_f32_e32 v29, v29, v29
	v_min_f32_e32 v29, v29, v33
	v_max_f32_e32 v33, v0, v0
	v_max_f32_e32 v28, v28, v28
	v_min_f32_e32 v28, v28, v33
	;; [unrolled: 3-line block ×3, first 2 shown]
	v_max_f32_e32 v33, v2, v2
	v_max_f32_e32 v30, v30, v30
	v_pk_add_f32 v[28:29], v[60:61], v[28:29]
	v_min_f32_e32 v30, v30, v33
	v_pk_add_f32 v[28:29], v[28:29], v[30:31]
	s_nop 0
	v_add_f32_e32 v28, v28, v29
	v_add_f32_e32 v30, v28, v32
	v_lshl_add_u64 v[28:29], v[100:101], 2, v[36:37]
	global_store_dword v[28:29], v30, off
	s_or_b64 exec, exec, s[2:3]
	s_and_b64 s[4:5], s[6:7], s[18:19]
	s_and_saveexec_b64 s[2:3], s[4:5]
	s_cbranch_execz .LBB49_159
.LBB49_173:
	s_and_b64 vcc, exec, s[0:1]
	s_cbranch_vccnz .LBB49_175
; %bb.174:
	v_lshl_add_u64 v[28:29], v[102:103], 2, v[38:39]
	flat_load_dword v28, v[28:29]
	s_waitcnt vmcnt(0) lgkmcnt(0)
	v_mul_f32_e32 v28, s28, v28
	s_branch .LBB49_176
.LBB49_175:
	v_mov_b32_e32 v28, 0
.LBB49_176:
	v_max_f32_e32 v29, v1, v1
	v_max_f32_e32 v25, v25, v25
	v_min_f32_e32 v25, v25, v29
	v_max_f32_e32 v29, v0, v0
	v_max_f32_e32 v24, v24, v24
	v_min_f32_e32 v24, v24, v29
	;; [unrolled: 3-line block ×3, first 2 shown]
	v_max_f32_e32 v29, v2, v2
	v_max_f32_e32 v26, v26, v26
	v_pk_add_f32 v[24:25], v[58:59], v[24:25]
	v_min_f32_e32 v26, v26, v29
	v_pk_add_f32 v[24:25], v[24:25], v[26:27]
	s_nop 0
	v_add_f32_e32 v24, v24, v25
	v_add_f32_e32 v26, v24, v28
	v_lshl_add_u64 v[24:25], v[102:103], 2, v[36:37]
	global_store_dword v[24:25], v26, off
	s_or_b64 exec, exec, s[2:3]
	s_and_b64 s[4:5], s[8:9], s[18:19]
	s_and_saveexec_b64 s[2:3], s[4:5]
	s_cbranch_execz .LBB49_160
.LBB49_177:
	s_and_b64 vcc, exec, s[0:1]
	s_cbranch_vccnz .LBB49_179
; %bb.178:
	v_lshl_add_u64 v[24:25], v[104:105], 2, v[38:39]
	flat_load_dword v24, v[24:25]
	s_waitcnt vmcnt(0) lgkmcnt(0)
	v_mul_f32_e32 v24, s28, v24
	s_branch .LBB49_180
.LBB49_179:
	v_mov_b32_e32 v24, 0
.LBB49_180:
	v_max_f32_e32 v25, v1, v1
	v_max_f32_e32 v21, v21, v21
	v_min_f32_e32 v21, v21, v25
	v_max_f32_e32 v25, v0, v0
	v_max_f32_e32 v20, v20, v20
	v_min_f32_e32 v20, v20, v25
	;; [unrolled: 3-line block ×3, first 2 shown]
	v_max_f32_e32 v25, v2, v2
	v_max_f32_e32 v22, v22, v22
	v_pk_add_f32 v[20:21], v[56:57], v[20:21]
	v_min_f32_e32 v22, v22, v25
	v_pk_add_f32 v[20:21], v[20:21], v[22:23]
	s_nop 0
	v_add_f32_e32 v20, v20, v21
	v_add_f32_e32 v22, v20, v24
	v_lshl_add_u64 v[20:21], v[104:105], 2, v[36:37]
	global_store_dword v[20:21], v22, off
	s_or_b64 exec, exec, s[2:3]
	s_and_b64 s[4:5], s[10:11], s[18:19]
	s_and_saveexec_b64 s[2:3], s[4:5]
	s_cbranch_execz .LBB49_161
.LBB49_181:
	s_and_b64 vcc, exec, s[0:1]
	s_cbranch_vccnz .LBB49_183
; %bb.182:
	v_lshl_add_u64 v[20:21], v[106:107], 2, v[38:39]
	flat_load_dword v20, v[20:21]
	s_waitcnt vmcnt(0) lgkmcnt(0)
	v_mul_f32_e32 v20, s28, v20
	s_branch .LBB49_184
.LBB49_183:
	v_mov_b32_e32 v20, 0
.LBB49_184:
	v_max_f32_e32 v21, v1, v1
	v_max_f32_e32 v17, v17, v17
	v_min_f32_e32 v17, v17, v21
	v_max_f32_e32 v21, v0, v0
	v_max_f32_e32 v16, v16, v16
	v_min_f32_e32 v16, v16, v21
	;; [unrolled: 3-line block ×3, first 2 shown]
	v_max_f32_e32 v21, v2, v2
	v_max_f32_e32 v18, v18, v18
	v_pk_add_f32 v[16:17], v[54:55], v[16:17]
	v_min_f32_e32 v18, v18, v21
	v_pk_add_f32 v[16:17], v[16:17], v[18:19]
	s_nop 0
	v_add_f32_e32 v16, v16, v17
	v_add_f32_e32 v18, v16, v20
	v_lshl_add_u64 v[16:17], v[106:107], 2, v[36:37]
	global_store_dword v[16:17], v18, off
	s_or_b64 exec, exec, s[2:3]
	s_and_b64 s[4:5], s[12:13], s[18:19]
	s_and_saveexec_b64 s[2:3], s[4:5]
	s_cbranch_execz .LBB49_162
.LBB49_185:
	s_and_b64 vcc, exec, s[0:1]
	s_cbranch_vccnz .LBB49_187
; %bb.186:
	v_lshl_add_u64 v[16:17], v[108:109], 2, v[38:39]
	flat_load_dword v16, v[16:17]
	s_waitcnt vmcnt(0) lgkmcnt(0)
	v_mul_f32_e32 v16, s28, v16
	s_branch .LBB49_188
.LBB49_187:
	v_mov_b32_e32 v16, 0
.LBB49_188:
	v_max_f32_e32 v17, v1, v1
	v_max_f32_e32 v13, v13, v13
	v_min_f32_e32 v13, v13, v17
	v_max_f32_e32 v17, v0, v0
	v_max_f32_e32 v12, v12, v12
	v_min_f32_e32 v12, v12, v17
	;; [unrolled: 3-line block ×3, first 2 shown]
	v_max_f32_e32 v17, v2, v2
	v_max_f32_e32 v14, v14, v14
	v_pk_add_f32 v[12:13], v[52:53], v[12:13]
	v_min_f32_e32 v14, v14, v17
	v_pk_add_f32 v[12:13], v[12:13], v[14:15]
	s_nop 0
	v_add_f32_e32 v12, v12, v13
	v_add_f32_e32 v14, v12, v16
	v_lshl_add_u64 v[12:13], v[108:109], 2, v[36:37]
	global_store_dword v[12:13], v14, off
	s_or_b64 exec, exec, s[2:3]
	s_and_b64 s[4:5], s[14:15], s[18:19]
	s_and_saveexec_b64 s[2:3], s[4:5]
	s_cbranch_execz .LBB49_163
.LBB49_189:
	s_and_b64 vcc, exec, s[0:1]
	s_cbranch_vccnz .LBB49_191
; %bb.190:
	v_lshl_add_u64 v[12:13], v[110:111], 2, v[38:39]
	flat_load_dword v12, v[12:13]
	s_waitcnt vmcnt(0) lgkmcnt(0)
	v_mul_f32_e32 v12, s28, v12
	s_branch .LBB49_192
.LBB49_191:
	v_mov_b32_e32 v12, 0
.LBB49_192:
	v_max_f32_e32 v13, v1, v1
	v_max_f32_e32 v9, v9, v9
	v_min_f32_e32 v9, v9, v13
	v_max_f32_e32 v13, v0, v0
	v_max_f32_e32 v8, v8, v8
	v_min_f32_e32 v8, v8, v13
	;; [unrolled: 3-line block ×3, first 2 shown]
	v_max_f32_e32 v13, v2, v2
	v_max_f32_e32 v10, v10, v10
	v_pk_add_f32 v[8:9], v[50:51], v[8:9]
	v_min_f32_e32 v10, v10, v13
	v_pk_add_f32 v[8:9], v[8:9], v[10:11]
	s_nop 0
	v_add_f32_e32 v8, v8, v9
	v_add_f32_e32 v10, v8, v12
	v_lshl_add_u64 v[8:9], v[110:111], 2, v[36:37]
	global_store_dword v[8:9], v10, off
	s_or_b64 exec, exec, s[2:3]
	s_and_b64 s[2:3], s[16:17], s[18:19]
	s_and_saveexec_b64 s[4:5], s[2:3]
	s_cbranch_execz .LBB49_164
.LBB49_193:
	s_and_b64 vcc, exec, s[0:1]
	s_cbranch_vccnz .LBB49_195
; %bb.194:
	v_lshl_add_u64 v[8:9], v[112:113], 2, v[38:39]
	flat_load_dword v8, v[8:9]
	s_waitcnt vmcnt(0) lgkmcnt(0)
	v_mul_f32_e32 v8, s28, v8
	s_branch .LBB49_196
.LBB49_195:
	v_mov_b32_e32 v8, 0
.LBB49_196:
	v_max_f32_e32 v0, v0, v0
	v_max_f32_e32 v4, v4, v4
	;; [unrolled: 1-line block ×4, first 2 shown]
	v_min_f32_e32 v0, v4, v0
	v_max_f32_e32 v3, v3, v3
	v_max_f32_e32 v4, v7, v7
	v_min_f32_e32 v1, v5, v1
	v_min_f32_e32 v3, v4, v3
	v_max_f32_e32 v2, v2, v2
	v_max_f32_e32 v4, v6, v6
	v_pk_add_f32 v[0:1], v[48:49], v[0:1]
	v_min_f32_e32 v2, v4, v2
	v_pk_add_f32 v[0:1], v[0:1], v[2:3]
	s_nop 0
	v_add_f32_e32 v0, v0, v1
	v_add_f32_e32 v2, v0, v8
	v_lshl_add_u64 v[0:1], v[112:113], 2, v[36:37]
	global_store_dword v[0:1], v2, off
	s_endpgm
	.section	.rodata,"a",@progbits
	.p2align	6, 0x0
	.amdhsa_kernel _ZN12_GLOBAL__N_120geam_min_plus_kernelIf15HIP_vector_typeIfLj2EES2_Li8ELi32ELi64ELi128ELi4ELi4ELi64ELi64ELi4ELc84ELc84ELb1ELb1ELb0EfKPKfKPfEEviiiT16_PT17_ilSA_ilS8_SA_ilPT18_ili26rocblas_geam_ex_operation_
		.amdhsa_group_segment_fixed_size 6144
		.amdhsa_private_segment_fixed_size 0
		.amdhsa_kernarg_size 128
		.amdhsa_user_sgpr_count 2
		.amdhsa_user_sgpr_dispatch_ptr 0
		.amdhsa_user_sgpr_queue_ptr 0
		.amdhsa_user_sgpr_kernarg_segment_ptr 1
		.amdhsa_user_sgpr_dispatch_id 0
		.amdhsa_user_sgpr_kernarg_preload_length 0
		.amdhsa_user_sgpr_kernarg_preload_offset 0
		.amdhsa_user_sgpr_private_segment_size 0
		.amdhsa_uses_dynamic_stack 0
		.amdhsa_enable_private_segment 0
		.amdhsa_system_sgpr_workgroup_id_x 1
		.amdhsa_system_sgpr_workgroup_id_y 0
		.amdhsa_system_sgpr_workgroup_id_z 1
		.amdhsa_system_sgpr_workgroup_info 0
		.amdhsa_system_vgpr_workitem_id 1
		.amdhsa_next_free_vgpr 223
		.amdhsa_next_free_sgpr 36
		.amdhsa_accum_offset 224
		.amdhsa_reserve_vcc 1
		.amdhsa_float_round_mode_32 0
		.amdhsa_float_round_mode_16_64 0
		.amdhsa_float_denorm_mode_32 3
		.amdhsa_float_denorm_mode_16_64 3
		.amdhsa_dx10_clamp 1
		.amdhsa_ieee_mode 1
		.amdhsa_fp16_overflow 0
		.amdhsa_tg_split 0
		.amdhsa_exception_fp_ieee_invalid_op 0
		.amdhsa_exception_fp_denorm_src 0
		.amdhsa_exception_fp_ieee_div_zero 0
		.amdhsa_exception_fp_ieee_overflow 0
		.amdhsa_exception_fp_ieee_underflow 0
		.amdhsa_exception_fp_ieee_inexact 0
		.amdhsa_exception_int_div_zero 0
	.end_amdhsa_kernel
	.section	.text._ZN12_GLOBAL__N_120geam_min_plus_kernelIf15HIP_vector_typeIfLj2EES2_Li8ELi32ELi64ELi128ELi4ELi4ELi64ELi64ELi4ELc84ELc84ELb1ELb1ELb0EfKPKfKPfEEviiiT16_PT17_ilSA_ilS8_SA_ilPT18_ili26rocblas_geam_ex_operation_,"axG",@progbits,_ZN12_GLOBAL__N_120geam_min_plus_kernelIf15HIP_vector_typeIfLj2EES2_Li8ELi32ELi64ELi128ELi4ELi4ELi64ELi64ELi4ELc84ELc84ELb1ELb1ELb0EfKPKfKPfEEviiiT16_PT17_ilSA_ilS8_SA_ilPT18_ili26rocblas_geam_ex_operation_,comdat
.Lfunc_end49:
	.size	_ZN12_GLOBAL__N_120geam_min_plus_kernelIf15HIP_vector_typeIfLj2EES2_Li8ELi32ELi64ELi128ELi4ELi4ELi64ELi64ELi4ELc84ELc84ELb1ELb1ELb0EfKPKfKPfEEviiiT16_PT17_ilSA_ilS8_SA_ilPT18_ili26rocblas_geam_ex_operation_, .Lfunc_end49-_ZN12_GLOBAL__N_120geam_min_plus_kernelIf15HIP_vector_typeIfLj2EES2_Li8ELi32ELi64ELi128ELi4ELi4ELi64ELi64ELi4ELc84ELc84ELb1ELb1ELb0EfKPKfKPfEEviiiT16_PT17_ilSA_ilS8_SA_ilPT18_ili26rocblas_geam_ex_operation_
                                        ; -- End function
	.section	.AMDGPU.csdata,"",@progbits
; Kernel info:
; codeLenInByte = 11012
; NumSgprs: 42
; NumVgprs: 223
; NumAgprs: 0
; TotalNumVgprs: 223
; ScratchSize: 0
; MemoryBound: 0
; FloatMode: 240
; IeeeMode: 1
; LDSByteSize: 6144 bytes/workgroup (compile time only)
; SGPRBlocks: 5
; VGPRBlocks: 27
; NumSGPRsForWavesPerEU: 42
; NumVGPRsForWavesPerEU: 223
; AccumOffset: 224
; Occupancy: 2
; WaveLimiterHint : 1
; COMPUTE_PGM_RSRC2:SCRATCH_EN: 0
; COMPUTE_PGM_RSRC2:USER_SGPR: 2
; COMPUTE_PGM_RSRC2:TRAP_HANDLER: 0
; COMPUTE_PGM_RSRC2:TGID_X_EN: 1
; COMPUTE_PGM_RSRC2:TGID_Y_EN: 0
; COMPUTE_PGM_RSRC2:TGID_Z_EN: 1
; COMPUTE_PGM_RSRC2:TIDIG_COMP_CNT: 1
; COMPUTE_PGM_RSRC3_GFX90A:ACCUM_OFFSET: 55
; COMPUTE_PGM_RSRC3_GFX90A:TG_SPLIT: 0
	.section	.text._ZN12_GLOBAL__N_120geam_min_plus_kernelIf15HIP_vector_typeIfLj2EES2_Li8ELi32ELi64ELi128ELi4ELi4ELi64ELi64ELi4ELc84ELc84ELb0ELb1ELb0EfKPKfKPfEEviiiT16_PT17_ilSA_ilS8_SA_ilPT18_ili26rocblas_geam_ex_operation_,"axG",@progbits,_ZN12_GLOBAL__N_120geam_min_plus_kernelIf15HIP_vector_typeIfLj2EES2_Li8ELi32ELi64ELi128ELi4ELi4ELi64ELi64ELi4ELc84ELc84ELb0ELb1ELb0EfKPKfKPfEEviiiT16_PT17_ilSA_ilS8_SA_ilPT18_ili26rocblas_geam_ex_operation_,comdat
	.globl	_ZN12_GLOBAL__N_120geam_min_plus_kernelIf15HIP_vector_typeIfLj2EES2_Li8ELi32ELi64ELi128ELi4ELi4ELi64ELi64ELi4ELc84ELc84ELb0ELb1ELb0EfKPKfKPfEEviiiT16_PT17_ilSA_ilS8_SA_ilPT18_ili26rocblas_geam_ex_operation_ ; -- Begin function _ZN12_GLOBAL__N_120geam_min_plus_kernelIf15HIP_vector_typeIfLj2EES2_Li8ELi32ELi64ELi128ELi4ELi4ELi64ELi64ELi4ELc84ELc84ELb0ELb1ELb0EfKPKfKPfEEviiiT16_PT17_ilSA_ilS8_SA_ilPT18_ili26rocblas_geam_ex_operation_
	.p2align	8
	.type	_ZN12_GLOBAL__N_120geam_min_plus_kernelIf15HIP_vector_typeIfLj2EES2_Li8ELi32ELi64ELi128ELi4ELi4ELi64ELi64ELi4ELc84ELc84ELb0ELb1ELb0EfKPKfKPfEEviiiT16_PT17_ilSA_ilS8_SA_ilPT18_ili26rocblas_geam_ex_operation_,@function
_ZN12_GLOBAL__N_120geam_min_plus_kernelIf15HIP_vector_typeIfLj2EES2_Li8ELi32ELi64ELi128ELi4ELi4ELi64ELi64ELi4ELc84ELc84ELb0ELb1ELb0EfKPKfKPfEEviiiT16_PT17_ilSA_ilS8_SA_ilPT18_ili26rocblas_geam_ex_operation_: ; @_ZN12_GLOBAL__N_120geam_min_plus_kernelIf15HIP_vector_typeIfLj2EES2_Li8ELi32ELi64ELi128ELi4ELi4ELi64ELi64ELi4ELc84ELc84ELb0ELb1ELb0EfKPKfKPfEEviiiT16_PT17_ilSA_ilS8_SA_ilPT18_ili26rocblas_geam_ex_operation_
; %bb.0:
	s_load_dwordx4 s[20:23], s[0:1], 0x0
	s_load_dwordx4 s[4:7], s[0:1], 0x20
	s_mov_b32 s12, s3
	s_mov_b32 s13, 0
	s_waitcnt lgkmcnt(0)
	v_cmp_eq_f32_e64 s[8:9], s23, 0
	v_cmp_neq_f32_e64 s[10:11], s23, 0
	s_and_b64 vcc, exec, s[8:9]
	s_cbranch_vccnz .LBB50_3
; %bb.1:
	s_load_dwordx2 s[14:15], s[0:1], 0x10
	s_lshl_b64 s[16:17], s[12:13], 3
	s_waitcnt lgkmcnt(0)
	s_add_u32 s14, s14, s16
	s_addc_u32 s15, s15, s17
	s_load_dwordx2 s[14:15], s[14:15], 0x0
	s_lshl_b64 s[4:5], s[4:5], 2
	s_waitcnt lgkmcnt(0)
	s_add_u32 s18, s14, s4
	s_addc_u32 s19, s15, s5
	s_andn2_b64 vcc, exec, s[8:9]
	s_cbranch_vccnz .LBB50_4
.LBB50_2:
	s_mov_b64 s[14:15], 0
	s_cbranch_execz .LBB50_5
	s_branch .LBB50_6
.LBB50_3:
	s_mov_b64 s[18:19], 0
	s_andn2_b64 vcc, exec, s[8:9]
	s_cbranch_vccz .LBB50_2
.LBB50_4:
                                        ; implicit-def: $sgpr14_sgpr15
.LBB50_5:
	s_lshl_b64 s[8:9], s[12:13], 3
	s_add_u32 s6, s6, s8
	s_load_dwordx2 s[4:5], s[0:1], 0x38
	s_addc_u32 s7, s7, s9
	s_load_dwordx2 s[6:7], s[6:7], 0x0
	s_waitcnt lgkmcnt(0)
	s_lshl_b64 s[4:5], s[4:5], 2
	s_add_u32 s14, s6, s4
	s_addc_u32 s15, s7, s5
.LBB50_6:
	s_load_dword s28, s[0:1], 0x40
	s_load_dwordx4 s[4:7], s[0:1], 0x58
	s_waitcnt lgkmcnt(0)
	v_cmp_eq_f32_e64 s[16:17], s28, 0
	v_cmp_neq_f32_e64 s[8:9], s28, 0
	s_and_b64 vcc, exec, s[16:17]
	s_cbranch_vccnz .LBB50_8
; %bb.7:
	s_load_dwordx2 s[16:17], s[0:1], 0x48
	s_lshl_b64 s[24:25], s[12:13], 3
	s_waitcnt lgkmcnt(0)
	s_add_u32 s16, s16, s24
	s_addc_u32 s17, s17, s25
	s_load_dwordx2 s[16:17], s[16:17], 0x0
	s_lshl_b64 s[4:5], s[4:5], 2
	s_waitcnt lgkmcnt(0)
	s_add_u32 s24, s16, s4
	s_addc_u32 s25, s17, s5
	s_branch .LBB50_9
.LBB50_8:
	s_mov_b64 s[24:25], 0
.LBB50_9:
	s_lshl_b64 s[4:5], s[12:13], 3
	s_add_u32 s4, s6, s4
	s_addc_u32 s5, s7, s5
	s_add_i32 s3, s20, -1
	s_ashr_i32 s6, s3, 31
	s_lshr_b32 s6, s6, 26
	s_add_i32 s3, s3, s6
	s_ashr_i32 s3, s3, 6
	s_add_i32 s6, s3, 1
	v_cvt_f32_u32_e32 v1, s6
	v_and_b32_e32 v198, 0x3ff, v0
	v_bfe_u32 v199, v0, 10, 10
	s_load_dwordx2 s[12:13], s[4:5], 0x0
	v_rcp_iflag_f32_e32 v1, v1
	s_not_b32 s3, s3
	v_lshl_add_u32 v2, v199, 3, v198
	s_load_dword s34, s[0:1], 0x18
	v_mul_f32_e32 v0, 0x4f7ffffe, v1
	v_cvt_u32_f32_e32 v0, v0
	v_lshrrev_b32_e32 v7, 2, v2
	v_and_b32_e32 v200, 3, v198
	v_mov_b32_e32 v8, 0
	v_readfirstlane_b32 s4, v0
	s_mul_i32 s3, s3, s4
	s_mul_hi_u32 s3, s4, s3
	s_add_i32 s4, s4, s3
	s_mul_hi_u32 s3, s2, s4
	s_mul_i32 s4, s3, s6
	s_sub_i32 s4, s2, s4
	s_add_i32 s5, s3, 1
	s_sub_i32 s7, s4, s6
	s_cmp_ge_u32 s4, s6
	s_cselect_b32 s3, s5, s3
	s_cselect_b32 s4, s7, s4
	s_add_i32 s5, s3, 1
	s_cmp_ge_u32 s4, s6
	s_cselect_b32 s4, s5, s3
	s_mul_i32 s3, s4, s6
	s_sub_i32 s2, s2, s3
	s_lshl_b32 s29, s2, 6
	v_add_u32_e32 v4, s29, v7
	v_cmp_gt_i32_e64 s[2:3], s22, v200
	v_cmp_gt_i32_e32 vcc, s20, v4
	s_and_b64 s[2:3], s[2:3], vcc
	s_and_b64 s[6:7], s[10:11], s[2:3]
	v_lshlrev_b32_e32 v0, 2, v200
	v_mov_b32_e32 v9, 0
	s_and_saveexec_b64 s[2:3], s[6:7]
	s_cbranch_execz .LBB50_11
; %bb.10:
	s_waitcnt lgkmcnt(0)
	v_mad_i64_i32 v[10:11], s[6:7], v4, s34, 0
	v_lshl_add_u64 v[10:11], v[10:11], 2, s[18:19]
	v_mov_b32_e32 v1, 0
	v_lshl_add_u64 v[10:11], v[10:11], 0, v[0:1]
	flat_load_dword v1, v[10:11]
	s_waitcnt vmcnt(0) lgkmcnt(0)
	v_mul_f32_e32 v9, s23, v1
.LBB50_11:
	s_or_b64 exec, exec, s[2:3]
	s_load_dword s31, s[0:1], 0x30
	v_lshrrev_b32_e32 v201, 6, v2
	s_add_i32 s33, s22, -1
	v_and_b32_e32 v10, 63, v2
	s_lshl_b32 s30, s4, 7
	v_min_i32_e32 v1, s33, v201
	v_or_b32_e32 v72, s30, v10
	s_waitcnt lgkmcnt(0)
	v_mad_i64_i32 v[2:3], s[2:3], s31, v1, 0
	v_cmp_le_i32_e64 s[6:7], s22, v201
	v_cmp_le_i32_e64 s[2:3], s21, v72
	s_or_b64 s[4:5], s[2:3], s[6:7]
	s_xor_b64 s[16:17], s[10:11], -1
	s_or_b64 s[4:5], s[4:5], s[16:17]
	v_lshl_add_u64 v[2:3], v[2:3], 2, s[14:15]
	s_xor_b64 s[26:27], s[4:5], -1
	v_ashrrev_i32_e32 v73, 31, v72
	s_and_saveexec_b64 s[4:5], s[26:27]
	s_cbranch_execz .LBB50_13
; %bb.12:
	v_lshl_add_u64 v[12:13], v[72:73], 2, v[2:3]
	flat_load_dword v1, v[12:13]
	s_waitcnt vmcnt(0) lgkmcnt(0)
	v_mul_f32_e32 v8, s23, v1
.LBB50_13:
	s_or_b64 exec, exec, s[4:5]
	v_or_b32_e32 v1, 64, v72
	v_cmp_le_i32_e64 s[4:5], s21, v1
	s_or_b64 s[6:7], s[4:5], s[6:7]
	s_or_b64 s[6:7], s[6:7], s[16:17]
	s_xor_b64 s[26:27], s[6:7], -1
	v_mov_b32_e32 v1, 0
	v_mov_b32_e32 v11, 0
	s_and_saveexec_b64 s[6:7], s[26:27]
	s_cbranch_execz .LBB50_15
; %bb.14:
	v_lshl_add_u64 v[2:3], v[72:73], 2, v[2:3]
	flat_load_dword v2, v[2:3] offset:256
	s_waitcnt vmcnt(0) lgkmcnt(0)
	v_mul_f32_e32 v11, s23, v2
.LBB50_15:
	s_or_b64 exec, exec, s[6:7]
	v_or_b32_e32 v2, 4, v200
	v_cmp_gt_i32_e64 s[6:7], s22, v2
	s_and_b64 s[6:7], s[6:7], vcc
	s_and_b64 s[26:27], s[10:11], s[6:7]
	s_and_saveexec_b64 s[6:7], s[26:27]
	s_cbranch_execz .LBB50_17
; %bb.16:
	v_mad_i64_i32 v[2:3], s[26:27], v4, s34, 0
	v_lshl_add_u64 v[2:3], v[2:3], 2, s[18:19]
	v_mov_b32_e32 v1, 0
	v_lshl_add_u64 v[2:3], v[2:3], 0, v[0:1]
	flat_load_dword v1, v[2:3] offset:16
	s_waitcnt vmcnt(0) lgkmcnt(0)
	v_mul_f32_e32 v1, s23, v1
.LBB50_17:
	s_or_b64 exec, exec, s[6:7]
	v_add_u32_e32 v2, 4, v201
	v_cmp_le_i32_e64 s[6:7], s22, v2
	v_min_i32_e32 v2, s33, v2
	v_mad_i64_i32 v[2:3], s[26:27], s31, v2, 0
	s_or_b64 s[26:27], s[2:3], s[6:7]
	s_or_b64 s[26:27], s[26:27], s[16:17]
	v_lshl_add_u64 v[2:3], v[2:3], 2, s[14:15]
	s_xor_b64 s[36:37], s[26:27], -1
	v_mov_b32_e32 v5, 0
	v_mov_b32_e32 v6, 0
	s_and_saveexec_b64 s[26:27], s[36:37]
	s_cbranch_execz .LBB50_19
; %bb.18:
	v_lshl_add_u64 v[12:13], v[72:73], 2, v[2:3]
	flat_load_dword v6, v[12:13]
	s_waitcnt vmcnt(0) lgkmcnt(0)
	v_mul_f32_e32 v6, s23, v6
.LBB50_19:
	s_or_b64 exec, exec, s[26:27]
	s_or_b64 s[6:7], s[4:5], s[6:7]
	s_or_b64 s[6:7], s[6:7], s[16:17]
	s_xor_b64 s[26:27], s[6:7], -1
	s_and_saveexec_b64 s[6:7], s[26:27]
	s_cbranch_execz .LBB50_21
; %bb.20:
	v_lshl_add_u64 v[2:3], v[72:73], 2, v[2:3]
	flat_load_dword v2, v[2:3] offset:256
	s_waitcnt vmcnt(0) lgkmcnt(0)
	v_mul_f32_e32 v5, s23, v2
.LBB50_21:
	s_or_b64 exec, exec, s[6:7]
	v_lshlrev_b32_e32 v3, 2, v201
	v_lshl_or_b32 v2, v7, 4, v0
	v_lshl_add_u32 v204, v10, 4, v3
	v_lshlrev_b32_e32 v203, 4, v199
	ds_write_b32 v2, v9 offset:4096
	ds_write2st64_b32 v204, v8, v11 offset1:4
	s_waitcnt lgkmcnt(0)
	s_barrier
	ds_read_b128 v[8:11], v203
	v_lshlrev_b32_e32 v202, 4, v198
	ds_read_b128 v[12:15], v202 offset:4992
	ds_read_b128 v[16:19], v203 offset:512
	;; [unrolled: 1-line block ×5, first 2 shown]
	s_waitcnt lgkmcnt(5)
	v_max_f32_e32 v3, v9, v9
	s_waitcnt lgkmcnt(4)
	v_max_f32_e32 v7, v13, v13
	v_max_f32_e32 v56, v8, v8
	;; [unrolled: 1-line block ×3, first 2 shown]
	ds_read_b128 v[32:35], v202 offset:4096
	ds_read_b128 v[36:39], v202 offset:4224
	v_max_f32_e32 v112, v11, v11
	v_max_f32_e32 v122, v15, v15
	;; [unrolled: 1-line block ×4, first 2 shown]
	ds_read_b128 v[8:11], v202 offset:4352
	ds_read_b128 v[12:15], v202 offset:4480
	s_waitcnt lgkmcnt(4)
	v_max_f32_e32 v126, v31, v31
	v_max_f32_e32 v127, v30, v30
	s_waitcnt lgkmcnt(2)
	v_max_f32_e32 v70, v38, v38
	s_waitcnt lgkmcnt(1)
	v_max_f32_e32 v30, v8, v8
	v_max_f32_e32 v31, v9, v9
	s_waitcnt lgkmcnt(0)
	v_max_f32_e32 v40, v12, v12
	v_max_f32_e32 v74, v10, v10
	;; [unrolled: 1-line block ×3, first 2 shown]
	ds_read_b128 v[8:11], v202 offset:4608
	v_max_f32_e32 v38, v13, v13
	v_max_f32_e32 v86, v14, v14
	;; [unrolled: 1-line block ×3, first 2 shown]
	ds_read_b128 v[12:15], v202 offset:4736
	v_max_f32_e32 v58, v17, v17
	v_max_f32_e32 v59, v16, v16
	;; [unrolled: 1-line block ×6, first 2 shown]
	s_waitcnt lgkmcnt(0)
	v_max_f32_e32 v54, v12, v12
	v_max_f32_e32 v55, v13, v13
	;; [unrolled: 1-line block ×10, first 2 shown]
	v_min_f32_e32 v48, v54, v56
	v_min_f32_e32 v49, v55, v3
	;; [unrolled: 1-line block ×10, first 2 shown]
	v_max_f32_e32 v124, v19, v19
	v_max_f32_e32 v125, v18, v18
	;; [unrolled: 1-line block ×11, first 2 shown]
	v_min_f32_e32 v8, v16, v56
	v_min_f32_e32 v10, v16, v59
	;; [unrolled: 1-line block ×37, first 2 shown]
	v_pk_add_f32 v[54:55], v[54:55], 0 op_sel_hi:[1,0]
	v_min_f32_e32 v61, v122, v112
	v_min_f32_e32 v60, v123, v113
	v_pk_add_f32 v[98:99], v[54:55], v[60:61]
	v_pk_add_f32 v[54:55], v[56:57], 0 op_sel_hi:[1,0]
	v_min_f32_e32 v57, v122, v124
	v_min_f32_e32 v56, v123, v125
	;; [unrolled: 1-line block ×3, first 2 shown]
	v_pk_add_f32 v[82:83], v[54:55], v[56:57]
	v_pk_add_f32 v[54:55], v[58:59], 0 op_sel_hi:[1,0]
	v_min_f32_e32 v57, v122, v126
	v_min_f32_e32 v56, v123, v127
	;; [unrolled: 1-line block ×8, first 2 shown]
	v_pk_add_f32 v[64:65], v[54:55], v[56:57]
	v_pk_add_f32 v[8:9], v[8:9], 0 op_sel_hi:[1,0]
	v_min_f32_e32 v54, v68, v113
	v_min_f32_e32 v55, v69, v112
	v_pk_add_f32 v[114:115], v[8:9], v[54:55]
	v_pk_add_f32 v[8:9], v[10:11], 0 op_sel_hi:[1,0]
	v_min_f32_e32 v10, v68, v125
	v_min_f32_e32 v11, v69, v124
	v_max_f32_e32 v131, v15, v15
	v_min_f32_e32 v15, v17, v63
	v_pk_add_f32 v[96:97], v[8:9], v[10:11]
	v_pk_add_f32 v[8:9], v[12:13], 0 op_sel_hi:[1,0]
	v_min_f32_e32 v10, v68, v127
	v_min_f32_e32 v11, v69, v126
	v_min_f32_e32 v17, v25, v3
	v_pk_add_f32 v[80:81], v[8:9], v[10:11]
	v_min_f32_e32 v9, v69, v128
	v_min_f32_e32 v8, v68, v129
	v_pk_add_f32 v[10:11], v[14:15], 0 op_sel_hi:[1,0]
	v_max_f32_e32 v133, v23, v23
	v_min_f32_e32 v23, v25, v63
	v_min_f32_e32 v25, v31, v3
	v_min_f32_e32 v31, v31, v63
	v_min_f32_e32 v41, v47, v3
	v_min_f32_e32 v47, v47, v63
	v_min_f32_e32 v119, v76, v63
	v_min_f32_e32 v121, v7, v63
	v_pk_add_f32 v[62:63], v[10:11], v[8:9]
	v_pk_add_f32 v[8:9], v[16:17], 0 op_sel_hi:[1,0]
	v_min_f32_e32 v10, v70, v113
	v_min_f32_e32 v11, v71, v112
	v_pk_add_f32 v[102:103], v[8:9], v[10:11]
	v_pk_add_f32 v[8:9], v[18:19], 0 op_sel_hi:[1,0]
	v_min_f32_e32 v10, v70, v125
	v_min_f32_e32 v11, v71, v124
	;; [unrolled: 4-line block ×3, first 2 shown]
	v_pk_add_f32 v[78:79], v[8:9], v[10:11]
	v_min_f32_e32 v9, v71, v128
	v_min_f32_e32 v8, v70, v129
	v_pk_add_f32 v[10:11], v[22:23], 0 op_sel_hi:[1,0]
	v_min_f32_e32 v85, v76, v3
	v_pk_add_f32 v[60:61], v[10:11], v[8:9]
	v_pk_add_f32 v[8:9], v[24:25], 0 op_sel_hi:[1,0]
	v_min_f32_e32 v10, v74, v113
	v_min_f32_e32 v11, v75, v112
	v_pk_add_f32 v[104:105], v[8:9], v[10:11]
	v_pk_add_f32 v[8:9], v[26:27], 0 op_sel_hi:[1,0]
	v_min_f32_e32 v10, v74, v125
	;; [unrolled: 4-line block ×3, first 2 shown]
	v_min_f32_e32 v11, v75, v126
	v_pk_add_f32 v[76:77], v[8:9], v[10:11]
	v_min_f32_e32 v9, v75, v128
	v_min_f32_e32 v8, v74, v129
	v_pk_add_f32 v[10:11], v[30:31], 0 op_sel_hi:[1,0]
	s_cmp_lt_i32 s22, 9
	v_pk_add_f32 v[58:59], v[10:11], v[8:9]
	v_pk_add_f32 v[8:9], v[32:33], 0 op_sel_hi:[1,0]
	v_min_f32_e32 v10, v86, v113
	v_min_f32_e32 v11, v87, v112
	v_pk_add_f32 v[106:107], v[8:9], v[10:11]
	v_pk_add_f32 v[8:9], v[34:35], 0 op_sel_hi:[1,0]
	v_min_f32_e32 v10, v86, v125
	v_min_f32_e32 v11, v87, v124
	v_pk_add_f32 v[90:91], v[8:9], v[10:11]
	v_pk_add_f32 v[8:9], v[36:37], 0 op_sel_hi:[1,0]
	v_min_f32_e32 v10, v86, v127
	v_min_f32_e32 v11, v87, v126
	v_pk_add_f32 v[74:75], v[8:9], v[10:11]
	v_min_f32_e32 v9, v87, v128
	v_min_f32_e32 v8, v86, v129
	v_pk_add_f32 v[10:11], v[38:39], 0 op_sel_hi:[1,0]
	ds_write2st64_b32 v204, v6, v5 offset0:8 offset1:12
	ds_write_b32 v2, v1 offset:5120
	v_pk_add_f32 v[56:57], v[10:11], v[8:9]
	v_pk_add_f32 v[8:9], v[40:41], 0 op_sel_hi:[1,0]
	v_min_f32_e32 v10, v110, v113
	v_min_f32_e32 v11, v111, v112
	v_pk_add_f32 v[108:109], v[8:9], v[10:11]
	v_pk_add_f32 v[8:9], v[42:43], 0 op_sel_hi:[1,0]
	v_min_f32_e32 v10, v110, v125
	v_min_f32_e32 v11, v111, v124
	;; [unrolled: 4-line block ×3, first 2 shown]
	v_pk_add_f32 v[70:71], v[8:9], v[10:11]
	v_min_f32_e32 v9, v111, v128
	v_min_f32_e32 v8, v110, v129
	v_pk_add_f32 v[10:11], v[46:47], 0 op_sel_hi:[1,0]
	s_waitcnt lgkmcnt(0)
	v_pk_add_f32 v[54:55], v[10:11], v[8:9]
	v_pk_add_f32 v[8:9], v[48:49], 0 op_sel_hi:[1,0]
	v_min_f32_e32 v10, v130, v113
	v_min_f32_e32 v11, v131, v112
	v_pk_add_f32 v[110:111], v[8:9], v[10:11]
	v_pk_add_f32 v[8:9], v[50:51], 0 op_sel_hi:[1,0]
	v_min_f32_e32 v10, v130, v125
	v_min_f32_e32 v11, v131, v124
	;; [unrolled: 4-line block ×3, first 2 shown]
	v_pk_add_f32 v[68:69], v[8:9], v[10:11]
	v_min_f32_e32 v9, v131, v128
	v_min_f32_e32 v8, v130, v129
	v_pk_add_f32 v[10:11], v[66:67], 0 op_sel_hi:[1,0]
	s_barrier
	v_pk_add_f32 v[52:53], v[10:11], v[8:9]
	v_min_f32_e32 v8, v132, v113
	v_min_f32_e32 v9, v133, v112
	v_pk_add_f32 v[10:11], v[84:85], 0 op_sel_hi:[1,0]
	s_nop 0
	v_pk_add_f32 v[112:113], v[10:11], v[8:9]
	v_min_f32_e32 v8, v132, v125
	v_min_f32_e32 v9, v133, v124
	v_pk_add_f32 v[10:11], v[100:101], 0 op_sel_hi:[1,0]
	s_nop 0
	v_pk_add_f32 v[84:85], v[10:11], v[8:9]
	v_min_f32_e32 v8, v132, v127
	v_min_f32_e32 v9, v133, v126
	v_pk_add_f32 v[10:11], v[116:117], 0 op_sel_hi:[1,0]
	s_nop 0
	v_pk_add_f32 v[66:67], v[10:11], v[8:9]
	v_min_f32_e32 v9, v133, v128
	v_min_f32_e32 v8, v132, v129
	v_pk_add_f32 v[10:11], v[118:119], 0 op_sel_hi:[1,0]
	s_nop 0
	v_pk_add_f32 v[50:51], v[10:11], v[8:9]
	v_min_f32_e32 v9, v122, v128
	v_min_f32_e32 v8, v123, v129
	v_pk_add_f32 v[10:11], v[120:121], 0 op_sel_hi:[1,0]
	s_nop 0
	v_pk_add_f32 v[48:49], v[10:11], v[8:9]
	s_cbranch_scc1 .LBB50_36
; %bb.22:
	v_mov_b32_e32 v1, 0x1400
	v_lshl_add_u32 v209, v198, 4, v1
	v_mov_b32_e32 v1, 0x800
	v_add_u32_e32 v205, 0x1000, v2
	v_add_u32_e32 v207, 0x1400, v2
	v_lshl_add_u32 v210, v199, 4, v1
	v_mad_i64_i32 v[2:3], s[6:7], s34, v4, 0
	v_mov_b32_e32 v1, 0
	v_lshl_add_u64 v[0:1], v[2:3], 2, v[0:1]
	v_lshl_add_u64 v[0:1], v[0:1], 0, s[18:19]
	v_add_u32_e32 v206, 0x1000, v202
	v_or_b32_e32 v208, 0x800, v204
	s_add_i32 s26, s22, -8
	v_lshl_add_u64 v[100:101], v[0:1], 0, 48
	s_mov_b32 s27, 0
	s_branch .LBB50_24
.LBB50_23:                              ;   in Loop: Header=BB50_24 Depth=1
	s_or_b64 exec, exec, s[6:7]
	v_pk_add_f32 v[40:41], v[98:99], v[40:41]
	v_pk_add_f32 v[32:33], v[64:65], v[32:33]
	;; [unrolled: 1-line block ×20, first 2 shown]
	ds_read_b128 v[0:3], v203
	ds_read_b128 v[8:11], v203 offset:512
	v_pk_add_f32 v[20:21], v[114:115], v[6:7]
	ds_read_b128 v[4:7], v206 offset:896
	v_pk_add_f32 v[44:45], v[96:97], v[44:45]
	v_pk_add_f32 v[28:29], v[80:81], v[28:29]
	;; [unrolled: 1-line block ×21, first 2 shown]
	ds_read_b128 v[12:15], v206 offset:768
	s_waitcnt lgkmcnt(1)
	v_max_f32_e32 v95, v5, v5
	v_max_f32_e32 v97, v4, v4
	;; [unrolled: 1-line block ×4, first 2 shown]
	v_pk_add_f32 v[78:79], v[36:37], v[38:39]
	v_pk_add_f32 v[74:75], v[28:29], v[30:31]
	;; [unrolled: 1-line block ×6, first 2 shown]
	ds_read_b128 v[82:85], v203 offset:1536
	ds_read_b128 v[86:89], v203 offset:1024
	v_min_f32_e32 v5, v95, v98
	v_min_f32_e32 v4, v97, v99
	v_pk_add_f32 v[60:61], v[62:63], v[162:163]
	v_pk_add_f32 v[62:63], v[80:81], v[160:161]
	;; [unrolled: 1-line block ×3, first 2 shown]
	ds_read_b128 v[78:81], v206
	v_pk_add_f32 v[92:93], v[92:93], v[126:127]
	v_pk_add_f32 v[90:91], v[90:91], v[132:133]
	;; [unrolled: 1-line block ×3, first 2 shown]
	s_waitcnt lgkmcnt(1)
	v_max_f32_e32 v102, v87, v87
	v_max_f32_e32 v103, v86, v86
	v_pk_add_f32 v[106:107], v[54:55], v[142:143]
	v_pk_add_f32 v[54:55], v[92:93], v[166:167]
	;; [unrolled: 1-line block ×3, first 2 shown]
	ds_read_b128 v[90:93], v206 offset:128
	v_max_f32_e32 v94, v1, v1
	v_max_f32_e32 v96, v0, v0
	v_min_f32_e32 v9, v95, v102
	v_min_f32_e32 v8, v97, v103
	s_waitcnt lgkmcnt(1)
	v_max_f32_e32 v86, v78, v78
	v_max_f32_e32 v87, v79, v79
	v_pk_add_f32 v[8:9], v[76:77], v[8:9]
	v_min_f32_e32 v76, v86, v96
	v_min_f32_e32 v77, v87, v94
	v_pk_add_f32 v[76:77], v[68:69], v[76:77]
	v_min_f32_e32 v68, v86, v99
	v_min_f32_e32 v69, v87, v98
	;; [unrolled: 3-line block ×3, first 2 shown]
	v_max_f32_e32 v83, v83, v83
	v_max_f32_e32 v82, v82, v82
	v_pk_add_f32 v[66:67], v[24:25], v[26:27]
	v_pk_add_f32 v[74:75], v[74:75], v[68:69]
	v_min_f32_e32 v69, v87, v83
	v_min_f32_e32 v68, v86, v82
	v_pk_add_f32 v[86:87], v[66:67], v[68:69]
	s_waitcnt lgkmcnt(0)
	v_max_f32_e32 v68, v90, v90
	v_max_f32_e32 v69, v91, v91
	v_min_f32_e32 v66, v68, v96
	v_min_f32_e32 v67, v69, v94
	v_pk_add_f32 v[60:61], v[60:61], v[66:67]
	v_min_f32_e32 v66, v68, v99
	v_min_f32_e32 v67, v69, v98
	v_pk_add_f32 v[90:91], v[62:63], v[66:67]
	;; [unrolled: 3-line block ×3, first 2 shown]
	v_pk_add_f32 v[104:105], v[64:65], v[62:63]
	ds_read_b128 v[64:67], v206 offset:256
	v_min_f32_e32 v63, v69, v83
	v_min_f32_e32 v62, v68, v82
	ds_read_b128 v[68:71], v206 offset:384
	v_pk_add_f32 v[58:59], v[58:59], v[62:63]
	s_waitcnt lgkmcnt(1)
	v_max_f32_e32 v64, v64, v64
	v_max_f32_e32 v65, v65, v65
	v_min_f32_e32 v62, v64, v96
	v_min_f32_e32 v63, v65, v94
	v_pk_add_f32 v[52:53], v[52:53], v[62:63]
	v_min_f32_e32 v62, v64, v99
	v_min_f32_e32 v63, v65, v98
	v_pk_add_f32 v[54:55], v[54:55], v[62:63]
	;; [unrolled: 3-line block ×4, first 2 shown]
	v_pk_add_f32 v[106:107], v[50:51], v[62:63]
	s_waitcnt lgkmcnt(0)
	v_max_f32_e32 v62, v68, v68
	v_max_f32_e32 v63, v69, v69
	v_min_f32_e32 v50, v62, v96
	v_min_f32_e32 v51, v63, v94
	v_pk_add_f32 v[68:69], v[44:45], v[50:51]
	v_min_f32_e32 v44, v62, v99
	v_min_f32_e32 v45, v63, v98
	v_pk_add_f32 v[28:29], v[108:109], v[190:191]
	v_pk_add_f32 v[108:109], v[46:47], v[44:45]
	v_min_f32_e32 v44, v62, v103
	v_min_f32_e32 v45, v63, v102
	v_pk_add_f32 v[26:27], v[110:111], v[192:193]
	v_pk_add_f32 v[110:111], v[48:49], v[44:45]
	ds_read_b128 v[44:47], v206 offset:512
	v_min_f32_e32 v49, v63, v83
	v_min_f32_e32 v48, v62, v82
	v_pk_add_f32 v[42:43], v[42:43], v[48:49]
	ds_read_b128 v[48:51], v206 offset:640
	s_waitcnt lgkmcnt(1)
	v_max_f32_e32 v62, v44, v44
	v_max_f32_e32 v63, v45, v45
	v_min_f32_e32 v44, v62, v96
	v_min_f32_e32 v45, v63, v94
	v_pk_add_f32 v[36:37], v[36:37], v[44:45]
	v_min_f32_e32 v44, v62, v99
	v_min_f32_e32 v45, v63, v98
	v_pk_add_f32 v[38:39], v[38:39], v[44:45]
	;; [unrolled: 3-line block ×3, first 2 shown]
	v_min_f32_e32 v45, v63, v83
	v_min_f32_e32 v44, v62, v82
	s_waitcnt lgkmcnt(0)
	v_max_f32_e32 v48, v48, v48
	v_max_f32_e32 v49, v49, v49
	v_pk_add_f32 v[34:35], v[34:35], v[44:45]
	v_min_f32_e32 v44, v48, v96
	v_min_f32_e32 v45, v49, v94
	v_pk_add_f32 v[28:29], v[28:29], v[44:45]
	v_min_f32_e32 v44, v48, v99
	v_min_f32_e32 v45, v49, v98
	;; [unrolled: 3-line block ×4, first 2 shown]
	v_pk_add_f32 v[112:113], v[112:113], v[152:153]
	v_pk_add_f32 v[26:27], v[26:27], v[44:45]
	v_max_f32_e32 v44, v12, v12
	v_max_f32_e32 v45, v13, v13
	v_pk_add_f32 v[24:25], v[112:113], v[196:197]
	v_min_f32_e32 v12, v44, v96
	v_min_f32_e32 v13, v45, v94
	v_pk_add_f32 v[12:13], v[24:25], v[12:13]
	v_min_f32_e32 v24, v44, v99
	v_min_f32_e32 v25, v45, v98
	;; [unrolled: 3-line block ×4, first 2 shown]
	v_pk_add_f32 v[16:17], v[116:117], v[186:187]
	v_pk_add_f32 v[20:21], v[20:21], v[24:25]
	v_min_f32_e32 v25, v95, v83
	v_min_f32_e32 v24, v97, v82
	;; [unrolled: 1-line block ×4, first 2 shown]
	v_pk_add_f32 v[16:17], v[16:17], v[24:25]
	v_max_f32_e32 v24, v3, v3
	v_max_f32_e32 v7, v7, v7
	;; [unrolled: 1-line block ×4, first 2 shown]
	v_pk_add_f32 v[0:1], v[118:119], v[0:1]
	v_min_f32_e32 v3, v7, v24
	v_min_f32_e32 v2, v6, v25
	v_pk_add_f32 v[98:99], v[0:1], v[2:3]
	v_max_f32_e32 v2, v11, v11
	v_max_f32_e32 v3, v10, v10
	v_min_f32_e32 v1, v7, v2
	v_min_f32_e32 v0, v6, v3
	v_pk_add_f32 v[82:83], v[4:5], v[0:1]
	v_max_f32_e32 v4, v89, v89
	v_max_f32_e32 v5, v88, v88
	;; [unrolled: 5-line block ×3, first 2 shown]
	v_min_f32_e32 v0, v8, v25
	v_min_f32_e32 v1, v9, v24
	v_pk_add_f32 v[114:115], v[76:77], v[0:1]
	v_min_f32_e32 v0, v8, v3
	v_min_f32_e32 v1, v9, v2
	v_pk_add_f32 v[96:97], v[78:79], v[0:1]
	v_min_f32_e32 v0, v8, v5
	v_min_f32_e32 v1, v9, v4
	v_max_f32_e32 v10, v85, v85
	v_pk_add_f32 v[80:81], v[74:75], v[0:1]
	v_min_f32_e32 v1, v9, v10
	v_max_f32_e32 v9, v84, v84
	v_min_f32_e32 v0, v8, v9
	v_max_f32_e32 v8, v92, v92
	v_max_f32_e32 v11, v93, v93
	v_pk_add_f32 v[62:63], v[86:87], v[0:1]
	v_min_f32_e32 v0, v8, v25
	v_min_f32_e32 v1, v11, v24
	v_pk_add_f32 v[102:103], v[60:61], v[0:1]
	v_min_f32_e32 v0, v8, v3
	v_min_f32_e32 v1, v11, v2
	v_pk_add_f32 v[94:95], v[90:91], v[0:1]
	v_min_f32_e32 v0, v8, v5
	v_min_f32_e32 v1, v11, v4
	v_pk_add_f32 v[78:79], v[104:105], v[0:1]
	v_min_f32_e32 v1, v11, v10
	v_min_f32_e32 v0, v8, v9
	v_max_f32_e32 v8, v66, v66
	v_max_f32_e32 v11, v67, v67
	v_pk_add_f32 v[60:61], v[58:59], v[0:1]
	v_min_f32_e32 v0, v8, v25
	v_min_f32_e32 v1, v11, v24
	v_pk_add_f32 v[104:105], v[52:53], v[0:1]
	v_min_f32_e32 v0, v8, v3
	v_min_f32_e32 v1, v11, v2
	v_pk_add_f32 v[92:93], v[54:55], v[0:1]
	v_min_f32_e32 v0, v8, v5
	v_min_f32_e32 v1, v11, v4
	v_pk_add_f32 v[76:77], v[56:57], v[0:1]
	v_min_f32_e32 v1, v11, v10
	;; [unrolled: 14-line block ×6, first 2 shown]
	v_min_f32_e32 v0, v8, v9
	v_pk_add_f32 v[50:51], v[20:21], v[0:1]
	v_min_f32_e32 v1, v7, v10
	v_min_f32_e32 v0, v6, v9
	s_add_i32 s27, s27, 8
	v_pk_add_f32 v[48:49], v[16:17], v[0:1]
	s_cmp_ge_i32 s27, s26
	v_lshl_add_u64 v[100:101], v[100:101], 0, 32
	ds_write_b32 v207, v212
	ds_write2st64_b32 v208, v211, v213 offset1:4
	s_waitcnt lgkmcnt(0)
	s_barrier
	s_cbranch_scc1 .LBB50_36
.LBB50_24:                              ; =>This Inner Loop Header: Depth=1
	v_add_u32_e32 v116, s27, v200
	v_add_u32_e32 v0, 8, v116
	v_cmp_gt_i32_e64 s[6:7], s22, v0
	s_and_b64 s[6:7], s[6:7], vcc
	s_and_b64 s[6:7], s[10:11], s[6:7]
	v_mov_b32_e32 v118, 0
	s_and_saveexec_b64 s[18:19], s[6:7]
	s_cbranch_execz .LBB50_26
; %bb.25:                               ;   in Loop: Header=BB50_24 Depth=1
	v_add_co_u32_e64 v0, s[6:7], -16, v100
	s_nop 1
	v_addc_co_u32_e64 v1, s[6:7], -1, v101, s[6:7]
	flat_load_dword v0, v[0:1]
	s_waitcnt vmcnt(0) lgkmcnt(0)
	v_mul_f32_e32 v118, s23, v0
.LBB50_26:                              ;   in Loop: Header=BB50_24 Depth=1
	s_or_b64 exec, exec, s[18:19]
	v_add_u32_e32 v117, s27, v201
	v_add_u32_e32 v0, 8, v117
	v_cmp_le_i32_e64 s[6:7], s22, v0
	v_min_i32_e32 v0, s33, v0
	v_mad_i64_i32 v[0:1], s[18:19], v0, s31, 0
	s_or_b64 s[18:19], s[2:3], s[6:7]
	v_lshl_add_u64 v[0:1], v[0:1], 2, s[14:15]
	s_or_b64 s[18:19], s[18:19], s[16:17]
	s_xor_b64 s[34:35], s[18:19], -1
	v_mov_b32_e32 v119, 0
	v_lshl_add_u64 v[0:1], v[72:73], 2, v[0:1]
	v_mov_b32_e32 v120, 0
	s_and_saveexec_b64 s[18:19], s[34:35]
	s_cbranch_execz .LBB50_28
; %bb.27:                               ;   in Loop: Header=BB50_24 Depth=1
	flat_load_dword v2, v[0:1]
	s_waitcnt vmcnt(0) lgkmcnt(0)
	v_mul_f32_e32 v120, s23, v2
.LBB50_28:                              ;   in Loop: Header=BB50_24 Depth=1
	s_or_b64 exec, exec, s[18:19]
	s_or_b64 s[6:7], s[4:5], s[6:7]
	s_or_b64 s[6:7], s[6:7], s[16:17]
	s_xor_b64 s[18:19], s[6:7], -1
	s_and_saveexec_b64 s[6:7], s[18:19]
	s_cbranch_execz .LBB50_30
; %bb.29:                               ;   in Loop: Header=BB50_24 Depth=1
	flat_load_dword v0, v[0:1] offset:256
	s_waitcnt vmcnt(0) lgkmcnt(0)
	v_mul_f32_e32 v119, s23, v0
.LBB50_30:                              ;   in Loop: Header=BB50_24 Depth=1
	s_or_b64 exec, exec, s[6:7]
	ds_read_b128 v[40:43], v210
	ds_read_b128 v[36:39], v210 offset:512
	ds_read_b128 v[24:27], v210 offset:1536
	;; [unrolled: 1-line block ×3, first 2 shown]
	ds_read_b128 v[28:31], v209
	ds_read_b128 v[20:23], v209 offset:128
	ds_read_b128 v[16:19], v209 offset:256
	;; [unrolled: 1-line block ×7, first 2 shown]
	v_add_u32_e32 v116, 12, v116
	v_cmp_gt_i32_e64 s[6:7], s22, v116
	s_and_b64 s[6:7], s[6:7], vcc
	s_and_b64 s[18:19], s[10:11], s[6:7]
	v_mov_b32_e32 v211, 0
	v_mov_b32_e32 v212, 0
	ds_write_b32 v205, v118
	ds_write2st64_b32 v204, v120, v119 offset1:4
	s_waitcnt lgkmcnt(0)
	s_barrier
	s_and_saveexec_b64 s[6:7], s[18:19]
	s_cbranch_execz .LBB50_32
; %bb.31:                               ;   in Loop: Header=BB50_24 Depth=1
	flat_load_dword v116, v[100:101]
	s_waitcnt vmcnt(0) lgkmcnt(0)
	v_mul_f32_e32 v212, s23, v116
.LBB50_32:                              ;   in Loop: Header=BB50_24 Depth=1
	s_or_b64 exec, exec, s[6:7]
	v_add_u32_e32 v116, 12, v117
	v_cmp_le_i32_e64 s[6:7], s22, v116
	v_min_i32_e32 v116, s33, v116
	v_mad_i64_i32 v[116:117], s[18:19], v116, s31, 0
	s_or_b64 s[18:19], s[2:3], s[6:7]
	v_lshl_add_u64 v[116:117], v[116:117], 2, s[14:15]
	s_or_b64 s[18:19], s[18:19], s[16:17]
	s_xor_b64 s[34:35], s[18:19], -1
	v_lshl_add_u64 v[116:117], v[72:73], 2, v[116:117]
	s_and_saveexec_b64 s[18:19], s[34:35]
	s_cbranch_execz .LBB50_34
; %bb.33:                               ;   in Loop: Header=BB50_24 Depth=1
	flat_load_dword v118, v[116:117]
	s_waitcnt vmcnt(0) lgkmcnt(0)
	v_mul_f32_e32 v211, s23, v118
.LBB50_34:                              ;   in Loop: Header=BB50_24 Depth=1
	s_or_b64 exec, exec, s[18:19]
	v_max_f32_e32 v150, v41, v41
	v_max_f32_e32 v156, v45, v45
	;; [unrolled: 1-line block ×34, first 2 shown]
	s_or_b64 s[6:7], s[4:5], s[6:7]
	v_min_f32_e32 v41, v156, v150
	v_min_f32_e32 v40, v158, v151
	v_min_f32_e32 v37, v156, v154
	v_min_f32_e32 v36, v158, v155
	v_min_f32_e32 v33, v156, v157
	v_min_f32_e32 v118, v120, v151
	v_min_f32_e32 v119, v121, v150
	v_min_f32_e32 v44, v120, v155
	v_min_f32_e32 v45, v121, v154
	v_min_f32_e32 v28, v120, v159
	v_min_f32_e32 v29, v121, v157
	v_min_f32_e32 v25, v121, v160
	v_min_f32_e32 v24, v120, v161
	v_min_f32_e32 v122, v124, v151
	v_min_f32_e32 v123, v125, v150
	v_min_f32_e32 v120, v124, v155
	v_min_f32_e32 v121, v125, v154
	v_min_f32_e32 v20, v124, v159
	v_min_f32_e32 v21, v125, v157
	v_min_f32_e32 v125, v125, v160
	v_min_f32_e32 v124, v124, v161
	v_min_f32_e32 v128, v130, v151
	v_min_f32_e32 v129, v131, v150
	v_min_f32_e32 v126, v130, v155
	v_min_f32_e32 v127, v131, v154
	v_min_f32_e32 v16, v130, v159
	v_min_f32_e32 v17, v131, v157
	v_min_f32_e32 v131, v131, v160
	v_min_f32_e32 v130, v130, v161
	v_min_f32_e32 v134, v136, v151
	v_min_f32_e32 v135, v137, v150
	v_min_f32_e32 v132, v136, v155
	v_min_f32_e32 v133, v137, v154
	v_min_f32_e32 v12, v136, v159
	v_min_f32_e32 v13, v137, v157
	v_min_f32_e32 v137, v137, v160
	v_min_f32_e32 v136, v136, v161
	v_min_f32_e32 v140, v142, v151
	v_min_f32_e32 v141, v143, v150
	v_min_f32_e32 v138, v142, v155
	v_min_f32_e32 v139, v143, v154
	v_min_f32_e32 v8, v142, v159
	v_min_f32_e32 v9, v143, v157
	v_min_f32_e32 v143, v143, v160
	v_min_f32_e32 v142, v142, v161
	v_min_f32_e32 v146, v148, v151
	v_min_f32_e32 v147, v149, v150
	v_min_f32_e32 v144, v148, v155
	v_min_f32_e32 v145, v149, v154
	v_min_f32_e32 v4, v148, v159
	v_min_f32_e32 v5, v149, v157
	v_min_f32_e32 v149, v149, v160
	v_min_f32_e32 v148, v148, v161
	v_min_f32_e32 v152, v162, v151
	v_min_f32_e32 v153, v163, v150
	v_min_f32_e32 v150, v162, v155
	v_min_f32_e32 v151, v163, v154
	v_min_f32_e32 v1, v163, v157
	v_min_f32_e32 v155, v163, v160
	v_min_f32_e32 v154, v162, v161
	v_min_f32_e32 v157, v156, v160
	v_min_f32_e32 v156, v158, v161
	v_max_f32_e32 v187, v47, v47
	v_max_f32_e32 v213, v46, v46
	;; [unrolled: 1-line block ×12, first 2 shown]
	v_min_f32_e32 v190, v6, v194
	v_min_f32_e32 v191, v7, v186
	;; [unrolled: 1-line block ×8, first 2 shown]
	v_max_f32_e32 v6, v2, v2
	v_max_f32_e32 v7, v3, v3
	s_or_b64 s[6:7], s[6:7], s[16:17]
	v_min_f32_e32 v32, v158, v159
	v_min_f32_e32 v0, v162, v159
	v_min_f32_e32 v43, v187, v186
	v_min_f32_e32 v42, v213, v194
	v_min_f32_e32 v39, v187, v195
	v_min_f32_e32 v38, v213, v214
	v_min_f32_e32 v35, v187, v215
	v_min_f32_e32 v34, v213, v216
	v_min_f32_e32 v158, v160, v194
	v_min_f32_e32 v159, v161, v186
	v_min_f32_e32 v46, v160, v214
	v_min_f32_e32 v47, v161, v195
	v_min_f32_e32 v30, v160, v216
	v_min_f32_e32 v31, v161, v215
	v_min_f32_e32 v27, v161, v217
	v_min_f32_e32 v26, v160, v218
	v_min_f32_e32 v162, v164, v194
	v_min_f32_e32 v163, v165, v186
	v_min_f32_e32 v160, v164, v214
	v_min_f32_e32 v161, v165, v195
	v_min_f32_e32 v22, v164, v216
	v_min_f32_e32 v23, v165, v215
	v_min_f32_e32 v165, v165, v217
	v_min_f32_e32 v164, v164, v218
	v_min_f32_e32 v168, v170, v194
	v_min_f32_e32 v169, v171, v186
	v_min_f32_e32 v166, v170, v214
	v_min_f32_e32 v167, v171, v195
	v_min_f32_e32 v18, v170, v216
	v_min_f32_e32 v19, v171, v215
	v_min_f32_e32 v171, v171, v217
	v_min_f32_e32 v170, v170, v218
	v_min_f32_e32 v174, v176, v194
	v_min_f32_e32 v175, v177, v186
	v_min_f32_e32 v172, v176, v214
	v_min_f32_e32 v173, v177, v195
	v_min_f32_e32 v14, v176, v216
	v_min_f32_e32 v15, v177, v215
	v_min_f32_e32 v177, v177, v217
	v_min_f32_e32 v176, v176, v218
	v_min_f32_e32 v180, v182, v194
	v_min_f32_e32 v181, v183, v186
	v_min_f32_e32 v178, v182, v214
	v_min_f32_e32 v179, v183, v195
	v_min_f32_e32 v10, v182, v216
	v_min_f32_e32 v11, v183, v215
	v_min_f32_e32 v183, v183, v217
	v_min_f32_e32 v182, v182, v218
	v_min_f32_e32 v196, v6, v194
	v_min_f32_e32 v197, v7, v186
	v_min_f32_e32 v194, v6, v214
	v_min_f32_e32 v195, v7, v195
	v_min_f32_e32 v2, v6, v216
	v_min_f32_e32 v3, v7, v215
	v_min_f32_e32 v7, v7, v217
	v_min_f32_e32 v6, v6, v218
	v_min_f32_e32 v187, v187, v217
	v_min_f32_e32 v186, v213, v218
	s_xor_b64 s[18:19], s[6:7], -1
	v_mov_b32_e32 v213, 0
	s_and_saveexec_b64 s[6:7], s[18:19]
	s_cbranch_execz .LBB50_23
; %bb.35:                               ;   in Loop: Header=BB50_24 Depth=1
	flat_load_dword v116, v[116:117] offset:256
	s_waitcnt vmcnt(0) lgkmcnt(0)
	v_mul_f32_e32 v213, s23, v116
	s_branch .LBB50_23
.LBB50_36:
	s_load_dwordx2 s[2:3], s[0:1], 0x70
	s_load_dword s33, s[0:1], 0x50
	s_load_dword s31, s[0:1], 0x68
	ds_read_b128 v[44:47], v203 offset:2048
	ds_read_b128 v[40:43], v203 offset:2560
	;; [unrolled: 1-line block ×12, first 2 shown]
	s_waitcnt lgkmcnt(0)
	s_lshl_b64 s[0:1], s[2:3], 2
	s_add_u32 s22, s12, s0
	v_add_u32_e32 v120, s30, v199
	s_addc_u32 s23, s13, s1
	v_mad_i64_i32 v[100:101], s[0:1], v120, s33, 0
	v_add_u32_e32 v72, s29, v198
	v_lshl_add_u64 v[118:119], v[100:101], 2, s[24:25]
	v_mad_i64_i32 v[100:101], s[0:1], v120, s31, 0
	v_cmp_gt_i32_e64 s[18:19], s21, v120
	v_lshl_add_u64 v[116:117], v[100:101], 2, s[22:23]
	v_cmp_gt_i32_e64 s[2:3], s20, v72
	v_cndmask_b32_e64 v100, 0, 1, s[8:9]
	s_and_b64 s[6:7], s[2:3], s[18:19]
	v_ashrrev_i32_e32 v73, 31, v72
	v_cmp_ne_u32_e64 s[0:1], 1, v100
	s_and_saveexec_b64 s[4:5], s[6:7]
	s_cbranch_execz .LBB50_41
; %bb.37:
	s_and_b64 vcc, exec, s[0:1]
	s_cbranch_vccnz .LBB50_39
; %bb.38:
	v_lshl_add_u64 v[100:101], v[72:73], 2, v[118:119]
	flat_load_dword v100, v[100:101]
	s_waitcnt vmcnt(0) lgkmcnt(0)
	v_mul_f32_e32 v100, s28, v100
	s_branch .LBB50_40
.LBB50_39:
	v_mov_b32_e32 v100, 0
.LBB50_40:
	v_max_f32_e32 v101, v44, v44
	v_max_f32_e32 v121, v32, v32
	v_min_f32_e32 v122, v121, v101
	v_max_f32_e32 v101, v45, v45
	v_max_f32_e32 v121, v33, v33
	v_min_f32_e32 v123, v121, v101
	v_max_f32_e32 v101, v46, v46
	v_max_f32_e32 v121, v34, v34
	v_pk_add_f32 v[114:115], v[114:115], v[122:123]
	v_min_f32_e32 v122, v121, v101
	v_max_f32_e32 v101, v47, v47
	v_max_f32_e32 v121, v35, v35
	v_min_f32_e32 v123, v121, v101
	v_pk_add_f32 v[114:115], v[114:115], v[122:123]
	s_nop 0
	v_add_f32_e32 v101, v114, v115
	v_add_f32_e32 v114, v101, v100
	v_lshl_add_u64 v[100:101], v[72:73], 2, v[116:117]
	global_store_dword v[100:101], v114, off
.LBB50_41:
	s_or_b64 exec, exec, s[4:5]
	v_add_u32_e32 v100, 8, v72
	v_cmp_gt_i32_e64 s[4:5], s20, v100
	s_and_b64 s[8:9], s[4:5], s[18:19]
	v_ashrrev_i32_e32 v101, 31, v100
	s_and_saveexec_b64 s[6:7], s[8:9]
	s_cbranch_execz .LBB50_46
; %bb.42:
	s_and_b64 vcc, exec, s[0:1]
	s_cbranch_vccnz .LBB50_44
; %bb.43:
	v_lshl_add_u64 v[114:115], v[100:101], 2, v[118:119]
	flat_load_dword v114, v[114:115]
	s_waitcnt vmcnt(0) lgkmcnt(0)
	v_mul_f32_e32 v114, s28, v114
	s_branch .LBB50_45
.LBB50_44:
	v_mov_b32_e32 v114, 0
.LBB50_45:
	v_max_f32_e32 v115, v44, v44
	v_max_f32_e32 v121, v28, v28
	v_min_f32_e32 v122, v121, v115
	v_max_f32_e32 v115, v45, v45
	v_max_f32_e32 v121, v29, v29
	v_min_f32_e32 v123, v121, v115
	v_max_f32_e32 v115, v46, v46
	v_max_f32_e32 v121, v30, v30
	v_pk_add_f32 v[102:103], v[102:103], v[122:123]
	v_min_f32_e32 v122, v121, v115
	v_max_f32_e32 v115, v47, v47
	v_max_f32_e32 v121, v31, v31
	v_min_f32_e32 v123, v121, v115
	v_pk_add_f32 v[102:103], v[102:103], v[122:123]
	s_nop 0
	v_add_f32_e32 v102, v102, v103
	v_add_f32_e32 v114, v102, v114
	v_lshl_add_u64 v[102:103], v[100:101], 2, v[116:117]
	global_store_dword v[102:103], v114, off
.LBB50_46:
	s_or_b64 exec, exec, s[6:7]
	v_add_u32_e32 v102, 16, v72
	v_cmp_gt_i32_e64 s[6:7], s20, v102
	s_and_b64 s[10:11], s[6:7], s[18:19]
	v_ashrrev_i32_e32 v103, 31, v102
	;; [unrolled: 39-line block ×7, first 2 shown]
	s_and_saveexec_b64 s[18:19], s[26:27]
	s_cbranch_execz .LBB50_76
; %bb.72:
	s_and_b64 vcc, exec, s[0:1]
	s_cbranch_vccnz .LBB50_74
; %bb.73:
	v_lshl_add_u64 v[114:115], v[112:113], 2, v[118:119]
	flat_load_dword v114, v[114:115]
	s_waitcnt vmcnt(0) lgkmcnt(0)
	v_mul_f32_e32 v114, s28, v114
	s_branch .LBB50_75
.LBB50_74:
	v_mov_b32_e32 v114, 0
.LBB50_75:
	v_max_f32_e32 v45, v45, v45
	v_max_f32_e32 v115, v5, v5
	v_min_f32_e32 v45, v115, v45
	v_max_f32_e32 v44, v44, v44
	v_max_f32_e32 v115, v4, v4
	v_min_f32_e32 v44, v115, v44
	v_pk_add_f32 v[44:45], v[98:99], v[44:45]
	v_max_f32_e32 v47, v47, v47
	v_max_f32_e32 v98, v7, v7
	v_min_f32_e32 v47, v98, v47
	v_max_f32_e32 v46, v46, v46
	v_max_f32_e32 v98, v6, v6
	v_min_f32_e32 v46, v98, v46
	v_pk_add_f32 v[44:45], v[44:45], v[46:47]
	s_nop 0
	v_add_f32_e32 v44, v44, v45
	v_add_f32_e32 v46, v44, v114
	v_lshl_add_u64 v[44:45], v[112:113], 2, v[116:117]
	global_store_dword v[44:45], v46, off
.LBB50_76:
	s_or_b64 exec, exec, s[18:19]
	v_add_u32_e32 v98, 32, v120
	v_mad_i64_i32 v[44:45], s[26:27], v98, s33, 0
	v_cmp_gt_i32_e64 s[18:19], s21, v98
	v_lshl_add_u64 v[46:47], v[44:45], 2, s[24:25]
	v_mad_i64_i32 v[44:45], s[26:27], v98, s31, 0
	v_lshl_add_u64 v[44:45], v[44:45], 2, s[22:23]
	s_and_b64 s[34:35], s[2:3], s[18:19]
	s_and_saveexec_b64 s[26:27], s[34:35]
	s_cbranch_execnz .LBB50_84
; %bb.77:
	s_or_b64 exec, exec, s[26:27]
	s_and_b64 s[34:35], s[4:5], s[18:19]
	s_and_saveexec_b64 s[26:27], s[34:35]
	s_cbranch_execnz .LBB50_88
.LBB50_78:
	s_or_b64 exec, exec, s[26:27]
	s_and_b64 s[34:35], s[6:7], s[18:19]
	s_and_saveexec_b64 s[26:27], s[34:35]
	s_cbranch_execnz .LBB50_92
.LBB50_79:
	s_or_b64 exec, exec, s[26:27]
	s_and_b64 s[34:35], s[8:9], s[18:19]
	s_and_saveexec_b64 s[26:27], s[34:35]
	s_cbranch_execnz .LBB50_96
.LBB50_80:
	s_or_b64 exec, exec, s[26:27]
	s_and_b64 s[34:35], s[10:11], s[18:19]
	s_and_saveexec_b64 s[26:27], s[34:35]
	s_cbranch_execnz .LBB50_100
.LBB50_81:
	s_or_b64 exec, exec, s[26:27]
	s_and_b64 s[34:35], s[12:13], s[18:19]
	s_and_saveexec_b64 s[26:27], s[34:35]
	s_cbranch_execnz .LBB50_104
.LBB50_82:
	s_or_b64 exec, exec, s[26:27]
	s_and_b64 s[34:35], s[14:15], s[18:19]
	s_and_saveexec_b64 s[26:27], s[34:35]
	s_cbranch_execnz .LBB50_108
.LBB50_83:
	s_or_b64 exec, exec, s[26:27]
	s_and_b64 s[26:27], s[16:17], s[18:19]
	s_and_saveexec_b64 s[18:19], s[26:27]
	s_cbranch_execnz .LBB50_112
	s_branch .LBB50_116
.LBB50_84:
	s_and_b64 vcc, exec, s[0:1]
	s_cbranch_vccnz .LBB50_86
; %bb.85:
	v_lshl_add_u64 v[98:99], v[72:73], 2, v[46:47]
	flat_load_dword v98, v[98:99]
	s_waitcnt vmcnt(0) lgkmcnt(0)
	v_mul_f32_e32 v98, s28, v98
	s_branch .LBB50_87
.LBB50_86:
	v_mov_b32_e32 v98, 0
.LBB50_87:
	v_max_f32_e32 v99, v40, v40
	v_max_f32_e32 v114, v32, v32
	v_min_f32_e32 v114, v114, v99
	v_max_f32_e32 v99, v41, v41
	v_max_f32_e32 v115, v33, v33
	v_min_f32_e32 v115, v115, v99
	v_pk_add_f32 v[96:97], v[96:97], v[114:115]
	v_max_f32_e32 v99, v42, v42
	v_max_f32_e32 v114, v34, v34
	v_min_f32_e32 v114, v114, v99
	v_max_f32_e32 v99, v43, v43
	v_max_f32_e32 v115, v35, v35
	v_min_f32_e32 v115, v115, v99
	v_pk_add_f32 v[96:97], v[96:97], v[114:115]
	s_nop 0
	v_add_f32_e32 v96, v96, v97
	v_add_f32_e32 v98, v96, v98
	v_lshl_add_u64 v[96:97], v[72:73], 2, v[44:45]
	global_store_dword v[96:97], v98, off
	s_or_b64 exec, exec, s[26:27]
	s_and_b64 s[34:35], s[4:5], s[18:19]
	s_and_saveexec_b64 s[26:27], s[34:35]
	s_cbranch_execz .LBB50_78
.LBB50_88:
	s_and_b64 vcc, exec, s[0:1]
	s_cbranch_vccnz .LBB50_90
; %bb.89:
	v_lshl_add_u64 v[96:97], v[100:101], 2, v[46:47]
	flat_load_dword v96, v[96:97]
	s_waitcnt vmcnt(0) lgkmcnt(0)
	v_mul_f32_e32 v96, s28, v96
	s_branch .LBB50_91
.LBB50_90:
	v_mov_b32_e32 v96, 0
.LBB50_91:
	v_max_f32_e32 v97, v40, v40
	v_max_f32_e32 v98, v28, v28
	v_min_f32_e32 v98, v98, v97
	v_max_f32_e32 v97, v41, v41
	v_max_f32_e32 v99, v29, v29
	v_min_f32_e32 v99, v99, v97
	v_pk_add_f32 v[94:95], v[94:95], v[98:99]
	v_max_f32_e32 v97, v42, v42
	v_max_f32_e32 v98, v30, v30
	v_min_f32_e32 v98, v98, v97
	v_max_f32_e32 v97, v43, v43
	v_max_f32_e32 v99, v31, v31
	v_min_f32_e32 v99, v99, v97
	v_pk_add_f32 v[94:95], v[94:95], v[98:99]
	s_nop 0
	v_add_f32_e32 v94, v94, v95
	v_add_f32_e32 v96, v94, v96
	v_lshl_add_u64 v[94:95], v[100:101], 2, v[44:45]
	global_store_dword v[94:95], v96, off
	s_or_b64 exec, exec, s[26:27]
	s_and_b64 s[34:35], s[6:7], s[18:19]
	s_and_saveexec_b64 s[26:27], s[34:35]
	s_cbranch_execz .LBB50_79
.LBB50_92:
	s_and_b64 vcc, exec, s[0:1]
	s_cbranch_vccnz .LBB50_94
; %bb.93:
	v_lshl_add_u64 v[94:95], v[102:103], 2, v[46:47]
	flat_load_dword v94, v[94:95]
	s_waitcnt vmcnt(0) lgkmcnt(0)
	v_mul_f32_e32 v94, s28, v94
	s_branch .LBB50_95
.LBB50_94:
	v_mov_b32_e32 v94, 0
.LBB50_95:
	v_max_f32_e32 v95, v40, v40
	v_max_f32_e32 v96, v24, v24
	v_min_f32_e32 v96, v96, v95
	v_max_f32_e32 v95, v41, v41
	v_max_f32_e32 v97, v25, v25
	v_min_f32_e32 v97, v97, v95
	v_pk_add_f32 v[92:93], v[92:93], v[96:97]
	v_max_f32_e32 v95, v42, v42
	v_max_f32_e32 v96, v26, v26
	v_min_f32_e32 v96, v96, v95
	v_max_f32_e32 v95, v43, v43
	v_max_f32_e32 v97, v27, v27
	v_min_f32_e32 v97, v97, v95
	v_pk_add_f32 v[92:93], v[92:93], v[96:97]
	s_nop 0
	v_add_f32_e32 v92, v92, v93
	v_add_f32_e32 v94, v92, v94
	v_lshl_add_u64 v[92:93], v[102:103], 2, v[44:45]
	global_store_dword v[92:93], v94, off
	s_or_b64 exec, exec, s[26:27]
	s_and_b64 s[34:35], s[8:9], s[18:19]
	s_and_saveexec_b64 s[26:27], s[34:35]
	s_cbranch_execz .LBB50_80
.LBB50_96:
	s_and_b64 vcc, exec, s[0:1]
	s_cbranch_vccnz .LBB50_98
; %bb.97:
	v_lshl_add_u64 v[92:93], v[104:105], 2, v[46:47]
	flat_load_dword v92, v[92:93]
	s_waitcnt vmcnt(0) lgkmcnt(0)
	v_mul_f32_e32 v92, s28, v92
	s_branch .LBB50_99
.LBB50_98:
	v_mov_b32_e32 v92, 0
.LBB50_99:
	v_max_f32_e32 v93, v40, v40
	v_max_f32_e32 v94, v20, v20
	v_min_f32_e32 v94, v94, v93
	v_max_f32_e32 v93, v41, v41
	v_max_f32_e32 v95, v21, v21
	v_min_f32_e32 v95, v95, v93
	v_pk_add_f32 v[90:91], v[90:91], v[94:95]
	v_max_f32_e32 v93, v42, v42
	v_max_f32_e32 v94, v22, v22
	v_min_f32_e32 v94, v94, v93
	v_max_f32_e32 v93, v43, v43
	v_max_f32_e32 v95, v23, v23
	v_min_f32_e32 v95, v95, v93
	v_pk_add_f32 v[90:91], v[90:91], v[94:95]
	s_nop 0
	v_add_f32_e32 v90, v90, v91
	v_add_f32_e32 v92, v90, v92
	v_lshl_add_u64 v[90:91], v[104:105], 2, v[44:45]
	global_store_dword v[90:91], v92, off
	s_or_b64 exec, exec, s[26:27]
	s_and_b64 s[34:35], s[10:11], s[18:19]
	s_and_saveexec_b64 s[26:27], s[34:35]
	s_cbranch_execz .LBB50_81
.LBB50_100:
	s_and_b64 vcc, exec, s[0:1]
	s_cbranch_vccnz .LBB50_102
; %bb.101:
	v_lshl_add_u64 v[90:91], v[106:107], 2, v[46:47]
	flat_load_dword v90, v[90:91]
	s_waitcnt vmcnt(0) lgkmcnt(0)
	v_mul_f32_e32 v90, s28, v90
	s_branch .LBB50_103
.LBB50_102:
	v_mov_b32_e32 v90, 0
.LBB50_103:
	v_max_f32_e32 v91, v40, v40
	v_max_f32_e32 v92, v16, v16
	v_min_f32_e32 v92, v92, v91
	v_max_f32_e32 v91, v41, v41
	v_max_f32_e32 v93, v17, v17
	v_min_f32_e32 v93, v93, v91
	v_pk_add_f32 v[88:89], v[88:89], v[92:93]
	v_max_f32_e32 v91, v42, v42
	v_max_f32_e32 v92, v18, v18
	v_min_f32_e32 v92, v92, v91
	v_max_f32_e32 v91, v43, v43
	v_max_f32_e32 v93, v19, v19
	v_min_f32_e32 v93, v93, v91
	v_pk_add_f32 v[88:89], v[88:89], v[92:93]
	s_nop 0
	v_add_f32_e32 v88, v88, v89
	v_add_f32_e32 v90, v88, v90
	v_lshl_add_u64 v[88:89], v[106:107], 2, v[44:45]
	global_store_dword v[88:89], v90, off
	s_or_b64 exec, exec, s[26:27]
	s_and_b64 s[34:35], s[12:13], s[18:19]
	s_and_saveexec_b64 s[26:27], s[34:35]
	s_cbranch_execz .LBB50_82
.LBB50_104:
	s_and_b64 vcc, exec, s[0:1]
	s_cbranch_vccnz .LBB50_106
; %bb.105:
	v_lshl_add_u64 v[88:89], v[108:109], 2, v[46:47]
	flat_load_dword v88, v[88:89]
	s_waitcnt vmcnt(0) lgkmcnt(0)
	v_mul_f32_e32 v88, s28, v88
	s_branch .LBB50_107
.LBB50_106:
	v_mov_b32_e32 v88, 0
.LBB50_107:
	v_max_f32_e32 v89, v40, v40
	v_max_f32_e32 v90, v12, v12
	v_min_f32_e32 v90, v90, v89
	v_max_f32_e32 v89, v41, v41
	v_max_f32_e32 v91, v13, v13
	v_min_f32_e32 v91, v91, v89
	v_pk_add_f32 v[86:87], v[86:87], v[90:91]
	v_max_f32_e32 v89, v42, v42
	v_max_f32_e32 v90, v14, v14
	v_min_f32_e32 v90, v90, v89
	v_max_f32_e32 v89, v43, v43
	v_max_f32_e32 v91, v15, v15
	v_min_f32_e32 v91, v91, v89
	v_pk_add_f32 v[86:87], v[86:87], v[90:91]
	s_nop 0
	v_add_f32_e32 v86, v86, v87
	v_add_f32_e32 v88, v86, v88
	v_lshl_add_u64 v[86:87], v[108:109], 2, v[44:45]
	global_store_dword v[86:87], v88, off
	s_or_b64 exec, exec, s[26:27]
	s_and_b64 s[34:35], s[14:15], s[18:19]
	s_and_saveexec_b64 s[26:27], s[34:35]
	s_cbranch_execz .LBB50_83
.LBB50_108:
	s_and_b64 vcc, exec, s[0:1]
	s_cbranch_vccnz .LBB50_110
; %bb.109:
	v_lshl_add_u64 v[86:87], v[110:111], 2, v[46:47]
	flat_load_dword v86, v[86:87]
	s_waitcnt vmcnt(0) lgkmcnt(0)
	v_mul_f32_e32 v86, s28, v86
	s_branch .LBB50_111
.LBB50_110:
	v_mov_b32_e32 v86, 0
.LBB50_111:
	v_max_f32_e32 v87, v40, v40
	v_max_f32_e32 v88, v8, v8
	v_min_f32_e32 v88, v88, v87
	v_max_f32_e32 v87, v41, v41
	v_max_f32_e32 v89, v9, v9
	v_min_f32_e32 v89, v89, v87
	v_pk_add_f32 v[84:85], v[84:85], v[88:89]
	v_max_f32_e32 v87, v42, v42
	v_max_f32_e32 v88, v10, v10
	v_min_f32_e32 v88, v88, v87
	v_max_f32_e32 v87, v43, v43
	v_max_f32_e32 v89, v11, v11
	v_min_f32_e32 v89, v89, v87
	v_pk_add_f32 v[84:85], v[84:85], v[88:89]
	s_nop 0
	v_add_f32_e32 v84, v84, v85
	v_add_f32_e32 v86, v84, v86
	v_lshl_add_u64 v[84:85], v[110:111], 2, v[44:45]
	global_store_dword v[84:85], v86, off
	s_or_b64 exec, exec, s[26:27]
	s_and_b64 s[26:27], s[16:17], s[18:19]
	s_and_saveexec_b64 s[18:19], s[26:27]
	s_cbranch_execz .LBB50_116
.LBB50_112:
	s_and_b64 vcc, exec, s[0:1]
	s_cbranch_vccnz .LBB50_114
; %bb.113:
	v_lshl_add_u64 v[46:47], v[112:113], 2, v[46:47]
	flat_load_dword v46, v[46:47]
	s_waitcnt vmcnt(0) lgkmcnt(0)
	v_mul_f32_e32 v46, s28, v46
	s_branch .LBB50_115
.LBB50_114:
	v_mov_b32_e32 v46, 0
.LBB50_115:
	v_max_f32_e32 v41, v41, v41
	v_max_f32_e32 v47, v5, v5
	v_min_f32_e32 v41, v47, v41
	v_max_f32_e32 v40, v40, v40
	v_max_f32_e32 v47, v4, v4
	v_min_f32_e32 v40, v47, v40
	;; [unrolled: 3-line block ×3, first 2 shown]
	v_max_f32_e32 v42, v42, v42
	v_max_f32_e32 v47, v6, v6
	v_pk_add_f32 v[40:41], v[82:83], v[40:41]
	v_min_f32_e32 v42, v47, v42
	v_pk_add_f32 v[40:41], v[40:41], v[42:43]
	s_nop 0
	v_add_f32_e32 v40, v40, v41
	v_add_f32_e32 v42, v40, v46
	v_lshl_add_u64 v[40:41], v[112:113], 2, v[44:45]
	global_store_dword v[40:41], v42, off
.LBB50_116:
	s_or_b64 exec, exec, s[18:19]
	v_add_u32_e32 v44, 64, v120
	v_mad_i64_i32 v[40:41], s[26:27], v44, s33, 0
	v_cmp_gt_i32_e64 s[18:19], s21, v44
	v_lshl_add_u64 v[42:43], v[40:41], 2, s[24:25]
	v_mad_i64_i32 v[40:41], s[26:27], v44, s31, 0
	v_lshl_add_u64 v[40:41], v[40:41], 2, s[22:23]
	s_and_b64 s[34:35], s[2:3], s[18:19]
	s_and_saveexec_b64 s[26:27], s[34:35]
	s_cbranch_execnz .LBB50_124
; %bb.117:
	s_or_b64 exec, exec, s[26:27]
	s_and_b64 s[34:35], s[4:5], s[18:19]
	s_and_saveexec_b64 s[26:27], s[34:35]
	s_cbranch_execnz .LBB50_128
.LBB50_118:
	s_or_b64 exec, exec, s[26:27]
	s_and_b64 s[34:35], s[6:7], s[18:19]
	s_and_saveexec_b64 s[26:27], s[34:35]
	s_cbranch_execnz .LBB50_132
.LBB50_119:
	s_or_b64 exec, exec, s[26:27]
	s_and_b64 s[34:35], s[8:9], s[18:19]
	s_and_saveexec_b64 s[26:27], s[34:35]
	s_cbranch_execnz .LBB50_136
.LBB50_120:
	s_or_b64 exec, exec, s[26:27]
	s_and_b64 s[34:35], s[10:11], s[18:19]
	s_and_saveexec_b64 s[26:27], s[34:35]
	s_cbranch_execnz .LBB50_140
.LBB50_121:
	s_or_b64 exec, exec, s[26:27]
	s_and_b64 s[34:35], s[12:13], s[18:19]
	s_and_saveexec_b64 s[26:27], s[34:35]
	s_cbranch_execnz .LBB50_144
.LBB50_122:
	s_or_b64 exec, exec, s[26:27]
	s_and_b64 s[34:35], s[14:15], s[18:19]
	s_and_saveexec_b64 s[26:27], s[34:35]
	s_cbranch_execnz .LBB50_148
.LBB50_123:
	s_or_b64 exec, exec, s[26:27]
	s_and_b64 s[26:27], s[16:17], s[18:19]
	s_and_saveexec_b64 s[18:19], s[26:27]
	s_cbranch_execnz .LBB50_152
	s_branch .LBB50_156
.LBB50_124:
	s_and_b64 vcc, exec, s[0:1]
	s_cbranch_vccnz .LBB50_126
; %bb.125:
	v_lshl_add_u64 v[44:45], v[72:73], 2, v[42:43]
	flat_load_dword v44, v[44:45]
	s_waitcnt vmcnt(0) lgkmcnt(0)
	v_mul_f32_e32 v44, s28, v44
	s_branch .LBB50_127
.LBB50_126:
	v_mov_b32_e32 v44, 0
.LBB50_127:
	v_max_f32_e32 v45, v36, v36
	v_max_f32_e32 v46, v32, v32
	v_min_f32_e32 v46, v46, v45
	v_max_f32_e32 v45, v37, v37
	v_max_f32_e32 v47, v33, v33
	v_min_f32_e32 v47, v47, v45
	v_pk_add_f32 v[46:47], v[80:81], v[46:47]
	v_max_f32_e32 v45, v38, v38
	v_max_f32_e32 v80, v34, v34
	v_min_f32_e32 v80, v80, v45
	v_max_f32_e32 v45, v39, v39
	v_max_f32_e32 v81, v35, v35
	v_min_f32_e32 v81, v81, v45
	v_pk_add_f32 v[46:47], v[46:47], v[80:81]
	s_nop 0
	v_add_f32_e32 v45, v46, v47
	v_add_f32_e32 v46, v45, v44
	v_lshl_add_u64 v[44:45], v[72:73], 2, v[40:41]
	global_store_dword v[44:45], v46, off
	s_or_b64 exec, exec, s[26:27]
	s_and_b64 s[34:35], s[4:5], s[18:19]
	s_and_saveexec_b64 s[26:27], s[34:35]
	s_cbranch_execz .LBB50_118
.LBB50_128:
	s_and_b64 vcc, exec, s[0:1]
	s_cbranch_vccnz .LBB50_130
; %bb.129:
	v_lshl_add_u64 v[44:45], v[100:101], 2, v[42:43]
	flat_load_dword v44, v[44:45]
	s_waitcnt vmcnt(0) lgkmcnt(0)
	v_mul_f32_e32 v44, s28, v44
	s_branch .LBB50_131
.LBB50_130:
	v_mov_b32_e32 v44, 0
.LBB50_131:
	v_max_f32_e32 v45, v36, v36
	v_max_f32_e32 v46, v28, v28
	v_min_f32_e32 v46, v46, v45
	v_max_f32_e32 v45, v37, v37
	v_max_f32_e32 v47, v29, v29
	v_min_f32_e32 v47, v47, v45
	v_pk_add_f32 v[46:47], v[78:79], v[46:47]
	v_max_f32_e32 v45, v38, v38
	v_max_f32_e32 v78, v30, v30
	v_min_f32_e32 v78, v78, v45
	v_max_f32_e32 v45, v39, v39
	v_max_f32_e32 v79, v31, v31
	v_min_f32_e32 v79, v79, v45
	v_pk_add_f32 v[46:47], v[46:47], v[78:79]
	s_nop 0
	v_add_f32_e32 v45, v46, v47
	v_add_f32_e32 v46, v45, v44
	v_lshl_add_u64 v[44:45], v[100:101], 2, v[40:41]
	global_store_dword v[44:45], v46, off
	s_or_b64 exec, exec, s[26:27]
	s_and_b64 s[34:35], s[6:7], s[18:19]
	s_and_saveexec_b64 s[26:27], s[34:35]
	s_cbranch_execz .LBB50_119
.LBB50_132:
	s_and_b64 vcc, exec, s[0:1]
	s_cbranch_vccnz .LBB50_134
; %bb.133:
	v_lshl_add_u64 v[44:45], v[102:103], 2, v[42:43]
	flat_load_dword v44, v[44:45]
	s_waitcnt vmcnt(0) lgkmcnt(0)
	v_mul_f32_e32 v44, s28, v44
	s_branch .LBB50_135
.LBB50_134:
	v_mov_b32_e32 v44, 0
.LBB50_135:
	v_max_f32_e32 v45, v36, v36
	v_max_f32_e32 v46, v24, v24
	v_min_f32_e32 v46, v46, v45
	v_max_f32_e32 v45, v37, v37
	v_max_f32_e32 v47, v25, v25
	v_min_f32_e32 v47, v47, v45
	v_pk_add_f32 v[46:47], v[76:77], v[46:47]
	v_max_f32_e32 v45, v38, v38
	v_max_f32_e32 v76, v26, v26
	v_min_f32_e32 v76, v76, v45
	v_max_f32_e32 v45, v39, v39
	v_max_f32_e32 v77, v27, v27
	v_min_f32_e32 v77, v77, v45
	v_pk_add_f32 v[46:47], v[46:47], v[76:77]
	s_nop 0
	v_add_f32_e32 v45, v46, v47
	v_add_f32_e32 v46, v45, v44
	v_lshl_add_u64 v[44:45], v[102:103], 2, v[40:41]
	global_store_dword v[44:45], v46, off
	s_or_b64 exec, exec, s[26:27]
	s_and_b64 s[34:35], s[8:9], s[18:19]
	s_and_saveexec_b64 s[26:27], s[34:35]
	s_cbranch_execz .LBB50_120
.LBB50_136:
	s_and_b64 vcc, exec, s[0:1]
	s_cbranch_vccnz .LBB50_138
; %bb.137:
	v_lshl_add_u64 v[44:45], v[104:105], 2, v[42:43]
	flat_load_dword v44, v[44:45]
	s_waitcnt vmcnt(0) lgkmcnt(0)
	v_mul_f32_e32 v44, s28, v44
	s_branch .LBB50_139
.LBB50_138:
	v_mov_b32_e32 v44, 0
.LBB50_139:
	v_max_f32_e32 v45, v36, v36
	v_max_f32_e32 v46, v20, v20
	v_min_f32_e32 v46, v46, v45
	v_max_f32_e32 v45, v37, v37
	v_max_f32_e32 v47, v21, v21
	v_min_f32_e32 v47, v47, v45
	v_pk_add_f32 v[46:47], v[74:75], v[46:47]
	v_max_f32_e32 v45, v38, v38
	v_max_f32_e32 v74, v22, v22
	v_min_f32_e32 v74, v74, v45
	v_max_f32_e32 v45, v39, v39
	v_max_f32_e32 v75, v23, v23
	v_min_f32_e32 v75, v75, v45
	v_pk_add_f32 v[46:47], v[46:47], v[74:75]
	s_nop 0
	v_add_f32_e32 v45, v46, v47
	v_add_f32_e32 v46, v45, v44
	v_lshl_add_u64 v[44:45], v[104:105], 2, v[40:41]
	global_store_dword v[44:45], v46, off
	s_or_b64 exec, exec, s[26:27]
	s_and_b64 s[34:35], s[10:11], s[18:19]
	s_and_saveexec_b64 s[26:27], s[34:35]
	s_cbranch_execz .LBB50_121
.LBB50_140:
	s_and_b64 vcc, exec, s[0:1]
	s_cbranch_vccnz .LBB50_142
; %bb.141:
	v_lshl_add_u64 v[44:45], v[106:107], 2, v[42:43]
	flat_load_dword v44, v[44:45]
	s_waitcnt vmcnt(0) lgkmcnt(0)
	v_mul_f32_e32 v44, s28, v44
	s_branch .LBB50_143
.LBB50_142:
	v_mov_b32_e32 v44, 0
.LBB50_143:
	v_max_f32_e32 v45, v36, v36
	v_max_f32_e32 v46, v16, v16
	v_min_f32_e32 v46, v46, v45
	v_max_f32_e32 v45, v37, v37
	v_max_f32_e32 v47, v17, v17
	v_min_f32_e32 v47, v47, v45
	v_pk_add_f32 v[46:47], v[70:71], v[46:47]
	v_max_f32_e32 v45, v38, v38
	v_max_f32_e32 v70, v18, v18
	v_min_f32_e32 v70, v70, v45
	v_max_f32_e32 v45, v39, v39
	v_max_f32_e32 v71, v19, v19
	v_min_f32_e32 v71, v71, v45
	v_pk_add_f32 v[46:47], v[46:47], v[70:71]
	s_nop 0
	v_add_f32_e32 v45, v46, v47
	v_add_f32_e32 v46, v45, v44
	v_lshl_add_u64 v[44:45], v[106:107], 2, v[40:41]
	global_store_dword v[44:45], v46, off
	s_or_b64 exec, exec, s[26:27]
	s_and_b64 s[34:35], s[12:13], s[18:19]
	s_and_saveexec_b64 s[26:27], s[34:35]
	s_cbranch_execz .LBB50_122
.LBB50_144:
	s_and_b64 vcc, exec, s[0:1]
	s_cbranch_vccnz .LBB50_146
; %bb.145:
	v_lshl_add_u64 v[44:45], v[108:109], 2, v[42:43]
	flat_load_dword v44, v[44:45]
	s_waitcnt vmcnt(0) lgkmcnt(0)
	v_mul_f32_e32 v44, s28, v44
	s_branch .LBB50_147
.LBB50_146:
	v_mov_b32_e32 v44, 0
.LBB50_147:
	v_max_f32_e32 v45, v36, v36
	v_max_f32_e32 v46, v12, v12
	v_min_f32_e32 v46, v46, v45
	v_max_f32_e32 v45, v37, v37
	v_max_f32_e32 v47, v13, v13
	v_min_f32_e32 v47, v47, v45
	v_pk_add_f32 v[46:47], v[68:69], v[46:47]
	v_max_f32_e32 v45, v38, v38
	v_max_f32_e32 v68, v14, v14
	v_min_f32_e32 v68, v68, v45
	v_max_f32_e32 v45, v39, v39
	v_max_f32_e32 v69, v15, v15
	v_min_f32_e32 v69, v69, v45
	v_pk_add_f32 v[46:47], v[46:47], v[68:69]
	s_nop 0
	v_add_f32_e32 v45, v46, v47
	v_add_f32_e32 v46, v45, v44
	v_lshl_add_u64 v[44:45], v[108:109], 2, v[40:41]
	global_store_dword v[44:45], v46, off
	s_or_b64 exec, exec, s[26:27]
	s_and_b64 s[34:35], s[14:15], s[18:19]
	s_and_saveexec_b64 s[26:27], s[34:35]
	s_cbranch_execz .LBB50_123
.LBB50_148:
	s_and_b64 vcc, exec, s[0:1]
	s_cbranch_vccnz .LBB50_150
; %bb.149:
	v_lshl_add_u64 v[44:45], v[110:111], 2, v[42:43]
	flat_load_dword v44, v[44:45]
	s_waitcnt vmcnt(0) lgkmcnt(0)
	v_mul_f32_e32 v44, s28, v44
	s_branch .LBB50_151
.LBB50_150:
	v_mov_b32_e32 v44, 0
.LBB50_151:
	v_max_f32_e32 v45, v36, v36
	v_max_f32_e32 v46, v8, v8
	v_min_f32_e32 v46, v46, v45
	v_max_f32_e32 v45, v37, v37
	v_max_f32_e32 v47, v9, v9
	v_min_f32_e32 v47, v47, v45
	v_pk_add_f32 v[46:47], v[66:67], v[46:47]
	v_max_f32_e32 v45, v38, v38
	v_max_f32_e32 v66, v10, v10
	v_min_f32_e32 v66, v66, v45
	v_max_f32_e32 v45, v39, v39
	v_max_f32_e32 v67, v11, v11
	v_min_f32_e32 v67, v67, v45
	v_pk_add_f32 v[46:47], v[46:47], v[66:67]
	s_nop 0
	v_add_f32_e32 v45, v46, v47
	v_add_f32_e32 v46, v45, v44
	v_lshl_add_u64 v[44:45], v[110:111], 2, v[40:41]
	global_store_dword v[44:45], v46, off
	s_or_b64 exec, exec, s[26:27]
	s_and_b64 s[26:27], s[16:17], s[18:19]
	s_and_saveexec_b64 s[18:19], s[26:27]
	s_cbranch_execz .LBB50_156
.LBB50_152:
	s_and_b64 vcc, exec, s[0:1]
	s_cbranch_vccnz .LBB50_154
; %bb.153:
	v_lshl_add_u64 v[42:43], v[112:113], 2, v[42:43]
	flat_load_dword v42, v[42:43]
	s_waitcnt vmcnt(0) lgkmcnt(0)
	v_mul_f32_e32 v42, s28, v42
	s_branch .LBB50_155
.LBB50_154:
	v_mov_b32_e32 v42, 0
.LBB50_155:
	v_max_f32_e32 v37, v37, v37
	v_max_f32_e32 v43, v5, v5
	v_min_f32_e32 v37, v43, v37
	v_max_f32_e32 v36, v36, v36
	v_max_f32_e32 v43, v4, v4
	v_min_f32_e32 v36, v43, v36
	;; [unrolled: 3-line block ×3, first 2 shown]
	v_max_f32_e32 v38, v38, v38
	v_max_f32_e32 v43, v6, v6
	v_pk_add_f32 v[36:37], v[64:65], v[36:37]
	v_min_f32_e32 v38, v43, v38
	v_pk_add_f32 v[36:37], v[36:37], v[38:39]
	s_nop 0
	v_add_f32_e32 v36, v36, v37
	v_add_f32_e32 v38, v36, v42
	v_lshl_add_u64 v[36:37], v[112:113], 2, v[40:41]
	global_store_dword v[36:37], v38, off
.LBB50_156:
	s_or_b64 exec, exec, s[18:19]
	v_add_u32_e32 v40, 0x60, v120
	v_cmp_gt_i32_e64 s[18:19], s21, v40
	v_mad_i64_i32 v[36:37], s[20:21], v40, s33, 0
	v_lshl_add_u64 v[38:39], v[36:37], 2, s[24:25]
	v_mad_i64_i32 v[36:37], s[20:21], v40, s31, 0
	v_lshl_add_u64 v[36:37], v[36:37], 2, s[22:23]
	s_and_b64 s[20:21], s[2:3], s[18:19]
	s_and_saveexec_b64 s[2:3], s[20:21]
	s_cbranch_execnz .LBB50_165
; %bb.157:
	s_or_b64 exec, exec, s[2:3]
	s_and_b64 s[4:5], s[4:5], s[18:19]
	s_and_saveexec_b64 s[2:3], s[4:5]
	s_cbranch_execnz .LBB50_169
.LBB50_158:
	s_or_b64 exec, exec, s[2:3]
	s_and_b64 s[4:5], s[6:7], s[18:19]
	s_and_saveexec_b64 s[2:3], s[4:5]
	s_cbranch_execnz .LBB50_173
.LBB50_159:
	s_or_b64 exec, exec, s[2:3]
	s_and_b64 s[4:5], s[8:9], s[18:19]
	s_and_saveexec_b64 s[2:3], s[4:5]
	s_cbranch_execnz .LBB50_177
.LBB50_160:
	s_or_b64 exec, exec, s[2:3]
	s_and_b64 s[4:5], s[10:11], s[18:19]
	s_and_saveexec_b64 s[2:3], s[4:5]
	s_cbranch_execnz .LBB50_181
.LBB50_161:
	s_or_b64 exec, exec, s[2:3]
	s_and_b64 s[4:5], s[12:13], s[18:19]
	s_and_saveexec_b64 s[2:3], s[4:5]
	s_cbranch_execnz .LBB50_185
.LBB50_162:
	s_or_b64 exec, exec, s[2:3]
	s_and_b64 s[4:5], s[14:15], s[18:19]
	s_and_saveexec_b64 s[2:3], s[4:5]
	s_cbranch_execnz .LBB50_189
.LBB50_163:
	s_or_b64 exec, exec, s[2:3]
	s_and_b64 s[2:3], s[16:17], s[18:19]
	s_and_saveexec_b64 s[4:5], s[2:3]
	s_cbranch_execnz .LBB50_193
.LBB50_164:
	s_endpgm
.LBB50_165:
	s_and_b64 vcc, exec, s[0:1]
	s_cbranch_vccnz .LBB50_167
; %bb.166:
	v_lshl_add_u64 v[40:41], v[72:73], 2, v[38:39]
	flat_load_dword v40, v[40:41]
	s_waitcnt vmcnt(0) lgkmcnt(0)
	v_mul_f32_e32 v40, s28, v40
	s_branch .LBB50_168
.LBB50_167:
	v_mov_b32_e32 v40, 0
.LBB50_168:
	v_max_f32_e32 v41, v1, v1
	v_max_f32_e32 v33, v33, v33
	v_min_f32_e32 v33, v33, v41
	v_max_f32_e32 v41, v0, v0
	v_max_f32_e32 v32, v32, v32
	v_min_f32_e32 v32, v32, v41
	;; [unrolled: 3-line block ×3, first 2 shown]
	v_max_f32_e32 v41, v2, v2
	v_max_f32_e32 v34, v34, v34
	v_pk_add_f32 v[32:33], v[62:63], v[32:33]
	v_min_f32_e32 v34, v34, v41
	v_pk_add_f32 v[32:33], v[32:33], v[34:35]
	s_nop 0
	v_add_f32_e32 v32, v32, v33
	v_add_f32_e32 v34, v32, v40
	v_lshl_add_u64 v[32:33], v[72:73], 2, v[36:37]
	global_store_dword v[32:33], v34, off
	s_or_b64 exec, exec, s[2:3]
	s_and_b64 s[4:5], s[4:5], s[18:19]
	s_and_saveexec_b64 s[2:3], s[4:5]
	s_cbranch_execz .LBB50_158
.LBB50_169:
	s_and_b64 vcc, exec, s[0:1]
	s_cbranch_vccnz .LBB50_171
; %bb.170:
	v_lshl_add_u64 v[32:33], v[100:101], 2, v[38:39]
	flat_load_dword v32, v[32:33]
	s_waitcnt vmcnt(0) lgkmcnt(0)
	v_mul_f32_e32 v32, s28, v32
	s_branch .LBB50_172
.LBB50_171:
	v_mov_b32_e32 v32, 0
.LBB50_172:
	v_max_f32_e32 v33, v1, v1
	v_max_f32_e32 v29, v29, v29
	v_min_f32_e32 v29, v29, v33
	v_max_f32_e32 v33, v0, v0
	v_max_f32_e32 v28, v28, v28
	v_min_f32_e32 v28, v28, v33
	;; [unrolled: 3-line block ×3, first 2 shown]
	v_max_f32_e32 v33, v2, v2
	v_max_f32_e32 v30, v30, v30
	v_pk_add_f32 v[28:29], v[60:61], v[28:29]
	v_min_f32_e32 v30, v30, v33
	v_pk_add_f32 v[28:29], v[28:29], v[30:31]
	s_nop 0
	v_add_f32_e32 v28, v28, v29
	v_add_f32_e32 v30, v28, v32
	v_lshl_add_u64 v[28:29], v[100:101], 2, v[36:37]
	global_store_dword v[28:29], v30, off
	s_or_b64 exec, exec, s[2:3]
	s_and_b64 s[4:5], s[6:7], s[18:19]
	s_and_saveexec_b64 s[2:3], s[4:5]
	s_cbranch_execz .LBB50_159
.LBB50_173:
	s_and_b64 vcc, exec, s[0:1]
	s_cbranch_vccnz .LBB50_175
; %bb.174:
	v_lshl_add_u64 v[28:29], v[102:103], 2, v[38:39]
	flat_load_dword v28, v[28:29]
	s_waitcnt vmcnt(0) lgkmcnt(0)
	v_mul_f32_e32 v28, s28, v28
	s_branch .LBB50_176
.LBB50_175:
	v_mov_b32_e32 v28, 0
.LBB50_176:
	v_max_f32_e32 v29, v1, v1
	v_max_f32_e32 v25, v25, v25
	v_min_f32_e32 v25, v25, v29
	v_max_f32_e32 v29, v0, v0
	v_max_f32_e32 v24, v24, v24
	v_min_f32_e32 v24, v24, v29
	;; [unrolled: 3-line block ×3, first 2 shown]
	v_max_f32_e32 v29, v2, v2
	v_max_f32_e32 v26, v26, v26
	v_pk_add_f32 v[24:25], v[58:59], v[24:25]
	v_min_f32_e32 v26, v26, v29
	v_pk_add_f32 v[24:25], v[24:25], v[26:27]
	s_nop 0
	v_add_f32_e32 v24, v24, v25
	v_add_f32_e32 v26, v24, v28
	v_lshl_add_u64 v[24:25], v[102:103], 2, v[36:37]
	global_store_dword v[24:25], v26, off
	s_or_b64 exec, exec, s[2:3]
	s_and_b64 s[4:5], s[8:9], s[18:19]
	s_and_saveexec_b64 s[2:3], s[4:5]
	s_cbranch_execz .LBB50_160
.LBB50_177:
	s_and_b64 vcc, exec, s[0:1]
	s_cbranch_vccnz .LBB50_179
; %bb.178:
	v_lshl_add_u64 v[24:25], v[104:105], 2, v[38:39]
	flat_load_dword v24, v[24:25]
	s_waitcnt vmcnt(0) lgkmcnt(0)
	v_mul_f32_e32 v24, s28, v24
	s_branch .LBB50_180
.LBB50_179:
	v_mov_b32_e32 v24, 0
.LBB50_180:
	v_max_f32_e32 v25, v1, v1
	v_max_f32_e32 v21, v21, v21
	v_min_f32_e32 v21, v21, v25
	v_max_f32_e32 v25, v0, v0
	v_max_f32_e32 v20, v20, v20
	v_min_f32_e32 v20, v20, v25
	;; [unrolled: 3-line block ×3, first 2 shown]
	v_max_f32_e32 v25, v2, v2
	v_max_f32_e32 v22, v22, v22
	v_pk_add_f32 v[20:21], v[56:57], v[20:21]
	v_min_f32_e32 v22, v22, v25
	v_pk_add_f32 v[20:21], v[20:21], v[22:23]
	s_nop 0
	v_add_f32_e32 v20, v20, v21
	v_add_f32_e32 v22, v20, v24
	v_lshl_add_u64 v[20:21], v[104:105], 2, v[36:37]
	global_store_dword v[20:21], v22, off
	s_or_b64 exec, exec, s[2:3]
	s_and_b64 s[4:5], s[10:11], s[18:19]
	s_and_saveexec_b64 s[2:3], s[4:5]
	s_cbranch_execz .LBB50_161
.LBB50_181:
	s_and_b64 vcc, exec, s[0:1]
	s_cbranch_vccnz .LBB50_183
; %bb.182:
	v_lshl_add_u64 v[20:21], v[106:107], 2, v[38:39]
	flat_load_dword v20, v[20:21]
	s_waitcnt vmcnt(0) lgkmcnt(0)
	v_mul_f32_e32 v20, s28, v20
	s_branch .LBB50_184
.LBB50_183:
	v_mov_b32_e32 v20, 0
.LBB50_184:
	v_max_f32_e32 v21, v1, v1
	v_max_f32_e32 v17, v17, v17
	v_min_f32_e32 v17, v17, v21
	v_max_f32_e32 v21, v0, v0
	v_max_f32_e32 v16, v16, v16
	v_min_f32_e32 v16, v16, v21
	;; [unrolled: 3-line block ×3, first 2 shown]
	v_max_f32_e32 v21, v2, v2
	v_max_f32_e32 v18, v18, v18
	v_pk_add_f32 v[16:17], v[54:55], v[16:17]
	v_min_f32_e32 v18, v18, v21
	v_pk_add_f32 v[16:17], v[16:17], v[18:19]
	s_nop 0
	v_add_f32_e32 v16, v16, v17
	v_add_f32_e32 v18, v16, v20
	v_lshl_add_u64 v[16:17], v[106:107], 2, v[36:37]
	global_store_dword v[16:17], v18, off
	s_or_b64 exec, exec, s[2:3]
	s_and_b64 s[4:5], s[12:13], s[18:19]
	s_and_saveexec_b64 s[2:3], s[4:5]
	s_cbranch_execz .LBB50_162
.LBB50_185:
	s_and_b64 vcc, exec, s[0:1]
	s_cbranch_vccnz .LBB50_187
; %bb.186:
	v_lshl_add_u64 v[16:17], v[108:109], 2, v[38:39]
	flat_load_dword v16, v[16:17]
	s_waitcnt vmcnt(0) lgkmcnt(0)
	v_mul_f32_e32 v16, s28, v16
	s_branch .LBB50_188
.LBB50_187:
	v_mov_b32_e32 v16, 0
.LBB50_188:
	v_max_f32_e32 v17, v1, v1
	v_max_f32_e32 v13, v13, v13
	v_min_f32_e32 v13, v13, v17
	v_max_f32_e32 v17, v0, v0
	v_max_f32_e32 v12, v12, v12
	v_min_f32_e32 v12, v12, v17
	;; [unrolled: 3-line block ×3, first 2 shown]
	v_max_f32_e32 v17, v2, v2
	v_max_f32_e32 v14, v14, v14
	v_pk_add_f32 v[12:13], v[52:53], v[12:13]
	v_min_f32_e32 v14, v14, v17
	v_pk_add_f32 v[12:13], v[12:13], v[14:15]
	s_nop 0
	v_add_f32_e32 v12, v12, v13
	v_add_f32_e32 v14, v12, v16
	v_lshl_add_u64 v[12:13], v[108:109], 2, v[36:37]
	global_store_dword v[12:13], v14, off
	s_or_b64 exec, exec, s[2:3]
	s_and_b64 s[4:5], s[14:15], s[18:19]
	s_and_saveexec_b64 s[2:3], s[4:5]
	s_cbranch_execz .LBB50_163
.LBB50_189:
	s_and_b64 vcc, exec, s[0:1]
	s_cbranch_vccnz .LBB50_191
; %bb.190:
	v_lshl_add_u64 v[12:13], v[110:111], 2, v[38:39]
	flat_load_dword v12, v[12:13]
	s_waitcnt vmcnt(0) lgkmcnt(0)
	v_mul_f32_e32 v12, s28, v12
	s_branch .LBB50_192
.LBB50_191:
	v_mov_b32_e32 v12, 0
.LBB50_192:
	v_max_f32_e32 v13, v1, v1
	v_max_f32_e32 v9, v9, v9
	v_min_f32_e32 v9, v9, v13
	v_max_f32_e32 v13, v0, v0
	v_max_f32_e32 v8, v8, v8
	v_min_f32_e32 v8, v8, v13
	;; [unrolled: 3-line block ×3, first 2 shown]
	v_max_f32_e32 v13, v2, v2
	v_max_f32_e32 v10, v10, v10
	v_pk_add_f32 v[8:9], v[50:51], v[8:9]
	v_min_f32_e32 v10, v10, v13
	v_pk_add_f32 v[8:9], v[8:9], v[10:11]
	s_nop 0
	v_add_f32_e32 v8, v8, v9
	v_add_f32_e32 v10, v8, v12
	v_lshl_add_u64 v[8:9], v[110:111], 2, v[36:37]
	global_store_dword v[8:9], v10, off
	s_or_b64 exec, exec, s[2:3]
	s_and_b64 s[2:3], s[16:17], s[18:19]
	s_and_saveexec_b64 s[4:5], s[2:3]
	s_cbranch_execz .LBB50_164
.LBB50_193:
	s_and_b64 vcc, exec, s[0:1]
	s_cbranch_vccnz .LBB50_195
; %bb.194:
	v_lshl_add_u64 v[8:9], v[112:113], 2, v[38:39]
	flat_load_dword v8, v[8:9]
	s_waitcnt vmcnt(0) lgkmcnt(0)
	v_mul_f32_e32 v8, s28, v8
	s_branch .LBB50_196
.LBB50_195:
	v_mov_b32_e32 v8, 0
.LBB50_196:
	v_max_f32_e32 v0, v0, v0
	v_max_f32_e32 v4, v4, v4
	;; [unrolled: 1-line block ×4, first 2 shown]
	v_min_f32_e32 v0, v4, v0
	v_max_f32_e32 v3, v3, v3
	v_max_f32_e32 v4, v7, v7
	v_min_f32_e32 v1, v5, v1
	v_min_f32_e32 v3, v4, v3
	v_max_f32_e32 v2, v2, v2
	v_max_f32_e32 v4, v6, v6
	v_pk_add_f32 v[0:1], v[48:49], v[0:1]
	v_min_f32_e32 v2, v4, v2
	v_pk_add_f32 v[0:1], v[0:1], v[2:3]
	s_nop 0
	v_add_f32_e32 v0, v0, v1
	v_add_f32_e32 v2, v0, v8
	v_lshl_add_u64 v[0:1], v[112:113], 2, v[36:37]
	global_store_dword v[0:1], v2, off
	s_endpgm
	.section	.rodata,"a",@progbits
	.p2align	6, 0x0
	.amdhsa_kernel _ZN12_GLOBAL__N_120geam_min_plus_kernelIf15HIP_vector_typeIfLj2EES2_Li8ELi32ELi64ELi128ELi4ELi4ELi64ELi64ELi4ELc84ELc84ELb0ELb1ELb0EfKPKfKPfEEviiiT16_PT17_ilSA_ilS8_SA_ilPT18_ili26rocblas_geam_ex_operation_
		.amdhsa_group_segment_fixed_size 6144
		.amdhsa_private_segment_fixed_size 0
		.amdhsa_kernarg_size 128
		.amdhsa_user_sgpr_count 2
		.amdhsa_user_sgpr_dispatch_ptr 0
		.amdhsa_user_sgpr_queue_ptr 0
		.amdhsa_user_sgpr_kernarg_segment_ptr 1
		.amdhsa_user_sgpr_dispatch_id 0
		.amdhsa_user_sgpr_kernarg_preload_length 0
		.amdhsa_user_sgpr_kernarg_preload_offset 0
		.amdhsa_user_sgpr_private_segment_size 0
		.amdhsa_uses_dynamic_stack 0
		.amdhsa_enable_private_segment 0
		.amdhsa_system_sgpr_workgroup_id_x 1
		.amdhsa_system_sgpr_workgroup_id_y 0
		.amdhsa_system_sgpr_workgroup_id_z 1
		.amdhsa_system_sgpr_workgroup_info 0
		.amdhsa_system_vgpr_workitem_id 1
		.amdhsa_next_free_vgpr 219
		.amdhsa_next_free_sgpr 38
		.amdhsa_accum_offset 220
		.amdhsa_reserve_vcc 1
		.amdhsa_float_round_mode_32 0
		.amdhsa_float_round_mode_16_64 0
		.amdhsa_float_denorm_mode_32 3
		.amdhsa_float_denorm_mode_16_64 3
		.amdhsa_dx10_clamp 1
		.amdhsa_ieee_mode 1
		.amdhsa_fp16_overflow 0
		.amdhsa_tg_split 0
		.amdhsa_exception_fp_ieee_invalid_op 0
		.amdhsa_exception_fp_denorm_src 0
		.amdhsa_exception_fp_ieee_div_zero 0
		.amdhsa_exception_fp_ieee_overflow 0
		.amdhsa_exception_fp_ieee_underflow 0
		.amdhsa_exception_fp_ieee_inexact 0
		.amdhsa_exception_int_div_zero 0
	.end_amdhsa_kernel
	.section	.text._ZN12_GLOBAL__N_120geam_min_plus_kernelIf15HIP_vector_typeIfLj2EES2_Li8ELi32ELi64ELi128ELi4ELi4ELi64ELi64ELi4ELc84ELc84ELb0ELb1ELb0EfKPKfKPfEEviiiT16_PT17_ilSA_ilS8_SA_ilPT18_ili26rocblas_geam_ex_operation_,"axG",@progbits,_ZN12_GLOBAL__N_120geam_min_plus_kernelIf15HIP_vector_typeIfLj2EES2_Li8ELi32ELi64ELi128ELi4ELi4ELi64ELi64ELi4ELc84ELc84ELb0ELb1ELb0EfKPKfKPfEEviiiT16_PT17_ilSA_ilS8_SA_ilPT18_ili26rocblas_geam_ex_operation_,comdat
.Lfunc_end50:
	.size	_ZN12_GLOBAL__N_120geam_min_plus_kernelIf15HIP_vector_typeIfLj2EES2_Li8ELi32ELi64ELi128ELi4ELi4ELi64ELi64ELi4ELc84ELc84ELb0ELb1ELb0EfKPKfKPfEEviiiT16_PT17_ilSA_ilS8_SA_ilPT18_ili26rocblas_geam_ex_operation_, .Lfunc_end50-_ZN12_GLOBAL__N_120geam_min_plus_kernelIf15HIP_vector_typeIfLj2EES2_Li8ELi32ELi64ELi128ELi4ELi4ELi64ELi64ELi4ELc84ELc84ELb0ELb1ELb0EfKPKfKPfEEviiiT16_PT17_ilSA_ilS8_SA_ilPT18_ili26rocblas_geam_ex_operation_
                                        ; -- End function
	.section	.AMDGPU.csdata,"",@progbits
; Kernel info:
; codeLenInByte = 11172
; NumSgprs: 44
; NumVgprs: 219
; NumAgprs: 0
; TotalNumVgprs: 219
; ScratchSize: 0
; MemoryBound: 0
; FloatMode: 240
; IeeeMode: 1
; LDSByteSize: 6144 bytes/workgroup (compile time only)
; SGPRBlocks: 5
; VGPRBlocks: 27
; NumSGPRsForWavesPerEU: 44
; NumVGPRsForWavesPerEU: 219
; AccumOffset: 220
; Occupancy: 2
; WaveLimiterHint : 1
; COMPUTE_PGM_RSRC2:SCRATCH_EN: 0
; COMPUTE_PGM_RSRC2:USER_SGPR: 2
; COMPUTE_PGM_RSRC2:TRAP_HANDLER: 0
; COMPUTE_PGM_RSRC2:TGID_X_EN: 1
; COMPUTE_PGM_RSRC2:TGID_Y_EN: 0
; COMPUTE_PGM_RSRC2:TGID_Z_EN: 1
; COMPUTE_PGM_RSRC2:TIDIG_COMP_CNT: 1
; COMPUTE_PGM_RSRC3_GFX90A:ACCUM_OFFSET: 54
; COMPUTE_PGM_RSRC3_GFX90A:TG_SPLIT: 0
	.section	.text._ZN12_GLOBAL__N_120geam_ex_scale_kernelILi32ELi32EffPKfPfEEviiT2_T3_lilT4_lil,"axG",@progbits,_ZN12_GLOBAL__N_120geam_ex_scale_kernelILi32ELi32EffPKfPfEEviiT2_T3_lilT4_lil,comdat
	.globl	_ZN12_GLOBAL__N_120geam_ex_scale_kernelILi32ELi32EffPKfPfEEviiT2_T3_lilT4_lil ; -- Begin function _ZN12_GLOBAL__N_120geam_ex_scale_kernelILi32ELi32EffPKfPfEEviiT2_T3_lilT4_lil
	.p2align	8
	.type	_ZN12_GLOBAL__N_120geam_ex_scale_kernelILi32ELi32EffPKfPfEEviiT2_T3_lilT4_lil,@function
_ZN12_GLOBAL__N_120geam_ex_scale_kernelILi32ELi32EffPKfPfEEviiT2_T3_lilT4_lil: ; @_ZN12_GLOBAL__N_120geam_ex_scale_kernelILi32ELi32EffPKfPfEEviiT2_T3_lilT4_lil
; %bb.0:
	s_load_dwordx4 s[8:11], s[0:1], 0x0
	s_load_dwordx4 s[4:7], s[0:1], 0x28
	s_load_dwordx2 s[12:13], s[0:1], 0x38
	s_waitcnt lgkmcnt(0)
	v_cmp_eq_f32_e64 s[16:17], s10, 0
	s_and_b64 vcc, exec, s[16:17]
	s_cbranch_vccnz .LBB51_2
; %bb.1:
	s_load_dwordx4 s[20:23], s[0:1], 0x10
	s_mul_i32 s5, s3, s5
	s_mul_hi_u32 s11, s3, s4
	s_add_i32 s5, s11, s5
	s_mul_i32 s4, s3, s4
	s_lshl_b64 s[4:5], s[4:5], 2
	s_waitcnt lgkmcnt(0)
	s_add_u32 s11, s20, s4
	s_addc_u32 s15, s21, s5
	s_lshl_b64 s[4:5], s[22:23], 2
	s_add_u32 s14, s11, s4
	s_addc_u32 s15, s15, s5
	s_branch .LBB51_3
.LBB51_2:
	s_mov_b64 s[14:15], 0
.LBB51_3:
	s_add_i32 s4, s8, -1
	s_ashr_i32 s5, s4, 31
	s_lshr_b32 s5, s5, 27
	s_add_i32 s4, s4, s5
	s_ashr_i32 s4, s4, 5
	s_add_i32 s5, s4, 1
	v_cvt_f32_u32_e32 v1, s5
	s_not_b32 s4, s4
	v_and_b32_e32 v3, 0x3ff, v0
	v_bfe_u32 v0, v0, 10, 10
	v_rcp_iflag_f32_e32 v1, v1
	s_nop 0
	v_mul_f32_e32 v1, 0x4f7ffffe, v1
	v_cvt_u32_f32_e32 v1, v1
	s_nop 0
	v_readfirstlane_b32 s11, v1
	s_mul_i32 s4, s4, s11
	s_mul_hi_u32 s4, s11, s4
	s_add_i32 s11, s11, s4
	s_mul_hi_u32 s4, s2, s11
	s_mul_i32 s11, s4, s5
	s_sub_i32 s11, s2, s11
	s_add_i32 s18, s4, 1
	s_sub_i32 s19, s11, s5
	s_cmp_ge_u32 s11, s5
	s_cselect_b32 s4, s18, s4
	s_cselect_b32 s11, s19, s11
	s_add_i32 s18, s4, 1
	s_cmp_ge_u32 s11, s5
	s_cselect_b32 s4, s18, s4
	s_mul_i32 s5, s4, s5
	s_sub_i32 s2, s2, s5
	v_lshl_add_u32 v2, s4, 5, v0
	v_lshl_add_u32 v0, s2, 5, v3
	v_cmp_gt_u32_e32 vcc, s8, v0
	v_cmp_gt_u32_e64 s[4:5], s9, v2
	s_and_b64 s[4:5], vcc, s[4:5]
	s_and_saveexec_b64 s[8:9], s[4:5]
	s_cbranch_execz .LBB51_9
; %bb.4:
	s_andn2_b64 vcc, exec, s[16:17]
	v_mov_b32_e32 v1, 0
	s_cbranch_vccnz .LBB51_6
; %bb.5:
	s_mov_b32 s2, 0
	v_mov_b32_e32 v3, s2
	s_cbranch_execz .LBB51_7
	s_branch .LBB51_8
.LBB51_6:
                                        ; implicit-def: $sgpr2
	v_mov_b32_e32 v3, s2
.LBB51_7:
	s_load_dword s2, s[0:1], 0x20
	v_mov_b32_e32 v1, 0
	s_waitcnt lgkmcnt(0)
	v_mad_u64_u32 v[4:5], s[4:5], v2, s2, v[0:1]
	s_ashr_i32 s8, s2, 31
	v_mov_b32_e32 v6, v5
	v_mad_u64_u32 v[6:7], s[4:5], v2, s8, v[6:7]
	v_mov_b32_e32 v5, v6
	v_lshl_add_u64 v[4:5], v[4:5], 2, s[14:15]
	flat_load_dword v3, v[4:5]
	s_waitcnt vmcnt(0) lgkmcnt(0)
	v_mul_f32_e32 v3, s10, v3
.LBB51_8:
	s_load_dwordx2 s[4:5], s[0:1], 0x48
	s_load_dword s2, s[0:1], 0x40
	s_waitcnt lgkmcnt(0)
	s_mul_i32 s1, s3, s5
	s_mul_hi_u32 s5, s3, s4
	s_mul_i32 s0, s3, s4
	s_add_i32 s1, s5, s1
	s_lshl_b64 s[0:1], s[0:1], 2
	s_add_u32 s3, s6, s0
	s_addc_u32 s4, s7, s1
	s_lshl_b64 s[0:1], s[12:13], 2
	s_add_u32 s0, s3, s0
	s_addc_u32 s1, s4, s1
	s_ashr_i32 s4, s2, 31
	v_mad_u64_u32 v[4:5], s[2:3], v2, s2, 0
	v_mov_b32_e32 v6, v5
	v_mad_u64_u32 v[6:7], s[2:3], v2, s4, v[6:7]
	v_mov_b32_e32 v5, v6
	v_lshl_add_u64 v[4:5], v[4:5], 2, s[0:1]
	v_lshl_add_u64 v[0:1], v[0:1], 2, v[4:5]
	global_store_dword v[0:1], v3, off
.LBB51_9:
	s_endpgm
	.section	.rodata,"a",@progbits
	.p2align	6, 0x0
	.amdhsa_kernel _ZN12_GLOBAL__N_120geam_ex_scale_kernelILi32ELi32EffPKfPfEEviiT2_T3_lilT4_lil
		.amdhsa_group_segment_fixed_size 0
		.amdhsa_private_segment_fixed_size 0
		.amdhsa_kernarg_size 80
		.amdhsa_user_sgpr_count 2
		.amdhsa_user_sgpr_dispatch_ptr 0
		.amdhsa_user_sgpr_queue_ptr 0
		.amdhsa_user_sgpr_kernarg_segment_ptr 1
		.amdhsa_user_sgpr_dispatch_id 0
		.amdhsa_user_sgpr_kernarg_preload_length 0
		.amdhsa_user_sgpr_kernarg_preload_offset 0
		.amdhsa_user_sgpr_private_segment_size 0
		.amdhsa_uses_dynamic_stack 0
		.amdhsa_enable_private_segment 0
		.amdhsa_system_sgpr_workgroup_id_x 1
		.amdhsa_system_sgpr_workgroup_id_y 0
		.amdhsa_system_sgpr_workgroup_id_z 1
		.amdhsa_system_sgpr_workgroup_info 0
		.amdhsa_system_vgpr_workitem_id 1
		.amdhsa_next_free_vgpr 8
		.amdhsa_next_free_sgpr 24
		.amdhsa_accum_offset 8
		.amdhsa_reserve_vcc 1
		.amdhsa_float_round_mode_32 0
		.amdhsa_float_round_mode_16_64 0
		.amdhsa_float_denorm_mode_32 3
		.amdhsa_float_denorm_mode_16_64 3
		.amdhsa_dx10_clamp 1
		.amdhsa_ieee_mode 1
		.amdhsa_fp16_overflow 0
		.amdhsa_tg_split 0
		.amdhsa_exception_fp_ieee_invalid_op 0
		.amdhsa_exception_fp_denorm_src 0
		.amdhsa_exception_fp_ieee_div_zero 0
		.amdhsa_exception_fp_ieee_overflow 0
		.amdhsa_exception_fp_ieee_underflow 0
		.amdhsa_exception_fp_ieee_inexact 0
		.amdhsa_exception_int_div_zero 0
	.end_amdhsa_kernel
	.section	.text._ZN12_GLOBAL__N_120geam_ex_scale_kernelILi32ELi32EffPKfPfEEviiT2_T3_lilT4_lil,"axG",@progbits,_ZN12_GLOBAL__N_120geam_ex_scale_kernelILi32ELi32EffPKfPfEEviiT2_T3_lilT4_lil,comdat
.Lfunc_end51:
	.size	_ZN12_GLOBAL__N_120geam_ex_scale_kernelILi32ELi32EffPKfPfEEviiT2_T3_lilT4_lil, .Lfunc_end51-_ZN12_GLOBAL__N_120geam_ex_scale_kernelILi32ELi32EffPKfPfEEviiT2_T3_lilT4_lil
                                        ; -- End function
	.section	.AMDGPU.csdata,"",@progbits
; Kernel info:
; codeLenInByte = 500
; NumSgprs: 30
; NumVgprs: 8
; NumAgprs: 0
; TotalNumVgprs: 8
; ScratchSize: 0
; MemoryBound: 0
; FloatMode: 240
; IeeeMode: 1
; LDSByteSize: 0 bytes/workgroup (compile time only)
; SGPRBlocks: 3
; VGPRBlocks: 0
; NumSGPRsForWavesPerEU: 30
; NumVGPRsForWavesPerEU: 8
; AccumOffset: 8
; Occupancy: 8
; WaveLimiterHint : 0
; COMPUTE_PGM_RSRC2:SCRATCH_EN: 0
; COMPUTE_PGM_RSRC2:USER_SGPR: 2
; COMPUTE_PGM_RSRC2:TRAP_HANDLER: 0
; COMPUTE_PGM_RSRC2:TGID_X_EN: 1
; COMPUTE_PGM_RSRC2:TGID_Y_EN: 0
; COMPUTE_PGM_RSRC2:TGID_Z_EN: 1
; COMPUTE_PGM_RSRC2:TIDIG_COMP_CNT: 1
; COMPUTE_PGM_RSRC3_GFX90A:ACCUM_OFFSET: 1
; COMPUTE_PGM_RSRC3_GFX90A:TG_SPLIT: 0
	.section	.text._ZN12_GLOBAL__N_120geam_ex_scale_kernelILi32ELi32EfPKfS2_PfEEviiT2_T3_lilT4_lil,"axG",@progbits,_ZN12_GLOBAL__N_120geam_ex_scale_kernelILi32ELi32EfPKfS2_PfEEviiT2_T3_lilT4_lil,comdat
	.globl	_ZN12_GLOBAL__N_120geam_ex_scale_kernelILi32ELi32EfPKfS2_PfEEviiT2_T3_lilT4_lil ; -- Begin function _ZN12_GLOBAL__N_120geam_ex_scale_kernelILi32ELi32EfPKfS2_PfEEviiT2_T3_lilT4_lil
	.p2align	8
	.type	_ZN12_GLOBAL__N_120geam_ex_scale_kernelILi32ELi32EfPKfS2_PfEEviiT2_T3_lilT4_lil,@function
_ZN12_GLOBAL__N_120geam_ex_scale_kernelILi32ELi32EfPKfS2_PfEEviiT2_T3_lilT4_lil: ; @_ZN12_GLOBAL__N_120geam_ex_scale_kernelILi32ELi32EfPKfS2_PfEEviiT2_T3_lilT4_lil
; %bb.0:
	s_load_dwordx4 s[8:11], s[0:1], 0x8
	s_load_dwordx4 s[4:7], s[0:1], 0x28
	s_waitcnt lgkmcnt(0)
	s_load_dword s16, s[8:9], 0x0
	s_load_dwordx2 s[12:13], s[0:1], 0x38
	s_waitcnt lgkmcnt(0)
	v_cmp_eq_f32_e64 s[14:15], s16, 0
	s_and_b64 vcc, exec, s[14:15]
	s_cbranch_vccnz .LBB52_2
; %bb.1:
	s_load_dwordx2 s[8:9], s[0:1], 0x18
	s_mul_i32 s5, s3, s5
	s_mul_hi_u32 s17, s3, s4
	s_add_i32 s5, s17, s5
	s_mul_i32 s4, s3, s4
	s_lshl_b64 s[4:5], s[4:5], 2
	s_add_u32 s10, s10, s4
	s_addc_u32 s11, s11, s5
	s_waitcnt lgkmcnt(0)
	s_lshl_b64 s[4:5], s[8:9], 2
	s_add_u32 s8, s10, s4
	s_addc_u32 s9, s11, s5
	s_branch .LBB52_3
.LBB52_2:
	s_mov_b64 s[8:9], 0
.LBB52_3:
	s_load_dwordx2 s[4:5], s[0:1], 0x0
	v_and_b32_e32 v3, 0x3ff, v0
	v_bfe_u32 v0, v0, 10, 10
	s_waitcnt lgkmcnt(0)
	s_add_i32 s10, s4, -1
	s_ashr_i32 s11, s10, 31
	s_lshr_b32 s11, s11, 27
	s_add_i32 s10, s10, s11
	s_ashr_i32 s10, s10, 5
	s_add_i32 s11, s10, 1
	v_cvt_f32_u32_e32 v1, s11
	s_not_b32 s10, s10
	v_rcp_iflag_f32_e32 v1, v1
	s_nop 0
	v_mul_f32_e32 v1, 0x4f7ffffe, v1
	v_cvt_u32_f32_e32 v1, v1
	s_nop 0
	v_readfirstlane_b32 s17, v1
	s_mul_i32 s10, s10, s17
	s_mul_hi_u32 s10, s17, s10
	s_add_i32 s17, s17, s10
	s_mul_hi_u32 s10, s2, s17
	s_mul_i32 s17, s10, s11
	s_sub_i32 s17, s2, s17
	s_add_i32 s18, s10, 1
	s_sub_i32 s19, s17, s11
	s_cmp_ge_u32 s17, s11
	s_cselect_b32 s10, s18, s10
	s_cselect_b32 s17, s19, s17
	s_add_i32 s18, s10, 1
	s_cmp_ge_u32 s17, s11
	s_cselect_b32 s10, s18, s10
	s_mul_i32 s11, s10, s11
	s_sub_i32 s2, s2, s11
	v_lshl_add_u32 v2, s10, 5, v0
	v_lshl_add_u32 v0, s2, 5, v3
	v_cmp_gt_u32_e32 vcc, s4, v0
	v_cmp_gt_u32_e64 s[4:5], s5, v2
	s_and_b64 s[4:5], vcc, s[4:5]
	s_and_saveexec_b64 s[10:11], s[4:5]
	s_cbranch_execz .LBB52_9
; %bb.4:
	s_andn2_b64 vcc, exec, s[14:15]
	v_mov_b32_e32 v1, 0
	s_cbranch_vccnz .LBB52_6
; %bb.5:
	s_mov_b32 s2, 0
	v_mov_b32_e32 v3, s2
	s_cbranch_execz .LBB52_7
	s_branch .LBB52_8
.LBB52_6:
                                        ; implicit-def: $sgpr2
	v_mov_b32_e32 v3, s2
.LBB52_7:
	s_load_dword s2, s[0:1], 0x20
	v_mov_b32_e32 v1, 0
	s_waitcnt lgkmcnt(0)
	v_mad_u64_u32 v[4:5], s[4:5], v2, s2, v[0:1]
	s_ashr_i32 s10, s2, 31
	v_mov_b32_e32 v6, v5
	v_mad_u64_u32 v[6:7], s[4:5], v2, s10, v[6:7]
	v_mov_b32_e32 v5, v6
	v_lshl_add_u64 v[4:5], v[4:5], 2, s[8:9]
	flat_load_dword v3, v[4:5]
	s_waitcnt vmcnt(0) lgkmcnt(0)
	v_mul_f32_e32 v3, s16, v3
.LBB52_8:
	s_load_dwordx2 s[4:5], s[0:1], 0x48
	s_load_dword s2, s[0:1], 0x40
	s_waitcnt lgkmcnt(0)
	s_mul_i32 s1, s3, s5
	s_mul_hi_u32 s5, s3, s4
	s_mul_i32 s0, s3, s4
	s_add_i32 s1, s5, s1
	s_lshl_b64 s[0:1], s[0:1], 2
	s_add_u32 s3, s6, s0
	s_addc_u32 s4, s7, s1
	s_lshl_b64 s[0:1], s[12:13], 2
	s_add_u32 s0, s3, s0
	s_addc_u32 s1, s4, s1
	s_ashr_i32 s4, s2, 31
	v_mad_u64_u32 v[4:5], s[2:3], v2, s2, 0
	v_mov_b32_e32 v6, v5
	v_mad_u64_u32 v[6:7], s[2:3], v2, s4, v[6:7]
	v_mov_b32_e32 v5, v6
	v_lshl_add_u64 v[4:5], v[4:5], 2, s[0:1]
	v_lshl_add_u64 v[0:1], v[0:1], 2, v[4:5]
	global_store_dword v[0:1], v3, off
.LBB52_9:
	s_endpgm
	.section	.rodata,"a",@progbits
	.p2align	6, 0x0
	.amdhsa_kernel _ZN12_GLOBAL__N_120geam_ex_scale_kernelILi32ELi32EfPKfS2_PfEEviiT2_T3_lilT4_lil
		.amdhsa_group_segment_fixed_size 0
		.amdhsa_private_segment_fixed_size 0
		.amdhsa_kernarg_size 80
		.amdhsa_user_sgpr_count 2
		.amdhsa_user_sgpr_dispatch_ptr 0
		.amdhsa_user_sgpr_queue_ptr 0
		.amdhsa_user_sgpr_kernarg_segment_ptr 1
		.amdhsa_user_sgpr_dispatch_id 0
		.amdhsa_user_sgpr_kernarg_preload_length 0
		.amdhsa_user_sgpr_kernarg_preload_offset 0
		.amdhsa_user_sgpr_private_segment_size 0
		.amdhsa_uses_dynamic_stack 0
		.amdhsa_enable_private_segment 0
		.amdhsa_system_sgpr_workgroup_id_x 1
		.amdhsa_system_sgpr_workgroup_id_y 0
		.amdhsa_system_sgpr_workgroup_id_z 1
		.amdhsa_system_sgpr_workgroup_info 0
		.amdhsa_system_vgpr_workitem_id 1
		.amdhsa_next_free_vgpr 8
		.amdhsa_next_free_sgpr 20
		.amdhsa_accum_offset 8
		.amdhsa_reserve_vcc 1
		.amdhsa_float_round_mode_32 0
		.amdhsa_float_round_mode_16_64 0
		.amdhsa_float_denorm_mode_32 3
		.amdhsa_float_denorm_mode_16_64 3
		.amdhsa_dx10_clamp 1
		.amdhsa_ieee_mode 1
		.amdhsa_fp16_overflow 0
		.amdhsa_tg_split 0
		.amdhsa_exception_fp_ieee_invalid_op 0
		.amdhsa_exception_fp_denorm_src 0
		.amdhsa_exception_fp_ieee_div_zero 0
		.amdhsa_exception_fp_ieee_overflow 0
		.amdhsa_exception_fp_ieee_underflow 0
		.amdhsa_exception_fp_ieee_inexact 0
		.amdhsa_exception_int_div_zero 0
	.end_amdhsa_kernel
	.section	.text._ZN12_GLOBAL__N_120geam_ex_scale_kernelILi32ELi32EfPKfS2_PfEEviiT2_T3_lilT4_lil,"axG",@progbits,_ZN12_GLOBAL__N_120geam_ex_scale_kernelILi32ELi32EfPKfS2_PfEEviiT2_T3_lilT4_lil,comdat
.Lfunc_end52:
	.size	_ZN12_GLOBAL__N_120geam_ex_scale_kernelILi32ELi32EfPKfS2_PfEEviiT2_T3_lilT4_lil, .Lfunc_end52-_ZN12_GLOBAL__N_120geam_ex_scale_kernelILi32ELi32EfPKfS2_PfEEviiT2_T3_lilT4_lil
                                        ; -- End function
	.section	.AMDGPU.csdata,"",@progbits
; Kernel info:
; codeLenInByte = 524
; NumSgprs: 26
; NumVgprs: 8
; NumAgprs: 0
; TotalNumVgprs: 8
; ScratchSize: 0
; MemoryBound: 0
; FloatMode: 240
; IeeeMode: 1
; LDSByteSize: 0 bytes/workgroup (compile time only)
; SGPRBlocks: 3
; VGPRBlocks: 0
; NumSGPRsForWavesPerEU: 26
; NumVGPRsForWavesPerEU: 8
; AccumOffset: 8
; Occupancy: 8
; WaveLimiterHint : 0
; COMPUTE_PGM_RSRC2:SCRATCH_EN: 0
; COMPUTE_PGM_RSRC2:USER_SGPR: 2
; COMPUTE_PGM_RSRC2:TRAP_HANDLER: 0
; COMPUTE_PGM_RSRC2:TGID_X_EN: 1
; COMPUTE_PGM_RSRC2:TGID_Y_EN: 0
; COMPUTE_PGM_RSRC2:TGID_Z_EN: 1
; COMPUTE_PGM_RSRC2:TIDIG_COMP_CNT: 1
; COMPUTE_PGM_RSRC3_GFX90A:ACCUM_OFFSET: 1
; COMPUTE_PGM_RSRC3_GFX90A:TG_SPLIT: 0
	.section	.text._ZN12_GLOBAL__N_120geam_ex_round_kernelILi32ELi32EffPKfPfEEviiT2_T3_lilT4_lil,"axG",@progbits,_ZN12_GLOBAL__N_120geam_ex_round_kernelILi32ELi32EffPKfPfEEviiT2_T3_lilT4_lil,comdat
	.globl	_ZN12_GLOBAL__N_120geam_ex_round_kernelILi32ELi32EffPKfPfEEviiT2_T3_lilT4_lil ; -- Begin function _ZN12_GLOBAL__N_120geam_ex_round_kernelILi32ELi32EffPKfPfEEviiT2_T3_lilT4_lil
	.p2align	8
	.type	_ZN12_GLOBAL__N_120geam_ex_round_kernelILi32ELi32EffPKfPfEEviiT2_T3_lilT4_lil,@function
_ZN12_GLOBAL__N_120geam_ex_round_kernelILi32ELi32EffPKfPfEEviiT2_T3_lilT4_lil: ; @_ZN12_GLOBAL__N_120geam_ex_round_kernelILi32ELi32EffPKfPfEEviiT2_T3_lilT4_lil
; %bb.0:
	s_load_dwordx4 s[8:11], s[0:1], 0x0
	s_load_dwordx4 s[4:7], s[0:1], 0x28
	s_load_dwordx2 s[12:13], s[0:1], 0x38
	s_waitcnt lgkmcnt(0)
	v_cmp_eq_f32_e64 s[16:17], s10, 0
	s_and_b64 vcc, exec, s[16:17]
	s_cbranch_vccnz .LBB53_2
; %bb.1:
	s_load_dwordx4 s[20:23], s[0:1], 0x10
	s_mul_i32 s5, s3, s5
	s_mul_hi_u32 s11, s3, s4
	s_add_i32 s5, s11, s5
	s_mul_i32 s4, s3, s4
	s_lshl_b64 s[4:5], s[4:5], 2
	s_waitcnt lgkmcnt(0)
	s_add_u32 s11, s20, s4
	s_addc_u32 s15, s21, s5
	s_lshl_b64 s[4:5], s[22:23], 2
	s_add_u32 s14, s11, s4
	s_addc_u32 s15, s15, s5
	s_branch .LBB53_3
.LBB53_2:
	s_mov_b64 s[14:15], 0
.LBB53_3:
	s_add_i32 s4, s8, -1
	s_ashr_i32 s5, s4, 31
	s_lshr_b32 s5, s5, 27
	s_add_i32 s4, s4, s5
	s_ashr_i32 s4, s4, 5
	s_add_i32 s5, s4, 1
	v_cvt_f32_u32_e32 v1, s5
	s_not_b32 s4, s4
	v_and_b32_e32 v3, 0x3ff, v0
	v_bfe_u32 v0, v0, 10, 10
	v_rcp_iflag_f32_e32 v1, v1
	s_nop 0
	v_mul_f32_e32 v1, 0x4f7ffffe, v1
	v_cvt_u32_f32_e32 v1, v1
	s_nop 0
	v_readfirstlane_b32 s11, v1
	s_mul_i32 s4, s4, s11
	s_mul_hi_u32 s4, s11, s4
	s_add_i32 s11, s11, s4
	s_mul_hi_u32 s4, s2, s11
	s_mul_i32 s11, s4, s5
	s_sub_i32 s11, s2, s11
	s_add_i32 s18, s4, 1
	s_sub_i32 s19, s11, s5
	s_cmp_ge_u32 s11, s5
	s_cselect_b32 s4, s18, s4
	s_cselect_b32 s11, s19, s11
	s_add_i32 s18, s4, 1
	s_cmp_ge_u32 s11, s5
	s_cselect_b32 s4, s18, s4
	s_mul_i32 s5, s4, s5
	s_sub_i32 s2, s2, s5
	v_lshl_add_u32 v2, s4, 5, v0
	v_lshl_add_u32 v0, s2, 5, v3
	v_cmp_gt_u32_e32 vcc, s8, v0
	v_cmp_gt_u32_e64 s[4:5], s9, v2
	s_and_b64 s[4:5], vcc, s[4:5]
	s_and_saveexec_b64 s[8:9], s[4:5]
	s_cbranch_execz .LBB53_9
; %bb.4:
	s_andn2_b64 vcc, exec, s[16:17]
	s_cbranch_vccnz .LBB53_6
; %bb.5:
	v_mov_b32_e32 v5, 0
	s_mov_b32 s2, 0
	v_mov_b32_e32 v1, v5
	v_mov_b32_e32 v3, s2
	s_cbranch_execz .LBB53_7
	s_branch .LBB53_8
.LBB53_6:
                                        ; implicit-def: $sgpr2
                                        ; implicit-def: $vgpr4_vgpr5
	v_mov_b32_e32 v3, s2
.LBB53_7:
	s_load_dword s2, s[0:1], 0x20
	v_mov_b32_e32 v5, 0
	v_mov_b32_e32 v1, v5
	s_waitcnt lgkmcnt(0)
	v_mad_u64_u32 v[6:7], s[4:5], v2, s2, v[0:1]
	s_ashr_i32 s8, s2, 31
	v_mov_b32_e32 v4, v7
	v_mad_u64_u32 v[8:9], s[4:5], v2, s8, v[4:5]
	v_mov_b32_e32 v7, v8
	v_lshl_add_u64 v[6:7], v[6:7], 2, s[14:15]
	flat_load_dword v3, v[6:7]
	s_waitcnt vmcnt(0) lgkmcnt(0)
	v_mul_f32_e32 v3, s10, v3
.LBB53_8:
	s_load_dwordx2 s[4:5], s[0:1], 0x48
	s_load_dword s2, s[0:1], 0x40
	v_cmp_nlt_f32_e32 vcc, 0, v3
	s_waitcnt lgkmcnt(0)
	s_mul_i32 s1, s3, s5
	s_mul_hi_u32 s5, s3, s4
	s_mul_i32 s0, s3, s4
	s_add_i32 s1, s5, s1
	s_lshl_b64 s[0:1], s[0:1], 2
	s_add_u32 s3, s6, s0
	s_addc_u32 s4, s7, s1
	s_lshl_b64 s[0:1], s[12:13], 2
	s_add_u32 s0, s3, s0
	s_addc_u32 s1, s4, s1
	s_ashr_i32 s3, s2, 31
	v_mul_lo_u32 v6, v5, s2
	v_mul_lo_u32 v7, v2, s3
	v_mad_u64_u32 v[4:5], s[2:3], v2, s2, 0
	v_add3_u32 v5, v5, v7, v6
	v_lshl_add_u64 v[4:5], v[4:5], 2, s[0:1]
	v_lshl_add_u64 v[0:1], v[0:1], 2, v[4:5]
	v_cndmask_b32_e32 v2, 0, v3, vcc
	global_store_dword v[0:1], v2, off
.LBB53_9:
	s_endpgm
	.section	.rodata,"a",@progbits
	.p2align	6, 0x0
	.amdhsa_kernel _ZN12_GLOBAL__N_120geam_ex_round_kernelILi32ELi32EffPKfPfEEviiT2_T3_lilT4_lil
		.amdhsa_group_segment_fixed_size 0
		.amdhsa_private_segment_fixed_size 0
		.amdhsa_kernarg_size 80
		.amdhsa_user_sgpr_count 2
		.amdhsa_user_sgpr_dispatch_ptr 0
		.amdhsa_user_sgpr_queue_ptr 0
		.amdhsa_user_sgpr_kernarg_segment_ptr 1
		.amdhsa_user_sgpr_dispatch_id 0
		.amdhsa_user_sgpr_kernarg_preload_length 0
		.amdhsa_user_sgpr_kernarg_preload_offset 0
		.amdhsa_user_sgpr_private_segment_size 0
		.amdhsa_uses_dynamic_stack 0
		.amdhsa_enable_private_segment 0
		.amdhsa_system_sgpr_workgroup_id_x 1
		.amdhsa_system_sgpr_workgroup_id_y 0
		.amdhsa_system_sgpr_workgroup_id_z 1
		.amdhsa_system_sgpr_workgroup_info 0
		.amdhsa_system_vgpr_workitem_id 1
		.amdhsa_next_free_vgpr 10
		.amdhsa_next_free_sgpr 24
		.amdhsa_accum_offset 12
		.amdhsa_reserve_vcc 1
		.amdhsa_float_round_mode_32 0
		.amdhsa_float_round_mode_16_64 0
		.amdhsa_float_denorm_mode_32 3
		.amdhsa_float_denorm_mode_16_64 3
		.amdhsa_dx10_clamp 1
		.amdhsa_ieee_mode 1
		.amdhsa_fp16_overflow 0
		.amdhsa_tg_split 0
		.amdhsa_exception_fp_ieee_invalid_op 0
		.amdhsa_exception_fp_denorm_src 0
		.amdhsa_exception_fp_ieee_div_zero 0
		.amdhsa_exception_fp_ieee_overflow 0
		.amdhsa_exception_fp_ieee_underflow 0
		.amdhsa_exception_fp_ieee_inexact 0
		.amdhsa_exception_int_div_zero 0
	.end_amdhsa_kernel
	.section	.text._ZN12_GLOBAL__N_120geam_ex_round_kernelILi32ELi32EffPKfPfEEviiT2_T3_lilT4_lil,"axG",@progbits,_ZN12_GLOBAL__N_120geam_ex_round_kernelILi32ELi32EffPKfPfEEviiT2_T3_lilT4_lil,comdat
.Lfunc_end53:
	.size	_ZN12_GLOBAL__N_120geam_ex_round_kernelILi32ELi32EffPKfPfEEviiT2_T3_lilT4_lil, .Lfunc_end53-_ZN12_GLOBAL__N_120geam_ex_round_kernelILi32ELi32EffPKfPfEEviiT2_T3_lilT4_lil
                                        ; -- End function
	.section	.AMDGPU.csdata,"",@progbits
; Kernel info:
; codeLenInByte = 524
; NumSgprs: 30
; NumVgprs: 10
; NumAgprs: 0
; TotalNumVgprs: 10
; ScratchSize: 0
; MemoryBound: 0
; FloatMode: 240
; IeeeMode: 1
; LDSByteSize: 0 bytes/workgroup (compile time only)
; SGPRBlocks: 3
; VGPRBlocks: 1
; NumSGPRsForWavesPerEU: 30
; NumVGPRsForWavesPerEU: 10
; AccumOffset: 12
; Occupancy: 8
; WaveLimiterHint : 0
; COMPUTE_PGM_RSRC2:SCRATCH_EN: 0
; COMPUTE_PGM_RSRC2:USER_SGPR: 2
; COMPUTE_PGM_RSRC2:TRAP_HANDLER: 0
; COMPUTE_PGM_RSRC2:TGID_X_EN: 1
; COMPUTE_PGM_RSRC2:TGID_Y_EN: 0
; COMPUTE_PGM_RSRC2:TGID_Z_EN: 1
; COMPUTE_PGM_RSRC2:TIDIG_COMP_CNT: 1
; COMPUTE_PGM_RSRC3_GFX90A:ACCUM_OFFSET: 2
; COMPUTE_PGM_RSRC3_GFX90A:TG_SPLIT: 0
	.section	.text._ZN12_GLOBAL__N_120geam_min_plus_kernelIf15HIP_vector_typeIfLj2EEfLi32ELi8ELi256ELi64ELi4ELi64ELi4ELi4ELi64ELc78ELc78ELb0ELb0ELb1EPKfS3_fEEviiiT16_PT17_ilS7_ilS5_S7_ilPT18_ili26rocblas_geam_ex_operation_,"axG",@progbits,_ZN12_GLOBAL__N_120geam_min_plus_kernelIf15HIP_vector_typeIfLj2EEfLi32ELi8ELi256ELi64ELi4ELi64ELi4ELi4ELi64ELc78ELc78ELb0ELb0ELb1EPKfS3_fEEviiiT16_PT17_ilS7_ilS5_S7_ilPT18_ili26rocblas_geam_ex_operation_,comdat
	.globl	_ZN12_GLOBAL__N_120geam_min_plus_kernelIf15HIP_vector_typeIfLj2EEfLi32ELi8ELi256ELi64ELi4ELi64ELi4ELi4ELi64ELc78ELc78ELb0ELb0ELb1EPKfS3_fEEviiiT16_PT17_ilS7_ilS5_S7_ilPT18_ili26rocblas_geam_ex_operation_ ; -- Begin function _ZN12_GLOBAL__N_120geam_min_plus_kernelIf15HIP_vector_typeIfLj2EEfLi32ELi8ELi256ELi64ELi4ELi64ELi4ELi4ELi64ELc78ELc78ELb0ELb0ELb1EPKfS3_fEEviiiT16_PT17_ilS7_ilS5_S7_ilPT18_ili26rocblas_geam_ex_operation_
	.p2align	8
	.type	_ZN12_GLOBAL__N_120geam_min_plus_kernelIf15HIP_vector_typeIfLj2EEfLi32ELi8ELi256ELi64ELi4ELi64ELi4ELi4ELi64ELc78ELc78ELb0ELb0ELb1EPKfS3_fEEviiiT16_PT17_ilS7_ilS5_S7_ilPT18_ili26rocblas_geam_ex_operation_,@function
_ZN12_GLOBAL__N_120geam_min_plus_kernelIf15HIP_vector_typeIfLj2EEfLi32ELi8ELi256ELi64ELi4ELi64ELi4ELi4ELi64ELc78ELc78ELb0ELb0ELb1EPKfS3_fEEviiiT16_PT17_ilS7_ilS5_S7_ilPT18_ili26rocblas_geam_ex_operation_: ; @_ZN12_GLOBAL__N_120geam_min_plus_kernelIf15HIP_vector_typeIfLj2EEfLi32ELi8ELi256ELi64ELi4ELi64ELi4ELi4ELi64ELc78ELc78ELb0ELb0ELb1EPKfS3_fEEviiiT16_PT17_ilS7_ilS5_S7_ilPT18_ili26rocblas_geam_ex_operation_
; %bb.0:
	s_load_dwordx4 s[12:15], s[0:1], 0x10
	s_load_dwordx4 s[4:7], s[0:1], 0x28
	s_mov_b32 s16, s3
	s_mov_b32 s17, 0
	s_lshl_b64 s[18:19], s[16:17], 2
	s_waitcnt lgkmcnt(0)
	s_add_u32 s20, s12, s18
	s_load_dwordx4 s[8:11], s[0:1], 0x40
	s_addc_u32 s21, s13, s19
	s_load_dword s12, s[20:21], 0x0
	s_load_dwordx2 s[22:23], s[0:1], 0x50
	s_mov_b64 s[20:21], 0
	s_waitcnt lgkmcnt(0)
	s_add_u32 s10, s10, s18
	s_addc_u32 s11, s11, s19
	v_cmp_eq_f32_e64 s[18:19], s12, 0
	v_cmp_neq_f32_e64 s[24:25], s12, 0
	s_and_b64 vcc, exec, s[18:19]
	s_mov_b64 s[18:19], 0
	s_cbranch_vccnz .LBB54_2
; %bb.1:
	s_mul_i32 s3, s16, s5
	s_mul_hi_u32 s5, s16, s4
	s_add_i32 s5, s5, s3
	s_mul_i32 s4, s16, s4
	s_lshl_b64 s[4:5], s[4:5], 2
	s_add_u32 s18, s14, s4
	s_addc_u32 s19, s15, s5
.LBB54_2:
	s_load_dword s17, s[10:11], 0x0
	v_cndmask_b32_e64 v1, 0, 1, s[24:25]
	v_cmp_ne_u32_e64 s[4:5], 1, v1
	s_andn2_b64 vcc, exec, s[24:25]
	s_cbranch_vccnz .LBB54_4
; %bb.3:
	s_mul_i32 s3, s16, s9
	s_mul_hi_u32 s9, s16, s8
	s_add_i32 s9, s9, s3
	s_mul_i32 s8, s16, s8
	s_lshl_b64 s[8:9], s[8:9], 2
	s_add_u32 s20, s6, s8
	s_addc_u32 s21, s7, s9
.LBB54_4:
	s_load_dwordx4 s[8:11], s[0:1], 0x60
	s_waitcnt lgkmcnt(0)
	v_cmp_eq_f32_e64 s[6:7], s17, 0
	s_and_b64 s[6:7], exec, s[6:7]
	s_mov_b64 vcc, s[6:7]
	s_cbranch_vccnz .LBB54_6
; %bb.5:
	s_mul_i32 s3, s16, s9
	s_mul_hi_u32 s9, s16, s8
	s_add_i32 s9, s9, s3
	s_mul_i32 s8, s16, s8
	s_lshl_b64 s[8:9], s[8:9], 2
	s_add_u32 s8, s22, s8
	s_addc_u32 s9, s23, s9
	s_branch .LBB54_7
.LBB54_6:
	s_mov_b64 s[8:9], 0
.LBB54_7:
	s_load_dword s3, s[0:1], 0x0
	s_load_dword s14, s[0:1], 0x20
	v_and_b32_e32 v76, 0x3ff, v0
	v_bfe_u32 v77, v0, 10, 10
	v_lshl_add_u32 v6, v77, 5, v76
	s_waitcnt lgkmcnt(0)
	s_add_i32 s3, s3, -1
	s_ashr_i32 s13, s3, 31
	s_lshr_b32 s13, s13, 24
	s_add_i32 s3, s3, s13
	s_ashr_i32 s3, s3, 8
	s_add_i32 s24, s3, 1
	v_cvt_f32_u32_e32 v1, s24
	s_not_b32 s3, s3
	v_lshrrev_b32_e32 v62, 6, v6
	s_ashr_i32 s15, s14, 31
	v_rcp_iflag_f32_e32 v0, v1
	v_and_b32_e32 v63, 63, v6
	v_mul_f32_e32 v0, 0x4f7ffffe, v0
	v_cvt_u32_f32_e32 v4, v0
	v_mad_i64_i32 v[0:1], s[22:23], s14, v62, 0
	v_lshl_add_u64 v[2:3], v[0:1], 2, s[18:19]
	v_readfirstlane_b32 s13, v4
	s_mul_i32 s3, s3, s13
	s_mul_hi_u32 s3, s13, s3
	s_add_i32 s13, s13, s3
	s_mul_hi_u32 s3, s2, s13
	s_mul_i32 s13, s3, s24
	s_sub_i32 s13, s2, s13
	s_add_i32 s22, s3, 1
	s_sub_i32 s23, s13, s24
	s_cmp_ge_u32 s13, s24
	s_cselect_b32 s3, s22, s3
	s_cselect_b32 s13, s23, s13
	s_add_i32 s22, s3, 1
	s_cmp_ge_u32 s13, s24
	s_cselect_b32 s13, s22, s3
	s_mul_i32 s3, s13, s24
	s_sub_i32 s22, s2, s3
	s_lshl_b32 s22, s22, 8
	v_or_b32_e32 v4, s22, v63
	s_and_b64 vcc, exec, s[4:5]
	v_ashrrev_i32_e32 v5, 31, v4
	s_cbranch_vccnz .LBB54_10
; %bb.8:
	v_lshl_add_u64 v[0:1], v[4:5], 2, v[2:3]
	flat_load_dword v8, v[0:1]
	flat_load_dword v9, v[0:1] offset:256
	s_waitcnt vmcnt(0) lgkmcnt(0)
	v_pk_mul_f32 v[0:1], s[12:13], v[8:9] op_sel_hi:[0,1]
	s_and_b64 vcc, exec, s[4:5]
	s_cbranch_vccnz .LBB54_11
.LBB54_9:
	v_lshl_add_u64 v[2:3], v[4:5], 2, v[2:3]
	flat_load_dword v8, v[2:3] offset:512
	flat_load_dword v9, v[2:3] offset:768
	s_waitcnt vmcnt(0) lgkmcnt(0)
	v_pk_mul_f32 v[2:3], s[12:13], v[8:9] op_sel_hi:[0,1]
	s_branch .LBB54_12
.LBB54_10:
	v_mov_b32_e32 v0, 0
	v_mov_b32_e32 v1, 0
	s_and_b64 vcc, exec, s[4:5]
	s_cbranch_vccz .LBB54_9
.LBB54_11:
	v_mov_b32_e32 v2, 0
	v_mov_b32_e32 v3, 0
.LBB54_12:
	s_load_dword s25, s[0:1], 0x38
	v_and_b32_e32 v7, 3, v76
	v_lshrrev_b32_e32 v8, 2, v6
	s_lshl_b32 s23, s13, 6
	s_and_b64 vcc, exec, s[4:5]
	v_add_u32_e32 v64, s23, v8
	v_lshlrev_b32_e32 v56, 2, v7
	s_cbranch_vccnz .LBB54_14
; %bb.13:
	s_waitcnt lgkmcnt(0)
	v_mad_i64_i32 v[6:7], s[26:27], v64, s25, 0
	v_lshl_add_u64 v[6:7], v[6:7], 2, s[20:21]
	v_mov_b32_e32 v57, 0
	v_lshl_add_u64 v[6:7], v[6:7], 0, v[56:57]
	flat_load_dword v6, v[6:7]
	s_waitcnt vmcnt(0) lgkmcnt(0)
	v_mul_f32_e32 v9, s12, v6
	s_branch .LBB54_15
.LBB54_14:
	v_mov_b32_e32 v9, 0
.LBB54_15:
	v_add_u32_e32 v6, 4, v62
	v_mad_i64_i32 v[6:7], s[26:27], s14, v6, 0
	s_and_b64 vcc, exec, s[4:5]
	v_lshl_add_u64 v[6:7], v[6:7], 2, s[18:19]
	s_cbranch_vccnz .LBB54_19
; %bb.16:
	v_lshl_add_u64 v[10:11], v[4:5], 2, v[6:7]
	flat_load_dword v12, v[10:11]
	flat_load_dword v13, v[10:11] offset:256
	s_waitcnt vmcnt(0) lgkmcnt(0)
	v_pk_mul_f32 v[58:59], s[12:13], v[12:13] op_sel_hi:[0,1]
	s_and_b64 vcc, exec, s[4:5]
	s_cbranch_vccnz .LBB54_20
.LBB54_17:
	v_lshl_add_u64 v[4:5], v[4:5], 2, v[6:7]
	flat_load_dword v6, v[4:5] offset:512
	flat_load_dword v7, v[4:5] offset:768
	s_waitcnt vmcnt(0) lgkmcnt(0)
	v_pk_mul_f32 v[60:61], s[12:13], v[6:7] op_sel_hi:[0,1]
	s_and_b64 vcc, exec, s[4:5]
	s_cbranch_vccnz .LBB54_21
.LBB54_18:
	s_waitcnt lgkmcnt(0)
	v_mad_i64_i32 v[4:5], s[26:27], v64, s25, 0
	v_lshl_add_u64 v[4:5], v[4:5], 2, s[20:21]
	v_mov_b32_e32 v57, 0
	v_lshl_add_u64 v[4:5], v[4:5], 0, v[56:57]
	flat_load_dword v4, v[4:5] offset:16
	s_waitcnt vmcnt(0) lgkmcnt(0)
	v_mul_f32_e32 v65, s12, v4
	s_branch .LBB54_22
.LBB54_19:
	v_mov_b32_e32 v58, 0
	v_mov_b32_e32 v59, 0
	s_and_b64 vcc, exec, s[4:5]
	s_cbranch_vccz .LBB54_17
.LBB54_20:
	v_mov_b32_e32 v60, 0
	v_mov_b32_e32 v61, 0
	s_and_b64 vcc, exec, s[4:5]
	s_cbranch_vccz .LBB54_18
.LBB54_21:
	v_mov_b32_e32 v65, 0
.LBB54_22:
	v_lshlrev_b32_e32 v4, 2, v62
	v_lshl_add_u32 v80, v63, 4, v4
	v_lshl_or_b32 v57, v8, 4, v56
	v_lshlrev_b32_e32 v78, 4, v76
	v_lshlrev_b32_e32 v79, 4, v77
	ds_write2st64_b32 v80, v0, v1 offset1:4
	ds_write2st64_b32 v80, v2, v3 offset0:8 offset1:12
	ds_write_b32 v57, v9 offset:8192
	s_waitcnt lgkmcnt(0)
	s_barrier
	ds_read_b128 v[12:15], v78
	ds_read_b128 v[20:23], v78 offset:512
	ds_read_b128 v[24:27], v78 offset:1024
	;; [unrolled: 1-line block ×13, first 2 shown]
	s_waitcnt lgkmcnt(5)
	v_pk_add_f32 v[66:67], v[12:13], v[52:53]
	s_mov_b32 s13, 0x7f7fffff
	v_min3_f32 v68, v66, v67, s13
	v_pk_add_f32 v[66:67], v[20:21], v[52:53]
	s_load_dword s24, s[0:1], 0x8
	v_min3_f32 v69, v66, v67, s13
	v_pk_add_f32 v[66:67], v[24:25], v[52:53]
	s_waitcnt lgkmcnt(0)
	s_cmp_lt_i32 s24, 9
	v_min3_f32 v70, v66, v67, s13
	v_pk_add_f32 v[66:67], v[28:29], v[52:53]
	s_nop 0
	v_min3_f32 v71, v66, v67, s13
	v_pk_add_f32 v[66:67], v[16:17], v[52:53]
	s_nop 0
	v_min3_f32 v72, v66, v67, s13
	v_pk_add_f32 v[66:67], v[8:9], v[52:53]
	s_nop 0
	v_min3_f32 v73, v66, v67, s13
	v_pk_add_f32 v[66:67], v[4:5], v[52:53]
	v_pk_add_f32 v[52:53], v[0:1], v[52:53]
	v_min3_f32 v66, v66, v67, s13
	v_min3_f32 v67, v52, v53, s13
	v_pk_add_f32 v[52:53], v[12:13], v[48:49]
	s_nop 0
	v_min3_f32 v74, v52, v53, s13
	v_pk_add_f32 v[52:53], v[20:21], v[48:49]
	s_nop 0
	v_min3_f32 v75, v52, v53, s13
	v_pk_add_f32 v[52:53], v[24:25], v[48:49]
	s_nop 0
	v_min3_f32 v88, v52, v53, s13
	v_pk_add_f32 v[52:53], v[28:29], v[48:49]
	s_nop 0
	v_min3_f32 v89, v52, v53, s13
	v_pk_add_f32 v[52:53], v[16:17], v[48:49]
	s_nop 0
	v_min3_f32 v90, v52, v53, s13
	v_pk_add_f32 v[52:53], v[8:9], v[48:49]
	s_nop 0
	v_min3_f32 v91, v52, v53, s13
	v_pk_add_f32 v[52:53], v[4:5], v[48:49]
	v_pk_add_f32 v[48:49], v[0:1], v[48:49]
	v_min3_f32 v52, v52, v53, s13
	v_min3_f32 v53, v48, v49, s13
	v_pk_add_f32 v[48:49], v[12:13], v[44:45]
	s_nop 0
	v_min3_f32 v92, v48, v49, s13
	v_pk_add_f32 v[48:49], v[20:21], v[44:45]
	s_nop 0
	v_min3_f32 v93, v48, v49, s13
	v_pk_add_f32 v[48:49], v[24:25], v[44:45]
	s_nop 0
	;; [unrolled: 22-line block ×4, first 2 shown]
	v_min3_f32 v108, v40, v41, s13
	v_pk_add_f32 v[40:41], v[28:29], v[36:37]
	s_nop 0
	v_min3_f32 v109, v40, v41, s13
	v_pk_add_f32 v[40:41], v[16:17], v[36:37]
	s_nop 0
	;; [unrolled: 3-line block ×3, first 2 shown]
	v_min3_f32 v111, v40, v41, s13
	v_pk_add_f32 v[40:41], v[4:5], v[36:37]
	v_pk_add_f32 v[36:37], v[0:1], v[36:37]
	v_min3_f32 v112, v40, v41, s13
	v_min3_f32 v113, v36, v37, s13
	v_pk_add_f32 v[36:37], v[12:13], v[32:33]
	v_pk_add_f32 v[40:41], v[4:5], v[32:33]
	v_min3_f32 v114, v36, v37, s13
	v_pk_add_f32 v[36:37], v[20:21], v[32:33]
	v_min3_f32 v40, v40, v41, s13
	v_min3_f32 v141, v36, v37, s13
	v_pk_add_f32 v[36:37], v[24:25], v[32:33]
	s_nop 0
	v_min3_f32 v150, v36, v37, s13
	v_pk_add_f32 v[36:37], v[28:29], v[32:33]
	s_nop 0
	;; [unrolled: 3-line block ×10, first 2 shown]
	v_min3_f32 v66, v36, v37, s13
	v_pk_add_f32 v[36:37], v[8:9], v[32:33]
	v_pk_add_f32 v[32:33], v[0:1], v[32:33]
	v_min3_f32 v68, v36, v37, s13
	v_min3_f32 v41, v32, v33, s13
	v_pk_add_f32 v[32:33], v[14:15], v[50:51]
	v_pk_add_f32 v[36:37], v[2:3], v[54:55]
	v_min3_f32 v149, v32, v33, v74
	v_pk_add_f32 v[32:33], v[22:23], v[50:51]
	v_min3_f32 v148, v36, v37, v67
	v_min3_f32 v146, v32, v33, v75
	v_pk_add_f32 v[32:33], v[26:27], v[50:51]
	s_nop 0
	v_min3_f32 v147, v32, v33, v88
	v_pk_add_f32 v[32:33], v[30:31], v[50:51]
	s_nop 0
	;; [unrolled: 3-line block ×5, first 2 shown]
	v_min3_f32 v143, v32, v33, v52
	v_pk_add_f32 v[32:33], v[2:3], v[50:51]
	ds_read_b128 v[48:51], v79 offset:8960
	v_min3_f32 v139, v32, v33, v53
	ds_read_b128 v[52:55], v79 offset:9088
	v_pk_add_f32 v[32:33], v[14:15], v[46:47]
	ds_write2st64_b32 v80, v58, v59 offset0:16 offset1:20
	ds_write2st64_b32 v80, v60, v61 offset0:24 offset1:28
	ds_write_b32 v57, v65 offset:9216
	v_min3_f32 v140, v32, v33, v92
	v_pk_add_f32 v[32:33], v[22:23], v[46:47]
	s_waitcnt lgkmcnt(4)
	v_pk_add_f32 v[36:37], v[24:25], v[48:49]
	v_min3_f32 v137, v32, v33, v93
	v_pk_add_f32 v[32:33], v[26:27], v[46:47]
	s_waitcnt lgkmcnt(0)
	v_min3_f32 v138, v32, v33, v94
	v_pk_add_f32 v[32:33], v[30:31], v[46:47]
	s_barrier
	v_min3_f32 v135, v32, v33, v95
	v_pk_add_f32 v[32:33], v[18:19], v[46:47]
	s_nop 0
	v_min3_f32 v136, v32, v33, v96
	v_pk_add_f32 v[32:33], v[10:11], v[46:47]
	s_nop 0
	;; [unrolled: 3-line block ×3, first 2 shown]
	v_min3_f32 v132, v32, v33, v98
	v_pk_add_f32 v[32:33], v[12:13], v[48:49]
	v_pk_add_f32 v[12:13], v[12:13], v[52:53]
	v_min3_f32 v67, v32, v33, s13
	v_pk_add_f32 v[32:33], v[20:21], v[48:49]
	s_nop 0
	v_min3_f32 v69, v32, v33, s13
	v_pk_add_f32 v[32:33], v[2:3], v[46:47]
	v_min3_f32 v46, v36, v37, s13
	v_min3_f32 v134, v32, v33, v99
	v_pk_add_f32 v[32:33], v[14:15], v[42:43]
	v_pk_add_f32 v[36:37], v[28:29], v[48:49]
	v_min3_f32 v133, v32, v33, v100
	v_pk_add_f32 v[32:33], v[22:23], v[42:43]
	v_min3_f32 v47, v36, v37, s13
	v_min3_f32 v130, v32, v33, v101
	v_pk_add_f32 v[32:33], v[26:27], v[42:43]
	v_pk_add_f32 v[36:37], v[4:5], v[48:49]
	v_min3_f32 v129, v32, v33, v102
	v_pk_add_f32 v[32:33], v[30:31], v[42:43]
	v_pk_add_f32 v[4:5], v[4:5], v[52:53]
	v_min3_f32 v128, v32, v33, v103
	v_pk_add_f32 v[32:33], v[18:19], v[42:43]
	v_min3_f32 v4, v4, v5, s13
	v_min3_f32 v127, v32, v33, v104
	v_pk_add_f32 v[32:33], v[10:11], v[42:43]
	s_nop 0
	v_min3_f32 v126, v32, v33, v105
	v_pk_add_f32 v[32:33], v[6:7], v[42:43]
	s_nop 0
	;; [unrolled: 3-line block ×3, first 2 shown]
	v_min3_f32 v44, v32, v33, s13
	v_pk_add_f32 v[32:33], v[8:9], v[48:49]
	v_pk_add_f32 v[8:9], v[8:9], v[52:53]
	v_min3_f32 v70, v32, v33, s13
	v_pk_add_f32 v[32:33], v[2:3], v[42:43]
	v_min3_f32 v42, v36, v37, s13
	v_min3_f32 v124, v32, v33, v45
	v_pk_add_f32 v[32:33], v[14:15], v[38:39]
	v_pk_add_f32 v[36:37], v[0:1], v[48:49]
	v_min3_f32 v123, v32, v33, v106
	v_pk_add_f32 v[32:33], v[22:23], v[38:39]
	v_pk_add_f32 v[0:1], v[0:1], v[52:53]
	v_min3_f32 v122, v32, v33, v107
	v_pk_add_f32 v[32:33], v[26:27], v[38:39]
	v_min3_f32 v5, v0, v1, s13
	v_min3_f32 v121, v32, v33, v108
	v_pk_add_f32 v[32:33], v[30:31], v[38:39]
	v_pk_add_f32 v[0:1], v[14:15], v[54:55]
	v_min3_f32 v120, v32, v33, v109
	v_pk_add_f32 v[32:33], v[18:19], v[38:39]
	v_min3_f32 v36, v36, v37, s13
	v_min3_f32 v119, v32, v33, v110
	v_pk_add_f32 v[32:33], v[10:11], v[38:39]
	s_nop 0
	v_min3_f32 v118, v32, v33, v111
	v_pk_add_f32 v[32:33], v[6:7], v[38:39]
	s_nop 0
	;; [unrolled: 3-line block ×10, first 2 shown]
	v_min3_f32 v110, v32, v33, v40
	v_min3_f32 v32, v12, v13, s13
	v_pk_add_f32 v[12:13], v[20:21], v[52:53]
	v_pk_add_f32 v[20:21], v[24:25], v[52:53]
	v_min3_f32 v33, v12, v13, s13
	v_pk_add_f32 v[12:13], v[2:3], v[34:35]
	v_min3_f32 v100, v0, v1, v32
	v_min3_f32 v107, v12, v13, v41
	v_pk_add_f32 v[12:13], v[14:15], v[50:51]
	v_pk_add_f32 v[0:1], v[22:23], v[54:55]
	v_min3_f32 v108, v12, v13, v67
	v_pk_add_f32 v[12:13], v[22:23], v[50:51]
	;; [unrolled: 6-line block ×4, first 2 shown]
	v_min3_f32 v20, v20, v21, s13
	v_min3_f32 v101, v12, v13, v70
	v_pk_add_f32 v[12:13], v[6:7], v[50:51]
	v_min3_f32 v98, v0, v1, v24
	v_min3_f32 v102, v12, v13, v42
	v_pk_add_f32 v[12:13], v[16:17], v[52:53]
	v_pk_add_f32 v[0:1], v[30:31], v[54:55]
	v_min3_f32 v12, v12, v13, s13
	v_min3_f32 v94, v0, v1, v20
	v_pk_add_f32 v[0:1], v[18:19], v[54:55]
	v_min3_f32 v13, v8, v9, s13
	v_min3_f32 v95, v0, v1, v12
	v_pk_add_f32 v[0:1], v[10:11], v[54:55]
	v_pk_add_f32 v[8:9], v[2:3], v[50:51]
	v_min3_f32 v92, v0, v1, v13
	v_pk_add_f32 v[0:1], v[6:7], v[54:55]
	v_min3_f32 v99, v8, v9, v36
	v_min3_f32 v93, v0, v1, v4
	v_pk_add_f32 v[0:1], v[2:3], v[54:55]
	s_nop 0
	v_min3_f32 v96, v0, v1, v5
	s_cbranch_scc1 .LBB54_40
; %bb.23:
	v_mov_b32_e32 v0, 0x1000
	v_lshl_add_u32 v141, v76, 4, v0
	v_mov_b32_e32 v0, 0x2400
	v_add_u32_e32 v88, 0x2000, v57
	v_add_u32_e32 v91, 0x2400, v57
	v_lshl_add_u32 v150, v77, 4, v0
	v_mad_i64_i32 v[0:1], s[26:27], s25, v64, 0
	v_mov_b32_e32 v57, 0
	v_lshl_add_u64 v[0:1], v[0:1], 2, v[56:57]
	v_lshl_add_u64 v[0:1], v[0:1], 0, s[20:21]
	;; [unrolled: 1-line block ×3, first 2 shown]
	v_add_u32_e32 v0, 12, v62
	v_mad_i64_i32 v[0:1], s[20:21], v0, s14, 0
	v_lshlrev_b64 v[66:67], 2, v[0:1]
	v_lshl_or_b32 v0, s2, 8, v63
	s_lshl_b32 s2, s3, 8
	v_subrev_u32_e32 v0, s2, v0
	v_ashrrev_i32_e32 v1, 31, v0
	v_lshl_add_u64 v[68:69], v[0:1], 2, s[18:19]
	v_add_u32_e32 v0, 8, v62
	s_lshl_b64 s[2:3], s[14:15], 5
	v_mad_i64_i32 v[0:1], s[14:15], v0, s14, 0
	v_add_u32_e32 v89, 0x2000, v79
	v_add_u32_e32 v90, 0x1000, v80
	s_add_i32 s24, s24, -8
	s_mov_b32 s13, s12
	v_lshlrev_b64 v[70:71], 2, v[0:1]
	s_mov_b32 s14, 0
	s_branch .LBB54_26
.LBB54_24:                              ;   in Loop: Header=BB54_26 Depth=1
	flat_load_dword v0, v[64:65] offset:16
	s_waitcnt vmcnt(0) lgkmcnt(0)
	v_mul_f32_e32 v36, s12, v0
.LBB54_25:                              ;   in Loop: Header=BB54_26 Depth=1
	ds_read_b128 v[0:3], v78
	ds_read_b128 v[4:7], v78 offset:512
	ds_read_b128 v[8:11], v78 offset:1024
	ds_read_b128 v[12:15], v78 offset:1536
	ds_read_b128 v[16:19], v78 offset:2048
	ds_read_b128 v[20:23], v78 offset:2560
	ds_read_b128 v[24:27], v78 offset:3072
	ds_read_b128 v[28:31], v78 offset:3584
	ds_read_b128 v[122:125], v89
	ds_read_b128 v[126:129], v89 offset:128
	ds_read_b128 v[152:155], v89 offset:256
	;; [unrolled: 1-line block ×7, first 2 shown]
	s_waitcnt lgkmcnt(7)
	v_pk_add_f32 v[130:131], v[0:1], v[122:123]
	s_add_i32 s14, s14, 8
	v_min3_f32 v37, v130, v131, v37
	v_pk_add_f32 v[130:131], v[4:5], v[122:123]
	v_lshl_add_u64 v[64:65], v[64:65], 0, 32
	v_min3_f32 v132, v130, v131, v40
	v_pk_add_f32 v[130:131], v[8:9], v[122:123]
	s_cmp_ge_i32 s14, s24
	v_min3_f32 v130, v130, v131, v41
	v_pk_add_f32 v[40:41], v[12:13], v[122:123]
	v_lshl_add_u64 v[68:69], v[68:69], 0, s[2:3]
	v_min3_f32 v44, v40, v41, v44
	v_pk_add_f32 v[40:41], v[16:17], v[122:123]
	ds_write2st64_b32 v90, v72, v73 offset1:4
	ds_write2st64_b32 v90, v74, v75 offset0:8 offset1:12
	ds_write_b32 v91, v36
	v_min3_f32 v45, v40, v41, v45
	v_pk_add_f32 v[40:41], v[20:21], v[122:123]
	s_waitcnt lgkmcnt(0)
	v_min3_f32 v48, v40, v41, v48
	v_pk_add_f32 v[40:41], v[24:25], v[122:123]
	s_barrier
	v_min3_f32 v49, v40, v41, v49
	v_pk_add_f32 v[40:41], v[28:29], v[122:123]
	s_nop 0
	v_min3_f32 v52, v40, v41, v52
	v_pk_add_f32 v[40:41], v[0:1], v[126:127]
	s_nop 0
	;; [unrolled: 3-line block ×41, first 2 shown]
	v_min3_f32 v42, v40, v41, v42
	v_pk_add_f32 v[40:41], v[0:1], v[168:169]
	v_pk_add_f32 v[0:1], v[0:1], v[32:33]
	v_min3_f32 v43, v40, v41, v43
	v_min3_f32 v39, v0, v1, v39
	v_pk_add_f32 v[0:1], v[4:5], v[32:33]
	v_pk_add_f32 v[40:41], v[4:5], v[168:169]
	v_min3_f32 v4, v0, v1, v115
	v_pk_add_f32 v[0:1], v[8:9], v[32:33]
	v_min3_f32 v152, v40, v41, v109
	v_min3_f32 v5, v0, v1, v116
	v_pk_add_f32 v[0:1], v[12:13], v[32:33]
	v_pk_add_f32 v[40:41], v[8:9], v[168:169]
	v_min3_f32 v8, v0, v1, v117
	;; [unrolled: 6-line block ×7, first 2 shown]
	v_pk_add_f32 v[0:1], v[26:27], v[124:125]
	v_min3_f32 v38, v40, v41, v38
	v_min3_f32 v85, v0, v1, v49
	v_pk_add_f32 v[0:1], v[30:31], v[124:125]
	s_nop 0
	v_min3_f32 v148, v0, v1, v52
	v_pk_add_f32 v[0:1], v[2:3], v[128:129]
	s_nop 0
	;; [unrolled: 3-line block ×57, first 2 shown]
	v_min3_f32 v96, v0, v1, v16
	s_cbranch_scc1 .LBB54_40
.LBB54_26:                              ; =>This Inner Loop Header: Depth=1
	s_and_b64 vcc, exec, s[4:5]
	v_lshl_add_u64 v[0:1], v[68:69], 0, v[70:71]
	s_cbranch_vccnz .LBB54_30
; %bb.27:                               ;   in Loop: Header=BB54_26 Depth=1
	flat_load_dword v2, v[0:1]
	flat_load_dword v3, v[0:1] offset:256
	s_waitcnt vmcnt(0) lgkmcnt(0)
	v_pk_mul_f32 v[72:73], s[12:13], v[2:3]
	s_and_b64 vcc, exec, s[4:5]
	s_cbranch_vccnz .LBB54_31
.LBB54_28:                              ;   in Loop: Header=BB54_26 Depth=1
	flat_load_dword v2, v[0:1] offset:512
	flat_load_dword v3, v[0:1] offset:768
	s_waitcnt vmcnt(0) lgkmcnt(0)
	v_pk_mul_f32 v[74:75], s[12:13], v[2:3]
	s_and_b64 vcc, exec, s[4:5]
	s_cbranch_vccnz .LBB54_32
.LBB54_29:                              ;   in Loop: Header=BB54_26 Depth=1
	flat_load_dword v0, v[64:65]
	s_waitcnt vmcnt(0) lgkmcnt(0)
	v_mul_f32_e32 v151, s12, v0
	s_branch .LBB54_33
.LBB54_30:                              ;   in Loop: Header=BB54_26 Depth=1
	v_mov_b32_e32 v72, 0
	v_mov_b32_e32 v73, 0
	s_and_b64 vcc, exec, s[4:5]
	s_cbranch_vccz .LBB54_28
.LBB54_31:                              ;   in Loop: Header=BB54_26 Depth=1
	v_mov_b32_e32 v74, 0
	v_mov_b32_e32 v75, 0
	s_and_b64 vcc, exec, s[4:5]
	s_cbranch_vccz .LBB54_29
.LBB54_32:                              ;   in Loop: Header=BB54_26 Depth=1
	v_mov_b32_e32 v151, 0
.LBB54_33:                              ;   in Loop: Header=BB54_26 Depth=1
	ds_read_b128 v[28:31], v141
	ds_read_b128 v[24:27], v141 offset:512
	ds_read_b128 v[20:23], v141 offset:1024
	;; [unrolled: 1-line block ×7, first 2 shown]
	ds_read_b128 v[60:63], v150
	ds_read_b128 v[56:59], v150 offset:128
	ds_read_b128 v[52:55], v150 offset:256
	;; [unrolled: 1-line block ×7, first 2 shown]
	ds_write2st64_b32 v80, v72, v73 offset1:4
	ds_write2st64_b32 v80, v74, v75 offset0:8 offset1:12
	ds_write_b32 v88, v151
	s_and_b64 vcc, exec, s[4:5]
	v_lshl_add_u64 v[74:75], v[68:69], 0, v[66:67]
	s_waitcnt lgkmcnt(0)
	s_barrier
	s_cbranch_vccnz .LBB54_36
; %bb.34:                               ;   in Loop: Header=BB54_26 Depth=1
	flat_load_dword v72, v[74:75]
	flat_load_dword v73, v[74:75] offset:256
	s_waitcnt vmcnt(0) lgkmcnt(0)
	v_pk_mul_f32 v[72:73], s[12:13], v[72:73]
	s_and_b64 vcc, exec, s[4:5]
	s_cbranch_vccnz .LBB54_37
.LBB54_35:                              ;   in Loop: Header=BB54_26 Depth=1
	flat_load_dword v152, v[74:75] offset:512
	flat_load_dword v153, v[74:75] offset:768
	s_waitcnt vmcnt(0) lgkmcnt(0)
	v_pk_mul_f32 v[74:75], s[12:13], v[152:153]
	s_branch .LBB54_38
.LBB54_36:                              ;   in Loop: Header=BB54_26 Depth=1
	v_mov_b32_e32 v72, 0
	v_mov_b32_e32 v73, 0
	s_and_b64 vcc, exec, s[4:5]
	s_cbranch_vccz .LBB54_35
.LBB54_37:                              ;   in Loop: Header=BB54_26 Depth=1
	v_mov_b32_e32 v74, 0
	v_mov_b32_e32 v75, 0
.LBB54_38:                              ;   in Loop: Header=BB54_26 Depth=1
	v_pk_add_f32 v[152:153], v[28:29], v[60:61]
	s_and_b64 vcc, exec, s[4:5]
	v_min3_f32 v151, v152, v153, v87
	v_pk_add_f32 v[152:153], v[24:25], v[60:61]
	s_nop 0
	v_min3_f32 v154, v152, v153, v83
	v_pk_add_f32 v[152:153], v[20:21], v[60:61]
	s_nop 0
	v_min3_f32 v152, v152, v153, v86
	v_pk_add_f32 v[86:87], v[16:17], v[60:61]
	s_nop 0
	v_min3_f32 v81, v86, v87, v81
	v_pk_add_f32 v[86:87], v[12:13], v[60:61]
	s_nop 0
	v_min3_f32 v86, v86, v87, v82
	v_pk_add_f32 v[82:83], v[8:9], v[60:61]
	s_nop 0
	v_min3_f32 v84, v82, v83, v84
	v_pk_add_f32 v[82:83], v[4:5], v[60:61]
	v_pk_add_f32 v[60:61], v[0:1], v[60:61]
	v_min3_f32 v82, v82, v83, v85
	v_min3_f32 v83, v60, v61, v148
	v_pk_add_f32 v[60:61], v[28:29], v[56:57]
	s_nop 0
	v_min3_f32 v85, v60, v61, v149
	v_pk_add_f32 v[60:61], v[24:25], v[56:57]
	s_nop 0
	v_min3_f32 v87, v60, v61, v146
	v_pk_add_f32 v[60:61], v[20:21], v[56:57]
	s_nop 0
	v_min3_f32 v146, v60, v61, v147
	v_pk_add_f32 v[60:61], v[16:17], v[56:57]
	s_nop 0
	v_min3_f32 v144, v60, v61, v144
	v_pk_add_f32 v[60:61], v[12:13], v[56:57]
	s_nop 0
	v_min3_f32 v145, v60, v61, v145
	v_pk_add_f32 v[60:61], v[8:9], v[56:57]
	s_nop 0
	v_min3_f32 v142, v60, v61, v142
	v_pk_add_f32 v[60:61], v[4:5], v[56:57]
	v_pk_add_f32 v[56:57], v[0:1], v[56:57]
	v_min3_f32 v143, v60, v61, v143
	v_min3_f32 v139, v56, v57, v139
	v_pk_add_f32 v[56:57], v[28:29], v[52:53]
	s_nop 0
	;; [unrolled: 22-line block ×5, first 2 shown]
	v_min3_f32 v116, v44, v45, v116
	v_pk_add_f32 v[44:45], v[24:25], v[40:41]
	s_nop 0
	v_min3_f32 v113, v44, v45, v113
	v_pk_add_f32 v[44:45], v[20:21], v[40:41]
	s_nop 0
	;; [unrolled: 3-line block ×5, first 2 shown]
	v_min3_f32 v109, v44, v45, v109
	v_pk_add_f32 v[44:45], v[4:5], v[40:41]
	v_pk_add_f32 v[40:41], v[0:1], v[40:41]
	v_min3_f32 v110, v44, v45, v110
	v_min3_f32 v147, v40, v41, v107
	v_pk_add_f32 v[40:41], v[28:29], v[36:37]
	v_pk_add_f32 v[28:29], v[28:29], v[32:33]
	v_min3_f32 v148, v40, v41, v108
	v_pk_add_f32 v[40:41], v[24:25], v[36:37]
	v_pk_add_f32 v[24:25], v[24:25], v[32:33]
	v_min3_f32 v149, v40, v41, v105
	v_pk_add_f32 v[40:41], v[20:21], v[36:37]
	v_min3_f32 v24, v24, v25, v97
	v_min3_f32 v153, v40, v41, v106
	v_pk_add_f32 v[40:41], v[16:17], v[36:37]
	v_pk_add_f32 v[16:17], v[16:17], v[32:33]
	v_min3_f32 v155, v40, v41, v103
	v_pk_add_f32 v[40:41], v[12:13], v[36:37]
	v_min3_f32 v16, v16, v17, v94
	v_min3_f32 v156, v40, v41, v104
	v_pk_add_f32 v[40:41], v[8:9], v[36:37]
	v_pk_add_f32 v[8:9], v[8:9], v[32:33]
	v_min3_f32 v157, v40, v41, v101
	v_pk_add_f32 v[40:41], v[4:5], v[36:37]
	v_pk_add_f32 v[36:37], v[0:1], v[36:37]
	;; [unrolled: 1-line block ×4, first 2 shown]
	v_min3_f32 v4, v4, v5, v93
	v_min3_f32 v5, v0, v1, v96
	v_pk_add_f32 v[0:1], v[30:31], v[62:63]
	v_min3_f32 v36, v36, v37, v99
	v_min3_f32 v37, v0, v1, v151
	v_pk_add_f32 v[0:1], v[26:27], v[62:63]
	v_min3_f32 v158, v40, v41, v102
	v_min3_f32 v40, v0, v1, v154
	v_pk_add_f32 v[0:1], v[22:23], v[62:63]
	v_min3_f32 v8, v8, v9, v92
	v_min3_f32 v41, v0, v1, v152
	v_pk_add_f32 v[0:1], v[18:19], v[62:63]
	v_pk_add_f32 v[12:13], v[12:13], v[32:33]
	v_min3_f32 v44, v0, v1, v81
	v_pk_add_f32 v[0:1], v[14:15], v[62:63]
	v_min3_f32 v12, v12, v13, v95
	v_min3_f32 v45, v0, v1, v86
	v_pk_add_f32 v[0:1], v[10:11], v[62:63]
	v_pk_add_f32 v[20:21], v[20:21], v[32:33]
	v_min3_f32 v48, v0, v1, v84
	v_pk_add_f32 v[0:1], v[6:7], v[62:63]
	v_min3_f32 v20, v20, v21, v98
	v_min3_f32 v49, v0, v1, v82
	v_pk_add_f32 v[0:1], v[2:3], v[62:63]
	v_min3_f32 v28, v28, v29, v100
	v_min3_f32 v52, v0, v1, v83
	v_pk_add_f32 v[0:1], v[30:31], v[58:59]
	s_nop 0
	v_min3_f32 v53, v0, v1, v85
	v_pk_add_f32 v[0:1], v[26:27], v[58:59]
	s_nop 0
	;; [unrolled: 3-line block ×56, first 2 shown]
	v_min3_f32 v121, v0, v1, v5
	s_cbranch_vccz .LBB54_24
; %bb.39:                               ;   in Loop: Header=BB54_26 Depth=1
	v_mov_b32_e32 v36, 0
	s_branch .LBB54_25
.LBB54_40:
	s_load_dwordx2 s[2:3], s[0:1], 0x78
	s_load_dword s4, s[0:1], 0x58
	s_load_dword s5, s[0:1], 0x70
	ds_read_b128 v[32:35], v78 offset:4096
	ds_read_b128 v[60:63], v79 offset:9216
	s_waitcnt lgkmcnt(0)
	s_mul_i32 s0, s16, s3
	s_mul_hi_u32 s1, s16, s2
	s_add_i32 s1, s1, s0
	s_mul_i32 s0, s16, s2
	s_lshl_b64 s[0:1], s[0:1], 2
	v_pk_add_f32 v[0:1], v[32:33], v[60:61]
	s_add_u32 s0, s10, s0
	v_min3_f32 v2, v0, v1, v87
	v_pk_add_f32 v[0:1], v[34:35], v[62:63]
	v_add_u32_e32 v68, s22, v76
	v_add_u32_e32 v141, s23, v77
	s_addc_u32 s1, s11, s1
	v_min3_f32 v2, v0, v1, v2
	v_add_u32_e32 v64, 32, v68
	v_mad_i64_i32 v[0:1], s[2:3], v141, s5, 0
	v_ashrrev_i32_e32 v69, 31, v68
	v_ashrrev_i32_e32 v65, 31, v64
	v_lshl_add_u64 v[88:89], v[0:1], 2, s[0:1]
	v_mad_i64_i32 v[0:1], s[2:3], v141, s4, 0
	v_max_f32_e32 v2, v2, v2
	s_mov_b64 vcc, s[6:7]
	s_cbranch_vccz .LBB54_42
; %bb.41:
	v_min_f32_e32 v3, 0, v2
	v_lshl_add_u64 v[4:5], v[68:69], 2, v[88:89]
	s_mov_b32 s10, 0
	global_store_dword v[4:5], v3, off
	s_mov_b64 s[2:3], 0
	s_branch .LBB54_43
.LBB54_42:
	s_mov_b64 s[2:3], -1
                                        ; implicit-def: $sgpr10
.LBB54_43:
	ds_read_b128 v[28:31], v78 offset:4608
	ds_read_b128 v[24:27], v78 offset:5120
	v_lshl_add_u64 v[90:91], v[0:1], 2, s[8:9]
	s_andn2_b64 vcc, exec, s[2:3]
	v_lshlrev_b64 v[72:73], 2, v[68:69]
	s_cbranch_vccnz .LBB54_45
; %bb.44:
	v_lshl_add_u64 v[0:1], v[90:91], 0, v[72:73]
	flat_load_dword v3, v[0:1]
	v_lshl_add_u64 v[0:1], v[88:89], 0, v[72:73]
	s_waitcnt vmcnt(0) lgkmcnt(0)
	v_mul_f32_e32 v3, s17, v3
	v_min_f32_e32 v2, v3, v2
	global_store_dword v[0:1], v2, off
	v_lshl_add_u64 v[0:1], v[64:65], 2, v[90:91]
	flat_load_dword v0, v[0:1]
	s_waitcnt vmcnt(0) lgkmcnt(0)
	v_mul_f32_e32 v70, s17, v0
	s_branch .LBB54_46
.LBB54_45:
	v_mov_b32_e32 v70, s10
.LBB54_46:
	ds_read_b128 v[20:23], v78 offset:5632
	ds_read_b128 v[16:19], v78 offset:6144
	;; [unrolled: 1-line block ×12, first 2 shown]
	s_waitcnt lgkmcnt(13)
	v_pk_add_f32 v[66:67], v[28:29], v[60:61]
	s_mov_b64 vcc, s[6:7]
	v_min3_f32 v71, v66, v67, v83
	s_waitcnt lgkmcnt(12)
	v_pk_add_f32 v[66:67], v[24:25], v[60:61]
	s_nop 0
	v_min3_f32 v74, v66, v67, v86
	v_pk_add_f32 v[66:67], v[30:31], v[62:63]
	s_nop 0
	v_min_f32_e32 v76, v66, v67
	v_pk_add_f32 v[66:67], v[26:27], v[62:63]
	v_min3_f32 v76, v70, v76, v71
	v_min3_f32 v77, v66, v67, v74
	v_add_u32_e32 v74, 64, v68
	v_add_u32_e32 v66, 0x60, v68
	v_lshl_add_u64 v[70:71], v[64:65], 2, v[88:89]
	v_ashrrev_i32_e32 v75, 31, v74
	v_ashrrev_i32_e32 v67, 31, v66
	global_store_dword v[70:71], v76, off
	v_max_f32_e32 v70, v77, v77
	s_cbranch_vccz .LBB54_49
; %bb.47:
	v_min_f32_e32 v71, 0, v70
	v_lshl_add_u64 v[76:77], v[74:75], 2, v[88:89]
	s_mov_b32 s10, 0
	global_store_dword v[76:77], v71, off
	v_lshlrev_b64 v[78:79], 2, v[74:75]
	s_cbranch_execz .LBB54_50
; %bb.48:
	v_mov_b32_e32 v76, s10
	s_branch .LBB54_51
.LBB54_49:
                                        ; implicit-def: $sgpr10
	v_lshlrev_b64 v[78:79], 2, v[74:75]
.LBB54_50:
	v_lshl_add_u64 v[76:77], v[90:91], 0, v[78:79]
	flat_load_dword v71, v[76:77]
	v_lshl_add_u64 v[76:77], v[88:89], 0, v[78:79]
	s_waitcnt vmcnt(0) lgkmcnt(0)
	v_mul_f32_e32 v71, s17, v71
	v_min_f32_e32 v70, v71, v70
	global_store_dword v[76:77], v70, off
	v_lshl_add_u64 v[70:71], v[66:67], 2, v[90:91]
	flat_load_dword v70, v[70:71]
	s_waitcnt vmcnt(0) lgkmcnt(0)
	v_mul_f32_e32 v76, s17, v70
.LBB54_51:
	s_waitcnt lgkmcnt(11)
	v_pk_add_f32 v[70:71], v[20:21], v[60:61]
	s_mov_b64 vcc, s[6:7]
	v_min3_f32 v77, v70, v71, v81
	s_waitcnt lgkmcnt(10)
	v_pk_add_f32 v[70:71], v[16:17], v[60:61]
	s_nop 0
	v_min3_f32 v80, v70, v71, v82
	v_pk_add_f32 v[70:71], v[22:23], v[62:63]
	s_nop 0
	v_min_f32_e32 v82, v70, v71
	v_pk_add_f32 v[70:71], v[18:19], v[62:63]
	v_min3_f32 v82, v76, v82, v77
	v_min3_f32 v83, v70, v71, v80
	v_add_u32_e32 v80, 0x80, v68
	v_add_u32_e32 v70, 0xa0, v68
	v_lshl_add_u64 v[76:77], v[66:67], 2, v[88:89]
	v_ashrrev_i32_e32 v81, 31, v80
	v_ashrrev_i32_e32 v71, 31, v70
	global_store_dword v[76:77], v82, off
	v_max_f32_e32 v76, v83, v83
	s_cbranch_vccz .LBB54_54
; %bb.52:
	v_min_f32_e32 v77, 0, v76
	v_lshl_add_u64 v[82:83], v[80:81], 2, v[88:89]
	s_mov_b32 s10, 0
	global_store_dword v[82:83], v77, off
	v_lshlrev_b64 v[82:83], 2, v[80:81]
	s_cbranch_execz .LBB54_55
; %bb.53:
	v_mov_b32_e32 v86, s10
	s_branch .LBB54_56
.LBB54_54:
                                        ; implicit-def: $sgpr10
	v_lshlrev_b64 v[82:83], 2, v[80:81]
.LBB54_55:
	v_lshl_add_u64 v[86:87], v[90:91], 0, v[82:83]
	flat_load_dword v77, v[86:87]
	v_lshl_add_u64 v[86:87], v[88:89], 0, v[82:83]
	s_waitcnt vmcnt(0) lgkmcnt(0)
	v_mul_f32_e32 v77, s17, v77
	v_min_f32_e32 v76, v77, v76
	global_store_dword v[86:87], v76, off
	v_lshl_add_u64 v[76:77], v[70:71], 2, v[90:91]
	flat_load_dword v76, v[76:77]
	s_waitcnt vmcnt(0) lgkmcnt(0)
	v_mul_f32_e32 v86, s17, v76
.LBB54_56:
	s_waitcnt lgkmcnt(9)
	v_pk_add_f32 v[76:77], v[12:13], v[60:61]
	s_mov_b64 vcc, s[6:7]
	v_min3_f32 v87, v76, v77, v84
	s_waitcnt lgkmcnt(8)
	v_pk_add_f32 v[76:77], v[8:9], v[60:61]
	s_nop 0
	v_min3_f32 v84, v76, v77, v85
	v_pk_add_f32 v[76:77], v[14:15], v[62:63]
	s_nop 0
	v_min_f32_e32 v150, v76, v77
	v_pk_add_f32 v[76:77], v[10:11], v[62:63]
	v_min3_f32 v150, v86, v150, v87
	v_min3_f32 v151, v76, v77, v84
	v_add_u32_e32 v84, 0xc0, v68
	v_add_u32_e32 v76, 0xe0, v68
	v_lshl_add_u64 v[86:87], v[70:71], 2, v[88:89]
	v_ashrrev_i32_e32 v85, 31, v84
	v_ashrrev_i32_e32 v77, 31, v76
	global_store_dword v[86:87], v150, off
	v_max_f32_e32 v150, v151, v151
	s_cbranch_vccz .LBB54_59
; %bb.57:
	v_min_f32_e32 v151, 0, v150
	v_lshl_add_u64 v[86:87], v[84:85], 2, v[88:89]
	s_mov_b32 s10, 0
	global_store_dword v[86:87], v151, off
	v_lshlrev_b64 v[86:87], 2, v[84:85]
	s_cbranch_execz .LBB54_60
; %bb.58:
	v_mov_b32_e32 v90, s10
	s_branch .LBB54_61
.LBB54_59:
                                        ; implicit-def: $sgpr10
	v_lshlrev_b64 v[86:87], 2, v[84:85]
.LBB54_60:
	v_lshl_add_u64 v[152:153], v[90:91], 0, v[86:87]
	flat_load_dword v151, v[152:153]
	v_lshl_add_u64 v[152:153], v[88:89], 0, v[86:87]
	v_lshl_add_u64 v[90:91], v[76:77], 2, v[90:91]
	s_waitcnt vmcnt(0) lgkmcnt(0)
	v_mul_f32_e32 v151, s17, v151
	v_min_f32_e32 v150, v151, v150
	global_store_dword v[152:153], v150, off
	flat_load_dword v90, v[90:91]
	s_waitcnt vmcnt(0) lgkmcnt(0)
	v_mul_f32_e32 v90, s17, v90
.LBB54_61:
	s_waitcnt lgkmcnt(7)
	v_pk_add_f32 v[60:61], v[0:1], v[60:61]
	s_mov_b64 vcc, s[6:7]
	v_min3_f32 v91, v60, v61, v148
	s_waitcnt lgkmcnt(6)
	v_pk_add_f32 v[60:61], v[32:33], v[56:57]
	s_nop 0
	v_min3_f32 v148, v60, v61, v149
	v_pk_add_f32 v[60:61], v[2:3], v[62:63]
	s_nop 0
	v_min_f32_e32 v62, v60, v61
	v_pk_add_f32 v[60:61], v[34:35], v[58:59]
	v_min3_f32 v62, v90, v62, v91
	v_min3_f32 v148, v60, v61, v148
	v_lshl_add_u64 v[60:61], v[76:77], 2, v[88:89]
	global_store_dword v[60:61], v62, off
	v_add_u32_e32 v62, 8, v141
	v_mad_i64_i32 v[60:61], s[2:3], v62, s5, 0
	v_lshl_add_u64 v[60:61], v[60:61], 2, s[0:1]
	v_mad_i64_i32 v[62:63], s[2:3], v62, s4, 0
	v_max_f32_e32 v88, v148, v148
	s_cbranch_vccz .LBB54_64
; %bb.62:
	v_min_f32_e32 v89, 0, v88
	v_lshl_add_u64 v[90:91], v[68:69], 2, v[60:61]
	s_mov_b32 s10, 0
	global_store_dword v[90:91], v89, off
	v_lshl_add_u64 v[62:63], v[62:63], 2, s[8:9]
	s_cbranch_execz .LBB54_65
; %bb.63:
	v_mov_b32_e32 v88, s10
	s_branch .LBB54_66
.LBB54_64:
                                        ; implicit-def: $sgpr10
	v_lshl_add_u64 v[62:63], v[62:63], 2, s[8:9]
.LBB54_65:
	v_lshl_add_u64 v[90:91], v[62:63], 0, v[72:73]
	flat_load_dword v89, v[90:91]
	v_lshl_add_u64 v[90:91], v[60:61], 0, v[72:73]
	s_waitcnt vmcnt(0) lgkmcnt(0)
	v_mul_f32_e32 v89, s17, v89
	v_min_f32_e32 v88, v89, v88
	global_store_dword v[90:91], v88, off
	v_lshl_add_u64 v[88:89], v[64:65], 2, v[62:63]
	flat_load_dword v88, v[88:89]
	s_waitcnt vmcnt(0) lgkmcnt(0)
	v_mul_f32_e32 v88, s17, v88
.LBB54_66:
	v_pk_add_f32 v[90:91], v[28:29], v[56:57]
	s_mov_b64 vcc, s[6:7]
	v_min3_f32 v89, v90, v91, v146
	v_pk_add_f32 v[90:91], v[24:25], v[56:57]
	s_nop 0
	v_min3_f32 v146, v90, v91, v147
	v_pk_add_f32 v[90:91], v[30:31], v[58:59]
	s_nop 0
	v_min_f32_e32 v147, v90, v91
	v_pk_add_f32 v[90:91], v[26:27], v[58:59]
	s_nop 0
	v_min3_f32 v90, v90, v91, v146
	v_min3_f32 v91, v88, v147, v89
	v_lshl_add_u64 v[88:89], v[64:65], 2, v[60:61]
	global_store_dword v[88:89], v91, off
	v_max_f32_e32 v88, v90, v90
	s_cbranch_vccz .LBB54_69
; %bb.67:
	v_min_f32_e32 v89, 0, v88
	v_lshl_add_u64 v[90:91], v[74:75], 2, v[60:61]
	s_mov_b32 s10, 0
	global_store_dword v[90:91], v89, off
	s_cbranch_execz .LBB54_70
; %bb.68:
	v_mov_b32_e32 v88, s10
	s_branch .LBB54_71
.LBB54_69:
                                        ; implicit-def: $sgpr10
.LBB54_70:
	v_lshl_add_u64 v[90:91], v[62:63], 0, v[78:79]
	flat_load_dword v89, v[90:91]
	v_lshl_add_u64 v[90:91], v[60:61], 0, v[78:79]
	s_waitcnt vmcnt(0) lgkmcnt(0)
	v_mul_f32_e32 v89, s17, v89
	v_min_f32_e32 v88, v89, v88
	global_store_dword v[90:91], v88, off
	v_lshl_add_u64 v[88:89], v[66:67], 2, v[62:63]
	flat_load_dword v88, v[88:89]
	s_waitcnt vmcnt(0) lgkmcnt(0)
	v_mul_f32_e32 v88, s17, v88
.LBB54_71:
	v_pk_add_f32 v[90:91], v[20:21], v[56:57]
	s_mov_b64 vcc, s[6:7]
	v_min3_f32 v89, v90, v91, v144
	v_pk_add_f32 v[90:91], v[16:17], v[56:57]
	s_nop 0
	v_min3_f32 v144, v90, v91, v145
	v_pk_add_f32 v[90:91], v[22:23], v[58:59]
	s_nop 0
	v_min_f32_e32 v145, v90, v91
	v_pk_add_f32 v[90:91], v[18:19], v[58:59]
	s_nop 0
	v_min3_f32 v90, v90, v91, v144
	v_min3_f32 v91, v88, v145, v89
	v_lshl_add_u64 v[88:89], v[66:67], 2, v[60:61]
	global_store_dword v[88:89], v91, off
	v_max_f32_e32 v88, v90, v90
	s_cbranch_vccz .LBB54_74
; %bb.72:
	v_min_f32_e32 v89, 0, v88
	v_lshl_add_u64 v[90:91], v[80:81], 2, v[60:61]
	s_mov_b32 s10, 0
	global_store_dword v[90:91], v89, off
	s_cbranch_execz .LBB54_75
; %bb.73:
	v_mov_b32_e32 v88, s10
	s_branch .LBB54_76
.LBB54_74:
                                        ; implicit-def: $sgpr10
.LBB54_75:
	v_lshl_add_u64 v[90:91], v[62:63], 0, v[82:83]
	flat_load_dword v89, v[90:91]
	v_lshl_add_u64 v[90:91], v[60:61], 0, v[82:83]
	s_waitcnt vmcnt(0) lgkmcnt(0)
	v_mul_f32_e32 v89, s17, v89
	v_min_f32_e32 v88, v89, v88
	global_store_dword v[90:91], v88, off
	v_lshl_add_u64 v[88:89], v[70:71], 2, v[62:63]
	flat_load_dword v88, v[88:89]
	s_waitcnt vmcnt(0) lgkmcnt(0)
	v_mul_f32_e32 v88, s17, v88
.LBB54_76:
	v_pk_add_f32 v[90:91], v[12:13], v[56:57]
	s_mov_b64 vcc, s[6:7]
	v_min3_f32 v89, v90, v91, v142
	v_pk_add_f32 v[90:91], v[8:9], v[56:57]
	s_nop 0
	v_min3_f32 v142, v90, v91, v143
	v_pk_add_f32 v[90:91], v[14:15], v[58:59]
	s_nop 0
	v_min_f32_e32 v143, v90, v91
	v_pk_add_f32 v[90:91], v[10:11], v[58:59]
	s_nop 0
	v_min3_f32 v90, v90, v91, v142
	v_min3_f32 v91, v88, v143, v89
	v_lshl_add_u64 v[88:89], v[70:71], 2, v[60:61]
	global_store_dword v[88:89], v91, off
	v_max_f32_e32 v88, v90, v90
	s_cbranch_vccz .LBB54_79
; %bb.77:
	v_min_f32_e32 v89, 0, v88
	v_lshl_add_u64 v[90:91], v[84:85], 2, v[60:61]
	s_mov_b32 s10, 0
	global_store_dword v[90:91], v89, off
	s_cbranch_execz .LBB54_80
; %bb.78:
	v_mov_b32_e32 v62, s10
	s_branch .LBB54_81
.LBB54_79:
                                        ; implicit-def: $sgpr10
.LBB54_80:
	v_lshl_add_u64 v[90:91], v[62:63], 0, v[86:87]
	flat_load_dword v89, v[90:91]
	v_lshl_add_u64 v[90:91], v[60:61], 0, v[86:87]
	v_lshl_add_u64 v[62:63], v[76:77], 2, v[62:63]
	s_waitcnt vmcnt(0) lgkmcnt(0)
	v_mul_f32_e32 v89, s17, v89
	v_min_f32_e32 v88, v89, v88
	global_store_dword v[90:91], v88, off
	flat_load_dword v62, v[62:63]
	s_waitcnt vmcnt(0) lgkmcnt(0)
	v_mul_f32_e32 v62, s17, v62
.LBB54_81:
	v_pk_add_f32 v[56:57], v[0:1], v[56:57]
	s_mov_b64 vcc, s[6:7]
	v_min3_f32 v63, v56, v57, v139
	s_waitcnt lgkmcnt(5)
	v_pk_add_f32 v[56:57], v[32:33], v[52:53]
	s_nop 0
	v_min3_f32 v88, v56, v57, v140
	v_pk_add_f32 v[56:57], v[2:3], v[58:59]
	s_nop 0
	v_min_f32_e32 v58, v56, v57
	v_pk_add_f32 v[56:57], v[34:35], v[54:55]
	v_min3_f32 v58, v62, v58, v63
	v_min3_f32 v88, v56, v57, v88
	v_lshl_add_u64 v[56:57], v[76:77], 2, v[60:61]
	global_store_dword v[56:57], v58, off
	v_add_u32_e32 v58, 16, v141
	v_mad_i64_i32 v[56:57], s[2:3], v58, s5, 0
	v_lshl_add_u64 v[56:57], v[56:57], 2, s[0:1]
	v_mad_i64_i32 v[58:59], s[2:3], v58, s4, 0
	v_max_f32_e32 v60, v88, v88
	s_cbranch_vccz .LBB54_84
; %bb.82:
	v_min_f32_e32 v61, 0, v60
	v_lshl_add_u64 v[62:63], v[68:69], 2, v[56:57]
	s_mov_b32 s10, 0
	global_store_dword v[62:63], v61, off
	v_lshl_add_u64 v[58:59], v[58:59], 2, s[8:9]
	s_cbranch_execz .LBB54_85
; %bb.83:
	v_mov_b32_e32 v60, s10
	s_branch .LBB54_86
.LBB54_84:
                                        ; implicit-def: $sgpr10
	v_lshl_add_u64 v[58:59], v[58:59], 2, s[8:9]
.LBB54_85:
	v_lshl_add_u64 v[62:63], v[58:59], 0, v[72:73]
	flat_load_dword v61, v[62:63]
	v_lshl_add_u64 v[62:63], v[56:57], 0, v[72:73]
	s_waitcnt vmcnt(0) lgkmcnt(0)
	v_mul_f32_e32 v61, s17, v61
	v_min_f32_e32 v60, v61, v60
	global_store_dword v[62:63], v60, off
	v_lshl_add_u64 v[60:61], v[64:65], 2, v[58:59]
	flat_load_dword v60, v[60:61]
	s_waitcnt vmcnt(0) lgkmcnt(0)
	v_mul_f32_e32 v60, s17, v60
.LBB54_86:
	v_pk_add_f32 v[62:63], v[28:29], v[52:53]
	s_mov_b64 vcc, s[6:7]
	v_min3_f32 v61, v62, v63, v137
	v_pk_add_f32 v[62:63], v[24:25], v[52:53]
	s_nop 0
	v_min3_f32 v88, v62, v63, v138
	v_pk_add_f32 v[62:63], v[30:31], v[54:55]
	s_nop 0
	v_min_f32_e32 v89, v62, v63
	v_pk_add_f32 v[62:63], v[26:27], v[54:55]
	s_nop 0
	v_min3_f32 v62, v62, v63, v88
	v_min3_f32 v63, v60, v89, v61
	v_lshl_add_u64 v[60:61], v[64:65], 2, v[56:57]
	global_store_dword v[60:61], v63, off
	v_max_f32_e32 v60, v62, v62
	s_cbranch_vccz .LBB54_89
; %bb.87:
	v_min_f32_e32 v61, 0, v60
	v_lshl_add_u64 v[62:63], v[74:75], 2, v[56:57]
	s_mov_b32 s10, 0
	global_store_dword v[62:63], v61, off
	s_cbranch_execz .LBB54_90
; %bb.88:
	v_mov_b32_e32 v60, s10
	s_branch .LBB54_91
.LBB54_89:
                                        ; implicit-def: $sgpr10
.LBB54_90:
	v_lshl_add_u64 v[62:63], v[58:59], 0, v[78:79]
	flat_load_dword v61, v[62:63]
	v_lshl_add_u64 v[62:63], v[56:57], 0, v[78:79]
	s_waitcnt vmcnt(0) lgkmcnt(0)
	v_mul_f32_e32 v61, s17, v61
	v_min_f32_e32 v60, v61, v60
	global_store_dword v[62:63], v60, off
	v_lshl_add_u64 v[60:61], v[66:67], 2, v[58:59]
	flat_load_dword v60, v[60:61]
	s_waitcnt vmcnt(0) lgkmcnt(0)
	v_mul_f32_e32 v60, s17, v60
.LBB54_91:
	v_pk_add_f32 v[62:63], v[20:21], v[52:53]
	s_mov_b64 vcc, s[6:7]
	v_min3_f32 v61, v62, v63, v135
	v_pk_add_f32 v[62:63], v[16:17], v[52:53]
	s_nop 0
	v_min3_f32 v88, v62, v63, v136
	v_pk_add_f32 v[62:63], v[22:23], v[54:55]
	s_nop 0
	v_min_f32_e32 v89, v62, v63
	v_pk_add_f32 v[62:63], v[18:19], v[54:55]
	s_nop 0
	v_min3_f32 v62, v62, v63, v88
	v_min3_f32 v63, v60, v89, v61
	v_lshl_add_u64 v[60:61], v[66:67], 2, v[56:57]
	global_store_dword v[60:61], v63, off
	v_max_f32_e32 v60, v62, v62
	s_cbranch_vccz .LBB54_94
; %bb.92:
	v_min_f32_e32 v61, 0, v60
	v_lshl_add_u64 v[62:63], v[80:81], 2, v[56:57]
	s_mov_b32 s10, 0
	global_store_dword v[62:63], v61, off
	s_cbranch_execz .LBB54_95
; %bb.93:
	v_mov_b32_e32 v60, s10
	s_branch .LBB54_96
.LBB54_94:
                                        ; implicit-def: $sgpr10
.LBB54_95:
	v_lshl_add_u64 v[62:63], v[58:59], 0, v[82:83]
	flat_load_dword v61, v[62:63]
	v_lshl_add_u64 v[62:63], v[56:57], 0, v[82:83]
	s_waitcnt vmcnt(0) lgkmcnt(0)
	v_mul_f32_e32 v61, s17, v61
	v_min_f32_e32 v60, v61, v60
	global_store_dword v[62:63], v60, off
	v_lshl_add_u64 v[60:61], v[70:71], 2, v[58:59]
	flat_load_dword v60, v[60:61]
	s_waitcnt vmcnt(0) lgkmcnt(0)
	v_mul_f32_e32 v60, s17, v60
.LBB54_96:
	v_pk_add_f32 v[62:63], v[12:13], v[52:53]
	s_mov_b64 vcc, s[6:7]
	v_min3_f32 v61, v62, v63, v131
	v_pk_add_f32 v[62:63], v[8:9], v[52:53]
	s_nop 0
	v_min3_f32 v88, v62, v63, v132
	v_pk_add_f32 v[62:63], v[14:15], v[54:55]
	s_nop 0
	v_min_f32_e32 v89, v62, v63
	v_pk_add_f32 v[62:63], v[10:11], v[54:55]
	s_nop 0
	v_min3_f32 v62, v62, v63, v88
	v_min3_f32 v63, v60, v89, v61
	v_lshl_add_u64 v[60:61], v[70:71], 2, v[56:57]
	global_store_dword v[60:61], v63, off
	v_max_f32_e32 v60, v62, v62
	s_cbranch_vccz .LBB54_99
; %bb.97:
	v_min_f32_e32 v61, 0, v60
	v_lshl_add_u64 v[62:63], v[84:85], 2, v[56:57]
	s_mov_b32 s10, 0
	global_store_dword v[62:63], v61, off
	s_cbranch_execz .LBB54_100
; %bb.98:
	v_mov_b32_e32 v58, s10
	s_branch .LBB54_101
.LBB54_99:
                                        ; implicit-def: $sgpr10
.LBB54_100:
	v_lshl_add_u64 v[62:63], v[58:59], 0, v[86:87]
	flat_load_dword v61, v[62:63]
	v_lshl_add_u64 v[62:63], v[56:57], 0, v[86:87]
	v_lshl_add_u64 v[58:59], v[76:77], 2, v[58:59]
	s_waitcnt vmcnt(0) lgkmcnt(0)
	v_mul_f32_e32 v61, s17, v61
	v_min_f32_e32 v60, v61, v60
	global_store_dword v[62:63], v60, off
	flat_load_dword v58, v[58:59]
	s_waitcnt vmcnt(0) lgkmcnt(0)
	v_mul_f32_e32 v58, s17, v58
.LBB54_101:
	v_pk_add_f32 v[52:53], v[0:1], v[52:53]
	s_mov_b64 vcc, s[6:7]
	v_min3_f32 v59, v52, v53, v134
	s_waitcnt lgkmcnt(4)
	v_pk_add_f32 v[52:53], v[32:33], v[48:49]
	s_nop 0
	v_min3_f32 v60, v52, v53, v133
	v_pk_add_f32 v[52:53], v[2:3], v[54:55]
	s_nop 0
	v_min_f32_e32 v54, v52, v53
	v_pk_add_f32 v[52:53], v[34:35], v[50:51]
	v_min3_f32 v54, v58, v54, v59
	v_min3_f32 v60, v52, v53, v60
	v_lshl_add_u64 v[52:53], v[76:77], 2, v[56:57]
	global_store_dword v[52:53], v54, off
	v_add_u32_e32 v54, 24, v141
	v_mad_i64_i32 v[52:53], s[2:3], v54, s5, 0
	v_lshl_add_u64 v[52:53], v[52:53], 2, s[0:1]
	v_mad_i64_i32 v[54:55], s[2:3], v54, s4, 0
	v_max_f32_e32 v56, v60, v60
	s_cbranch_vccz .LBB54_104
; %bb.102:
	v_min_f32_e32 v57, 0, v56
	v_lshl_add_u64 v[58:59], v[68:69], 2, v[52:53]
	s_mov_b32 s10, 0
	global_store_dword v[58:59], v57, off
	v_lshl_add_u64 v[54:55], v[54:55], 2, s[8:9]
	s_cbranch_execz .LBB54_105
; %bb.103:
	v_mov_b32_e32 v56, s10
	s_branch .LBB54_106
.LBB54_104:
                                        ; implicit-def: $sgpr10
	v_lshl_add_u64 v[54:55], v[54:55], 2, s[8:9]
.LBB54_105:
	v_lshl_add_u64 v[58:59], v[54:55], 0, v[72:73]
	flat_load_dword v57, v[58:59]
	v_lshl_add_u64 v[58:59], v[52:53], 0, v[72:73]
	s_waitcnt vmcnt(0) lgkmcnt(0)
	v_mul_f32_e32 v57, s17, v57
	v_min_f32_e32 v56, v57, v56
	global_store_dword v[58:59], v56, off
	v_lshl_add_u64 v[56:57], v[64:65], 2, v[54:55]
	flat_load_dword v56, v[56:57]
	s_waitcnt vmcnt(0) lgkmcnt(0)
	v_mul_f32_e32 v56, s17, v56
.LBB54_106:
	v_pk_add_f32 v[58:59], v[28:29], v[48:49]
	s_mov_b64 vcc, s[6:7]
	v_min3_f32 v57, v58, v59, v130
	v_pk_add_f32 v[58:59], v[24:25], v[48:49]
	s_nop 0
	v_min3_f32 v60, v58, v59, v129
	v_pk_add_f32 v[58:59], v[30:31], v[50:51]
	s_nop 0
	v_min_f32_e32 v61, v58, v59
	v_pk_add_f32 v[58:59], v[26:27], v[50:51]
	s_nop 0
	v_min3_f32 v58, v58, v59, v60
	v_min3_f32 v59, v56, v61, v57
	v_lshl_add_u64 v[56:57], v[64:65], 2, v[52:53]
	global_store_dword v[56:57], v59, off
	v_max_f32_e32 v56, v58, v58
	s_cbranch_vccz .LBB54_109
; %bb.107:
	v_min_f32_e32 v57, 0, v56
	v_lshl_add_u64 v[58:59], v[74:75], 2, v[52:53]
	s_mov_b32 s10, 0
	global_store_dword v[58:59], v57, off
	s_cbranch_execz .LBB54_110
; %bb.108:
	v_mov_b32_e32 v56, s10
	s_branch .LBB54_111
.LBB54_109:
                                        ; implicit-def: $sgpr10
.LBB54_110:
	v_lshl_add_u64 v[58:59], v[54:55], 0, v[78:79]
	flat_load_dword v57, v[58:59]
	v_lshl_add_u64 v[58:59], v[52:53], 0, v[78:79]
	s_waitcnt vmcnt(0) lgkmcnt(0)
	v_mul_f32_e32 v57, s17, v57
	v_min_f32_e32 v56, v57, v56
	global_store_dword v[58:59], v56, off
	v_lshl_add_u64 v[56:57], v[66:67], 2, v[54:55]
	flat_load_dword v56, v[56:57]
	s_waitcnt vmcnt(0) lgkmcnt(0)
	v_mul_f32_e32 v56, s17, v56
.LBB54_111:
	v_pk_add_f32 v[58:59], v[20:21], v[48:49]
	s_mov_b64 vcc, s[6:7]
	v_min3_f32 v57, v58, v59, v128
	v_pk_add_f32 v[58:59], v[16:17], v[48:49]
	s_nop 0
	v_min3_f32 v60, v58, v59, v127
	v_pk_add_f32 v[58:59], v[22:23], v[50:51]
	s_nop 0
	v_min_f32_e32 v61, v58, v59
	v_pk_add_f32 v[58:59], v[18:19], v[50:51]
	s_nop 0
	v_min3_f32 v58, v58, v59, v60
	v_min3_f32 v59, v56, v61, v57
	v_lshl_add_u64 v[56:57], v[66:67], 2, v[52:53]
	global_store_dword v[56:57], v59, off
	v_max_f32_e32 v56, v58, v58
	s_cbranch_vccz .LBB54_114
; %bb.112:
	v_min_f32_e32 v57, 0, v56
	v_lshl_add_u64 v[58:59], v[80:81], 2, v[52:53]
	s_mov_b32 s10, 0
	global_store_dword v[58:59], v57, off
	s_cbranch_execz .LBB54_115
; %bb.113:
	v_mov_b32_e32 v56, s10
	s_branch .LBB54_116
.LBB54_114:
                                        ; implicit-def: $sgpr10
.LBB54_115:
	v_lshl_add_u64 v[58:59], v[54:55], 0, v[82:83]
	flat_load_dword v57, v[58:59]
	v_lshl_add_u64 v[58:59], v[52:53], 0, v[82:83]
	s_waitcnt vmcnt(0) lgkmcnt(0)
	v_mul_f32_e32 v57, s17, v57
	v_min_f32_e32 v56, v57, v56
	global_store_dword v[58:59], v56, off
	v_lshl_add_u64 v[56:57], v[70:71], 2, v[54:55]
	flat_load_dword v56, v[56:57]
	s_waitcnt vmcnt(0) lgkmcnt(0)
	v_mul_f32_e32 v56, s17, v56
.LBB54_116:
	v_pk_add_f32 v[58:59], v[12:13], v[48:49]
	s_mov_b64 vcc, s[6:7]
	v_min3_f32 v57, v58, v59, v126
	v_pk_add_f32 v[58:59], v[8:9], v[48:49]
	s_nop 0
	v_min3_f32 v60, v58, v59, v125
	v_pk_add_f32 v[58:59], v[14:15], v[50:51]
	s_nop 0
	v_min_f32_e32 v61, v58, v59
	v_pk_add_f32 v[58:59], v[10:11], v[50:51]
	s_nop 0
	v_min3_f32 v58, v58, v59, v60
	v_min3_f32 v59, v56, v61, v57
	v_lshl_add_u64 v[56:57], v[70:71], 2, v[52:53]
	global_store_dword v[56:57], v59, off
	v_max_f32_e32 v56, v58, v58
	s_cbranch_vccz .LBB54_119
; %bb.117:
	v_min_f32_e32 v57, 0, v56
	v_lshl_add_u64 v[58:59], v[84:85], 2, v[52:53]
	s_mov_b32 s10, 0
	global_store_dword v[58:59], v57, off
	s_cbranch_execz .LBB54_120
; %bb.118:
	v_mov_b32_e32 v54, s10
	s_branch .LBB54_121
.LBB54_119:
                                        ; implicit-def: $sgpr10
.LBB54_120:
	v_lshl_add_u64 v[58:59], v[54:55], 0, v[86:87]
	flat_load_dword v57, v[58:59]
	v_lshl_add_u64 v[58:59], v[52:53], 0, v[86:87]
	v_lshl_add_u64 v[54:55], v[76:77], 2, v[54:55]
	s_waitcnt vmcnt(0) lgkmcnt(0)
	v_mul_f32_e32 v57, s17, v57
	v_min_f32_e32 v56, v57, v56
	global_store_dword v[58:59], v56, off
	flat_load_dword v54, v[54:55]
	s_waitcnt vmcnt(0) lgkmcnt(0)
	v_mul_f32_e32 v54, s17, v54
.LBB54_121:
	v_pk_add_f32 v[48:49], v[0:1], v[48:49]
	s_mov_b64 vcc, s[6:7]
	v_min3_f32 v55, v48, v49, v124
	s_waitcnt lgkmcnt(3)
	v_pk_add_f32 v[48:49], v[32:33], v[44:45]
	s_nop 0
	v_min3_f32 v56, v48, v49, v123
	v_pk_add_f32 v[48:49], v[2:3], v[50:51]
	s_nop 0
	v_min_f32_e32 v50, v48, v49
	v_pk_add_f32 v[48:49], v[34:35], v[46:47]
	v_min3_f32 v50, v54, v50, v55
	v_min3_f32 v56, v48, v49, v56
	v_lshl_add_u64 v[48:49], v[76:77], 2, v[52:53]
	global_store_dword v[48:49], v50, off
	v_add_u32_e32 v50, 32, v141
	v_mad_i64_i32 v[48:49], s[2:3], v50, s5, 0
	v_lshl_add_u64 v[48:49], v[48:49], 2, s[0:1]
	v_mad_i64_i32 v[50:51], s[2:3], v50, s4, 0
	v_max_f32_e32 v52, v56, v56
	s_cbranch_vccz .LBB54_124
; %bb.122:
	v_min_f32_e32 v53, 0, v52
	v_lshl_add_u64 v[54:55], v[68:69], 2, v[48:49]
	s_mov_b32 s10, 0
	global_store_dword v[54:55], v53, off
	v_lshl_add_u64 v[50:51], v[50:51], 2, s[8:9]
	s_cbranch_execz .LBB54_125
; %bb.123:
	v_mov_b32_e32 v52, s10
	s_branch .LBB54_126
.LBB54_124:
                                        ; implicit-def: $sgpr10
	v_lshl_add_u64 v[50:51], v[50:51], 2, s[8:9]
.LBB54_125:
	v_lshl_add_u64 v[54:55], v[50:51], 0, v[72:73]
	flat_load_dword v53, v[54:55]
	v_lshl_add_u64 v[54:55], v[48:49], 0, v[72:73]
	s_waitcnt vmcnt(0) lgkmcnt(0)
	v_mul_f32_e32 v53, s17, v53
	v_min_f32_e32 v52, v53, v52
	global_store_dword v[54:55], v52, off
	v_lshl_add_u64 v[52:53], v[64:65], 2, v[50:51]
	flat_load_dword v52, v[52:53]
	s_waitcnt vmcnt(0) lgkmcnt(0)
	v_mul_f32_e32 v52, s17, v52
.LBB54_126:
	v_pk_add_f32 v[54:55], v[28:29], v[44:45]
	s_mov_b64 vcc, s[6:7]
	v_min3_f32 v53, v54, v55, v122
	v_pk_add_f32 v[54:55], v[24:25], v[44:45]
	s_nop 0
	v_min3_f32 v56, v54, v55, v121
	v_pk_add_f32 v[54:55], v[30:31], v[46:47]
	s_nop 0
	v_min_f32_e32 v57, v54, v55
	v_pk_add_f32 v[54:55], v[26:27], v[46:47]
	s_nop 0
	v_min3_f32 v54, v54, v55, v56
	v_min3_f32 v55, v52, v57, v53
	v_lshl_add_u64 v[52:53], v[64:65], 2, v[48:49]
	global_store_dword v[52:53], v55, off
	v_max_f32_e32 v52, v54, v54
	s_cbranch_vccz .LBB54_129
; %bb.127:
	v_min_f32_e32 v53, 0, v52
	v_lshl_add_u64 v[54:55], v[74:75], 2, v[48:49]
	s_mov_b32 s10, 0
	global_store_dword v[54:55], v53, off
	s_cbranch_execz .LBB54_130
; %bb.128:
	v_mov_b32_e32 v52, s10
	s_branch .LBB54_131
.LBB54_129:
                                        ; implicit-def: $sgpr10
.LBB54_130:
	v_lshl_add_u64 v[54:55], v[50:51], 0, v[78:79]
	flat_load_dword v53, v[54:55]
	v_lshl_add_u64 v[54:55], v[48:49], 0, v[78:79]
	s_waitcnt vmcnt(0) lgkmcnt(0)
	v_mul_f32_e32 v53, s17, v53
	v_min_f32_e32 v52, v53, v52
	global_store_dword v[54:55], v52, off
	v_lshl_add_u64 v[52:53], v[66:67], 2, v[50:51]
	flat_load_dword v52, v[52:53]
	s_waitcnt vmcnt(0) lgkmcnt(0)
	v_mul_f32_e32 v52, s17, v52
.LBB54_131:
	v_pk_add_f32 v[54:55], v[20:21], v[44:45]
	s_mov_b64 vcc, s[6:7]
	v_min3_f32 v53, v54, v55, v120
	v_pk_add_f32 v[54:55], v[16:17], v[44:45]
	s_nop 0
	v_min3_f32 v56, v54, v55, v119
	v_pk_add_f32 v[54:55], v[22:23], v[46:47]
	s_nop 0
	v_min_f32_e32 v57, v54, v55
	v_pk_add_f32 v[54:55], v[18:19], v[46:47]
	s_nop 0
	v_min3_f32 v54, v54, v55, v56
	v_min3_f32 v55, v52, v57, v53
	v_lshl_add_u64 v[52:53], v[66:67], 2, v[48:49]
	global_store_dword v[52:53], v55, off
	v_max_f32_e32 v52, v54, v54
	s_cbranch_vccz .LBB54_134
; %bb.132:
	v_min_f32_e32 v53, 0, v52
	v_lshl_add_u64 v[54:55], v[80:81], 2, v[48:49]
	s_mov_b32 s10, 0
	global_store_dword v[54:55], v53, off
	s_cbranch_execz .LBB54_135
; %bb.133:
	v_mov_b32_e32 v52, s10
	s_branch .LBB54_136
.LBB54_134:
                                        ; implicit-def: $sgpr10
.LBB54_135:
	v_lshl_add_u64 v[54:55], v[50:51], 0, v[82:83]
	flat_load_dword v53, v[54:55]
	v_lshl_add_u64 v[54:55], v[48:49], 0, v[82:83]
	s_waitcnt vmcnt(0) lgkmcnt(0)
	v_mul_f32_e32 v53, s17, v53
	v_min_f32_e32 v52, v53, v52
	global_store_dword v[54:55], v52, off
	v_lshl_add_u64 v[52:53], v[70:71], 2, v[50:51]
	flat_load_dword v52, v[52:53]
	s_waitcnt vmcnt(0) lgkmcnt(0)
	v_mul_f32_e32 v52, s17, v52
.LBB54_136:
	v_pk_add_f32 v[54:55], v[12:13], v[44:45]
	s_mov_b64 vcc, s[6:7]
	v_min3_f32 v53, v54, v55, v118
	v_pk_add_f32 v[54:55], v[8:9], v[44:45]
	s_nop 0
	v_min3_f32 v56, v54, v55, v117
	v_pk_add_f32 v[54:55], v[14:15], v[46:47]
	s_nop 0
	v_min_f32_e32 v57, v54, v55
	v_pk_add_f32 v[54:55], v[10:11], v[46:47]
	s_nop 0
	v_min3_f32 v54, v54, v55, v56
	v_min3_f32 v55, v52, v57, v53
	v_lshl_add_u64 v[52:53], v[70:71], 2, v[48:49]
	global_store_dword v[52:53], v55, off
	v_max_f32_e32 v52, v54, v54
	s_cbranch_vccz .LBB54_139
; %bb.137:
	v_min_f32_e32 v53, 0, v52
	v_lshl_add_u64 v[54:55], v[84:85], 2, v[48:49]
	s_mov_b32 s10, 0
	global_store_dword v[54:55], v53, off
	s_cbranch_execz .LBB54_140
; %bb.138:
	v_mov_b32_e32 v50, s10
	s_branch .LBB54_141
.LBB54_139:
                                        ; implicit-def: $sgpr10
.LBB54_140:
	v_lshl_add_u64 v[54:55], v[50:51], 0, v[86:87]
	flat_load_dword v53, v[54:55]
	v_lshl_add_u64 v[54:55], v[48:49], 0, v[86:87]
	v_lshl_add_u64 v[50:51], v[76:77], 2, v[50:51]
	s_waitcnt vmcnt(0) lgkmcnt(0)
	v_mul_f32_e32 v53, s17, v53
	v_min_f32_e32 v52, v53, v52
	global_store_dword v[54:55], v52, off
	flat_load_dword v50, v[50:51]
	s_waitcnt vmcnt(0) lgkmcnt(0)
	v_mul_f32_e32 v50, s17, v50
.LBB54_141:
	v_pk_add_f32 v[44:45], v[0:1], v[44:45]
	s_mov_b64 vcc, s[6:7]
	v_min3_f32 v51, v44, v45, v115
	s_waitcnt lgkmcnt(2)
	v_pk_add_f32 v[44:45], v[32:33], v[40:41]
	s_nop 0
	v_min3_f32 v52, v44, v45, v116
	v_pk_add_f32 v[44:45], v[2:3], v[46:47]
	s_nop 0
	v_min_f32_e32 v46, v44, v45
	v_pk_add_f32 v[44:45], v[34:35], v[42:43]
	v_min3_f32 v46, v50, v46, v51
	v_min3_f32 v52, v44, v45, v52
	v_lshl_add_u64 v[44:45], v[76:77], 2, v[48:49]
	global_store_dword v[44:45], v46, off
	v_add_u32_e32 v46, 40, v141
	v_mad_i64_i32 v[44:45], s[2:3], v46, s5, 0
	v_lshl_add_u64 v[44:45], v[44:45], 2, s[0:1]
	v_mad_i64_i32 v[46:47], s[2:3], v46, s4, 0
	v_max_f32_e32 v48, v52, v52
	s_cbranch_vccz .LBB54_144
; %bb.142:
	v_min_f32_e32 v49, 0, v48
	v_lshl_add_u64 v[50:51], v[68:69], 2, v[44:45]
	s_mov_b32 s10, 0
	global_store_dword v[50:51], v49, off
	v_lshl_add_u64 v[46:47], v[46:47], 2, s[8:9]
	s_cbranch_execz .LBB54_145
; %bb.143:
	v_mov_b32_e32 v48, s10
	s_branch .LBB54_146
.LBB54_144:
                                        ; implicit-def: $sgpr10
	v_lshl_add_u64 v[46:47], v[46:47], 2, s[8:9]
.LBB54_145:
	v_lshl_add_u64 v[50:51], v[46:47], 0, v[72:73]
	flat_load_dword v49, v[50:51]
	v_lshl_add_u64 v[50:51], v[44:45], 0, v[72:73]
	s_waitcnt vmcnt(0) lgkmcnt(0)
	v_mul_f32_e32 v49, s17, v49
	v_min_f32_e32 v48, v49, v48
	global_store_dword v[50:51], v48, off
	v_lshl_add_u64 v[48:49], v[64:65], 2, v[46:47]
	flat_load_dword v48, v[48:49]
	s_waitcnt vmcnt(0) lgkmcnt(0)
	v_mul_f32_e32 v48, s17, v48
.LBB54_146:
	v_pk_add_f32 v[50:51], v[28:29], v[40:41]
	s_mov_b64 vcc, s[6:7]
	v_min3_f32 v49, v50, v51, v113
	v_pk_add_f32 v[50:51], v[24:25], v[40:41]
	s_nop 0
	v_min3_f32 v52, v50, v51, v114
	v_pk_add_f32 v[50:51], v[30:31], v[42:43]
	s_nop 0
	v_min_f32_e32 v53, v50, v51
	v_pk_add_f32 v[50:51], v[26:27], v[42:43]
	s_nop 0
	v_min3_f32 v50, v50, v51, v52
	v_min3_f32 v51, v48, v53, v49
	v_lshl_add_u64 v[48:49], v[64:65], 2, v[44:45]
	global_store_dword v[48:49], v51, off
	v_max_f32_e32 v48, v50, v50
	s_cbranch_vccz .LBB54_149
; %bb.147:
	v_min_f32_e32 v49, 0, v48
	v_lshl_add_u64 v[50:51], v[74:75], 2, v[44:45]
	s_mov_b32 s10, 0
	global_store_dword v[50:51], v49, off
	s_cbranch_execz .LBB54_150
; %bb.148:
	v_mov_b32_e32 v48, s10
	s_branch .LBB54_151
.LBB54_149:
                                        ; implicit-def: $sgpr10
.LBB54_150:
	v_lshl_add_u64 v[50:51], v[46:47], 0, v[78:79]
	flat_load_dword v49, v[50:51]
	v_lshl_add_u64 v[50:51], v[44:45], 0, v[78:79]
	s_waitcnt vmcnt(0) lgkmcnt(0)
	v_mul_f32_e32 v49, s17, v49
	v_min_f32_e32 v48, v49, v48
	global_store_dword v[50:51], v48, off
	v_lshl_add_u64 v[48:49], v[66:67], 2, v[46:47]
	flat_load_dword v48, v[48:49]
	s_waitcnt vmcnt(0) lgkmcnt(0)
	v_mul_f32_e32 v48, s17, v48
.LBB54_151:
	v_pk_add_f32 v[50:51], v[20:21], v[40:41]
	s_mov_b64 vcc, s[6:7]
	v_min3_f32 v49, v50, v51, v111
	v_pk_add_f32 v[50:51], v[16:17], v[40:41]
	s_nop 0
	v_min3_f32 v52, v50, v51, v112
	v_pk_add_f32 v[50:51], v[22:23], v[42:43]
	s_nop 0
	v_min_f32_e32 v53, v50, v51
	v_pk_add_f32 v[50:51], v[18:19], v[42:43]
	s_nop 0
	v_min3_f32 v50, v50, v51, v52
	v_min3_f32 v51, v48, v53, v49
	v_lshl_add_u64 v[48:49], v[66:67], 2, v[44:45]
	global_store_dword v[48:49], v51, off
	v_max_f32_e32 v48, v50, v50
	s_cbranch_vccz .LBB54_154
; %bb.152:
	v_min_f32_e32 v49, 0, v48
	v_lshl_add_u64 v[50:51], v[80:81], 2, v[44:45]
	s_mov_b32 s10, 0
	global_store_dword v[50:51], v49, off
	s_cbranch_execz .LBB54_155
; %bb.153:
	v_mov_b32_e32 v48, s10
	s_branch .LBB54_156
.LBB54_154:
                                        ; implicit-def: $sgpr10
.LBB54_155:
	v_lshl_add_u64 v[50:51], v[46:47], 0, v[82:83]
	flat_load_dword v49, v[50:51]
	v_lshl_add_u64 v[50:51], v[44:45], 0, v[82:83]
	s_waitcnt vmcnt(0) lgkmcnt(0)
	v_mul_f32_e32 v49, s17, v49
	v_min_f32_e32 v48, v49, v48
	global_store_dword v[50:51], v48, off
	v_lshl_add_u64 v[48:49], v[70:71], 2, v[46:47]
	flat_load_dword v48, v[48:49]
	s_waitcnt vmcnt(0) lgkmcnt(0)
	v_mul_f32_e32 v48, s17, v48
.LBB54_156:
	v_pk_add_f32 v[50:51], v[12:13], v[40:41]
	s_mov_b64 vcc, s[6:7]
	v_min3_f32 v49, v50, v51, v109
	v_pk_add_f32 v[50:51], v[8:9], v[40:41]
	s_nop 0
	v_min3_f32 v52, v50, v51, v110
	v_pk_add_f32 v[50:51], v[14:15], v[42:43]
	s_nop 0
	v_min_f32_e32 v53, v50, v51
	v_pk_add_f32 v[50:51], v[10:11], v[42:43]
	s_nop 0
	v_min3_f32 v50, v50, v51, v52
	v_min3_f32 v51, v48, v53, v49
	v_lshl_add_u64 v[48:49], v[70:71], 2, v[44:45]
	global_store_dword v[48:49], v51, off
	v_max_f32_e32 v48, v50, v50
	s_cbranch_vccz .LBB54_159
; %bb.157:
	v_min_f32_e32 v49, 0, v48
	v_lshl_add_u64 v[50:51], v[84:85], 2, v[44:45]
	s_mov_b32 s10, 0
	global_store_dword v[50:51], v49, off
	s_cbranch_execz .LBB54_160
; %bb.158:
	v_mov_b32_e32 v46, s10
	s_branch .LBB54_161
.LBB54_159:
                                        ; implicit-def: $sgpr10
.LBB54_160:
	v_lshl_add_u64 v[50:51], v[46:47], 0, v[86:87]
	flat_load_dword v49, v[50:51]
	v_lshl_add_u64 v[50:51], v[44:45], 0, v[86:87]
	v_lshl_add_u64 v[46:47], v[76:77], 2, v[46:47]
	s_waitcnt vmcnt(0) lgkmcnt(0)
	v_mul_f32_e32 v49, s17, v49
	v_min_f32_e32 v48, v49, v48
	global_store_dword v[50:51], v48, off
	flat_load_dword v46, v[46:47]
	s_waitcnt vmcnt(0) lgkmcnt(0)
	v_mul_f32_e32 v46, s17, v46
.LBB54_161:
	v_pk_add_f32 v[40:41], v[0:1], v[40:41]
	s_mov_b64 vcc, s[6:7]
	v_min3_f32 v47, v40, v41, v107
	s_waitcnt lgkmcnt(1)
	v_pk_add_f32 v[40:41], v[32:33], v[36:37]
	s_nop 0
	v_min3_f32 v48, v40, v41, v108
	v_pk_add_f32 v[40:41], v[2:3], v[42:43]
	s_nop 0
	v_min_f32_e32 v42, v40, v41
	v_pk_add_f32 v[40:41], v[34:35], v[38:39]
	v_min3_f32 v42, v46, v42, v47
	v_min3_f32 v48, v40, v41, v48
	v_lshl_add_u64 v[40:41], v[76:77], 2, v[44:45]
	global_store_dword v[40:41], v42, off
	v_add_u32_e32 v42, 48, v141
	v_mad_i64_i32 v[40:41], s[2:3], v42, s5, 0
	v_lshl_add_u64 v[40:41], v[40:41], 2, s[0:1]
	v_mad_i64_i32 v[42:43], s[2:3], v42, s4, 0
	v_max_f32_e32 v44, v48, v48
	s_cbranch_vccz .LBB54_164
; %bb.162:
	v_min_f32_e32 v45, 0, v44
	v_lshl_add_u64 v[46:47], v[68:69], 2, v[40:41]
	s_mov_b32 s10, 0
	global_store_dword v[46:47], v45, off
	v_lshl_add_u64 v[42:43], v[42:43], 2, s[8:9]
	s_cbranch_execz .LBB54_165
; %bb.163:
	v_mov_b32_e32 v44, s10
	s_branch .LBB54_166
.LBB54_164:
                                        ; implicit-def: $sgpr10
	v_lshl_add_u64 v[42:43], v[42:43], 2, s[8:9]
.LBB54_165:
	v_lshl_add_u64 v[46:47], v[42:43], 0, v[72:73]
	flat_load_dword v45, v[46:47]
	v_lshl_add_u64 v[46:47], v[40:41], 0, v[72:73]
	s_waitcnt vmcnt(0) lgkmcnt(0)
	v_mul_f32_e32 v45, s17, v45
	v_min_f32_e32 v44, v45, v44
	global_store_dword v[46:47], v44, off
	v_lshl_add_u64 v[44:45], v[64:65], 2, v[42:43]
	flat_load_dword v44, v[44:45]
	s_waitcnt vmcnt(0) lgkmcnt(0)
	v_mul_f32_e32 v44, s17, v44
.LBB54_166:
	v_pk_add_f32 v[46:47], v[28:29], v[36:37]
	s_mov_b64 vcc, s[6:7]
	v_min3_f32 v45, v46, v47, v105
	v_pk_add_f32 v[46:47], v[24:25], v[36:37]
	s_nop 0
	v_min3_f32 v48, v46, v47, v106
	v_pk_add_f32 v[46:47], v[30:31], v[38:39]
	s_nop 0
	v_min_f32_e32 v49, v46, v47
	v_pk_add_f32 v[46:47], v[26:27], v[38:39]
	s_nop 0
	v_min3_f32 v46, v46, v47, v48
	v_min3_f32 v47, v44, v49, v45
	v_lshl_add_u64 v[44:45], v[64:65], 2, v[40:41]
	global_store_dword v[44:45], v47, off
	v_max_f32_e32 v44, v46, v46
	s_cbranch_vccz .LBB54_169
; %bb.167:
	v_min_f32_e32 v45, 0, v44
	v_lshl_add_u64 v[46:47], v[74:75], 2, v[40:41]
	s_mov_b32 s10, 0
	global_store_dword v[46:47], v45, off
	s_cbranch_execz .LBB54_170
; %bb.168:
	v_mov_b32_e32 v44, s10
	s_branch .LBB54_171
.LBB54_169:
                                        ; implicit-def: $sgpr10
.LBB54_170:
	v_lshl_add_u64 v[46:47], v[42:43], 0, v[78:79]
	flat_load_dword v45, v[46:47]
	v_lshl_add_u64 v[46:47], v[40:41], 0, v[78:79]
	s_waitcnt vmcnt(0) lgkmcnt(0)
	v_mul_f32_e32 v45, s17, v45
	v_min_f32_e32 v44, v45, v44
	global_store_dword v[46:47], v44, off
	v_lshl_add_u64 v[44:45], v[66:67], 2, v[42:43]
	flat_load_dword v44, v[44:45]
	s_waitcnt vmcnt(0) lgkmcnt(0)
	v_mul_f32_e32 v44, s17, v44
.LBB54_171:
	v_pk_add_f32 v[46:47], v[20:21], v[36:37]
	s_mov_b64 vcc, s[6:7]
	v_min3_f32 v45, v46, v47, v103
	v_pk_add_f32 v[46:47], v[16:17], v[36:37]
	s_nop 0
	v_min3_f32 v48, v46, v47, v104
	v_pk_add_f32 v[46:47], v[22:23], v[38:39]
	s_nop 0
	v_min_f32_e32 v49, v46, v47
	v_pk_add_f32 v[46:47], v[18:19], v[38:39]
	s_nop 0
	v_min3_f32 v46, v46, v47, v48
	v_min3_f32 v47, v44, v49, v45
	v_lshl_add_u64 v[44:45], v[66:67], 2, v[40:41]
	global_store_dword v[44:45], v47, off
	v_max_f32_e32 v44, v46, v46
	s_cbranch_vccz .LBB54_174
; %bb.172:
	v_min_f32_e32 v45, 0, v44
	v_lshl_add_u64 v[46:47], v[80:81], 2, v[40:41]
	s_mov_b32 s10, 0
	global_store_dword v[46:47], v45, off
	s_cbranch_execz .LBB54_175
; %bb.173:
	v_mov_b32_e32 v44, s10
	s_branch .LBB54_176
.LBB54_174:
                                        ; implicit-def: $sgpr10
.LBB54_175:
	v_lshl_add_u64 v[46:47], v[42:43], 0, v[82:83]
	flat_load_dword v45, v[46:47]
	v_lshl_add_u64 v[46:47], v[40:41], 0, v[82:83]
	s_waitcnt vmcnt(0) lgkmcnt(0)
	v_mul_f32_e32 v45, s17, v45
	v_min_f32_e32 v44, v45, v44
	global_store_dword v[46:47], v44, off
	v_lshl_add_u64 v[44:45], v[70:71], 2, v[42:43]
	flat_load_dword v44, v[44:45]
	s_waitcnt vmcnt(0) lgkmcnt(0)
	v_mul_f32_e32 v44, s17, v44
.LBB54_176:
	v_pk_add_f32 v[46:47], v[12:13], v[36:37]
	s_mov_b64 vcc, s[6:7]
	v_min3_f32 v45, v46, v47, v101
	v_pk_add_f32 v[46:47], v[8:9], v[36:37]
	s_nop 0
	v_min3_f32 v48, v46, v47, v102
	v_pk_add_f32 v[46:47], v[14:15], v[38:39]
	s_nop 0
	v_min_f32_e32 v49, v46, v47
	v_pk_add_f32 v[46:47], v[10:11], v[38:39]
	s_nop 0
	v_min3_f32 v46, v46, v47, v48
	v_min3_f32 v47, v44, v49, v45
	v_lshl_add_u64 v[44:45], v[70:71], 2, v[40:41]
	global_store_dword v[44:45], v47, off
	v_max_f32_e32 v44, v46, v46
	s_cbranch_vccz .LBB54_179
; %bb.177:
	v_min_f32_e32 v45, 0, v44
	v_lshl_add_u64 v[46:47], v[84:85], 2, v[40:41]
	s_mov_b32 s10, 0
	global_store_dword v[46:47], v45, off
	s_cbranch_execz .LBB54_180
; %bb.178:
	v_mov_b32_e32 v42, s10
	s_branch .LBB54_181
.LBB54_179:
                                        ; implicit-def: $sgpr10
.LBB54_180:
	v_lshl_add_u64 v[46:47], v[42:43], 0, v[86:87]
	flat_load_dword v45, v[46:47]
	v_lshl_add_u64 v[46:47], v[40:41], 0, v[86:87]
	v_lshl_add_u64 v[42:43], v[76:77], 2, v[42:43]
	s_waitcnt vmcnt(0) lgkmcnt(0)
	v_mul_f32_e32 v45, s17, v45
	v_min_f32_e32 v44, v45, v44
	global_store_dword v[46:47], v44, off
	flat_load_dword v42, v[42:43]
	s_waitcnt vmcnt(0) lgkmcnt(0)
	v_mul_f32_e32 v42, s17, v42
.LBB54_181:
	v_pk_add_f32 v[36:37], v[0:1], v[36:37]
	s_waitcnt lgkmcnt(0)
	v_pk_add_f32 v[32:33], v[32:33], v[4:5]
	v_min3_f32 v36, v36, v37, v99
	v_min3_f32 v37, v32, v33, v100
	v_pk_add_f32 v[32:33], v[2:3], v[38:39]
	s_mov_b64 vcc, s[6:7]
	v_min_f32_e32 v38, v32, v33
	v_pk_add_f32 v[32:33], v[34:35], v[6:7]
	v_min3_f32 v34, v42, v38, v36
	v_min3_f32 v37, v32, v33, v37
	v_lshl_add_u64 v[32:33], v[76:77], 2, v[40:41]
	global_store_dword v[32:33], v34, off
	v_add_u32_e32 v34, 56, v141
	v_mad_i64_i32 v[32:33], s[2:3], v34, s5, 0
	v_lshl_add_u64 v[32:33], v[32:33], 2, s[0:1]
	v_mad_i64_i32 v[34:35], s[0:1], v34, s4, 0
	v_max_f32_e32 v36, v37, v37
	s_cbranch_vccz .LBB54_184
; %bb.182:
	v_min_f32_e32 v37, 0, v36
	v_lshl_add_u64 v[38:39], v[68:69], 2, v[32:33]
	s_mov_b32 s2, 0
	global_store_dword v[38:39], v37, off
	v_lshl_add_u64 v[34:35], v[34:35], 2, s[8:9]
	s_cbranch_execz .LBB54_185
; %bb.183:
	v_mov_b32_e32 v36, s2
	s_branch .LBB54_186
.LBB54_184:
                                        ; implicit-def: $sgpr2
	v_lshl_add_u64 v[34:35], v[34:35], 2, s[8:9]
.LBB54_185:
	v_lshl_add_u64 v[38:39], v[34:35], 0, v[72:73]
	flat_load_dword v37, v[38:39]
	v_lshl_add_u64 v[38:39], v[32:33], 0, v[72:73]
	s_waitcnt vmcnt(0) lgkmcnt(0)
	v_mul_f32_e32 v37, s17, v37
	v_min_f32_e32 v36, v37, v36
	global_store_dword v[38:39], v36, off
	v_lshl_add_u64 v[36:37], v[64:65], 2, v[34:35]
	flat_load_dword v36, v[36:37]
	s_waitcnt vmcnt(0) lgkmcnt(0)
	v_mul_f32_e32 v36, s17, v36
.LBB54_186:
	v_pk_add_f32 v[28:29], v[28:29], v[4:5]
	v_pk_add_f32 v[24:25], v[24:25], v[4:5]
	v_min3_f32 v28, v28, v29, v97
	v_min3_f32 v29, v24, v25, v98
	v_pk_add_f32 v[24:25], v[30:31], v[6:7]
	s_mov_b64 vcc, s[6:7]
	v_min_f32_e32 v30, v24, v25
	v_pk_add_f32 v[24:25], v[26:27], v[6:7]
	v_min3_f32 v27, v36, v30, v28
	v_min3_f32 v26, v24, v25, v29
	v_lshl_add_u64 v[24:25], v[64:65], 2, v[32:33]
	global_store_dword v[24:25], v27, off
	v_max_f32_e32 v24, v26, v26
	s_cbranch_vccz .LBB54_189
; %bb.187:
	v_min_f32_e32 v25, 0, v24
	v_lshl_add_u64 v[26:27], v[74:75], 2, v[32:33]
	s_mov_b32 s2, 0
	global_store_dword v[26:27], v25, off
	s_cbranch_execz .LBB54_190
; %bb.188:
	v_mov_b32_e32 v24, s2
	s_branch .LBB54_191
.LBB54_189:
                                        ; implicit-def: $sgpr2
.LBB54_190:
	v_lshl_add_u64 v[26:27], v[34:35], 0, v[78:79]
	flat_load_dword v25, v[26:27]
	v_lshl_add_u64 v[26:27], v[32:33], 0, v[78:79]
	s_waitcnt vmcnt(0) lgkmcnt(0)
	v_mul_f32_e32 v25, s17, v25
	v_min_f32_e32 v24, v25, v24
	global_store_dword v[26:27], v24, off
	v_lshl_add_u64 v[24:25], v[66:67], 2, v[34:35]
	flat_load_dword v24, v[24:25]
	s_waitcnt vmcnt(0) lgkmcnt(0)
	v_mul_f32_e32 v24, s17, v24
.LBB54_191:
	v_pk_add_f32 v[20:21], v[20:21], v[4:5]
	v_pk_add_f32 v[16:17], v[16:17], v[4:5]
	v_min3_f32 v20, v20, v21, v94
	v_min3_f32 v21, v16, v17, v95
	v_pk_add_f32 v[16:17], v[22:23], v[6:7]
	s_mov_b64 vcc, s[6:7]
	v_min_f32_e32 v22, v16, v17
	v_pk_add_f32 v[16:17], v[18:19], v[6:7]
	v_min3_f32 v19, v24, v22, v20
	v_min3_f32 v18, v16, v17, v21
	v_lshl_add_u64 v[16:17], v[66:67], 2, v[32:33]
	global_store_dword v[16:17], v19, off
	v_max_f32_e32 v16, v18, v18
	s_cbranch_vccz .LBB54_194
; %bb.192:
	v_min_f32_e32 v17, 0, v16
	v_lshl_add_u64 v[18:19], v[80:81], 2, v[32:33]
	s_mov_b32 s2, 0
	global_store_dword v[18:19], v17, off
	s_cbranch_execz .LBB54_195
; %bb.193:
	v_mov_b32_e32 v16, s2
	s_branch .LBB54_196
.LBB54_194:
                                        ; implicit-def: $sgpr2
.LBB54_195:
	v_lshl_add_u64 v[18:19], v[34:35], 0, v[82:83]
	flat_load_dword v17, v[18:19]
	v_lshl_add_u64 v[18:19], v[32:33], 0, v[82:83]
	s_waitcnt vmcnt(0) lgkmcnt(0)
	v_mul_f32_e32 v17, s17, v17
	v_min_f32_e32 v16, v17, v16
	global_store_dword v[18:19], v16, off
	v_lshl_add_u64 v[16:17], v[70:71], 2, v[34:35]
	flat_load_dword v16, v[16:17]
	s_waitcnt vmcnt(0) lgkmcnt(0)
	v_mul_f32_e32 v16, s17, v16
.LBB54_196:
	;; [unrolled: 38-line block ×3, first 2 shown]
	v_pk_add_f32 v[2:3], v[2:3], v[6:7]
	v_pk_add_f32 v[0:1], v[0:1], v[4:5]
	v_min_f32_e32 v2, v2, v3
	v_min3_f32 v0, v0, v1, v96
	v_min3_f32 v2, v8, v2, v0
	v_lshl_add_u64 v[0:1], v[76:77], 2, v[32:33]
	global_store_dword v[0:1], v2, off
	s_endpgm
	.section	.rodata,"a",@progbits
	.p2align	6, 0x0
	.amdhsa_kernel _ZN12_GLOBAL__N_120geam_min_plus_kernelIf15HIP_vector_typeIfLj2EEfLi32ELi8ELi256ELi64ELi4ELi64ELi4ELi4ELi64ELc78ELc78ELb0ELb0ELb1EPKfS3_fEEviiiT16_PT17_ilS7_ilS5_S7_ilPT18_ili26rocblas_geam_ex_operation_
		.amdhsa_group_segment_fixed_size 10240
		.amdhsa_private_segment_fixed_size 0
		.amdhsa_kernarg_size 136
		.amdhsa_user_sgpr_count 2
		.amdhsa_user_sgpr_dispatch_ptr 0
		.amdhsa_user_sgpr_queue_ptr 0
		.amdhsa_user_sgpr_kernarg_segment_ptr 1
		.amdhsa_user_sgpr_dispatch_id 0
		.amdhsa_user_sgpr_kernarg_preload_length 0
		.amdhsa_user_sgpr_kernarg_preload_offset 0
		.amdhsa_user_sgpr_private_segment_size 0
		.amdhsa_uses_dynamic_stack 0
		.amdhsa_enable_private_segment 0
		.amdhsa_system_sgpr_workgroup_id_x 1
		.amdhsa_system_sgpr_workgroup_id_y 0
		.amdhsa_system_sgpr_workgroup_id_z 1
		.amdhsa_system_sgpr_workgroup_info 0
		.amdhsa_system_vgpr_workitem_id 1
		.amdhsa_next_free_vgpr 172
		.amdhsa_next_free_sgpr 28
		.amdhsa_accum_offset 172
		.amdhsa_reserve_vcc 1
		.amdhsa_float_round_mode_32 0
		.amdhsa_float_round_mode_16_64 0
		.amdhsa_float_denorm_mode_32 3
		.amdhsa_float_denorm_mode_16_64 3
		.amdhsa_dx10_clamp 1
		.amdhsa_ieee_mode 1
		.amdhsa_fp16_overflow 0
		.amdhsa_tg_split 0
		.amdhsa_exception_fp_ieee_invalid_op 0
		.amdhsa_exception_fp_denorm_src 0
		.amdhsa_exception_fp_ieee_div_zero 0
		.amdhsa_exception_fp_ieee_overflow 0
		.amdhsa_exception_fp_ieee_underflow 0
		.amdhsa_exception_fp_ieee_inexact 0
		.amdhsa_exception_int_div_zero 0
	.end_amdhsa_kernel
	.section	.text._ZN12_GLOBAL__N_120geam_min_plus_kernelIf15HIP_vector_typeIfLj2EEfLi32ELi8ELi256ELi64ELi4ELi64ELi4ELi4ELi64ELc78ELc78ELb0ELb0ELb1EPKfS3_fEEviiiT16_PT17_ilS7_ilS5_S7_ilPT18_ili26rocblas_geam_ex_operation_,"axG",@progbits,_ZN12_GLOBAL__N_120geam_min_plus_kernelIf15HIP_vector_typeIfLj2EEfLi32ELi8ELi256ELi64ELi4ELi64ELi4ELi4ELi64ELc78ELc78ELb0ELb0ELb1EPKfS3_fEEviiiT16_PT17_ilS7_ilS5_S7_ilPT18_ili26rocblas_geam_ex_operation_,comdat
.Lfunc_end54:
	.size	_ZN12_GLOBAL__N_120geam_min_plus_kernelIf15HIP_vector_typeIfLj2EEfLi32ELi8ELi256ELi64ELi4ELi64ELi4ELi4ELi64ELc78ELc78ELb0ELb0ELb1EPKfS3_fEEviiiT16_PT17_ilS7_ilS5_S7_ilPT18_ili26rocblas_geam_ex_operation_, .Lfunc_end54-_ZN12_GLOBAL__N_120geam_min_plus_kernelIf15HIP_vector_typeIfLj2EEfLi32ELi8ELi256ELi64ELi4ELi64ELi4ELi4ELi64ELc78ELc78ELb0ELb0ELb1EPKfS3_fEEviiiT16_PT17_ilS7_ilS5_S7_ilPT18_ili26rocblas_geam_ex_operation_
                                        ; -- End function
	.section	.AMDGPU.csdata,"",@progbits
; Kernel info:
; codeLenInByte = 16528
; NumSgprs: 34
; NumVgprs: 172
; NumAgprs: 0
; TotalNumVgprs: 172
; ScratchSize: 0
; MemoryBound: 0
; FloatMode: 240
; IeeeMode: 1
; LDSByteSize: 10240 bytes/workgroup (compile time only)
; SGPRBlocks: 4
; VGPRBlocks: 21
; NumSGPRsForWavesPerEU: 34
; NumVGPRsForWavesPerEU: 172
; AccumOffset: 172
; Occupancy: 2
; WaveLimiterHint : 1
; COMPUTE_PGM_RSRC2:SCRATCH_EN: 0
; COMPUTE_PGM_RSRC2:USER_SGPR: 2
; COMPUTE_PGM_RSRC2:TRAP_HANDLER: 0
; COMPUTE_PGM_RSRC2:TGID_X_EN: 1
; COMPUTE_PGM_RSRC2:TGID_Y_EN: 0
; COMPUTE_PGM_RSRC2:TGID_Z_EN: 1
; COMPUTE_PGM_RSRC2:TIDIG_COMP_CNT: 1
; COMPUTE_PGM_RSRC3_GFX90A:ACCUM_OFFSET: 42
; COMPUTE_PGM_RSRC3_GFX90A:TG_SPLIT: 0
	.section	.text._ZN12_GLOBAL__N_120geam_min_plus_kernelIf15HIP_vector_typeIfLj2EEfLi32ELi8ELi256ELi64ELi4ELi64ELi4ELi4ELi64ELc78ELc78ELb1ELb0ELb1EfKffEEviiiT16_PT17_ilS6_ilS4_S6_ilPT18_ili26rocblas_geam_ex_operation_,"axG",@progbits,_ZN12_GLOBAL__N_120geam_min_plus_kernelIf15HIP_vector_typeIfLj2EEfLi32ELi8ELi256ELi64ELi4ELi64ELi4ELi4ELi64ELc78ELc78ELb1ELb0ELb1EfKffEEviiiT16_PT17_ilS6_ilS4_S6_ilPT18_ili26rocblas_geam_ex_operation_,comdat
	.globl	_ZN12_GLOBAL__N_120geam_min_plus_kernelIf15HIP_vector_typeIfLj2EEfLi32ELi8ELi256ELi64ELi4ELi64ELi4ELi4ELi64ELc78ELc78ELb1ELb0ELb1EfKffEEviiiT16_PT17_ilS6_ilS4_S6_ilPT18_ili26rocblas_geam_ex_operation_ ; -- Begin function _ZN12_GLOBAL__N_120geam_min_plus_kernelIf15HIP_vector_typeIfLj2EEfLi32ELi8ELi256ELi64ELi4ELi64ELi4ELi4ELi64ELc78ELc78ELb1ELb0ELb1EfKffEEviiiT16_PT17_ilS6_ilS4_S6_ilPT18_ili26rocblas_geam_ex_operation_
	.p2align	8
	.type	_ZN12_GLOBAL__N_120geam_min_plus_kernelIf15HIP_vector_typeIfLj2EEfLi32ELi8ELi256ELi64ELi4ELi64ELi4ELi4ELi64ELc78ELc78ELb1ELb0ELb1EfKffEEviiiT16_PT17_ilS6_ilS4_S6_ilPT18_ili26rocblas_geam_ex_operation_,@function
_ZN12_GLOBAL__N_120geam_min_plus_kernelIf15HIP_vector_typeIfLj2EEfLi32ELi8ELi256ELi64ELi4ELi64ELi4ELi4ELi64ELc78ELc78ELb1ELb0ELb1EfKffEEviiiT16_PT17_ilS6_ilS4_S6_ilPT18_ili26rocblas_geam_ex_operation_: ; @_ZN12_GLOBAL__N_120geam_min_plus_kernelIf15HIP_vector_typeIfLj2EEfLi32ELi8ELi256ELi64ELi4ELi64ELi4ELi4ELi64ELc78ELc78ELb1ELb0ELb1EfKffEEviiiT16_PT17_ilS6_ilS4_S6_ilPT18_ili26rocblas_geam_ex_operation_
; %bb.0:
	s_load_dwordx2 s[14:15], s[0:1], 0x8
	s_load_dwordx4 s[4:7], s[0:1], 0x20
	s_waitcnt lgkmcnt(0)
	v_cmp_eq_f32_e64 s[8:9], s15, 0
	s_and_b64 vcc, exec, s[8:9]
	s_cbranch_vccnz .LBB55_3
; %bb.1:
	s_load_dwordx2 s[10:11], s[0:1], 0x10
	s_mul_i32 s5, s3, s5
	s_mul_hi_u32 s12, s3, s4
	s_add_i32 s5, s12, s5
	s_mul_i32 s4, s3, s4
	s_lshl_b64 s[4:5], s[4:5], 2
	s_waitcnt lgkmcnt(0)
	s_add_u32 s16, s10, s4
	s_addc_u32 s17, s11, s5
	s_andn2_b64 vcc, exec, s[8:9]
	s_cbranch_vccnz .LBB55_4
.LBB55_2:
	s_mov_b32 s13, 0
	s_mov_b64 s[18:19], 0
	s_cbranch_execz .LBB55_5
	s_branch .LBB55_6
.LBB55_3:
	s_mov_b64 s[16:17], 0
	s_andn2_b64 vcc, exec, s[8:9]
	s_cbranch_vccz .LBB55_2
.LBB55_4:
                                        ; implicit-def: $sgpr18_sgpr19
                                        ; implicit-def: $sgpr12_sgpr13
.LBB55_5:
	s_load_dwordx2 s[4:5], s[0:1], 0x38
	s_mov_b32 s13, 0
	s_waitcnt lgkmcnt(0)
	s_mul_i32 s5, s3, s5
	s_mul_hi_u32 s8, s3, s4
	s_add_i32 s5, s8, s5
	s_mul_i32 s4, s3, s4
	s_lshl_b64 s[4:5], s[4:5], 2
	s_add_u32 s18, s6, s4
	s_addc_u32 s19, s7, s5
.LBB55_6:
	s_load_dword s12, s[0:1], 0x40
	s_load_dwordx4 s[8:11], s[0:1], 0x58
	s_waitcnt lgkmcnt(0)
	v_cmp_eq_f32_e64 s[4:5], s12, 0
	s_and_b64 s[4:5], exec, s[4:5]
	s_mov_b64 vcc, s[4:5]
	s_cbranch_vccnz .LBB55_8
; %bb.7:
	s_load_dwordx2 s[6:7], s[0:1], 0x48
	s_mul_i32 s9, s3, s9
	s_mul_hi_u32 s15, s3, s8
	s_add_i32 s9, s15, s9
	s_mul_i32 s15, s13, s8
	s_add_i32 s9, s9, s15
	s_mul_i32 s8, s3, s8
	s_lshl_b64 s[8:9], s[8:9], 2
	s_waitcnt lgkmcnt(0)
	s_add_u32 s6, s6, s8
	s_addc_u32 s7, s7, s9
	s_branch .LBB55_9
.LBB55_8:
	s_mov_b64 s[6:7], 0
.LBB55_9:
	s_load_dword s8, s[0:1], 0x0
	s_load_dword s20, s[0:1], 0x18
	;; [unrolled: 1-line block ×3, first 2 shown]
	v_and_b32_e32 v72, 0x3ff, v0
	v_bfe_u32 v73, v0, 10, 10
	s_waitcnt lgkmcnt(0)
	s_add_i32 s8, s8, -1
	s_ashr_i32 s9, s8, 31
	s_lshr_b32 s9, s9, 24
	s_add_i32 s8, s8, s9
	s_ashr_i32 s8, s8, 8
	s_add_i32 s9, s8, 1
	v_cvt_f32_u32_e32 v1, s9
	s_not_b32 s8, s8
	v_and_b32_e32 v6, 3, v72
	v_lshlrev_b32_e32 v60, 2, v6
	v_rcp_iflag_f32_e32 v0, v1
	v_lshl_add_u32 v1, v73, 5, v72
	v_lshrrev_b32_e32 v8, 2, v1
	v_and_b32_e32 v7, 63, v1
	v_mul_f32_e32 v0, 0x4f7ffffe, v0
	v_cvt_u32_f32_e32 v0, v0
	v_lshrrev_b32_e32 v62, 6, v1
	v_mov_b32_e32 v61, 0
	v_lshlrev_b32_e32 v75, 4, v72
	v_readfirstlane_b32 s15, v0
	s_mul_i32 s8, s8, s15
	s_mul_hi_u32 s8, s15, s8
	s_add_i32 s15, s15, s8
	s_mul_hi_u32 s8, s2, s15
	s_mul_i32 s15, s8, s9
	s_sub_i32 s15, s2, s15
	s_add_i32 s22, s8, 1
	s_sub_i32 s23, s15, s9
	s_cmp_ge_u32 s15, s9
	s_cselect_b32 s8, s22, s8
	s_cselect_b32 s15, s23, s15
	s_add_i32 s22, s8, 1
	s_cmp_ge_u32 s15, s9
	s_cselect_b32 s8, s22, s8
	s_mul_i32 s9, s8, s9
	s_lshl_b32 s15, s8, 6
	s_sub_i32 s2, s2, s9
	s_lshl_b32 s2, s2, 8
	v_add_u32_e32 v4, s15, v8
	v_or_b32_e32 v56, s2, v7
	v_mad_i64_i32 v[58:59], s[8:9], v4, s21, 0
	v_mad_i64_i32 v[0:1], s[8:9], s20, v62, 0
	v_ashrrev_i32_e32 v57, 31, v56
	v_lshl_add_u64 v[4:5], v[58:59], 2, s[18:19]
	v_lshl_add_u64 v[0:1], v[0:1], 2, s[16:17]
	v_lshlrev_b64 v[2:3], 2, v[56:57]
	v_lshl_add_u64 v[4:5], v[4:5], 0, v[60:61]
	v_lshl_add_u64 v[0:1], v[0:1], 0, v[2:3]
	flat_load_dword v6, v[4:5]
	flat_load_dword v9, v[0:1]
	flat_load_dword v10, v[0:1] offset:256
	flat_load_dword v11, v[0:1] offset:512
	;; [unrolled: 1-line block ×3, first 2 shown]
	v_add_u32_e32 v0, 4, v62
	v_lshlrev_b32_e32 v1, 2, v62
	v_lshl_add_u32 v76, v7, 4, v1
	v_mad_i64_i32 v[0:1], s[22:23], s20, v0, 0
	v_lshl_add_u64 v[0:1], v[0:1], 2, s[16:17]
	v_lshl_or_b32 v63, v8, 4, v60
	v_lshl_add_u64 v[0:1], v[0:1], 0, v[2:3]
	v_lshlrev_b32_e32 v74, 4, v73
	flat_load_dword v64, v[4:5] offset:16
	flat_load_dword v65, v[0:1]
	flat_load_dword v66, v[0:1] offset:256
	flat_load_dword v67, v[0:1] offset:512
	;; [unrolled: 1-line block ×3, first 2 shown]
	s_mov_b32 s8, 0x7f7fffff
	s_cmp_lt_i32 s14, 9
	s_waitcnt vmcnt(0) lgkmcnt(0)
	ds_write_b32 v63, v6 offset:8192
	ds_write2st64_b32 v76, v9, v10 offset1:4
	ds_write2st64_b32 v76, v11, v12 offset0:8 offset1:12
	s_waitcnt lgkmcnt(0)
	s_barrier
	ds_read_b128 v[28:31], v75
	ds_read_b128 v[24:27], v75 offset:512
	ds_read_b128 v[20:23], v75 offset:1024
	ds_read_b128 v[16:19], v75 offset:1536
	ds_read_b128 v[12:15], v75 offset:2048
	ds_read_b128 v[8:11], v75 offset:2560
	ds_read_b128 v[4:7], v75 offset:3072
	ds_read_b128 v[0:3], v75 offset:3584
	ds_read_b128 v[52:55], v74 offset:8192
	ds_read_b128 v[48:51], v74 offset:8320
	ds_read_b128 v[44:47], v74 offset:8448
	ds_read_b128 v[40:43], v74 offset:8576
	ds_read_b128 v[36:39], v74 offset:8704
	ds_read_b128 v[32:35], v74 offset:8832
	s_waitcnt lgkmcnt(5)
	v_pk_add_f32 v[70:71], v[28:29], v[52:53]
	v_pk_add_f32 v[80:81], v[20:21], v[52:53]
	s_waitcnt lgkmcnt(4)
	v_pk_add_f32 v[90:91], v[28:29], v[48:49]
	v_pk_add_f32 v[92:93], v[24:25], v[48:49]
	;; [unrolled: 1-line block ×9, first 2 shown]
	v_min3_f32 v69, v70, v71, s8
	v_min3_f32 v71, v80, v81, s8
	;; [unrolled: 1-line block ×4, first 2 shown]
	s_waitcnt lgkmcnt(3)
	v_pk_add_f32 v[48:49], v[20:21], v[44:45]
	v_min3_f32 v80, v88, v89, s8
	v_min3_f32 v89, v96, v97, s8
	;; [unrolled: 1-line block ×3, first 2 shown]
	v_pk_add_f32 v[48:49], v[16:17], v[44:45]
	v_pk_add_f32 v[78:79], v[24:25], v[52:53]
	;; [unrolled: 1-line block ×6, first 2 shown]
	v_min3_f32 v97, v48, v49, s8
	v_pk_add_f32 v[48:49], v[12:13], v[44:45]
	v_min3_f32 v52, v52, v53, s8
	v_min3_f32 v53, v90, v91, s8
	;; [unrolled: 1-line block ×4, first 2 shown]
	v_pk_add_f32 v[48:49], v[8:9], v[44:45]
	v_pk_add_f32 v[104:105], v[28:29], v[44:45]
	;; [unrolled: 1-line block ×3, first 2 shown]
	v_min3_f32 v99, v48, v49, s8
	v_pk_add_f32 v[48:49], v[4:5], v[44:45]
	v_pk_add_f32 v[44:45], v[0:1], v[44:45]
	v_min3_f32 v91, v100, v101, s8
	v_min3_f32 v100, v44, v45, s8
	s_waitcnt lgkmcnt(2)
	v_pk_add_f32 v[44:45], v[28:29], v[40:41]
	v_min3_f32 v92, v102, v103, s8
	v_min3_f32 v101, v44, v45, s8
	v_pk_add_f32 v[44:45], v[24:25], v[40:41]
	v_min3_f32 v77, v82, v83, s8
	v_min3_f32 v102, v44, v45, s8
	;; [unrolled: 3-line block ×6, first 2 shown]
	v_pk_add_f32 v[44:45], v[4:5], v[40:41]
	v_pk_add_f32 v[40:41], v[0:1], v[40:41]
	v_min3_f32 v79, v86, v87, s8
	v_min3_f32 v108, v40, v41, s8
	s_waitcnt lgkmcnt(1)
	v_pk_add_f32 v[40:41], v[28:29], v[36:37]
	v_min3_f32 v78, v84, v85, s8
	v_min3_f32 v109, v40, v41, s8
	v_pk_add_f32 v[40:41], v[24:25], v[36:37]
	v_min3_f32 v48, v48, v49, s8
	v_min3_f32 v110, v40, v41, s8
	;; [unrolled: 3-line block ×3, first 2 shown]
	v_pk_add_f32 v[40:41], v[16:17], v[36:37]
	s_nop 0
	v_min3_f32 v112, v40, v41, s8
	v_pk_add_f32 v[40:41], v[12:13], v[36:37]
	s_nop 0
	v_min3_f32 v113, v40, v41, s8
	;; [unrolled: 3-line block ×3, first 2 shown]
	v_pk_add_f32 v[40:41], v[4:5], v[36:37]
	v_pk_add_f32 v[36:37], v[0:1], v[36:37]
	v_min3_f32 v115, v40, v41, s8
	v_min3_f32 v116, v36, v37, s8
	s_waitcnt lgkmcnt(0)
	v_pk_add_f32 v[36:37], v[28:29], v[32:33]
	v_pk_add_f32 v[40:41], v[16:17], v[32:33]
	v_min3_f32 v150, v36, v37, s8
	v_pk_add_f32 v[36:37], v[30:31], v[54:55]
	s_nop 0
	v_min3_f32 v88, v36, v37, v69
	v_pk_add_f32 v[36:37], v[26:27], v[54:55]
	s_nop 0
	;; [unrolled: 3-line block ×9, first 2 shown]
	v_min3_f32 v70, v36, v37, s8
	v_pk_add_f32 v[36:37], v[2:3], v[54:55]
	v_min3_f32 v54, v40, v41, s8
	v_min3_f32 v147, v36, v37, v52
	v_pk_add_f32 v[36:37], v[30:31], v[50:51]
	v_pk_add_f32 v[40:41], v[12:13], v[32:33]
	v_min3_f32 v148, v36, v37, v53
	v_pk_add_f32 v[36:37], v[26:27], v[50:51]
	v_min3_f32 v40, v40, v41, s8
	v_min3_f32 v145, v36, v37, v81
	v_pk_add_f32 v[36:37], v[22:23], v[50:51]
	s_nop 0
	v_min3_f32 v146, v36, v37, v82
	v_pk_add_f32 v[36:37], v[18:19], v[50:51]
	s_nop 0
	;; [unrolled: 3-line block ×6, first 2 shown]
	v_min3_f32 v41, v36, v37, s8
	v_pk_add_f32 v[36:37], v[4:5], v[32:33]
	v_pk_add_f32 v[32:33], v[0:1], v[32:33]
	v_min3_f32 v52, v36, v37, s8
	v_pk_add_f32 v[36:37], v[2:3], v[50:51]
	v_min3_f32 v53, v32, v33, s8
	v_min3_f32 v139, v36, v37, v93
	v_pk_add_f32 v[36:37], v[30:31], v[46:47]
	s_nop 0
	v_min3_f32 v140, v36, v37, v94
	v_pk_add_f32 v[36:37], v[26:27], v[46:47]
	s_nop 0
	;; [unrolled: 3-line block ×7, first 2 shown]
	v_min3_f32 v130, v36, v37, v48
	ds_read_b128 v[48:51], v74 offset:8960
	v_pk_add_f32 v[36:37], v[2:3], v[46:47]
	ds_read_b128 v[44:47], v74 offset:9088
	v_min3_f32 v135, v36, v37, v100
	ds_write2st64_b32 v76, v65, v66 offset0:16 offset1:20
	ds_write2st64_b32 v76, v67, v68 offset0:24 offset1:28
	ds_write_b32 v63, v64 offset:9216
	s_waitcnt lgkmcnt(4)
	v_pk_add_f32 v[32:33], v[28:29], v[48:49]
	v_pk_add_f32 v[36:37], v[16:17], v[48:49]
	v_min3_f32 v55, v32, v33, s8
	v_pk_add_f32 v[32:33], v[30:31], v[42:43]
	s_waitcnt lgkmcnt(3)
	v_pk_add_f32 v[28:29], v[28:29], v[44:45]
	v_min3_f32 v138, v32, v33, v101
	v_pk_add_f32 v[32:33], v[26:27], v[42:43]
	v_pk_add_f32 v[16:17], v[16:17], v[44:45]
	v_min3_f32 v131, v32, v33, v102
	v_pk_add_f32 v[32:33], v[22:23], v[42:43]
	v_min3_f32 v16, v16, v17, s8
	v_min3_f32 v132, v32, v33, v103
	v_pk_add_f32 v[32:33], v[18:19], v[42:43]
	s_waitcnt lgkmcnt(0)
	v_min3_f32 v127, v32, v33, v104
	v_pk_add_f32 v[32:33], v[14:15], v[42:43]
	s_barrier
	v_min3_f32 v128, v32, v33, v105
	v_pk_add_f32 v[32:33], v[10:11], v[42:43]
	s_nop 0
	v_min3_f32 v125, v32, v33, v106
	v_pk_add_f32 v[32:33], v[6:7], v[42:43]
	s_nop 0
	v_min3_f32 v126, v32, v33, v107
	v_pk_add_f32 v[32:33], v[24:25], v[48:49]
	v_pk_add_f32 v[24:25], v[24:25], v[44:45]
	v_min3_f32 v71, v32, v33, s8
	v_pk_add_f32 v[32:33], v[20:21], v[48:49]
	v_min3_f32 v24, v24, v25, s8
	v_min3_f32 v77, v32, v33, s8
	v_pk_add_f32 v[32:33], v[2:3], v[42:43]
	v_min3_f32 v42, v36, v37, s8
	v_min3_f32 v123, v32, v33, v108
	v_pk_add_f32 v[32:33], v[30:31], v[38:39]
	v_pk_add_f32 v[36:37], v[12:13], v[48:49]
	v_min3_f32 v124, v32, v33, v109
	v_pk_add_f32 v[32:33], v[26:27], v[38:39]
	v_min3_f32 v36, v36, v37, s8
	v_min3_f32 v121, v32, v33, v110
	v_pk_add_f32 v[32:33], v[22:23], v[38:39]
	v_pk_add_f32 v[12:13], v[12:13], v[44:45]
	v_min3_f32 v122, v32, v33, v111
	v_pk_add_f32 v[32:33], v[18:19], v[38:39]
	v_pk_add_f32 v[20:21], v[20:21], v[44:45]
	v_min3_f32 v119, v32, v33, v112
	v_pk_add_f32 v[32:33], v[14:15], v[38:39]
	v_min3_f32 v12, v12, v13, s8
	v_min3_f32 v120, v32, v33, v113
	v_pk_add_f32 v[32:33], v[10:11], v[38:39]
	v_min3_f32 v25, v20, v21, s8
	v_min3_f32 v117, v32, v33, v114
	v_pk_add_f32 v[32:33], v[6:7], v[38:39]
	v_pk_add_f32 v[20:21], v[2:3], v[50:51]
	v_min3_f32 v118, v32, v33, v115
	v_pk_add_f32 v[32:33], v[8:9], v[48:49]
	v_pk_add_f32 v[8:9], v[8:9], v[44:45]
	v_min3_f32 v37, v32, v33, s8
	v_pk_add_f32 v[32:33], v[4:5], v[48:49]
	v_min3_f32 v8, v8, v9, s8
	v_min3_f32 v43, v32, v33, s8
	v_pk_add_f32 v[32:33], v[2:3], v[38:39]
	v_pk_add_f32 v[4:5], v[4:5], v[44:45]
	v_min3_f32 v115, v32, v33, v116
	v_pk_add_f32 v[32:33], v[30:31], v[34:35]
	v_min3_f32 v9, v4, v5, s8
	v_min3_f32 v116, v32, v33, v150
	v_pk_add_f32 v[32:33], v[26:27], v[34:35]
	v_pk_add_f32 v[4:5], v[30:31], v[46:47]
	v_min3_f32 v113, v32, v33, v69
	v_pk_add_f32 v[32:33], v[22:23], v[34:35]
	s_nop 0
	v_min3_f32 v114, v32, v33, v70
	v_pk_add_f32 v[32:33], v[18:19], v[34:35]
	s_nop 0
	;; [unrolled: 3-line block ×5, first 2 shown]
	v_min3_f32 v110, v32, v33, v52
	v_pk_add_f32 v[32:33], v[2:3], v[34:35]
	v_pk_add_f32 v[34:35], v[0:1], v[48:49]
	;; [unrolled: 1-line block ×3, first 2 shown]
	v_min3_f32 v34, v34, v35, s8
	v_min3_f32 v35, v28, v29, s8
	v_pk_add_f32 v[28:29], v[30:31], v[50:51]
	v_min3_f32 v13, v0, v1, s8
	v_pk_add_f32 v[0:1], v[26:27], v[46:47]
	;; [unrolled: 2-line block ×14, first 2 shown]
	v_min3_f32 v107, v32, v33, v53
	v_min3_f32 v102, v28, v29, v43
	;; [unrolled: 1-line block ×5, first 2 shown]
	s_cbranch_scc1 .LBB55_12
; %bb.10:
	v_mov_b32_e32 v0, 0x1000
	v_lshl_add_u32 v81, v72, 4, v0
	v_mov_b32_e32 v0, 0x2400
	v_lshl_add_u32 v82, v73, 4, v0
	v_lshl_add_u64 v[0:1], v[58:59], 2, v[60:61]
	v_lshl_add_u64 v[0:1], v[0:1], 0, s[18:19]
	;; [unrolled: 1-line block ×3, first 2 shown]
	v_add_u32_e32 v0, 8, v62
	v_mad_i64_i32 v[0:1], s[8:9], v0, s20, 0
	v_lshlrev_b64 v[68:69], 2, v[0:1]
	v_add_u32_e32 v0, 12, v62
	s_ashr_i32 s21, s20, 31
	v_lshl_add_u64 v[64:65], v[56:57], 2, s[16:17]
	v_mad_i64_i32 v[0:1], s[16:17], v0, s20, 0
	v_add_u32_e32 v77, 0x2000, v63
	v_add_u32_e32 v78, 0x2000, v74
	;; [unrolled: 1-line block ×4, first 2 shown]
	s_add_i32 s14, s14, -8
	s_lshl_b64 s[8:9], s[20:21], 5
	v_lshlrev_b64 v[70:71], 2, v[0:1]
	s_mov_b32 s16, 0
.LBB55_11:                              ; =>This Inner Loop Header: Depth=1
	v_lshl_add_u64 v[0:1], v[64:65], 0, v[68:69]
	flat_load_dword v89, v[0:1]
	flat_load_dword v90, v[0:1] offset:256
	flat_load_dword v91, v[0:1] offset:512
	;; [unrolled: 1-line block ×3, first 2 shown]
	v_add_co_u32_e32 v0, vcc, -16, v66
	s_add_i32 s16, s16, 8
	s_nop 0
	v_addc_co_u32_e32 v1, vcc, -1, v67, vcc
	flat_load_dword v151, v[0:1]
	ds_read_b128 v[28:31], v81
	ds_read_b128 v[24:27], v81 offset:512
	ds_read_b128 v[20:23], v81 offset:1024
	;; [unrolled: 1-line block ×7, first 2 shown]
	ds_read_b128 v[60:63], v82
	ds_read_b128 v[56:59], v82 offset:128
	ds_read_b128 v[52:55], v82 offset:256
	ds_read_b128 v[48:51], v82 offset:384
	ds_read_b128 v[44:47], v82 offset:512
	ds_read_b128 v[40:43], v82 offset:640
	ds_read_b128 v[36:39], v82 offset:768
	ds_read_b128 v[32:35], v82 offset:896
	s_waitcnt lgkmcnt(0)
	v_pk_add_f32 v[152:153], v[28:29], v[60:61]
	s_cmp_ge_i32 s16, s14
	v_min3_f32 v88, v152, v153, v88
	v_pk_add_f32 v[152:153], v[24:25], v[60:61]
	s_waitcnt vmcnt(0)
	ds_write2st64_b32 v76, v89, v90 offset1:4
	ds_write2st64_b32 v76, v91, v150 offset0:8 offset1:12
	ds_write_b32 v77, v151
	v_min3_f32 v154, v152, v153, v87
	v_pk_add_f32 v[152:153], v[20:21], v[60:61]
	s_waitcnt lgkmcnt(0)
	v_min3_f32 v149, v152, v153, v149
	v_pk_add_f32 v[152:153], v[16:17], v[60:61]
	s_barrier
	v_min3_f32 v155, v152, v153, v83
	v_pk_add_f32 v[152:153], v[12:13], v[60:61]
	s_nop 0
	v_min3_f32 v152, v152, v153, v86
	v_pk_add_f32 v[86:87], v[8:9], v[60:61]
	s_nop 0
	v_min3_f32 v85, v86, v87, v85
	v_pk_add_f32 v[86:87], v[4:5], v[60:61]
	v_pk_add_f32 v[60:61], v[0:1], v[60:61]
	v_min3_f32 v87, v86, v87, v84
	v_min3_f32 v147, v60, v61, v147
	v_pk_add_f32 v[60:61], v[28:29], v[56:57]
	s_nop 0
	v_min3_f32 v148, v60, v61, v148
	v_pk_add_f32 v[60:61], v[24:25], v[56:57]
	s_nop 0
	v_min3_f32 v153, v60, v61, v145
	v_pk_add_f32 v[60:61], v[20:21], v[56:57]
	s_nop 0
	v_min3_f32 v146, v60, v61, v146
	v_pk_add_f32 v[60:61], v[16:17], v[56:57]
	s_nop 0
	v_min3_f32 v156, v60, v61, v143
	v_pk_add_f32 v[60:61], v[12:13], v[56:57]
	s_nop 0
	v_min3_f32 v157, v60, v61, v144
	v_pk_add_f32 v[60:61], v[8:9], v[56:57]
	s_nop 0
	v_min3_f32 v158, v60, v61, v141
	v_pk_add_f32 v[60:61], v[4:5], v[56:57]
	v_pk_add_f32 v[56:57], v[0:1], v[56:57]
	v_min3_f32 v145, v60, v61, v142
	v_min3_f32 v144, v56, v57, v139
	v_pk_add_f32 v[56:57], v[28:29], v[52:53]
	s_nop 0
	v_min3_f32 v143, v56, v57, v140
	v_pk_add_f32 v[56:57], v[24:25], v[52:53]
	s_nop 0
	v_min3_f32 v142, v56, v57, v136
	v_pk_add_f32 v[56:57], v[20:21], v[52:53]
	s_nop 0
	v_min3_f32 v141, v56, v57, v137
	v_pk_add_f32 v[56:57], v[16:17], v[52:53]
	s_nop 0
	;; [unrolled: 22-line block ×5, first 2 shown]
	v_min3_f32 v61, v44, v45, v111
	v_pk_add_f32 v[44:45], v[12:13], v[40:41]
	s_nop 0
	v_min3_f32 v60, v44, v45, v112
	v_pk_add_f32 v[44:45], v[8:9], v[40:41]
	s_nop 0
	v_min3_f32 v57, v44, v45, v109
	v_pk_add_f32 v[44:45], v[4:5], v[40:41]
	v_pk_add_f32 v[40:41], v[0:1], v[40:41]
	v_min3_f32 v56, v44, v45, v110
	v_min3_f32 v53, v40, v41, v107
	v_pk_add_f32 v[40:41], v[28:29], v[36:37]
	v_pk_add_f32 v[28:29], v[28:29], v[32:33]
	v_min3_f32 v52, v40, v41, v108
	v_pk_add_f32 v[40:41], v[24:25], v[36:37]
	v_pk_add_f32 v[24:25], v[24:25], v[32:33]
	;; [unrolled: 3-line block ×6, first 2 shown]
	v_pk_add_f32 v[36:37], v[0:1], v[36:37]
	v_pk_add_f32 v[8:9], v[8:9], v[32:33]
	;; [unrolled: 1-line block ×5, first 2 shown]
	v_min3_f32 v24, v24, v25, v96
	v_min3_f32 v96, v32, v33, v88
	v_pk_add_f32 v[32:33], v[26:27], v[62:63]
	v_min3_f32 v12, v12, v13, v95
	v_min3_f32 v95, v32, v33, v154
	v_pk_add_f32 v[32:33], v[22:23], v[62:63]
	;; [unrolled: 3-line block ×11, first 2 shown]
	s_nop 0
	v_min3_f32 v100, v32, v33, v156
	v_pk_add_f32 v[32:33], v[14:15], v[58:59]
	s_nop 0
	v_min3_f32 v101, v32, v33, v157
	v_pk_add_f32 v[32:33], v[10:11], v[58:59]
	;; [unrolled: 3-line block ×37, first 2 shown]
	v_pk_add_f32 v[30:31], v[30:31], v[34:35]
	v_min3_f32 v149, v32, v33, v52
	v_pk_add_f32 v[32:33], v[26:27], v[38:39]
	v_pk_add_f32 v[26:27], v[26:27], v[34:35]
	v_min3_f32 v152, v32, v33, v49
	v_pk_add_f32 v[32:33], v[22:23], v[38:39]
	;; [unrolled: 3-line block ×7, first 2 shown]
	v_pk_add_f32 v[2:3], v[2:3], v[34:35]
	v_min3_f32 v158, v32, v33, v36
	v_min3_f32 v166, v2, v3, v0
	v_lshl_add_u64 v[0:1], v[64:65], 0, v[70:71]
	v_min3_f32 v159, v30, v31, v28
	v_min3_f32 v160, v26, v27, v24
	;; [unrolled: 1-line block ×7, first 2 shown]
	flat_load_dword v89, v[0:1]
	flat_load_dword v90, v[0:1] offset:256
	flat_load_dword v91, v[0:1] offset:512
	;; [unrolled: 1-line block ×3, first 2 shown]
	flat_load_dword v151, v[66:67]
	ds_read_b128 v[28:31], v75
	ds_read_b128 v[24:27], v75 offset:512
	ds_read_b128 v[20:23], v75 offset:1024
	;; [unrolled: 1-line block ×7, first 2 shown]
	ds_read_b128 v[60:63], v78
	ds_read_b128 v[56:59], v78 offset:128
	ds_read_b128 v[52:55], v78 offset:256
	ds_read_b128 v[48:51], v78 offset:384
	ds_read_b128 v[44:47], v78 offset:512
	ds_read_b128 v[40:43], v78 offset:640
	ds_read_b128 v[36:39], v78 offset:768
	ds_read_b128 v[32:35], v78 offset:896
	s_waitcnt lgkmcnt(0)
	v_pk_add_f32 v[114:115], v[28:29], v[60:61]
	v_lshl_add_u64 v[66:67], v[66:67], 0, 32
	v_min3_f32 v167, v114, v115, v96
	v_pk_add_f32 v[114:115], v[24:25], v[60:61]
	v_lshl_add_u64 v[64:65], v[64:65], 0, s[8:9]
	v_min3_f32 v168, v114, v115, v95
	v_pk_add_f32 v[114:115], v[20:21], v[60:61]
	s_waitcnt vmcnt(0)
	ds_write2st64_b32 v79, v89, v90 offset1:4
	ds_write2st64_b32 v79, v91, v150 offset0:8 offset1:12
	ds_write_b32 v80, v151
	v_min3_f32 v169, v114, v115, v94
	v_pk_add_f32 v[94:95], v[16:17], v[60:61]
	s_waitcnt lgkmcnt(0)
	v_min3_f32 v170, v94, v95, v93
	v_pk_add_f32 v[94:95], v[12:13], v[60:61]
	s_barrier
	v_min3_f32 v171, v94, v95, v92
	v_pk_add_f32 v[92:93], v[8:9], v[60:61]
	s_nop 0
	v_min3_f32 v172, v92, v93, v88
	v_pk_add_f32 v[92:93], v[4:5], v[60:61]
	v_pk_add_f32 v[60:61], v[0:1], v[60:61]
	v_min3_f32 v173, v92, v93, v87
	v_min3_f32 v174, v60, v61, v85
	v_pk_add_f32 v[60:61], v[28:29], v[56:57]
	s_nop 0
	v_min3_f32 v138, v60, v61, v97
	v_pk_add_f32 v[60:61], v[24:25], v[56:57]
	s_nop 0
	v_min3_f32 v136, v60, v61, v98
	v_pk_add_f32 v[60:61], v[20:21], v[56:57]
	s_nop 0
	v_min3_f32 v134, v60, v61, v99
	v_pk_add_f32 v[60:61], v[16:17], v[56:57]
	s_nop 0
	v_min3_f32 v132, v60, v61, v100
	v_pk_add_f32 v[60:61], v[12:13], v[56:57]
	s_nop 0
	v_min3_f32 v124, v60, v61, v101
	v_pk_add_f32 v[60:61], v[8:9], v[56:57]
	s_nop 0
	v_min3_f32 v123, v60, v61, v102
	v_pk_add_f32 v[60:61], v[4:5], v[56:57]
	v_pk_add_f32 v[56:57], v[0:1], v[56:57]
	v_min3_f32 v122, v60, v61, v103
	v_min3_f32 v121, v56, v57, v104
	v_pk_add_f32 v[56:57], v[28:29], v[52:53]
	s_nop 0
	v_min3_f32 v120, v56, v57, v105
	v_pk_add_f32 v[56:57], v[24:25], v[52:53]
	s_nop 0
	v_min3_f32 v119, v56, v57, v106
	v_pk_add_f32 v[56:57], v[20:21], v[52:53]
	s_nop 0
	v_min3_f32 v117, v56, v57, v107
	v_pk_add_f32 v[56:57], v[16:17], v[52:53]
	s_nop 0
	v_min3_f32 v116, v56, v57, v108
	v_pk_add_f32 v[56:57], v[12:13], v[52:53]
	s_nop 0
	;; [unrolled: 22-line block ×4, first 2 shown]
	v_min3_f32 v98, v48, v49, v140
	v_pk_add_f32 v[48:49], v[8:9], v[44:45]
	s_nop 0
	v_min3_f32 v97, v48, v49, v141
	v_pk_add_f32 v[48:49], v[4:5], v[44:45]
	v_pk_add_f32 v[44:45], v[0:1], v[44:45]
	v_min3_f32 v96, v48, v49, v142
	v_min3_f32 v95, v44, v45, v143
	v_pk_add_f32 v[44:45], v[28:29], v[40:41]
	s_nop 0
	v_min3_f32 v94, v44, v45, v86
	v_pk_add_f32 v[44:45], v[24:25], v[40:41]
	s_nop 0
	v_min3_f32 v93, v44, v45, v84
	v_pk_add_f32 v[44:45], v[20:21], v[40:41]
	v_pk_add_f32 v[84:85], v[4:5], v[36:37]
	v_min3_f32 v92, v44, v45, v83
	v_pk_add_f32 v[44:45], v[16:17], v[40:41]
	s_nop 0
	v_min3_f32 v61, v44, v45, v144
	v_pk_add_f32 v[44:45], v[12:13], v[40:41]
	s_nop 0
	;; [unrolled: 3-line block ×3, first 2 shown]
	v_min3_f32 v57, v44, v45, v146
	v_pk_add_f32 v[44:45], v[4:5], v[40:41]
	v_pk_add_f32 v[40:41], v[0:1], v[40:41]
	v_min3_f32 v56, v44, v45, v147
	v_min3_f32 v53, v40, v41, v148
	v_pk_add_f32 v[40:41], v[28:29], v[36:37]
	v_pk_add_f32 v[28:29], v[28:29], v[32:33]
	v_min3_f32 v52, v40, v41, v149
	v_pk_add_f32 v[40:41], v[24:25], v[36:37]
	v_pk_add_f32 v[24:25], v[24:25], v[32:33]
	;; [unrolled: 3-line block ×6, first 2 shown]
	v_pk_add_f32 v[8:9], v[8:9], v[32:33]
	v_pk_add_f32 v[4:5], v[4:5], v[32:33]
	;; [unrolled: 1-line block ×4, first 2 shown]
	v_min3_f32 v41, v40, v41, v156
	v_min3_f32 v88, v32, v33, v167
	v_pk_add_f32 v[32:33], v[26:27], v[62:63]
	v_min3_f32 v40, v84, v85, v157
	v_min3_f32 v87, v32, v33, v168
	v_pk_add_f32 v[32:33], v[22:23], v[62:63]
	;; [unrolled: 3-line block ×11, first 2 shown]
	s_nop 0
	v_min3_f32 v143, v32, v33, v132
	v_pk_add_f32 v[32:33], v[14:15], v[58:59]
	s_nop 0
	v_min3_f32 v144, v32, v33, v124
	v_pk_add_f32 v[32:33], v[10:11], v[58:59]
	;; [unrolled: 3-line block ×37, first 2 shown]
	v_pk_add_f32 v[30:31], v[30:31], v[34:35]
	v_min3_f32 v108, v32, v33, v52
	v_pk_add_f32 v[32:33], v[26:27], v[38:39]
	v_pk_add_f32 v[26:27], v[26:27], v[34:35]
	v_min3_f32 v105, v32, v33, v49
	v_pk_add_f32 v[32:33], v[22:23], v[38:39]
	;; [unrolled: 3-line block ×7, first 2 shown]
	v_pk_add_f32 v[2:3], v[2:3], v[34:35]
	v_min3_f32 v99, v32, v33, v36
	v_min3_f32 v100, v30, v31, v28
	;; [unrolled: 1-line block ×9, first 2 shown]
	s_cbranch_scc0 .LBB55_11
.LBB55_12:
	s_load_dwordx2 s[16:17], s[0:1], 0x70
	s_load_dword s8, s[0:1], 0x50
	s_load_dword s9, s[0:1], 0x68
	ds_read_b128 v[32:35], v75 offset:4096
	ds_read_b128 v[60:63], v74 offset:9216
	v_add_u32_e32 v68, s2, v72
	s_waitcnt lgkmcnt(0)
	s_mul_i32 s0, s3, s17
	s_mul_hi_u32 s1, s3, s16
	s_mul_i32 s13, s13, s16
	s_add_i32 s0, s1, s0
	s_add_i32 s1, s0, s13
	s_mul_i32 s0, s3, s16
	s_lshl_b64 s[0:1], s[0:1], 2
	v_pk_add_f32 v[0:1], v[32:33], v[60:61]
	s_add_u32 s0, s10, s0
	v_min3_f32 v2, v0, v1, v88
	v_pk_add_f32 v[0:1], v[34:35], v[62:63]
	v_add_u32_e32 v150, s15, v73
	s_addc_u32 s1, s11, s1
	v_min3_f32 v2, v0, v1, v2
	v_add_u32_e32 v64, 32, v68
	v_mad_i64_i32 v[0:1], s[2:3], v150, s9, 0
	v_ashrrev_i32_e32 v69, 31, v68
	v_ashrrev_i32_e32 v65, 31, v64
	v_lshl_add_u64 v[88:89], v[0:1], 2, s[0:1]
	v_mad_i64_i32 v[0:1], s[2:3], v150, s8, 0
	v_max_f32_e32 v2, v2, v2
	s_mov_b64 vcc, s[4:5]
	s_cbranch_vccz .LBB55_14
; %bb.13:
	v_min_f32_e32 v3, 0, v2
	v_lshl_add_u64 v[4:5], v[68:69], 2, v[88:89]
	s_mov_b32 s10, 0
	global_store_dword v[4:5], v3, off
	s_mov_b64 s[2:3], 0
	s_branch .LBB55_15
.LBB55_14:
	s_mov_b64 s[2:3], -1
                                        ; implicit-def: $sgpr10
.LBB55_15:
	ds_read_b128 v[28:31], v75 offset:4608
	ds_read_b128 v[24:27], v75 offset:5120
	v_lshl_add_u64 v[90:91], v[0:1], 2, s[6:7]
	s_andn2_b64 vcc, exec, s[2:3]
	v_lshlrev_b64 v[72:73], 2, v[68:69]
	s_cbranch_vccnz .LBB55_17
; %bb.16:
	v_lshl_add_u64 v[0:1], v[90:91], 0, v[72:73]
	flat_load_dword v3, v[0:1]
	v_lshl_add_u64 v[0:1], v[88:89], 0, v[72:73]
	s_waitcnt vmcnt(0) lgkmcnt(0)
	v_mul_f32_e32 v3, s12, v3
	v_min_f32_e32 v2, v3, v2
	global_store_dword v[0:1], v2, off
	v_lshl_add_u64 v[0:1], v[64:65], 2, v[90:91]
	flat_load_dword v0, v[0:1]
	s_waitcnt vmcnt(0) lgkmcnt(0)
	v_mul_f32_e32 v70, s12, v0
	s_branch .LBB55_18
.LBB55_17:
	v_mov_b32_e32 v70, s10
.LBB55_18:
	ds_read_b128 v[20:23], v75 offset:5632
	ds_read_b128 v[16:19], v75 offset:6144
	ds_read_b128 v[12:15], v75 offset:6656
	ds_read_b128 v[8:11], v75 offset:7168
	ds_read_b128 v[0:3], v75 offset:7680
	ds_read_b128 v[56:59], v74 offset:9344
	ds_read_b128 v[52:55], v74 offset:9472
	ds_read_b128 v[48:51], v74 offset:9600
	ds_read_b128 v[44:47], v74 offset:9728
	ds_read_b128 v[40:43], v74 offset:9856
	ds_read_b128 v[36:39], v74 offset:9984
	ds_read_b128 v[4:7], v74 offset:10112
	s_waitcnt lgkmcnt(13)
	v_pk_add_f32 v[66:67], v[28:29], v[60:61]
	s_mov_b64 vcc, s[4:5]
	v_min3_f32 v71, v66, v67, v87
	s_waitcnt lgkmcnt(12)
	v_pk_add_f32 v[66:67], v[24:25], v[60:61]
	s_nop 0
	v_min3_f32 v74, v66, v67, v149
	v_pk_add_f32 v[66:67], v[30:31], v[62:63]
	s_nop 0
	v_min_f32_e32 v76, v66, v67
	v_pk_add_f32 v[66:67], v[26:27], v[62:63]
	v_min3_f32 v76, v70, v76, v71
	v_min3_f32 v77, v66, v67, v74
	v_add_u32_e32 v74, 64, v68
	v_add_u32_e32 v66, 0x60, v68
	v_lshl_add_u64 v[70:71], v[64:65], 2, v[88:89]
	v_ashrrev_i32_e32 v75, 31, v74
	v_ashrrev_i32_e32 v67, 31, v66
	global_store_dword v[70:71], v76, off
	v_max_f32_e32 v70, v77, v77
	s_cbranch_vccz .LBB55_21
; %bb.19:
	v_min_f32_e32 v71, 0, v70
	v_lshl_add_u64 v[76:77], v[74:75], 2, v[88:89]
	s_mov_b32 s10, 0
	global_store_dword v[76:77], v71, off
	v_lshlrev_b64 v[78:79], 2, v[74:75]
	s_cbranch_execz .LBB55_22
; %bb.20:
	v_mov_b32_e32 v76, s10
	s_branch .LBB55_23
.LBB55_21:
                                        ; implicit-def: $sgpr10
	v_lshlrev_b64 v[78:79], 2, v[74:75]
.LBB55_22:
	v_lshl_add_u64 v[76:77], v[90:91], 0, v[78:79]
	flat_load_dword v71, v[76:77]
	v_lshl_add_u64 v[76:77], v[88:89], 0, v[78:79]
	s_waitcnt vmcnt(0) lgkmcnt(0)
	v_mul_f32_e32 v71, s12, v71
	v_min_f32_e32 v70, v71, v70
	global_store_dword v[76:77], v70, off
	v_lshl_add_u64 v[70:71], v[66:67], 2, v[90:91]
	flat_load_dword v70, v[70:71]
	s_waitcnt vmcnt(0) lgkmcnt(0)
	v_mul_f32_e32 v76, s12, v70
.LBB55_23:
	s_waitcnt lgkmcnt(11)
	v_pk_add_f32 v[70:71], v[20:21], v[60:61]
	s_mov_b64 vcc, s[4:5]
	v_min3_f32 v77, v70, v71, v83
	s_waitcnt lgkmcnt(10)
	v_pk_add_f32 v[70:71], v[16:17], v[60:61]
	s_nop 0
	v_min3_f32 v80, v70, v71, v86
	v_pk_add_f32 v[70:71], v[22:23], v[62:63]
	s_nop 0
	v_min_f32_e32 v82, v70, v71
	v_pk_add_f32 v[70:71], v[18:19], v[62:63]
	v_min3_f32 v82, v76, v82, v77
	v_min3_f32 v83, v70, v71, v80
	v_add_u32_e32 v80, 0x80, v68
	v_add_u32_e32 v70, 0xa0, v68
	v_lshl_add_u64 v[76:77], v[66:67], 2, v[88:89]
	v_ashrrev_i32_e32 v81, 31, v80
	v_ashrrev_i32_e32 v71, 31, v70
	global_store_dword v[76:77], v82, off
	v_max_f32_e32 v76, v83, v83
	s_cbranch_vccz .LBB55_26
; %bb.24:
	v_min_f32_e32 v77, 0, v76
	v_lshl_add_u64 v[82:83], v[80:81], 2, v[88:89]
	s_mov_b32 s10, 0
	global_store_dword v[82:83], v77, off
	v_lshlrev_b64 v[82:83], 2, v[80:81]
	s_cbranch_execz .LBB55_27
; %bb.25:
	v_mov_b32_e32 v86, s10
	s_branch .LBB55_28
.LBB55_26:
                                        ; implicit-def: $sgpr10
	v_lshlrev_b64 v[82:83], 2, v[80:81]
.LBB55_27:
	v_lshl_add_u64 v[86:87], v[90:91], 0, v[82:83]
	flat_load_dword v77, v[86:87]
	v_lshl_add_u64 v[86:87], v[88:89], 0, v[82:83]
	s_waitcnt vmcnt(0) lgkmcnt(0)
	v_mul_f32_e32 v77, s12, v77
	v_min_f32_e32 v76, v77, v76
	global_store_dword v[86:87], v76, off
	v_lshl_add_u64 v[76:77], v[70:71], 2, v[90:91]
	flat_load_dword v76, v[76:77]
	s_waitcnt vmcnt(0) lgkmcnt(0)
	v_mul_f32_e32 v86, s12, v76
.LBB55_28:
	s_waitcnt lgkmcnt(9)
	v_pk_add_f32 v[76:77], v[12:13], v[60:61]
	s_mov_b64 vcc, s[4:5]
	v_min3_f32 v87, v76, v77, v85
	s_waitcnt lgkmcnt(8)
	v_pk_add_f32 v[76:77], v[8:9], v[60:61]
	s_nop 0
	v_min3_f32 v84, v76, v77, v84
	v_pk_add_f32 v[76:77], v[14:15], v[62:63]
	s_nop 0
	v_min_f32_e32 v149, v76, v77
	v_pk_add_f32 v[76:77], v[10:11], v[62:63]
	v_min3_f32 v149, v86, v149, v87
	v_min3_f32 v151, v76, v77, v84
	v_add_u32_e32 v84, 0xc0, v68
	v_add_u32_e32 v76, 0xe0, v68
	v_lshl_add_u64 v[86:87], v[70:71], 2, v[88:89]
	v_ashrrev_i32_e32 v85, 31, v84
	v_ashrrev_i32_e32 v77, 31, v76
	global_store_dword v[86:87], v149, off
	v_max_f32_e32 v149, v151, v151
	s_cbranch_vccz .LBB55_31
; %bb.29:
	v_min_f32_e32 v151, 0, v149
	v_lshl_add_u64 v[86:87], v[84:85], 2, v[88:89]
	s_mov_b32 s10, 0
	global_store_dword v[86:87], v151, off
	v_lshlrev_b64 v[86:87], 2, v[84:85]
	s_cbranch_execz .LBB55_32
; %bb.30:
	v_mov_b32_e32 v90, s10
	s_branch .LBB55_33
.LBB55_31:
                                        ; implicit-def: $sgpr10
	v_lshlrev_b64 v[86:87], 2, v[84:85]
.LBB55_32:
	v_lshl_add_u64 v[152:153], v[90:91], 0, v[86:87]
	flat_load_dword v151, v[152:153]
	v_lshl_add_u64 v[152:153], v[88:89], 0, v[86:87]
	v_lshl_add_u64 v[90:91], v[76:77], 2, v[90:91]
	s_waitcnt vmcnt(0) lgkmcnt(0)
	v_mul_f32_e32 v151, s12, v151
	v_min_f32_e32 v149, v151, v149
	global_store_dword v[152:153], v149, off
	flat_load_dword v90, v[90:91]
	s_waitcnt vmcnt(0) lgkmcnt(0)
	v_mul_f32_e32 v90, s12, v90
.LBB55_33:
	s_waitcnt lgkmcnt(7)
	v_pk_add_f32 v[60:61], v[0:1], v[60:61]
	s_mov_b64 vcc, s[4:5]
	v_min3_f32 v91, v60, v61, v147
	s_waitcnt lgkmcnt(6)
	v_pk_add_f32 v[60:61], v[32:33], v[56:57]
	s_nop 0
	v_min3_f32 v147, v60, v61, v148
	v_pk_add_f32 v[60:61], v[2:3], v[62:63]
	s_nop 0
	v_min_f32_e32 v62, v60, v61
	v_pk_add_f32 v[60:61], v[34:35], v[58:59]
	v_min3_f32 v62, v90, v62, v91
	v_min3_f32 v147, v60, v61, v147
	v_lshl_add_u64 v[60:61], v[76:77], 2, v[88:89]
	global_store_dword v[60:61], v62, off
	v_add_u32_e32 v62, 8, v150
	v_mad_i64_i32 v[60:61], s[2:3], v62, s9, 0
	v_lshl_add_u64 v[60:61], v[60:61], 2, s[0:1]
	v_mad_i64_i32 v[62:63], s[2:3], v62, s8, 0
	v_max_f32_e32 v88, v147, v147
	s_cbranch_vccz .LBB55_36
; %bb.34:
	v_min_f32_e32 v89, 0, v88
	v_lshl_add_u64 v[90:91], v[68:69], 2, v[60:61]
	s_mov_b32 s10, 0
	global_store_dword v[90:91], v89, off
	v_lshl_add_u64 v[62:63], v[62:63], 2, s[6:7]
	s_cbranch_execz .LBB55_37
; %bb.35:
	v_mov_b32_e32 v88, s10
	s_branch .LBB55_38
.LBB55_36:
                                        ; implicit-def: $sgpr10
	v_lshl_add_u64 v[62:63], v[62:63], 2, s[6:7]
.LBB55_37:
	v_lshl_add_u64 v[90:91], v[62:63], 0, v[72:73]
	flat_load_dword v89, v[90:91]
	v_lshl_add_u64 v[90:91], v[60:61], 0, v[72:73]
	s_waitcnt vmcnt(0) lgkmcnt(0)
	v_mul_f32_e32 v89, s12, v89
	v_min_f32_e32 v88, v89, v88
	global_store_dword v[90:91], v88, off
	v_lshl_add_u64 v[88:89], v[64:65], 2, v[62:63]
	flat_load_dword v88, v[88:89]
	s_waitcnt vmcnt(0) lgkmcnt(0)
	v_mul_f32_e32 v88, s12, v88
.LBB55_38:
	v_pk_add_f32 v[90:91], v[28:29], v[56:57]
	s_mov_b64 vcc, s[4:5]
	v_min3_f32 v89, v90, v91, v145
	v_pk_add_f32 v[90:91], v[24:25], v[56:57]
	s_nop 0
	v_min3_f32 v145, v90, v91, v146
	v_pk_add_f32 v[90:91], v[30:31], v[58:59]
	s_nop 0
	v_min_f32_e32 v146, v90, v91
	v_pk_add_f32 v[90:91], v[26:27], v[58:59]
	s_nop 0
	v_min3_f32 v90, v90, v91, v145
	v_min3_f32 v91, v88, v146, v89
	v_lshl_add_u64 v[88:89], v[64:65], 2, v[60:61]
	global_store_dword v[88:89], v91, off
	v_max_f32_e32 v88, v90, v90
	s_cbranch_vccz .LBB55_41
; %bb.39:
	v_min_f32_e32 v89, 0, v88
	v_lshl_add_u64 v[90:91], v[74:75], 2, v[60:61]
	s_mov_b32 s10, 0
	global_store_dword v[90:91], v89, off
	s_cbranch_execz .LBB55_42
; %bb.40:
	v_mov_b32_e32 v88, s10
	s_branch .LBB55_43
.LBB55_41:
                                        ; implicit-def: $sgpr10
.LBB55_42:
	v_lshl_add_u64 v[90:91], v[62:63], 0, v[78:79]
	flat_load_dword v89, v[90:91]
	v_lshl_add_u64 v[90:91], v[60:61], 0, v[78:79]
	s_waitcnt vmcnt(0) lgkmcnt(0)
	v_mul_f32_e32 v89, s12, v89
	v_min_f32_e32 v88, v89, v88
	global_store_dword v[90:91], v88, off
	v_lshl_add_u64 v[88:89], v[66:67], 2, v[62:63]
	flat_load_dword v88, v[88:89]
	s_waitcnt vmcnt(0) lgkmcnt(0)
	v_mul_f32_e32 v88, s12, v88
.LBB55_43:
	v_pk_add_f32 v[90:91], v[20:21], v[56:57]
	s_mov_b64 vcc, s[4:5]
	v_min3_f32 v89, v90, v91, v143
	v_pk_add_f32 v[90:91], v[16:17], v[56:57]
	s_nop 0
	v_min3_f32 v143, v90, v91, v144
	v_pk_add_f32 v[90:91], v[22:23], v[58:59]
	s_nop 0
	v_min_f32_e32 v144, v90, v91
	v_pk_add_f32 v[90:91], v[18:19], v[58:59]
	s_nop 0
	v_min3_f32 v90, v90, v91, v143
	v_min3_f32 v91, v88, v144, v89
	v_lshl_add_u64 v[88:89], v[66:67], 2, v[60:61]
	global_store_dword v[88:89], v91, off
	v_max_f32_e32 v88, v90, v90
	s_cbranch_vccz .LBB55_46
; %bb.44:
	v_min_f32_e32 v89, 0, v88
	v_lshl_add_u64 v[90:91], v[80:81], 2, v[60:61]
	s_mov_b32 s10, 0
	global_store_dword v[90:91], v89, off
	s_cbranch_execz .LBB55_47
; %bb.45:
	v_mov_b32_e32 v88, s10
	s_branch .LBB55_48
.LBB55_46:
                                        ; implicit-def: $sgpr10
.LBB55_47:
	v_lshl_add_u64 v[90:91], v[62:63], 0, v[82:83]
	flat_load_dword v89, v[90:91]
	v_lshl_add_u64 v[90:91], v[60:61], 0, v[82:83]
	s_waitcnt vmcnt(0) lgkmcnt(0)
	v_mul_f32_e32 v89, s12, v89
	v_min_f32_e32 v88, v89, v88
	global_store_dword v[90:91], v88, off
	v_lshl_add_u64 v[88:89], v[70:71], 2, v[62:63]
	flat_load_dword v88, v[88:89]
	s_waitcnt vmcnt(0) lgkmcnt(0)
	v_mul_f32_e32 v88, s12, v88
.LBB55_48:
	v_pk_add_f32 v[90:91], v[12:13], v[56:57]
	s_mov_b64 vcc, s[4:5]
	v_min3_f32 v89, v90, v91, v141
	v_pk_add_f32 v[90:91], v[8:9], v[56:57]
	s_nop 0
	v_min3_f32 v141, v90, v91, v142
	v_pk_add_f32 v[90:91], v[14:15], v[58:59]
	s_nop 0
	v_min_f32_e32 v142, v90, v91
	v_pk_add_f32 v[90:91], v[10:11], v[58:59]
	s_nop 0
	v_min3_f32 v90, v90, v91, v141
	v_min3_f32 v91, v88, v142, v89
	v_lshl_add_u64 v[88:89], v[70:71], 2, v[60:61]
	global_store_dword v[88:89], v91, off
	v_max_f32_e32 v88, v90, v90
	s_cbranch_vccz .LBB55_51
; %bb.49:
	v_min_f32_e32 v89, 0, v88
	v_lshl_add_u64 v[90:91], v[84:85], 2, v[60:61]
	s_mov_b32 s10, 0
	global_store_dword v[90:91], v89, off
	s_cbranch_execz .LBB55_52
; %bb.50:
	v_mov_b32_e32 v62, s10
	s_branch .LBB55_53
.LBB55_51:
                                        ; implicit-def: $sgpr10
.LBB55_52:
	v_lshl_add_u64 v[90:91], v[62:63], 0, v[86:87]
	flat_load_dword v89, v[90:91]
	v_lshl_add_u64 v[90:91], v[60:61], 0, v[86:87]
	v_lshl_add_u64 v[62:63], v[76:77], 2, v[62:63]
	s_waitcnt vmcnt(0) lgkmcnt(0)
	v_mul_f32_e32 v89, s12, v89
	v_min_f32_e32 v88, v89, v88
	global_store_dword v[90:91], v88, off
	flat_load_dword v62, v[62:63]
	s_waitcnt vmcnt(0) lgkmcnt(0)
	v_mul_f32_e32 v62, s12, v62
.LBB55_53:
	v_pk_add_f32 v[56:57], v[0:1], v[56:57]
	s_mov_b64 vcc, s[4:5]
	v_min3_f32 v63, v56, v57, v139
	s_waitcnt lgkmcnt(5)
	v_pk_add_f32 v[56:57], v[32:33], v[52:53]
	s_nop 0
	v_min3_f32 v88, v56, v57, v140
	v_pk_add_f32 v[56:57], v[2:3], v[58:59]
	s_nop 0
	v_min_f32_e32 v58, v56, v57
	v_pk_add_f32 v[56:57], v[34:35], v[54:55]
	v_min3_f32 v58, v62, v58, v63
	v_min3_f32 v88, v56, v57, v88
	v_lshl_add_u64 v[56:57], v[76:77], 2, v[60:61]
	global_store_dword v[56:57], v58, off
	v_add_u32_e32 v58, 16, v150
	v_mad_i64_i32 v[56:57], s[2:3], v58, s9, 0
	v_lshl_add_u64 v[56:57], v[56:57], 2, s[0:1]
	v_mad_i64_i32 v[58:59], s[2:3], v58, s8, 0
	v_max_f32_e32 v60, v88, v88
	s_cbranch_vccz .LBB55_56
; %bb.54:
	v_min_f32_e32 v61, 0, v60
	v_lshl_add_u64 v[62:63], v[68:69], 2, v[56:57]
	s_mov_b32 s10, 0
	global_store_dword v[62:63], v61, off
	v_lshl_add_u64 v[58:59], v[58:59], 2, s[6:7]
	s_cbranch_execz .LBB55_57
; %bb.55:
	v_mov_b32_e32 v60, s10
	s_branch .LBB55_58
.LBB55_56:
                                        ; implicit-def: $sgpr10
	v_lshl_add_u64 v[58:59], v[58:59], 2, s[6:7]
.LBB55_57:
	v_lshl_add_u64 v[62:63], v[58:59], 0, v[72:73]
	flat_load_dword v61, v[62:63]
	v_lshl_add_u64 v[62:63], v[56:57], 0, v[72:73]
	s_waitcnt vmcnt(0) lgkmcnt(0)
	v_mul_f32_e32 v61, s12, v61
	v_min_f32_e32 v60, v61, v60
	global_store_dword v[62:63], v60, off
	v_lshl_add_u64 v[60:61], v[64:65], 2, v[58:59]
	flat_load_dword v60, v[60:61]
	s_waitcnt vmcnt(0) lgkmcnt(0)
	v_mul_f32_e32 v60, s12, v60
.LBB55_58:
	v_pk_add_f32 v[62:63], v[28:29], v[52:53]
	s_mov_b64 vcc, s[4:5]
	v_min3_f32 v61, v62, v63, v136
	v_pk_add_f32 v[62:63], v[24:25], v[52:53]
	s_nop 0
	v_min3_f32 v88, v62, v63, v137
	v_pk_add_f32 v[62:63], v[30:31], v[54:55]
	s_nop 0
	v_min_f32_e32 v89, v62, v63
	v_pk_add_f32 v[62:63], v[26:27], v[54:55]
	s_nop 0
	v_min3_f32 v62, v62, v63, v88
	v_min3_f32 v63, v60, v89, v61
	v_lshl_add_u64 v[60:61], v[64:65], 2, v[56:57]
	global_store_dword v[60:61], v63, off
	v_max_f32_e32 v60, v62, v62
	s_cbranch_vccz .LBB55_61
; %bb.59:
	v_min_f32_e32 v61, 0, v60
	v_lshl_add_u64 v[62:63], v[74:75], 2, v[56:57]
	s_mov_b32 s10, 0
	global_store_dword v[62:63], v61, off
	s_cbranch_execz .LBB55_62
; %bb.60:
	v_mov_b32_e32 v60, s10
	s_branch .LBB55_63
.LBB55_61:
                                        ; implicit-def: $sgpr10
.LBB55_62:
	v_lshl_add_u64 v[62:63], v[58:59], 0, v[78:79]
	flat_load_dword v61, v[62:63]
	v_lshl_add_u64 v[62:63], v[56:57], 0, v[78:79]
	s_waitcnt vmcnt(0) lgkmcnt(0)
	v_mul_f32_e32 v61, s12, v61
	v_min_f32_e32 v60, v61, v60
	global_store_dword v[62:63], v60, off
	v_lshl_add_u64 v[60:61], v[66:67], 2, v[58:59]
	flat_load_dword v60, v[60:61]
	s_waitcnt vmcnt(0) lgkmcnt(0)
	v_mul_f32_e32 v60, s12, v60
.LBB55_63:
	v_pk_add_f32 v[62:63], v[20:21], v[52:53]
	s_mov_b64 vcc, s[4:5]
	v_min3_f32 v61, v62, v63, v133
	v_pk_add_f32 v[62:63], v[16:17], v[52:53]
	s_nop 0
	v_min3_f32 v88, v62, v63, v134
	v_pk_add_f32 v[62:63], v[22:23], v[54:55]
	s_nop 0
	v_min_f32_e32 v89, v62, v63
	v_pk_add_f32 v[62:63], v[18:19], v[54:55]
	s_nop 0
	v_min3_f32 v62, v62, v63, v88
	v_min3_f32 v63, v60, v89, v61
	v_lshl_add_u64 v[60:61], v[66:67], 2, v[56:57]
	global_store_dword v[60:61], v63, off
	v_max_f32_e32 v60, v62, v62
	s_cbranch_vccz .LBB55_66
; %bb.64:
	v_min_f32_e32 v61, 0, v60
	v_lshl_add_u64 v[62:63], v[80:81], 2, v[56:57]
	s_mov_b32 s10, 0
	global_store_dword v[62:63], v61, off
	s_cbranch_execz .LBB55_67
; %bb.65:
	v_mov_b32_e32 v60, s10
	s_branch .LBB55_68
.LBB55_66:
                                        ; implicit-def: $sgpr10
.LBB55_67:
	v_lshl_add_u64 v[62:63], v[58:59], 0, v[82:83]
	flat_load_dword v61, v[62:63]
	v_lshl_add_u64 v[62:63], v[56:57], 0, v[82:83]
	s_waitcnt vmcnt(0) lgkmcnt(0)
	v_mul_f32_e32 v61, s12, v61
	v_min_f32_e32 v60, v61, v60
	global_store_dword v[62:63], v60, off
	v_lshl_add_u64 v[60:61], v[70:71], 2, v[58:59]
	flat_load_dword v60, v[60:61]
	s_waitcnt vmcnt(0) lgkmcnt(0)
	v_mul_f32_e32 v60, s12, v60
.LBB55_68:
	v_pk_add_f32 v[62:63], v[12:13], v[52:53]
	s_mov_b64 vcc, s[4:5]
	v_min3_f32 v61, v62, v63, v129
	v_pk_add_f32 v[62:63], v[8:9], v[52:53]
	s_nop 0
	v_min3_f32 v88, v62, v63, v130
	v_pk_add_f32 v[62:63], v[14:15], v[54:55]
	s_nop 0
	v_min_f32_e32 v89, v62, v63
	v_pk_add_f32 v[62:63], v[10:11], v[54:55]
	s_nop 0
	v_min3_f32 v62, v62, v63, v88
	v_min3_f32 v63, v60, v89, v61
	v_lshl_add_u64 v[60:61], v[70:71], 2, v[56:57]
	global_store_dword v[60:61], v63, off
	v_max_f32_e32 v60, v62, v62
	s_cbranch_vccz .LBB55_71
; %bb.69:
	v_min_f32_e32 v61, 0, v60
	v_lshl_add_u64 v[62:63], v[84:85], 2, v[56:57]
	s_mov_b32 s10, 0
	global_store_dword v[62:63], v61, off
	s_cbranch_execz .LBB55_72
; %bb.70:
	v_mov_b32_e32 v58, s10
	s_branch .LBB55_73
.LBB55_71:
                                        ; implicit-def: $sgpr10
.LBB55_72:
	v_lshl_add_u64 v[62:63], v[58:59], 0, v[86:87]
	flat_load_dword v61, v[62:63]
	v_lshl_add_u64 v[62:63], v[56:57], 0, v[86:87]
	v_lshl_add_u64 v[58:59], v[76:77], 2, v[58:59]
	s_waitcnt vmcnt(0) lgkmcnt(0)
	v_mul_f32_e32 v61, s12, v61
	v_min_f32_e32 v60, v61, v60
	global_store_dword v[62:63], v60, off
	flat_load_dword v58, v[58:59]
	s_waitcnt vmcnt(0) lgkmcnt(0)
	v_mul_f32_e32 v58, s12, v58
.LBB55_73:
	v_pk_add_f32 v[52:53], v[0:1], v[52:53]
	s_mov_b64 vcc, s[4:5]
	v_min3_f32 v59, v52, v53, v135
	s_waitcnt lgkmcnt(4)
	v_pk_add_f32 v[52:53], v[32:33], v[48:49]
	s_nop 0
	v_min3_f32 v60, v52, v53, v138
	v_pk_add_f32 v[52:53], v[2:3], v[54:55]
	s_nop 0
	v_min_f32_e32 v54, v52, v53
	v_pk_add_f32 v[52:53], v[34:35], v[50:51]
	v_min3_f32 v54, v58, v54, v59
	v_min3_f32 v60, v52, v53, v60
	v_lshl_add_u64 v[52:53], v[76:77], 2, v[56:57]
	global_store_dword v[52:53], v54, off
	v_add_u32_e32 v54, 24, v150
	v_mad_i64_i32 v[52:53], s[2:3], v54, s9, 0
	v_lshl_add_u64 v[52:53], v[52:53], 2, s[0:1]
	v_mad_i64_i32 v[54:55], s[2:3], v54, s8, 0
	v_max_f32_e32 v56, v60, v60
	s_cbranch_vccz .LBB55_76
; %bb.74:
	v_min_f32_e32 v57, 0, v56
	v_lshl_add_u64 v[58:59], v[68:69], 2, v[52:53]
	s_mov_b32 s10, 0
	global_store_dword v[58:59], v57, off
	v_lshl_add_u64 v[54:55], v[54:55], 2, s[6:7]
	s_cbranch_execz .LBB55_77
; %bb.75:
	v_mov_b32_e32 v56, s10
	s_branch .LBB55_78
.LBB55_76:
                                        ; implicit-def: $sgpr10
	v_lshl_add_u64 v[54:55], v[54:55], 2, s[6:7]
.LBB55_77:
	v_lshl_add_u64 v[58:59], v[54:55], 0, v[72:73]
	flat_load_dword v57, v[58:59]
	v_lshl_add_u64 v[58:59], v[52:53], 0, v[72:73]
	s_waitcnt vmcnt(0) lgkmcnt(0)
	v_mul_f32_e32 v57, s12, v57
	v_min_f32_e32 v56, v57, v56
	global_store_dword v[58:59], v56, off
	v_lshl_add_u64 v[56:57], v[64:65], 2, v[54:55]
	flat_load_dword v56, v[56:57]
	s_waitcnt vmcnt(0) lgkmcnt(0)
	v_mul_f32_e32 v56, s12, v56
.LBB55_78:
	v_pk_add_f32 v[58:59], v[28:29], v[48:49]
	s_mov_b64 vcc, s[4:5]
	v_min3_f32 v57, v58, v59, v131
	v_pk_add_f32 v[58:59], v[24:25], v[48:49]
	s_nop 0
	v_min3_f32 v60, v58, v59, v132
	v_pk_add_f32 v[58:59], v[30:31], v[50:51]
	s_nop 0
	v_min_f32_e32 v61, v58, v59
	v_pk_add_f32 v[58:59], v[26:27], v[50:51]
	s_nop 0
	v_min3_f32 v58, v58, v59, v60
	v_min3_f32 v59, v56, v61, v57
	v_lshl_add_u64 v[56:57], v[64:65], 2, v[52:53]
	global_store_dword v[56:57], v59, off
	v_max_f32_e32 v56, v58, v58
	s_cbranch_vccz .LBB55_81
; %bb.79:
	v_min_f32_e32 v57, 0, v56
	v_lshl_add_u64 v[58:59], v[74:75], 2, v[52:53]
	s_mov_b32 s10, 0
	global_store_dword v[58:59], v57, off
	s_cbranch_execz .LBB55_82
; %bb.80:
	v_mov_b32_e32 v56, s10
	s_branch .LBB55_83
.LBB55_81:
                                        ; implicit-def: $sgpr10
.LBB55_82:
	v_lshl_add_u64 v[58:59], v[54:55], 0, v[78:79]
	flat_load_dword v57, v[58:59]
	v_lshl_add_u64 v[58:59], v[52:53], 0, v[78:79]
	s_waitcnt vmcnt(0) lgkmcnt(0)
	v_mul_f32_e32 v57, s12, v57
	v_min_f32_e32 v56, v57, v56
	global_store_dword v[58:59], v56, off
	v_lshl_add_u64 v[56:57], v[66:67], 2, v[54:55]
	flat_load_dword v56, v[56:57]
	s_waitcnt vmcnt(0) lgkmcnt(0)
	v_mul_f32_e32 v56, s12, v56
.LBB55_83:
	v_pk_add_f32 v[58:59], v[20:21], v[48:49]
	s_mov_b64 vcc, s[4:5]
	v_min3_f32 v57, v58, v59, v127
	v_pk_add_f32 v[58:59], v[16:17], v[48:49]
	s_nop 0
	v_min3_f32 v60, v58, v59, v128
	v_pk_add_f32 v[58:59], v[22:23], v[50:51]
	s_nop 0
	v_min_f32_e32 v61, v58, v59
	v_pk_add_f32 v[58:59], v[18:19], v[50:51]
	s_nop 0
	v_min3_f32 v58, v58, v59, v60
	v_min3_f32 v59, v56, v61, v57
	v_lshl_add_u64 v[56:57], v[66:67], 2, v[52:53]
	global_store_dword v[56:57], v59, off
	v_max_f32_e32 v56, v58, v58
	s_cbranch_vccz .LBB55_86
; %bb.84:
	v_min_f32_e32 v57, 0, v56
	v_lshl_add_u64 v[58:59], v[80:81], 2, v[52:53]
	s_mov_b32 s10, 0
	global_store_dword v[58:59], v57, off
	s_cbranch_execz .LBB55_87
; %bb.85:
	v_mov_b32_e32 v56, s10
	s_branch .LBB55_88
.LBB55_86:
                                        ; implicit-def: $sgpr10
.LBB55_87:
	v_lshl_add_u64 v[58:59], v[54:55], 0, v[82:83]
	flat_load_dword v57, v[58:59]
	v_lshl_add_u64 v[58:59], v[52:53], 0, v[82:83]
	s_waitcnt vmcnt(0) lgkmcnt(0)
	v_mul_f32_e32 v57, s12, v57
	v_min_f32_e32 v56, v57, v56
	global_store_dword v[58:59], v56, off
	v_lshl_add_u64 v[56:57], v[70:71], 2, v[54:55]
	flat_load_dword v56, v[56:57]
	s_waitcnt vmcnt(0) lgkmcnt(0)
	v_mul_f32_e32 v56, s12, v56
.LBB55_88:
	v_pk_add_f32 v[58:59], v[12:13], v[48:49]
	s_mov_b64 vcc, s[4:5]
	v_min3_f32 v57, v58, v59, v125
	v_pk_add_f32 v[58:59], v[8:9], v[48:49]
	s_nop 0
	v_min3_f32 v60, v58, v59, v126
	v_pk_add_f32 v[58:59], v[14:15], v[50:51]
	s_nop 0
	v_min_f32_e32 v61, v58, v59
	v_pk_add_f32 v[58:59], v[10:11], v[50:51]
	s_nop 0
	v_min3_f32 v58, v58, v59, v60
	v_min3_f32 v59, v56, v61, v57
	v_lshl_add_u64 v[56:57], v[70:71], 2, v[52:53]
	global_store_dword v[56:57], v59, off
	v_max_f32_e32 v56, v58, v58
	s_cbranch_vccz .LBB55_91
; %bb.89:
	v_min_f32_e32 v57, 0, v56
	v_lshl_add_u64 v[58:59], v[84:85], 2, v[52:53]
	s_mov_b32 s10, 0
	global_store_dword v[58:59], v57, off
	s_cbranch_execz .LBB55_92
; %bb.90:
	v_mov_b32_e32 v54, s10
	s_branch .LBB55_93
.LBB55_91:
                                        ; implicit-def: $sgpr10
.LBB55_92:
	v_lshl_add_u64 v[58:59], v[54:55], 0, v[86:87]
	flat_load_dword v57, v[58:59]
	v_lshl_add_u64 v[58:59], v[52:53], 0, v[86:87]
	v_lshl_add_u64 v[54:55], v[76:77], 2, v[54:55]
	s_waitcnt vmcnt(0) lgkmcnt(0)
	v_mul_f32_e32 v57, s12, v57
	v_min_f32_e32 v56, v57, v56
	global_store_dword v[58:59], v56, off
	flat_load_dword v54, v[54:55]
	s_waitcnt vmcnt(0) lgkmcnt(0)
	v_mul_f32_e32 v54, s12, v54
.LBB55_93:
	v_pk_add_f32 v[48:49], v[0:1], v[48:49]
	s_mov_b64 vcc, s[4:5]
	v_min3_f32 v55, v48, v49, v123
	s_waitcnt lgkmcnt(3)
	v_pk_add_f32 v[48:49], v[32:33], v[44:45]
	s_nop 0
	v_min3_f32 v56, v48, v49, v124
	v_pk_add_f32 v[48:49], v[2:3], v[50:51]
	s_nop 0
	v_min_f32_e32 v50, v48, v49
	v_pk_add_f32 v[48:49], v[34:35], v[46:47]
	v_min3_f32 v50, v54, v50, v55
	v_min3_f32 v56, v48, v49, v56
	v_lshl_add_u64 v[48:49], v[76:77], 2, v[52:53]
	global_store_dword v[48:49], v50, off
	v_add_u32_e32 v50, 32, v150
	v_mad_i64_i32 v[48:49], s[2:3], v50, s9, 0
	v_lshl_add_u64 v[48:49], v[48:49], 2, s[0:1]
	v_mad_i64_i32 v[50:51], s[2:3], v50, s8, 0
	v_max_f32_e32 v52, v56, v56
	s_cbranch_vccz .LBB55_96
; %bb.94:
	v_min_f32_e32 v53, 0, v52
	v_lshl_add_u64 v[54:55], v[68:69], 2, v[48:49]
	s_mov_b32 s10, 0
	global_store_dword v[54:55], v53, off
	v_lshl_add_u64 v[50:51], v[50:51], 2, s[6:7]
	s_cbranch_execz .LBB55_97
; %bb.95:
	v_mov_b32_e32 v52, s10
	s_branch .LBB55_98
.LBB55_96:
                                        ; implicit-def: $sgpr10
	v_lshl_add_u64 v[50:51], v[50:51], 2, s[6:7]
.LBB55_97:
	v_lshl_add_u64 v[54:55], v[50:51], 0, v[72:73]
	flat_load_dword v53, v[54:55]
	v_lshl_add_u64 v[54:55], v[48:49], 0, v[72:73]
	s_waitcnt vmcnt(0) lgkmcnt(0)
	v_mul_f32_e32 v53, s12, v53
	v_min_f32_e32 v52, v53, v52
	global_store_dword v[54:55], v52, off
	v_lshl_add_u64 v[52:53], v[64:65], 2, v[50:51]
	flat_load_dword v52, v[52:53]
	s_waitcnt vmcnt(0) lgkmcnt(0)
	v_mul_f32_e32 v52, s12, v52
.LBB55_98:
	v_pk_add_f32 v[54:55], v[28:29], v[44:45]
	s_mov_b64 vcc, s[4:5]
	v_min3_f32 v53, v54, v55, v121
	v_pk_add_f32 v[54:55], v[24:25], v[44:45]
	s_nop 0
	v_min3_f32 v56, v54, v55, v122
	v_pk_add_f32 v[54:55], v[30:31], v[46:47]
	s_nop 0
	v_min_f32_e32 v57, v54, v55
	v_pk_add_f32 v[54:55], v[26:27], v[46:47]
	s_nop 0
	v_min3_f32 v54, v54, v55, v56
	v_min3_f32 v55, v52, v57, v53
	v_lshl_add_u64 v[52:53], v[64:65], 2, v[48:49]
	global_store_dword v[52:53], v55, off
	v_max_f32_e32 v52, v54, v54
	s_cbranch_vccz .LBB55_101
; %bb.99:
	v_min_f32_e32 v53, 0, v52
	v_lshl_add_u64 v[54:55], v[74:75], 2, v[48:49]
	s_mov_b32 s10, 0
	global_store_dword v[54:55], v53, off
	s_cbranch_execz .LBB55_102
; %bb.100:
	v_mov_b32_e32 v52, s10
	s_branch .LBB55_103
.LBB55_101:
                                        ; implicit-def: $sgpr10
.LBB55_102:
	v_lshl_add_u64 v[54:55], v[50:51], 0, v[78:79]
	flat_load_dword v53, v[54:55]
	v_lshl_add_u64 v[54:55], v[48:49], 0, v[78:79]
	s_waitcnt vmcnt(0) lgkmcnt(0)
	v_mul_f32_e32 v53, s12, v53
	v_min_f32_e32 v52, v53, v52
	global_store_dword v[54:55], v52, off
	v_lshl_add_u64 v[52:53], v[66:67], 2, v[50:51]
	flat_load_dword v52, v[52:53]
	s_waitcnt vmcnt(0) lgkmcnt(0)
	v_mul_f32_e32 v52, s12, v52
.LBB55_103:
	v_pk_add_f32 v[54:55], v[20:21], v[44:45]
	s_mov_b64 vcc, s[4:5]
	v_min3_f32 v53, v54, v55, v119
	v_pk_add_f32 v[54:55], v[16:17], v[44:45]
	s_nop 0
	v_min3_f32 v56, v54, v55, v120
	v_pk_add_f32 v[54:55], v[22:23], v[46:47]
	s_nop 0
	v_min_f32_e32 v57, v54, v55
	v_pk_add_f32 v[54:55], v[18:19], v[46:47]
	s_nop 0
	v_min3_f32 v54, v54, v55, v56
	v_min3_f32 v55, v52, v57, v53
	v_lshl_add_u64 v[52:53], v[66:67], 2, v[48:49]
	global_store_dword v[52:53], v55, off
	v_max_f32_e32 v52, v54, v54
	s_cbranch_vccz .LBB55_106
; %bb.104:
	v_min_f32_e32 v53, 0, v52
	v_lshl_add_u64 v[54:55], v[80:81], 2, v[48:49]
	s_mov_b32 s10, 0
	global_store_dword v[54:55], v53, off
	s_cbranch_execz .LBB55_107
; %bb.105:
	v_mov_b32_e32 v52, s10
	s_branch .LBB55_108
.LBB55_106:
                                        ; implicit-def: $sgpr10
.LBB55_107:
	v_lshl_add_u64 v[54:55], v[50:51], 0, v[82:83]
	flat_load_dword v53, v[54:55]
	v_lshl_add_u64 v[54:55], v[48:49], 0, v[82:83]
	s_waitcnt vmcnt(0) lgkmcnt(0)
	v_mul_f32_e32 v53, s12, v53
	v_min_f32_e32 v52, v53, v52
	global_store_dword v[54:55], v52, off
	v_lshl_add_u64 v[52:53], v[70:71], 2, v[50:51]
	flat_load_dword v52, v[52:53]
	s_waitcnt vmcnt(0) lgkmcnt(0)
	v_mul_f32_e32 v52, s12, v52
.LBB55_108:
	v_pk_add_f32 v[54:55], v[12:13], v[44:45]
	s_mov_b64 vcc, s[4:5]
	v_min3_f32 v53, v54, v55, v117
	v_pk_add_f32 v[54:55], v[8:9], v[44:45]
	s_nop 0
	v_min3_f32 v56, v54, v55, v118
	v_pk_add_f32 v[54:55], v[14:15], v[46:47]
	s_nop 0
	v_min_f32_e32 v57, v54, v55
	v_pk_add_f32 v[54:55], v[10:11], v[46:47]
	s_nop 0
	v_min3_f32 v54, v54, v55, v56
	v_min3_f32 v55, v52, v57, v53
	v_lshl_add_u64 v[52:53], v[70:71], 2, v[48:49]
	global_store_dword v[52:53], v55, off
	v_max_f32_e32 v52, v54, v54
	s_cbranch_vccz .LBB55_111
; %bb.109:
	v_min_f32_e32 v53, 0, v52
	v_lshl_add_u64 v[54:55], v[84:85], 2, v[48:49]
	s_mov_b32 s10, 0
	global_store_dword v[54:55], v53, off
	s_cbranch_execz .LBB55_112
; %bb.110:
	v_mov_b32_e32 v50, s10
	s_branch .LBB55_113
.LBB55_111:
                                        ; implicit-def: $sgpr10
.LBB55_112:
	v_lshl_add_u64 v[54:55], v[50:51], 0, v[86:87]
	flat_load_dword v53, v[54:55]
	v_lshl_add_u64 v[54:55], v[48:49], 0, v[86:87]
	v_lshl_add_u64 v[50:51], v[76:77], 2, v[50:51]
	s_waitcnt vmcnt(0) lgkmcnt(0)
	v_mul_f32_e32 v53, s12, v53
	v_min_f32_e32 v52, v53, v52
	global_store_dword v[54:55], v52, off
	flat_load_dword v50, v[50:51]
	s_waitcnt vmcnt(0) lgkmcnt(0)
	v_mul_f32_e32 v50, s12, v50
.LBB55_113:
	v_pk_add_f32 v[44:45], v[0:1], v[44:45]
	s_mov_b64 vcc, s[4:5]
	v_min3_f32 v51, v44, v45, v115
	s_waitcnt lgkmcnt(2)
	v_pk_add_f32 v[44:45], v[32:33], v[40:41]
	s_nop 0
	v_min3_f32 v52, v44, v45, v116
	v_pk_add_f32 v[44:45], v[2:3], v[46:47]
	s_nop 0
	v_min_f32_e32 v46, v44, v45
	v_pk_add_f32 v[44:45], v[34:35], v[42:43]
	v_min3_f32 v46, v50, v46, v51
	v_min3_f32 v52, v44, v45, v52
	v_lshl_add_u64 v[44:45], v[76:77], 2, v[48:49]
	global_store_dword v[44:45], v46, off
	v_add_u32_e32 v46, 40, v150
	v_mad_i64_i32 v[44:45], s[2:3], v46, s9, 0
	v_lshl_add_u64 v[44:45], v[44:45], 2, s[0:1]
	v_mad_i64_i32 v[46:47], s[2:3], v46, s8, 0
	v_max_f32_e32 v48, v52, v52
	s_cbranch_vccz .LBB55_116
; %bb.114:
	v_min_f32_e32 v49, 0, v48
	v_lshl_add_u64 v[50:51], v[68:69], 2, v[44:45]
	s_mov_b32 s10, 0
	global_store_dword v[50:51], v49, off
	v_lshl_add_u64 v[46:47], v[46:47], 2, s[6:7]
	s_cbranch_execz .LBB55_117
; %bb.115:
	v_mov_b32_e32 v48, s10
	s_branch .LBB55_118
.LBB55_116:
                                        ; implicit-def: $sgpr10
	v_lshl_add_u64 v[46:47], v[46:47], 2, s[6:7]
.LBB55_117:
	v_lshl_add_u64 v[50:51], v[46:47], 0, v[72:73]
	flat_load_dword v49, v[50:51]
	v_lshl_add_u64 v[50:51], v[44:45], 0, v[72:73]
	s_waitcnt vmcnt(0) lgkmcnt(0)
	v_mul_f32_e32 v49, s12, v49
	v_min_f32_e32 v48, v49, v48
	global_store_dword v[50:51], v48, off
	v_lshl_add_u64 v[48:49], v[64:65], 2, v[46:47]
	flat_load_dword v48, v[48:49]
	s_waitcnt vmcnt(0) lgkmcnt(0)
	v_mul_f32_e32 v48, s12, v48
.LBB55_118:
	v_pk_add_f32 v[50:51], v[28:29], v[40:41]
	s_mov_b64 vcc, s[4:5]
	v_min3_f32 v49, v50, v51, v113
	v_pk_add_f32 v[50:51], v[24:25], v[40:41]
	s_nop 0
	v_min3_f32 v52, v50, v51, v114
	v_pk_add_f32 v[50:51], v[30:31], v[42:43]
	s_nop 0
	v_min_f32_e32 v53, v50, v51
	v_pk_add_f32 v[50:51], v[26:27], v[42:43]
	s_nop 0
	v_min3_f32 v50, v50, v51, v52
	v_min3_f32 v51, v48, v53, v49
	v_lshl_add_u64 v[48:49], v[64:65], 2, v[44:45]
	global_store_dword v[48:49], v51, off
	v_max_f32_e32 v48, v50, v50
	s_cbranch_vccz .LBB55_121
; %bb.119:
	v_min_f32_e32 v49, 0, v48
	v_lshl_add_u64 v[50:51], v[74:75], 2, v[44:45]
	s_mov_b32 s10, 0
	global_store_dword v[50:51], v49, off
	s_cbranch_execz .LBB55_122
; %bb.120:
	v_mov_b32_e32 v48, s10
	s_branch .LBB55_123
.LBB55_121:
                                        ; implicit-def: $sgpr10
.LBB55_122:
	v_lshl_add_u64 v[50:51], v[46:47], 0, v[78:79]
	flat_load_dword v49, v[50:51]
	v_lshl_add_u64 v[50:51], v[44:45], 0, v[78:79]
	s_waitcnt vmcnt(0) lgkmcnt(0)
	v_mul_f32_e32 v49, s12, v49
	v_min_f32_e32 v48, v49, v48
	global_store_dword v[50:51], v48, off
	v_lshl_add_u64 v[48:49], v[66:67], 2, v[46:47]
	flat_load_dword v48, v[48:49]
	s_waitcnt vmcnt(0) lgkmcnt(0)
	v_mul_f32_e32 v48, s12, v48
.LBB55_123:
	v_pk_add_f32 v[50:51], v[20:21], v[40:41]
	s_mov_b64 vcc, s[4:5]
	v_min3_f32 v49, v50, v51, v111
	v_pk_add_f32 v[50:51], v[16:17], v[40:41]
	s_nop 0
	v_min3_f32 v52, v50, v51, v112
	v_pk_add_f32 v[50:51], v[22:23], v[42:43]
	s_nop 0
	v_min_f32_e32 v53, v50, v51
	v_pk_add_f32 v[50:51], v[18:19], v[42:43]
	s_nop 0
	v_min3_f32 v50, v50, v51, v52
	v_min3_f32 v51, v48, v53, v49
	v_lshl_add_u64 v[48:49], v[66:67], 2, v[44:45]
	global_store_dword v[48:49], v51, off
	v_max_f32_e32 v48, v50, v50
	s_cbranch_vccz .LBB55_126
; %bb.124:
	v_min_f32_e32 v49, 0, v48
	v_lshl_add_u64 v[50:51], v[80:81], 2, v[44:45]
	s_mov_b32 s10, 0
	global_store_dword v[50:51], v49, off
	s_cbranch_execz .LBB55_127
; %bb.125:
	v_mov_b32_e32 v48, s10
	s_branch .LBB55_128
.LBB55_126:
                                        ; implicit-def: $sgpr10
.LBB55_127:
	v_lshl_add_u64 v[50:51], v[46:47], 0, v[82:83]
	flat_load_dword v49, v[50:51]
	v_lshl_add_u64 v[50:51], v[44:45], 0, v[82:83]
	s_waitcnt vmcnt(0) lgkmcnt(0)
	v_mul_f32_e32 v49, s12, v49
	v_min_f32_e32 v48, v49, v48
	global_store_dword v[50:51], v48, off
	v_lshl_add_u64 v[48:49], v[70:71], 2, v[46:47]
	flat_load_dword v48, v[48:49]
	s_waitcnt vmcnt(0) lgkmcnt(0)
	v_mul_f32_e32 v48, s12, v48
.LBB55_128:
	v_pk_add_f32 v[50:51], v[12:13], v[40:41]
	s_mov_b64 vcc, s[4:5]
	v_min3_f32 v49, v50, v51, v109
	v_pk_add_f32 v[50:51], v[8:9], v[40:41]
	s_nop 0
	v_min3_f32 v52, v50, v51, v110
	v_pk_add_f32 v[50:51], v[14:15], v[42:43]
	s_nop 0
	v_min_f32_e32 v53, v50, v51
	v_pk_add_f32 v[50:51], v[10:11], v[42:43]
	s_nop 0
	v_min3_f32 v50, v50, v51, v52
	v_min3_f32 v51, v48, v53, v49
	v_lshl_add_u64 v[48:49], v[70:71], 2, v[44:45]
	global_store_dword v[48:49], v51, off
	v_max_f32_e32 v48, v50, v50
	s_cbranch_vccz .LBB55_131
; %bb.129:
	v_min_f32_e32 v49, 0, v48
	v_lshl_add_u64 v[50:51], v[84:85], 2, v[44:45]
	s_mov_b32 s10, 0
	global_store_dword v[50:51], v49, off
	s_cbranch_execz .LBB55_132
; %bb.130:
	v_mov_b32_e32 v46, s10
	s_branch .LBB55_133
.LBB55_131:
                                        ; implicit-def: $sgpr10
.LBB55_132:
	v_lshl_add_u64 v[50:51], v[46:47], 0, v[86:87]
	flat_load_dword v49, v[50:51]
	v_lshl_add_u64 v[50:51], v[44:45], 0, v[86:87]
	v_lshl_add_u64 v[46:47], v[76:77], 2, v[46:47]
	s_waitcnt vmcnt(0) lgkmcnt(0)
	v_mul_f32_e32 v49, s12, v49
	v_min_f32_e32 v48, v49, v48
	global_store_dword v[50:51], v48, off
	flat_load_dword v46, v[46:47]
	s_waitcnt vmcnt(0) lgkmcnt(0)
	v_mul_f32_e32 v46, s12, v46
.LBB55_133:
	v_pk_add_f32 v[40:41], v[0:1], v[40:41]
	s_mov_b64 vcc, s[4:5]
	v_min3_f32 v47, v40, v41, v107
	s_waitcnt lgkmcnt(1)
	v_pk_add_f32 v[40:41], v[32:33], v[36:37]
	s_nop 0
	v_min3_f32 v48, v40, v41, v108
	v_pk_add_f32 v[40:41], v[2:3], v[42:43]
	s_nop 0
	v_min_f32_e32 v42, v40, v41
	v_pk_add_f32 v[40:41], v[34:35], v[38:39]
	v_min3_f32 v42, v46, v42, v47
	v_min3_f32 v48, v40, v41, v48
	v_lshl_add_u64 v[40:41], v[76:77], 2, v[44:45]
	global_store_dword v[40:41], v42, off
	v_add_u32_e32 v42, 48, v150
	v_mad_i64_i32 v[40:41], s[2:3], v42, s9, 0
	v_lshl_add_u64 v[40:41], v[40:41], 2, s[0:1]
	v_mad_i64_i32 v[42:43], s[2:3], v42, s8, 0
	v_max_f32_e32 v44, v48, v48
	s_cbranch_vccz .LBB55_136
; %bb.134:
	v_min_f32_e32 v45, 0, v44
	v_lshl_add_u64 v[46:47], v[68:69], 2, v[40:41]
	s_mov_b32 s10, 0
	global_store_dword v[46:47], v45, off
	v_lshl_add_u64 v[42:43], v[42:43], 2, s[6:7]
	s_cbranch_execz .LBB55_137
; %bb.135:
	v_mov_b32_e32 v44, s10
	s_branch .LBB55_138
.LBB55_136:
                                        ; implicit-def: $sgpr10
	v_lshl_add_u64 v[42:43], v[42:43], 2, s[6:7]
.LBB55_137:
	v_lshl_add_u64 v[46:47], v[42:43], 0, v[72:73]
	flat_load_dword v45, v[46:47]
	v_lshl_add_u64 v[46:47], v[40:41], 0, v[72:73]
	s_waitcnt vmcnt(0) lgkmcnt(0)
	v_mul_f32_e32 v45, s12, v45
	v_min_f32_e32 v44, v45, v44
	global_store_dword v[46:47], v44, off
	v_lshl_add_u64 v[44:45], v[64:65], 2, v[42:43]
	flat_load_dword v44, v[44:45]
	s_waitcnt vmcnt(0) lgkmcnt(0)
	v_mul_f32_e32 v44, s12, v44
.LBB55_138:
	v_pk_add_f32 v[46:47], v[28:29], v[36:37]
	s_mov_b64 vcc, s[4:5]
	v_min3_f32 v45, v46, v47, v105
	v_pk_add_f32 v[46:47], v[24:25], v[36:37]
	s_nop 0
	v_min3_f32 v48, v46, v47, v106
	v_pk_add_f32 v[46:47], v[30:31], v[38:39]
	s_nop 0
	v_min_f32_e32 v49, v46, v47
	v_pk_add_f32 v[46:47], v[26:27], v[38:39]
	s_nop 0
	v_min3_f32 v46, v46, v47, v48
	v_min3_f32 v47, v44, v49, v45
	v_lshl_add_u64 v[44:45], v[64:65], 2, v[40:41]
	global_store_dword v[44:45], v47, off
	v_max_f32_e32 v44, v46, v46
	s_cbranch_vccz .LBB55_141
; %bb.139:
	v_min_f32_e32 v45, 0, v44
	v_lshl_add_u64 v[46:47], v[74:75], 2, v[40:41]
	s_mov_b32 s10, 0
	global_store_dword v[46:47], v45, off
	s_cbranch_execz .LBB55_142
; %bb.140:
	v_mov_b32_e32 v44, s10
	s_branch .LBB55_143
.LBB55_141:
                                        ; implicit-def: $sgpr10
.LBB55_142:
	v_lshl_add_u64 v[46:47], v[42:43], 0, v[78:79]
	flat_load_dword v45, v[46:47]
	v_lshl_add_u64 v[46:47], v[40:41], 0, v[78:79]
	s_waitcnt vmcnt(0) lgkmcnt(0)
	v_mul_f32_e32 v45, s12, v45
	v_min_f32_e32 v44, v45, v44
	global_store_dword v[46:47], v44, off
	v_lshl_add_u64 v[44:45], v[66:67], 2, v[42:43]
	flat_load_dword v44, v[44:45]
	s_waitcnt vmcnt(0) lgkmcnt(0)
	v_mul_f32_e32 v44, s12, v44
.LBB55_143:
	v_pk_add_f32 v[46:47], v[20:21], v[36:37]
	s_mov_b64 vcc, s[4:5]
	v_min3_f32 v45, v46, v47, v103
	v_pk_add_f32 v[46:47], v[16:17], v[36:37]
	s_nop 0
	v_min3_f32 v48, v46, v47, v104
	v_pk_add_f32 v[46:47], v[22:23], v[38:39]
	s_nop 0
	v_min_f32_e32 v49, v46, v47
	v_pk_add_f32 v[46:47], v[18:19], v[38:39]
	s_nop 0
	v_min3_f32 v46, v46, v47, v48
	v_min3_f32 v47, v44, v49, v45
	v_lshl_add_u64 v[44:45], v[66:67], 2, v[40:41]
	global_store_dword v[44:45], v47, off
	v_max_f32_e32 v44, v46, v46
	s_cbranch_vccz .LBB55_146
; %bb.144:
	v_min_f32_e32 v45, 0, v44
	v_lshl_add_u64 v[46:47], v[80:81], 2, v[40:41]
	s_mov_b32 s10, 0
	global_store_dword v[46:47], v45, off
	s_cbranch_execz .LBB55_147
; %bb.145:
	v_mov_b32_e32 v44, s10
	s_branch .LBB55_148
.LBB55_146:
                                        ; implicit-def: $sgpr10
.LBB55_147:
	v_lshl_add_u64 v[46:47], v[42:43], 0, v[82:83]
	flat_load_dword v45, v[46:47]
	v_lshl_add_u64 v[46:47], v[40:41], 0, v[82:83]
	s_waitcnt vmcnt(0) lgkmcnt(0)
	v_mul_f32_e32 v45, s12, v45
	v_min_f32_e32 v44, v45, v44
	global_store_dword v[46:47], v44, off
	v_lshl_add_u64 v[44:45], v[70:71], 2, v[42:43]
	flat_load_dword v44, v[44:45]
	s_waitcnt vmcnt(0) lgkmcnt(0)
	v_mul_f32_e32 v44, s12, v44
.LBB55_148:
	v_pk_add_f32 v[46:47], v[12:13], v[36:37]
	s_mov_b64 vcc, s[4:5]
	v_min3_f32 v45, v46, v47, v101
	v_pk_add_f32 v[46:47], v[8:9], v[36:37]
	s_nop 0
	v_min3_f32 v48, v46, v47, v102
	v_pk_add_f32 v[46:47], v[14:15], v[38:39]
	s_nop 0
	v_min_f32_e32 v49, v46, v47
	v_pk_add_f32 v[46:47], v[10:11], v[38:39]
	s_nop 0
	v_min3_f32 v46, v46, v47, v48
	v_min3_f32 v47, v44, v49, v45
	v_lshl_add_u64 v[44:45], v[70:71], 2, v[40:41]
	global_store_dword v[44:45], v47, off
	v_max_f32_e32 v44, v46, v46
	s_cbranch_vccz .LBB55_151
; %bb.149:
	v_min_f32_e32 v45, 0, v44
	v_lshl_add_u64 v[46:47], v[84:85], 2, v[40:41]
	s_mov_b32 s10, 0
	global_store_dword v[46:47], v45, off
	s_cbranch_execz .LBB55_152
; %bb.150:
	v_mov_b32_e32 v42, s10
	s_branch .LBB55_153
.LBB55_151:
                                        ; implicit-def: $sgpr10
.LBB55_152:
	v_lshl_add_u64 v[46:47], v[42:43], 0, v[86:87]
	flat_load_dword v45, v[46:47]
	v_lshl_add_u64 v[46:47], v[40:41], 0, v[86:87]
	v_lshl_add_u64 v[42:43], v[76:77], 2, v[42:43]
	s_waitcnt vmcnt(0) lgkmcnt(0)
	v_mul_f32_e32 v45, s12, v45
	v_min_f32_e32 v44, v45, v44
	global_store_dword v[46:47], v44, off
	flat_load_dword v42, v[42:43]
	s_waitcnt vmcnt(0) lgkmcnt(0)
	v_mul_f32_e32 v42, s12, v42
.LBB55_153:
	v_pk_add_f32 v[36:37], v[0:1], v[36:37]
	s_waitcnt lgkmcnt(0)
	v_pk_add_f32 v[32:33], v[32:33], v[4:5]
	v_min3_f32 v36, v36, v37, v99
	v_min3_f32 v37, v32, v33, v100
	v_pk_add_f32 v[32:33], v[2:3], v[38:39]
	s_mov_b64 vcc, s[4:5]
	v_min_f32_e32 v38, v32, v33
	v_pk_add_f32 v[32:33], v[34:35], v[6:7]
	v_min3_f32 v34, v42, v38, v36
	v_min3_f32 v37, v32, v33, v37
	v_lshl_add_u64 v[32:33], v[76:77], 2, v[40:41]
	global_store_dword v[32:33], v34, off
	v_add_u32_e32 v34, 56, v150
	v_mad_i64_i32 v[32:33], s[2:3], v34, s9, 0
	v_lshl_add_u64 v[32:33], v[32:33], 2, s[0:1]
	v_mad_i64_i32 v[34:35], s[0:1], v34, s8, 0
	v_max_f32_e32 v36, v37, v37
	s_cbranch_vccz .LBB55_156
; %bb.154:
	v_min_f32_e32 v37, 0, v36
	v_lshl_add_u64 v[38:39], v[68:69], 2, v[32:33]
	s_mov_b32 s2, 0
	global_store_dword v[38:39], v37, off
	v_lshl_add_u64 v[34:35], v[34:35], 2, s[6:7]
	s_cbranch_execz .LBB55_157
; %bb.155:
	v_mov_b32_e32 v36, s2
	s_branch .LBB55_158
.LBB55_156:
                                        ; implicit-def: $sgpr2
	v_lshl_add_u64 v[34:35], v[34:35], 2, s[6:7]
.LBB55_157:
	v_lshl_add_u64 v[38:39], v[34:35], 0, v[72:73]
	flat_load_dword v37, v[38:39]
	v_lshl_add_u64 v[38:39], v[32:33], 0, v[72:73]
	s_waitcnt vmcnt(0) lgkmcnt(0)
	v_mul_f32_e32 v37, s12, v37
	v_min_f32_e32 v36, v37, v36
	global_store_dword v[38:39], v36, off
	v_lshl_add_u64 v[36:37], v[64:65], 2, v[34:35]
	flat_load_dword v36, v[36:37]
	s_waitcnt vmcnt(0) lgkmcnt(0)
	v_mul_f32_e32 v36, s12, v36
.LBB55_158:
	v_pk_add_f32 v[28:29], v[28:29], v[4:5]
	v_pk_add_f32 v[24:25], v[24:25], v[4:5]
	v_min3_f32 v28, v28, v29, v96
	v_min3_f32 v29, v24, v25, v97
	v_pk_add_f32 v[24:25], v[30:31], v[6:7]
	s_mov_b64 vcc, s[4:5]
	v_min_f32_e32 v30, v24, v25
	v_pk_add_f32 v[24:25], v[26:27], v[6:7]
	v_min3_f32 v27, v36, v30, v28
	v_min3_f32 v26, v24, v25, v29
	v_lshl_add_u64 v[24:25], v[64:65], 2, v[32:33]
	global_store_dword v[24:25], v27, off
	v_max_f32_e32 v24, v26, v26
	s_cbranch_vccz .LBB55_161
; %bb.159:
	v_min_f32_e32 v25, 0, v24
	v_lshl_add_u64 v[26:27], v[74:75], 2, v[32:33]
	s_mov_b32 s2, 0
	global_store_dword v[26:27], v25, off
	s_cbranch_execz .LBB55_162
; %bb.160:
	v_mov_b32_e32 v24, s2
	s_branch .LBB55_163
.LBB55_161:
                                        ; implicit-def: $sgpr2
.LBB55_162:
	v_lshl_add_u64 v[26:27], v[34:35], 0, v[78:79]
	flat_load_dword v25, v[26:27]
	v_lshl_add_u64 v[26:27], v[32:33], 0, v[78:79]
	s_waitcnt vmcnt(0) lgkmcnt(0)
	v_mul_f32_e32 v25, s12, v25
	v_min_f32_e32 v24, v25, v24
	global_store_dword v[26:27], v24, off
	v_lshl_add_u64 v[24:25], v[66:67], 2, v[34:35]
	flat_load_dword v24, v[24:25]
	s_waitcnt vmcnt(0) lgkmcnt(0)
	v_mul_f32_e32 v24, s12, v24
.LBB55_163:
	v_pk_add_f32 v[20:21], v[20:21], v[4:5]
	v_pk_add_f32 v[16:17], v[16:17], v[4:5]
	v_min3_f32 v20, v20, v21, v94
	v_min3_f32 v21, v16, v17, v95
	v_pk_add_f32 v[16:17], v[22:23], v[6:7]
	s_mov_b64 vcc, s[4:5]
	v_min_f32_e32 v22, v16, v17
	v_pk_add_f32 v[16:17], v[18:19], v[6:7]
	v_min3_f32 v19, v24, v22, v20
	v_min3_f32 v18, v16, v17, v21
	v_lshl_add_u64 v[16:17], v[66:67], 2, v[32:33]
	global_store_dword v[16:17], v19, off
	v_max_f32_e32 v16, v18, v18
	s_cbranch_vccz .LBB55_166
; %bb.164:
	v_min_f32_e32 v17, 0, v16
	v_lshl_add_u64 v[18:19], v[80:81], 2, v[32:33]
	s_mov_b32 s2, 0
	global_store_dword v[18:19], v17, off
	s_cbranch_execz .LBB55_167
; %bb.165:
	v_mov_b32_e32 v16, s2
	s_branch .LBB55_168
.LBB55_166:
                                        ; implicit-def: $sgpr2
.LBB55_167:
	v_lshl_add_u64 v[18:19], v[34:35], 0, v[82:83]
	flat_load_dword v17, v[18:19]
	v_lshl_add_u64 v[18:19], v[32:33], 0, v[82:83]
	s_waitcnt vmcnt(0) lgkmcnt(0)
	v_mul_f32_e32 v17, s12, v17
	v_min_f32_e32 v16, v17, v16
	global_store_dword v[18:19], v16, off
	v_lshl_add_u64 v[16:17], v[70:71], 2, v[34:35]
	flat_load_dword v16, v[16:17]
	s_waitcnt vmcnt(0) lgkmcnt(0)
	v_mul_f32_e32 v16, s12, v16
.LBB55_168:
	;; [unrolled: 38-line block ×3, first 2 shown]
	v_pk_add_f32 v[2:3], v[2:3], v[6:7]
	v_pk_add_f32 v[0:1], v[0:1], v[4:5]
	v_min_f32_e32 v2, v2, v3
	v_min3_f32 v0, v0, v1, v98
	v_min3_f32 v2, v8, v2, v0
	v_lshl_add_u64 v[0:1], v[76:77], 2, v[32:33]
	global_store_dword v[0:1], v2, off
	s_endpgm
	.section	.rodata,"a",@progbits
	.p2align	6, 0x0
	.amdhsa_kernel _ZN12_GLOBAL__N_120geam_min_plus_kernelIf15HIP_vector_typeIfLj2EEfLi32ELi8ELi256ELi64ELi4ELi64ELi4ELi4ELi64ELc78ELc78ELb1ELb0ELb1EfKffEEviiiT16_PT17_ilS6_ilS4_S6_ilPT18_ili26rocblas_geam_ex_operation_
		.amdhsa_group_segment_fixed_size 10240
		.amdhsa_private_segment_fixed_size 0
		.amdhsa_kernarg_size 128
		.amdhsa_user_sgpr_count 2
		.amdhsa_user_sgpr_dispatch_ptr 0
		.amdhsa_user_sgpr_queue_ptr 0
		.amdhsa_user_sgpr_kernarg_segment_ptr 1
		.amdhsa_user_sgpr_dispatch_id 0
		.amdhsa_user_sgpr_kernarg_preload_length 0
		.amdhsa_user_sgpr_kernarg_preload_offset 0
		.amdhsa_user_sgpr_private_segment_size 0
		.amdhsa_uses_dynamic_stack 0
		.amdhsa_enable_private_segment 0
		.amdhsa_system_sgpr_workgroup_id_x 1
		.amdhsa_system_sgpr_workgroup_id_y 0
		.amdhsa_system_sgpr_workgroup_id_z 1
		.amdhsa_system_sgpr_workgroup_info 0
		.amdhsa_system_vgpr_workitem_id 1
		.amdhsa_next_free_vgpr 175
		.amdhsa_next_free_sgpr 24
		.amdhsa_accum_offset 176
		.amdhsa_reserve_vcc 1
		.amdhsa_float_round_mode_32 0
		.amdhsa_float_round_mode_16_64 0
		.amdhsa_float_denorm_mode_32 3
		.amdhsa_float_denorm_mode_16_64 3
		.amdhsa_dx10_clamp 1
		.amdhsa_ieee_mode 1
		.amdhsa_fp16_overflow 0
		.amdhsa_tg_split 0
		.amdhsa_exception_fp_ieee_invalid_op 0
		.amdhsa_exception_fp_denorm_src 0
		.amdhsa_exception_fp_ieee_div_zero 0
		.amdhsa_exception_fp_ieee_overflow 0
		.amdhsa_exception_fp_ieee_underflow 0
		.amdhsa_exception_fp_ieee_inexact 0
		.amdhsa_exception_int_div_zero 0
	.end_amdhsa_kernel
	.section	.text._ZN12_GLOBAL__N_120geam_min_plus_kernelIf15HIP_vector_typeIfLj2EEfLi32ELi8ELi256ELi64ELi4ELi64ELi4ELi4ELi64ELc78ELc78ELb1ELb0ELb1EfKffEEviiiT16_PT17_ilS6_ilS4_S6_ilPT18_ili26rocblas_geam_ex_operation_,"axG",@progbits,_ZN12_GLOBAL__N_120geam_min_plus_kernelIf15HIP_vector_typeIfLj2EEfLi32ELi8ELi256ELi64ELi4ELi64ELi4ELi4ELi64ELc78ELc78ELb1ELb0ELb1EfKffEEviiiT16_PT17_ilS6_ilS4_S6_ilPT18_ili26rocblas_geam_ex_operation_,comdat
.Lfunc_end55:
	.size	_ZN12_GLOBAL__N_120geam_min_plus_kernelIf15HIP_vector_typeIfLj2EEfLi32ELi8ELi256ELi64ELi4ELi64ELi4ELi4ELi64ELc78ELc78ELb1ELb0ELb1EfKffEEviiiT16_PT17_ilS6_ilS4_S6_ilPT18_ili26rocblas_geam_ex_operation_, .Lfunc_end55-_ZN12_GLOBAL__N_120geam_min_plus_kernelIf15HIP_vector_typeIfLj2EEfLi32ELi8ELi256ELi64ELi4ELi64ELi4ELi4ELi64ELc78ELc78ELb1ELb0ELb1EfKffEEviiiT16_PT17_ilS6_ilS4_S6_ilPT18_ili26rocblas_geam_ex_operation_
                                        ; -- End function
	.section	.AMDGPU.csdata,"",@progbits
; Kernel info:
; codeLenInByte = 15780
; NumSgprs: 30
; NumVgprs: 175
; NumAgprs: 0
; TotalNumVgprs: 175
; ScratchSize: 0
; MemoryBound: 0
; FloatMode: 240
; IeeeMode: 1
; LDSByteSize: 10240 bytes/workgroup (compile time only)
; SGPRBlocks: 3
; VGPRBlocks: 21
; NumSGPRsForWavesPerEU: 30
; NumVGPRsForWavesPerEU: 175
; AccumOffset: 176
; Occupancy: 2
; WaveLimiterHint : 1
; COMPUTE_PGM_RSRC2:SCRATCH_EN: 0
; COMPUTE_PGM_RSRC2:USER_SGPR: 2
; COMPUTE_PGM_RSRC2:TRAP_HANDLER: 0
; COMPUTE_PGM_RSRC2:TGID_X_EN: 1
; COMPUTE_PGM_RSRC2:TGID_Y_EN: 0
; COMPUTE_PGM_RSRC2:TGID_Z_EN: 1
; COMPUTE_PGM_RSRC2:TIDIG_COMP_CNT: 1
; COMPUTE_PGM_RSRC3_GFX90A:ACCUM_OFFSET: 43
; COMPUTE_PGM_RSRC3_GFX90A:TG_SPLIT: 0
	.section	.text._ZN12_GLOBAL__N_120geam_min_plus_kernelIf15HIP_vector_typeIfLj2EEfLi32ELi8ELi256ELi64ELi4ELi64ELi4ELi4ELi64ELc78ELc78ELb0ELb0ELb1EfKffEEviiiT16_PT17_ilS6_ilS4_S6_ilPT18_ili26rocblas_geam_ex_operation_,"axG",@progbits,_ZN12_GLOBAL__N_120geam_min_plus_kernelIf15HIP_vector_typeIfLj2EEfLi32ELi8ELi256ELi64ELi4ELi64ELi4ELi4ELi64ELc78ELc78ELb0ELb0ELb1EfKffEEviiiT16_PT17_ilS6_ilS4_S6_ilPT18_ili26rocblas_geam_ex_operation_,comdat
	.globl	_ZN12_GLOBAL__N_120geam_min_plus_kernelIf15HIP_vector_typeIfLj2EEfLi32ELi8ELi256ELi64ELi4ELi64ELi4ELi4ELi64ELc78ELc78ELb0ELb0ELb1EfKffEEviiiT16_PT17_ilS6_ilS4_S6_ilPT18_ili26rocblas_geam_ex_operation_ ; -- Begin function _ZN12_GLOBAL__N_120geam_min_plus_kernelIf15HIP_vector_typeIfLj2EEfLi32ELi8ELi256ELi64ELi4ELi64ELi4ELi4ELi64ELc78ELc78ELb0ELb0ELb1EfKffEEviiiT16_PT17_ilS6_ilS4_S6_ilPT18_ili26rocblas_geam_ex_operation_
	.p2align	8
	.type	_ZN12_GLOBAL__N_120geam_min_plus_kernelIf15HIP_vector_typeIfLj2EEfLi32ELi8ELi256ELi64ELi4ELi64ELi4ELi4ELi64ELc78ELc78ELb0ELb0ELb1EfKffEEviiiT16_PT17_ilS6_ilS4_S6_ilPT18_ili26rocblas_geam_ex_operation_,@function
_ZN12_GLOBAL__N_120geam_min_plus_kernelIf15HIP_vector_typeIfLj2EEfLi32ELi8ELi256ELi64ELi4ELi64ELi4ELi4ELi64ELc78ELc78ELb0ELb0ELb1EfKffEEviiiT16_PT17_ilS6_ilS4_S6_ilPT18_ili26rocblas_geam_ex_operation_: ; @_ZN12_GLOBAL__N_120geam_min_plus_kernelIf15HIP_vector_typeIfLj2EEfLi32ELi8ELi256ELi64ELi4ELi64ELi4ELi4ELi64ELc78ELc78ELb0ELb0ELb1EfKffEEviiiT16_PT17_ilS6_ilS4_S6_ilPT18_ili26rocblas_geam_ex_operation_
; %bb.0:
	s_load_dwordx2 s[14:15], s[0:1], 0x8
	s_load_dwordx4 s[4:7], s[0:1], 0x20
	s_waitcnt lgkmcnt(0)
	v_cmp_eq_f32_e64 s[8:9], s15, 0
	s_and_b64 vcc, exec, s[8:9]
	s_cbranch_vccnz .LBB56_3
; %bb.1:
	s_load_dwordx2 s[10:11], s[0:1], 0x10
	s_mul_i32 s5, s3, s5
	s_mul_hi_u32 s12, s3, s4
	s_add_i32 s5, s12, s5
	s_mul_i32 s4, s3, s4
	s_lshl_b64 s[4:5], s[4:5], 2
	s_waitcnt lgkmcnt(0)
	s_add_u32 s16, s10, s4
	s_addc_u32 s17, s11, s5
	s_andn2_b64 vcc, exec, s[8:9]
	s_cbranch_vccnz .LBB56_4
.LBB56_2:
	s_mov_b32 s13, 0
	s_mov_b64 s[18:19], 0
	s_cbranch_execz .LBB56_5
	s_branch .LBB56_6
.LBB56_3:
	s_mov_b64 s[16:17], 0
	s_andn2_b64 vcc, exec, s[8:9]
	s_cbranch_vccz .LBB56_2
.LBB56_4:
                                        ; implicit-def: $sgpr18_sgpr19
                                        ; implicit-def: $sgpr12_sgpr13
.LBB56_5:
	s_load_dwordx2 s[4:5], s[0:1], 0x38
	s_mov_b32 s13, 0
	s_waitcnt lgkmcnt(0)
	s_mul_i32 s5, s3, s5
	s_mul_hi_u32 s8, s3, s4
	s_add_i32 s5, s8, s5
	s_mul_i32 s4, s3, s4
	s_lshl_b64 s[4:5], s[4:5], 2
	s_add_u32 s18, s6, s4
	s_addc_u32 s19, s7, s5
.LBB56_6:
	s_load_dword s12, s[0:1], 0x40
	s_load_dwordx4 s[8:11], s[0:1], 0x58
	v_cmp_neq_f32_e64 s[22:23], s15, 0
	s_waitcnt lgkmcnt(0)
	v_cmp_eq_f32_e64 s[4:5], s12, 0
	s_and_b64 s[6:7], exec, s[4:5]
	s_mov_b64 vcc, s[6:7]
	s_cbranch_vccnz .LBB56_8
; %bb.7:
	s_load_dwordx2 s[4:5], s[0:1], 0x48
	s_mul_i32 s9, s3, s9
	s_mul_hi_u32 s20, s3, s8
	s_add_i32 s9, s20, s9
	s_mul_i32 s20, s13, s8
	s_add_i32 s9, s9, s20
	s_mul_i32 s8, s3, s8
	s_lshl_b64 s[8:9], s[8:9], 2
	s_waitcnt lgkmcnt(0)
	s_add_u32 s8, s4, s8
	s_addc_u32 s9, s5, s9
	s_branch .LBB56_9
.LBB56_8:
	s_mov_b64 s[8:9], 0
.LBB56_9:
	s_load_dword s4, s[0:1], 0x0
	s_load_dword s20, s[0:1], 0x18
	v_and_b32_e32 v76, 0x3ff, v0
	v_bfe_u32 v77, v0, 10, 10
	v_lshl_add_u32 v6, v77, 5, v76
	s_waitcnt lgkmcnt(0)
	s_add_i32 s4, s4, -1
	s_ashr_i32 s5, s4, 31
	s_lshr_b32 s5, s5, 24
	s_add_i32 s4, s4, s5
	s_ashr_i32 s24, s4, 8
	s_add_i32 s25, s24, 1
	v_cvt_f32_u32_e32 v1, s25
	v_lshrrev_b32_e32 v62, 6, v6
	s_ashr_i32 s21, s20, 31
	v_and_b32_e32 v63, 63, v6
	v_rcp_iflag_f32_e32 v0, v1
	s_nop 0
	v_mul_f32_e32 v0, 0x4f7ffffe, v0
	v_cvt_u32_f32_e32 v2, v0
	v_mad_i64_i32 v[0:1], s[4:5], s20, v62, 0
	s_not_b32 s4, s24
	v_readfirstlane_b32 s5, v2
	s_mul_i32 s4, s4, s5
	s_mul_hi_u32 s4, s5, s4
	s_add_i32 s5, s5, s4
	s_mul_hi_u32 s4, s2, s5
	s_mul_i32 s5, s4, s25
	s_sub_i32 s5, s2, s5
	s_add_i32 s24, s4, 1
	s_sub_i32 s26, s5, s25
	s_cmp_ge_u32 s5, s25
	s_cselect_b32 s4, s24, s4
	s_cselect_b32 s5, s26, s5
	s_add_i32 s24, s4, 1
	s_cmp_ge_u32 s5, s25
	s_cselect_b32 s27, s24, s4
	s_mul_i32 s25, s27, s25
	s_sub_i32 s4, s2, s25
	s_lshl_b32 s24, s4, 8
	v_lshl_add_u64 v[4:5], v[0:1], 2, s[16:17]
	v_or_b32_e32 v2, s24, v63
	v_cndmask_b32_e64 v0, 0, 1, s[22:23]
	v_cmp_ne_u32_e64 s[4:5], 1, v0
	s_andn2_b64 vcc, exec, s[22:23]
	v_ashrrev_i32_e32 v3, 31, v2
	s_cbranch_vccnz .LBB56_12
; %bb.10:
	v_lshl_add_u64 v[0:1], v[2:3], 2, v[4:5]
	flat_load_dword v8, v[0:1]
	flat_load_dword v9, v[0:1] offset:256
	s_mov_b32 s22, s15
	s_waitcnt vmcnt(0) lgkmcnt(0)
	v_pk_mul_f32 v[0:1], v[8:9], s[22:23] op_sel_hi:[1,0]
	s_and_b64 vcc, exec, s[4:5]
	s_cbranch_vccnz .LBB56_13
.LBB56_11:
	v_lshl_add_u64 v[4:5], v[2:3], 2, v[4:5]
	flat_load_dword v8, v[4:5] offset:512
	flat_load_dword v9, v[4:5] offset:768
	s_mov_b32 s22, s15
	s_waitcnt vmcnt(0) lgkmcnt(0)
	v_pk_mul_f32 v[4:5], v[8:9], s[22:23] op_sel_hi:[1,0]
	s_branch .LBB56_14
.LBB56_12:
	v_mov_b32_e32 v0, 0
	v_mov_b32_e32 v1, 0
	s_and_b64 vcc, exec, s[4:5]
	s_cbranch_vccz .LBB56_11
.LBB56_13:
	v_mov_b32_e32 v4, 0
	v_mov_b32_e32 v5, 0
.LBB56_14:
	s_load_dword s26, s[0:1], 0x30
	v_and_b32_e32 v7, 3, v76
	v_lshrrev_b32_e32 v8, 2, v6
	s_lshl_b32 s22, s27, 6
	s_and_b64 vcc, exec, s[4:5]
	v_add_u32_e32 v64, s22, v8
	v_lshlrev_b32_e32 v56, 2, v7
	s_cbranch_vccnz .LBB56_16
; %bb.15:
	s_waitcnt lgkmcnt(0)
	v_mad_i64_i32 v[6:7], s[28:29], v64, s26, 0
	v_lshl_add_u64 v[6:7], v[6:7], 2, s[18:19]
	v_mov_b32_e32 v57, 0
	v_lshl_add_u64 v[6:7], v[6:7], 0, v[56:57]
	flat_load_dword v6, v[6:7]
	s_waitcnt vmcnt(0) lgkmcnt(0)
	v_mul_f32_e32 v9, s15, v6
	s_branch .LBB56_17
.LBB56_16:
	v_mov_b32_e32 v9, 0
.LBB56_17:
	v_add_u32_e32 v6, 4, v62
	v_mad_i64_i32 v[6:7], s[28:29], s20, v6, 0
	s_and_b64 vcc, exec, s[4:5]
	v_lshl_add_u64 v[6:7], v[6:7], 2, s[16:17]
	s_cbranch_vccnz .LBB56_21
; %bb.18:
	v_lshl_add_u64 v[10:11], v[2:3], 2, v[6:7]
	flat_load_dword v12, v[10:11]
	flat_load_dword v13, v[10:11] offset:256
	s_mov_b32 s28, s15
	s_waitcnt vmcnt(0) lgkmcnt(0)
	v_pk_mul_f32 v[58:59], v[12:13], s[28:29] op_sel_hi:[1,0]
	s_and_b64 vcc, exec, s[4:5]
	s_cbranch_vccnz .LBB56_22
.LBB56_19:
	v_lshl_add_u64 v[2:3], v[2:3], 2, v[6:7]
	flat_load_dword v6, v[2:3] offset:512
	flat_load_dword v7, v[2:3] offset:768
	s_mov_b32 s28, s15
	s_waitcnt vmcnt(0) lgkmcnt(0)
	v_pk_mul_f32 v[60:61], v[6:7], s[28:29] op_sel_hi:[1,0]
	s_and_b64 vcc, exec, s[4:5]
	s_cbranch_vccnz .LBB56_23
.LBB56_20:
	s_waitcnt lgkmcnt(0)
	v_mad_i64_i32 v[2:3], s[28:29], v64, s26, 0
	v_lshl_add_u64 v[2:3], v[2:3], 2, s[18:19]
	v_mov_b32_e32 v57, 0
	v_lshl_add_u64 v[2:3], v[2:3], 0, v[56:57]
	flat_load_dword v2, v[2:3] offset:16
	s_waitcnt vmcnt(0) lgkmcnt(0)
	v_mul_f32_e32 v65, s15, v2
	s_branch .LBB56_24
.LBB56_21:
	v_mov_b32_e32 v58, 0
	v_mov_b32_e32 v59, 0
	s_and_b64 vcc, exec, s[4:5]
	s_cbranch_vccz .LBB56_19
.LBB56_22:
	v_mov_b32_e32 v60, 0
	v_mov_b32_e32 v61, 0
	s_and_b64 vcc, exec, s[4:5]
	s_cbranch_vccz .LBB56_20
.LBB56_23:
	v_mov_b32_e32 v65, 0
.LBB56_24:
	v_lshlrev_b32_e32 v2, 2, v62
	v_lshl_add_u32 v80, v63, 4, v2
	v_lshl_or_b32 v57, v8, 4, v56
	v_lshlrev_b32_e32 v78, 4, v76
	v_lshlrev_b32_e32 v79, 4, v77
	ds_write2st64_b32 v80, v0, v1 offset1:4
	ds_write2st64_b32 v80, v4, v5 offset0:8 offset1:12
	ds_write_b32 v57, v9 offset:8192
	s_waitcnt lgkmcnt(0)
	s_barrier
	ds_read_b128 v[12:15], v78
	ds_read_b128 v[20:23], v78 offset:512
	ds_read_b128 v[24:27], v78 offset:1024
	;; [unrolled: 1-line block ×13, first 2 shown]
	s_waitcnt lgkmcnt(5)
	v_pk_add_f32 v[66:67], v[12:13], v[52:53]
	s_mov_b32 s23, 0x7f7fffff
	v_min3_f32 v68, v66, v67, s23
	v_pk_add_f32 v[66:67], v[20:21], v[52:53]
	s_cmp_lt_i32 s14, 9
	v_min3_f32 v69, v66, v67, s23
	v_pk_add_f32 v[66:67], v[24:25], v[52:53]
	s_nop 0
	v_min3_f32 v70, v66, v67, s23
	v_pk_add_f32 v[66:67], v[28:29], v[52:53]
	s_nop 0
	v_min3_f32 v71, v66, v67, s23
	v_pk_add_f32 v[66:67], v[16:17], v[52:53]
	s_nop 0
	v_min3_f32 v72, v66, v67, s23
	v_pk_add_f32 v[66:67], v[8:9], v[52:53]
	s_nop 0
	v_min3_f32 v73, v66, v67, s23
	v_pk_add_f32 v[66:67], v[4:5], v[52:53]
	v_pk_add_f32 v[52:53], v[0:1], v[52:53]
	v_min3_f32 v66, v66, v67, s23
	v_min3_f32 v67, v52, v53, s23
	s_waitcnt lgkmcnt(4)
	v_pk_add_f32 v[52:53], v[12:13], v[48:49]
	s_nop 0
	v_min3_f32 v74, v52, v53, s23
	v_pk_add_f32 v[52:53], v[20:21], v[48:49]
	s_nop 0
	v_min3_f32 v75, v52, v53, s23
	v_pk_add_f32 v[52:53], v[24:25], v[48:49]
	s_nop 0
	v_min3_f32 v88, v52, v53, s23
	v_pk_add_f32 v[52:53], v[28:29], v[48:49]
	s_nop 0
	v_min3_f32 v89, v52, v53, s23
	v_pk_add_f32 v[52:53], v[16:17], v[48:49]
	s_nop 0
	v_min3_f32 v90, v52, v53, s23
	v_pk_add_f32 v[52:53], v[8:9], v[48:49]
	s_nop 0
	v_min3_f32 v91, v52, v53, s23
	v_pk_add_f32 v[52:53], v[4:5], v[48:49]
	v_pk_add_f32 v[48:49], v[0:1], v[48:49]
	v_min3_f32 v52, v52, v53, s23
	v_min3_f32 v53, v48, v49, s23
	s_waitcnt lgkmcnt(3)
	v_pk_add_f32 v[48:49], v[12:13], v[44:45]
	s_nop 0
	v_min3_f32 v92, v48, v49, s23
	v_pk_add_f32 v[48:49], v[20:21], v[44:45]
	s_nop 0
	;; [unrolled: 23-line block ×4, first 2 shown]
	v_min3_f32 v107, v40, v41, s23
	v_pk_add_f32 v[40:41], v[24:25], v[36:37]
	s_nop 0
	v_min3_f32 v108, v40, v41, s23
	v_pk_add_f32 v[40:41], v[28:29], v[36:37]
	s_nop 0
	;; [unrolled: 3-line block ×4, first 2 shown]
	v_min3_f32 v111, v40, v41, s23
	v_pk_add_f32 v[40:41], v[4:5], v[36:37]
	v_pk_add_f32 v[36:37], v[0:1], v[36:37]
	v_min3_f32 v112, v40, v41, s23
	v_min3_f32 v113, v36, v37, s23
	s_waitcnt lgkmcnt(0)
	v_pk_add_f32 v[36:37], v[12:13], v[32:33]
	v_pk_add_f32 v[40:41], v[4:5], v[32:33]
	v_min3_f32 v114, v36, v37, s23
	v_pk_add_f32 v[36:37], v[20:21], v[32:33]
	v_min3_f32 v40, v40, v41, s23
	v_min3_f32 v141, v36, v37, s23
	v_pk_add_f32 v[36:37], v[24:25], v[32:33]
	s_nop 0
	v_min3_f32 v150, v36, v37, s23
	v_pk_add_f32 v[36:37], v[28:29], v[32:33]
	s_nop 0
	;; [unrolled: 3-line block ×10, first 2 shown]
	v_min3_f32 v66, v36, v37, s23
	v_pk_add_f32 v[36:37], v[8:9], v[32:33]
	v_pk_add_f32 v[32:33], v[0:1], v[32:33]
	v_min3_f32 v68, v36, v37, s23
	v_min3_f32 v41, v32, v33, s23
	v_pk_add_f32 v[32:33], v[14:15], v[50:51]
	v_pk_add_f32 v[36:37], v[2:3], v[54:55]
	v_min3_f32 v149, v32, v33, v74
	v_pk_add_f32 v[32:33], v[22:23], v[50:51]
	v_min3_f32 v148, v36, v37, v67
	v_min3_f32 v146, v32, v33, v75
	v_pk_add_f32 v[32:33], v[26:27], v[50:51]
	s_nop 0
	v_min3_f32 v147, v32, v33, v88
	v_pk_add_f32 v[32:33], v[30:31], v[50:51]
	s_nop 0
	;; [unrolled: 3-line block ×5, first 2 shown]
	v_min3_f32 v143, v32, v33, v52
	v_pk_add_f32 v[32:33], v[2:3], v[50:51]
	ds_read_b128 v[48:51], v79 offset:8960
	v_min3_f32 v139, v32, v33, v53
	ds_read_b128 v[52:55], v79 offset:9088
	v_pk_add_f32 v[32:33], v[14:15], v[46:47]
	ds_write2st64_b32 v80, v58, v59 offset0:16 offset1:20
	ds_write2st64_b32 v80, v60, v61 offset0:24 offset1:28
	ds_write_b32 v57, v65 offset:9216
	v_min3_f32 v140, v32, v33, v92
	v_pk_add_f32 v[32:33], v[22:23], v[46:47]
	s_waitcnt lgkmcnt(4)
	v_pk_add_f32 v[36:37], v[24:25], v[48:49]
	v_min3_f32 v137, v32, v33, v93
	v_pk_add_f32 v[32:33], v[26:27], v[46:47]
	s_waitcnt lgkmcnt(0)
	v_min3_f32 v138, v32, v33, v94
	v_pk_add_f32 v[32:33], v[30:31], v[46:47]
	s_barrier
	v_min3_f32 v135, v32, v33, v95
	v_pk_add_f32 v[32:33], v[18:19], v[46:47]
	s_nop 0
	v_min3_f32 v136, v32, v33, v96
	v_pk_add_f32 v[32:33], v[10:11], v[46:47]
	s_nop 0
	;; [unrolled: 3-line block ×3, first 2 shown]
	v_min3_f32 v132, v32, v33, v98
	v_pk_add_f32 v[32:33], v[12:13], v[48:49]
	v_pk_add_f32 v[12:13], v[12:13], v[52:53]
	v_min3_f32 v67, v32, v33, s23
	v_pk_add_f32 v[32:33], v[20:21], v[48:49]
	s_nop 0
	v_min3_f32 v69, v32, v33, s23
	v_pk_add_f32 v[32:33], v[2:3], v[46:47]
	v_min3_f32 v46, v36, v37, s23
	v_min3_f32 v134, v32, v33, v99
	v_pk_add_f32 v[32:33], v[14:15], v[42:43]
	v_pk_add_f32 v[36:37], v[28:29], v[48:49]
	v_min3_f32 v133, v32, v33, v100
	v_pk_add_f32 v[32:33], v[22:23], v[42:43]
	v_min3_f32 v47, v36, v37, s23
	v_min3_f32 v130, v32, v33, v101
	v_pk_add_f32 v[32:33], v[26:27], v[42:43]
	v_pk_add_f32 v[36:37], v[4:5], v[48:49]
	v_min3_f32 v129, v32, v33, v102
	v_pk_add_f32 v[32:33], v[30:31], v[42:43]
	v_pk_add_f32 v[4:5], v[4:5], v[52:53]
	v_min3_f32 v128, v32, v33, v103
	v_pk_add_f32 v[32:33], v[18:19], v[42:43]
	v_min3_f32 v4, v4, v5, s23
	v_min3_f32 v127, v32, v33, v104
	v_pk_add_f32 v[32:33], v[10:11], v[42:43]
	s_nop 0
	v_min3_f32 v126, v32, v33, v105
	v_pk_add_f32 v[32:33], v[6:7], v[42:43]
	s_nop 0
	;; [unrolled: 3-line block ×3, first 2 shown]
	v_min3_f32 v44, v32, v33, s23
	v_pk_add_f32 v[32:33], v[8:9], v[48:49]
	v_pk_add_f32 v[8:9], v[8:9], v[52:53]
	v_min3_f32 v70, v32, v33, s23
	v_pk_add_f32 v[32:33], v[2:3], v[42:43]
	v_min3_f32 v42, v36, v37, s23
	v_min3_f32 v124, v32, v33, v45
	v_pk_add_f32 v[32:33], v[14:15], v[38:39]
	v_pk_add_f32 v[36:37], v[0:1], v[48:49]
	v_min3_f32 v123, v32, v33, v106
	v_pk_add_f32 v[32:33], v[22:23], v[38:39]
	v_pk_add_f32 v[0:1], v[0:1], v[52:53]
	v_min3_f32 v122, v32, v33, v107
	v_pk_add_f32 v[32:33], v[26:27], v[38:39]
	v_min3_f32 v5, v0, v1, s23
	v_min3_f32 v121, v32, v33, v108
	v_pk_add_f32 v[32:33], v[30:31], v[38:39]
	v_pk_add_f32 v[0:1], v[14:15], v[54:55]
	v_min3_f32 v120, v32, v33, v109
	v_pk_add_f32 v[32:33], v[18:19], v[38:39]
	v_min3_f32 v36, v36, v37, s23
	v_min3_f32 v119, v32, v33, v110
	v_pk_add_f32 v[32:33], v[10:11], v[38:39]
	s_nop 0
	v_min3_f32 v118, v32, v33, v111
	v_pk_add_f32 v[32:33], v[6:7], v[38:39]
	s_nop 0
	;; [unrolled: 3-line block ×10, first 2 shown]
	v_min3_f32 v110, v32, v33, v40
	v_min3_f32 v32, v12, v13, s23
	v_pk_add_f32 v[12:13], v[20:21], v[52:53]
	v_pk_add_f32 v[20:21], v[24:25], v[52:53]
	v_min3_f32 v33, v12, v13, s23
	v_pk_add_f32 v[12:13], v[2:3], v[34:35]
	v_min3_f32 v100, v0, v1, v32
	v_min3_f32 v107, v12, v13, v41
	v_pk_add_f32 v[12:13], v[14:15], v[50:51]
	v_pk_add_f32 v[0:1], v[22:23], v[54:55]
	v_min3_f32 v108, v12, v13, v67
	v_pk_add_f32 v[12:13], v[22:23], v[50:51]
	;; [unrolled: 6-line block ×4, first 2 shown]
	v_min3_f32 v20, v20, v21, s23
	v_min3_f32 v101, v12, v13, v70
	v_pk_add_f32 v[12:13], v[6:7], v[50:51]
	v_min3_f32 v98, v0, v1, v24
	v_min3_f32 v102, v12, v13, v42
	v_pk_add_f32 v[12:13], v[16:17], v[52:53]
	v_pk_add_f32 v[0:1], v[30:31], v[54:55]
	v_min3_f32 v12, v12, v13, s23
	v_min3_f32 v94, v0, v1, v20
	v_pk_add_f32 v[0:1], v[18:19], v[54:55]
	v_min3_f32 v13, v8, v9, s23
	v_min3_f32 v95, v0, v1, v12
	v_pk_add_f32 v[0:1], v[10:11], v[54:55]
	v_pk_add_f32 v[8:9], v[2:3], v[50:51]
	v_min3_f32 v92, v0, v1, v13
	v_pk_add_f32 v[0:1], v[6:7], v[54:55]
	v_min3_f32 v99, v8, v9, v36
	v_min3_f32 v93, v0, v1, v4
	v_pk_add_f32 v[0:1], v[2:3], v[54:55]
	s_nop 0
	v_min3_f32 v96, v0, v1, v5
	s_cbranch_scc1 .LBB56_42
; %bb.25:
	v_mov_b32_e32 v0, 0x1000
	v_lshl_add_u32 v141, v76, 4, v0
	v_mov_b32_e32 v0, 0x2400
	v_add_u32_e32 v88, 0x2000, v57
	v_add_u32_e32 v91, 0x2400, v57
	v_lshl_add_u32 v150, v77, 4, v0
	v_mad_i64_i32 v[0:1], s[26:27], s26, v64, 0
	v_mov_b32_e32 v57, 0
	v_lshl_add_u64 v[0:1], v[0:1], 2, v[56:57]
	v_lshl_add_u64 v[0:1], v[0:1], 0, s[18:19]
	v_lshl_add_u64 v[64:65], v[0:1], 0, 32
	v_add_u32_e32 v0, 12, v62
	v_mad_i64_i32 v[0:1], s[18:19], v0, s20, 0
	v_lshlrev_b64 v[66:67], 2, v[0:1]
	v_lshl_or_b32 v0, s2, 8, v63
	s_lshl_b32 s2, s25, 8
	v_subrev_u32_e32 v0, s2, v0
	v_ashrrev_i32_e32 v1, 31, v0
	v_lshl_add_u64 v[68:69], v[0:1], 2, s[16:17]
	v_add_u32_e32 v0, 8, v62
	v_mad_i64_i32 v[0:1], s[18:19], v0, s20, 0
	v_add_u32_e32 v89, 0x2000, v79
	v_add_u32_e32 v90, 0x1000, v80
	s_add_i32 s23, s14, -8
	s_mov_b32 s14, s15
	s_lshl_b64 s[16:17], s[20:21], 5
	v_lshlrev_b64 v[70:71], 2, v[0:1]
	s_mov_b32 s2, 0
	s_branch .LBB56_28
.LBB56_26:                              ;   in Loop: Header=BB56_28 Depth=1
	flat_load_dword v0, v[64:65] offset:16
	s_waitcnt vmcnt(0) lgkmcnt(0)
	v_mul_f32_e32 v36, s15, v0
.LBB56_27:                              ;   in Loop: Header=BB56_28 Depth=1
	ds_read_b128 v[0:3], v78
	ds_read_b128 v[4:7], v78 offset:512
	ds_read_b128 v[8:11], v78 offset:1024
	;; [unrolled: 1-line block ×7, first 2 shown]
	ds_read_b128 v[122:125], v89
	ds_read_b128 v[126:129], v89 offset:128
	ds_read_b128 v[152:155], v89 offset:256
	;; [unrolled: 1-line block ×7, first 2 shown]
	s_waitcnt lgkmcnt(7)
	v_pk_add_f32 v[130:131], v[0:1], v[122:123]
	s_add_i32 s2, s2, 8
	v_min3_f32 v37, v130, v131, v37
	v_pk_add_f32 v[130:131], v[4:5], v[122:123]
	v_lshl_add_u64 v[64:65], v[64:65], 0, 32
	v_min3_f32 v132, v130, v131, v40
	v_pk_add_f32 v[130:131], v[8:9], v[122:123]
	s_cmp_ge_i32 s2, s23
	v_min3_f32 v130, v130, v131, v41
	v_pk_add_f32 v[40:41], v[12:13], v[122:123]
	v_lshl_add_u64 v[68:69], v[68:69], 0, s[16:17]
	v_min3_f32 v44, v40, v41, v44
	v_pk_add_f32 v[40:41], v[16:17], v[122:123]
	ds_write2st64_b32 v90, v72, v73 offset1:4
	ds_write2st64_b32 v90, v74, v75 offset0:8 offset1:12
	ds_write_b32 v91, v36
	v_min3_f32 v45, v40, v41, v45
	v_pk_add_f32 v[40:41], v[20:21], v[122:123]
	s_waitcnt lgkmcnt(0)
	v_min3_f32 v48, v40, v41, v48
	v_pk_add_f32 v[40:41], v[24:25], v[122:123]
	s_barrier
	v_min3_f32 v49, v40, v41, v49
	v_pk_add_f32 v[40:41], v[28:29], v[122:123]
	s_nop 0
	v_min3_f32 v52, v40, v41, v52
	v_pk_add_f32 v[40:41], v[0:1], v[126:127]
	s_nop 0
	;; [unrolled: 3-line block ×41, first 2 shown]
	v_min3_f32 v42, v40, v41, v42
	v_pk_add_f32 v[40:41], v[0:1], v[168:169]
	v_pk_add_f32 v[0:1], v[0:1], v[32:33]
	v_min3_f32 v43, v40, v41, v43
	v_min3_f32 v39, v0, v1, v39
	v_pk_add_f32 v[0:1], v[4:5], v[32:33]
	v_pk_add_f32 v[40:41], v[4:5], v[168:169]
	v_min3_f32 v4, v0, v1, v115
	v_pk_add_f32 v[0:1], v[8:9], v[32:33]
	v_min3_f32 v152, v40, v41, v109
	v_min3_f32 v5, v0, v1, v116
	v_pk_add_f32 v[0:1], v[12:13], v[32:33]
	v_pk_add_f32 v[40:41], v[8:9], v[168:169]
	v_min3_f32 v8, v0, v1, v117
	;; [unrolled: 6-line block ×7, first 2 shown]
	v_pk_add_f32 v[0:1], v[26:27], v[124:125]
	v_min3_f32 v38, v40, v41, v38
	v_min3_f32 v85, v0, v1, v49
	v_pk_add_f32 v[0:1], v[30:31], v[124:125]
	s_nop 0
	v_min3_f32 v148, v0, v1, v52
	v_pk_add_f32 v[0:1], v[2:3], v[128:129]
	s_nop 0
	v_min3_f32 v149, v0, v1, v53
	v_pk_add_f32 v[0:1], v[6:7], v[128:129]
	s_nop 0
	v_min3_f32 v146, v0, v1, v56
	v_pk_add_f32 v[0:1], v[10:11], v[128:129]
	s_nop 0
	v_min3_f32 v147, v0, v1, v57
	v_pk_add_f32 v[0:1], v[14:15], v[128:129]
	s_nop 0
	v_min3_f32 v144, v0, v1, v60
	v_pk_add_f32 v[0:1], v[18:19], v[128:129]
	s_nop 0
	v_min3_f32 v145, v0, v1, v61
	v_pk_add_f32 v[0:1], v[22:23], v[128:129]
	s_nop 0
	v_min3_f32 v142, v0, v1, v62
	v_pk_add_f32 v[0:1], v[26:27], v[128:129]
	s_nop 0
	v_min3_f32 v143, v0, v1, v63
	v_pk_add_f32 v[0:1], v[30:31], v[128:129]
	s_nop 0
	v_min3_f32 v139, v0, v1, v58
	v_pk_add_f32 v[0:1], v[2:3], v[154:155]
	s_nop 0
	v_min3_f32 v140, v0, v1, v59
	v_pk_add_f32 v[0:1], v[6:7], v[154:155]
	s_nop 0
	v_min3_f32 v137, v0, v1, v122
	v_pk_add_f32 v[0:1], v[10:11], v[154:155]
	s_nop 0
	v_min3_f32 v138, v0, v1, v123
	v_pk_add_f32 v[0:1], v[14:15], v[154:155]
	s_nop 0
	v_min3_f32 v135, v0, v1, v126
	v_pk_add_f32 v[0:1], v[18:19], v[154:155]
	s_nop 0
	v_min3_f32 v136, v0, v1, v127
	v_pk_add_f32 v[0:1], v[22:23], v[154:155]
	s_nop 0
	v_min3_f32 v131, v0, v1, v131
	v_pk_add_f32 v[0:1], v[26:27], v[154:155]
	s_nop 0
	v_min3_f32 v132, v0, v1, v133
	v_pk_add_f32 v[0:1], v[30:31], v[154:155]
	s_nop 0
	v_min3_f32 v134, v0, v1, v54
	v_pk_add_f32 v[0:1], v[2:3], v[158:159]
	s_nop 0
	v_min3_f32 v133, v0, v1, v55
	v_pk_add_f32 v[0:1], v[6:7], v[158:159]
	s_nop 0
	v_min3_f32 v130, v0, v1, v151
	v_pk_add_f32 v[0:1], v[10:11], v[158:159]
	s_nop 0
	v_min3_f32 v129, v0, v1, v92
	v_pk_add_f32 v[0:1], v[14:15], v[158:159]
	s_nop 0
	v_min3_f32 v128, v0, v1, v93
	v_pk_add_f32 v[0:1], v[18:19], v[158:159]
	s_nop 0
	v_min3_f32 v127, v0, v1, v94
	v_pk_add_f32 v[0:1], v[22:23], v[158:159]
	s_nop 0
	v_min3_f32 v126, v0, v1, v95
	v_pk_add_f32 v[0:1], v[26:27], v[158:159]
	s_nop 0
	v_min3_f32 v125, v0, v1, v96
	v_pk_add_f32 v[0:1], v[30:31], v[158:159]
	s_nop 0
	v_min3_f32 v124, v0, v1, v50
	v_pk_add_f32 v[0:1], v[2:3], v[162:163]
	s_nop 0
	v_min3_f32 v123, v0, v1, v51
	v_pk_add_f32 v[0:1], v[6:7], v[162:163]
	s_nop 0
	v_min3_f32 v122, v0, v1, v97
	v_pk_add_f32 v[0:1], v[10:11], v[162:163]
	s_nop 0
	v_min3_f32 v121, v0, v1, v98
	v_pk_add_f32 v[0:1], v[14:15], v[162:163]
	s_nop 0
	v_min3_f32 v120, v0, v1, v99
	v_pk_add_f32 v[0:1], v[18:19], v[162:163]
	s_nop 0
	v_min3_f32 v119, v0, v1, v100
	v_pk_add_f32 v[0:1], v[22:23], v[162:163]
	s_nop 0
	v_min3_f32 v118, v0, v1, v101
	v_pk_add_f32 v[0:1], v[26:27], v[162:163]
	s_nop 0
	v_min3_f32 v117, v0, v1, v102
	v_pk_add_f32 v[0:1], v[30:31], v[162:163]
	s_nop 0
	v_min3_f32 v115, v0, v1, v46
	v_pk_add_f32 v[0:1], v[2:3], v[166:167]
	s_nop 0
	v_min3_f32 v116, v0, v1, v47
	v_pk_add_f32 v[0:1], v[6:7], v[166:167]
	s_nop 0
	v_min3_f32 v113, v0, v1, v103
	v_pk_add_f32 v[0:1], v[10:11], v[166:167]
	s_nop 0
	v_min3_f32 v114, v0, v1, v104
	v_pk_add_f32 v[0:1], v[14:15], v[166:167]
	s_nop 0
	v_min3_f32 v111, v0, v1, v105
	v_pk_add_f32 v[0:1], v[18:19], v[166:167]
	s_nop 0
	v_min3_f32 v112, v0, v1, v106
	v_pk_add_f32 v[0:1], v[22:23], v[166:167]
	s_nop 0
	v_min3_f32 v109, v0, v1, v107
	v_pk_add_f32 v[0:1], v[26:27], v[166:167]
	s_nop 0
	v_min3_f32 v110, v0, v1, v108
	v_pk_add_f32 v[0:1], v[30:31], v[166:167]
	s_nop 0
	v_min3_f32 v107, v0, v1, v42
	v_pk_add_f32 v[0:1], v[2:3], v[170:171]
	s_nop 0
	v_min3_f32 v108, v0, v1, v43
	v_pk_add_f32 v[0:1], v[6:7], v[170:171]
	s_nop 0
	v_min3_f32 v105, v0, v1, v152
	v_pk_add_f32 v[0:1], v[10:11], v[170:171]
	s_nop 0
	v_min3_f32 v106, v0, v1, v153
	v_pk_add_f32 v[0:1], v[14:15], v[170:171]
	s_nop 0
	v_min3_f32 v103, v0, v1, v156
	v_pk_add_f32 v[0:1], v[18:19], v[170:171]
	s_nop 0
	v_min3_f32 v104, v0, v1, v157
	v_pk_add_f32 v[0:1], v[22:23], v[170:171]
	s_nop 0
	v_min3_f32 v101, v0, v1, v160
	v_pk_add_f32 v[0:1], v[26:27], v[170:171]
	s_nop 0
	v_min3_f32 v102, v0, v1, v161
	v_pk_add_f32 v[0:1], v[30:31], v[170:171]
	s_nop 0
	v_min3_f32 v99, v0, v1, v38
	v_pk_add_f32 v[0:1], v[2:3], v[34:35]
	s_nop 0
	v_min3_f32 v100, v0, v1, v39
	v_pk_add_f32 v[0:1], v[6:7], v[34:35]
	s_nop 0
	v_min3_f32 v97, v0, v1, v4
	v_pk_add_f32 v[0:1], v[10:11], v[34:35]
	s_nop 0
	v_min3_f32 v98, v0, v1, v5
	v_pk_add_f32 v[0:1], v[14:15], v[34:35]
	s_nop 0
	v_min3_f32 v94, v0, v1, v8
	v_pk_add_f32 v[0:1], v[18:19], v[34:35]
	s_nop 0
	v_min3_f32 v95, v0, v1, v9
	v_pk_add_f32 v[0:1], v[22:23], v[34:35]
	s_nop 0
	v_min3_f32 v92, v0, v1, v12
	v_pk_add_f32 v[0:1], v[26:27], v[34:35]
	s_nop 0
	v_min3_f32 v93, v0, v1, v13
	v_pk_add_f32 v[0:1], v[30:31], v[34:35]
	s_nop 0
	v_min3_f32 v96, v0, v1, v16
	s_cbranch_scc1 .LBB56_42
.LBB56_28:                              ; =>This Inner Loop Header: Depth=1
	s_and_b64 vcc, exec, s[4:5]
	v_lshl_add_u64 v[0:1], v[68:69], 0, v[70:71]
	s_cbranch_vccnz .LBB56_32
; %bb.29:                               ;   in Loop: Header=BB56_28 Depth=1
	flat_load_dword v2, v[0:1]
	flat_load_dword v3, v[0:1] offset:256
	s_waitcnt vmcnt(0) lgkmcnt(0)
	v_pk_mul_f32 v[72:73], v[2:3], s[14:15]
	s_and_b64 vcc, exec, s[4:5]
	s_cbranch_vccnz .LBB56_33
.LBB56_30:                              ;   in Loop: Header=BB56_28 Depth=1
	flat_load_dword v2, v[0:1] offset:512
	flat_load_dword v3, v[0:1] offset:768
	s_waitcnt vmcnt(0) lgkmcnt(0)
	v_pk_mul_f32 v[74:75], v[2:3], s[14:15]
	s_and_b64 vcc, exec, s[4:5]
	s_cbranch_vccnz .LBB56_34
.LBB56_31:                              ;   in Loop: Header=BB56_28 Depth=1
	flat_load_dword v0, v[64:65]
	s_waitcnt vmcnt(0) lgkmcnt(0)
	v_mul_f32_e32 v151, s15, v0
	s_branch .LBB56_35
.LBB56_32:                              ;   in Loop: Header=BB56_28 Depth=1
	v_mov_b32_e32 v72, 0
	v_mov_b32_e32 v73, 0
	s_and_b64 vcc, exec, s[4:5]
	s_cbranch_vccz .LBB56_30
.LBB56_33:                              ;   in Loop: Header=BB56_28 Depth=1
	v_mov_b32_e32 v74, 0
	v_mov_b32_e32 v75, 0
	s_and_b64 vcc, exec, s[4:5]
	s_cbranch_vccz .LBB56_31
.LBB56_34:                              ;   in Loop: Header=BB56_28 Depth=1
	v_mov_b32_e32 v151, 0
.LBB56_35:                              ;   in Loop: Header=BB56_28 Depth=1
	ds_read_b128 v[28:31], v141
	ds_read_b128 v[24:27], v141 offset:512
	ds_read_b128 v[20:23], v141 offset:1024
	;; [unrolled: 1-line block ×7, first 2 shown]
	ds_read_b128 v[60:63], v150
	ds_read_b128 v[56:59], v150 offset:128
	ds_read_b128 v[52:55], v150 offset:256
	;; [unrolled: 1-line block ×7, first 2 shown]
	ds_write2st64_b32 v80, v72, v73 offset1:4
	ds_write2st64_b32 v80, v74, v75 offset0:8 offset1:12
	ds_write_b32 v88, v151
	s_and_b64 vcc, exec, s[4:5]
	v_lshl_add_u64 v[74:75], v[68:69], 0, v[66:67]
	s_waitcnt lgkmcnt(0)
	s_barrier
	s_cbranch_vccnz .LBB56_38
; %bb.36:                               ;   in Loop: Header=BB56_28 Depth=1
	flat_load_dword v72, v[74:75]
	flat_load_dword v73, v[74:75] offset:256
	s_waitcnt vmcnt(0) lgkmcnt(0)
	v_pk_mul_f32 v[72:73], v[72:73], s[14:15]
	s_and_b64 vcc, exec, s[4:5]
	s_cbranch_vccnz .LBB56_39
.LBB56_37:                              ;   in Loop: Header=BB56_28 Depth=1
	flat_load_dword v152, v[74:75] offset:512
	flat_load_dword v153, v[74:75] offset:768
	s_waitcnt vmcnt(0) lgkmcnt(0)
	v_pk_mul_f32 v[74:75], v[152:153], s[14:15]
	s_branch .LBB56_40
.LBB56_38:                              ;   in Loop: Header=BB56_28 Depth=1
	v_mov_b32_e32 v72, 0
	v_mov_b32_e32 v73, 0
	s_and_b64 vcc, exec, s[4:5]
	s_cbranch_vccz .LBB56_37
.LBB56_39:                              ;   in Loop: Header=BB56_28 Depth=1
	v_mov_b32_e32 v74, 0
	v_mov_b32_e32 v75, 0
.LBB56_40:                              ;   in Loop: Header=BB56_28 Depth=1
	v_pk_add_f32 v[152:153], v[28:29], v[60:61]
	s_and_b64 vcc, exec, s[4:5]
	v_min3_f32 v151, v152, v153, v87
	v_pk_add_f32 v[152:153], v[24:25], v[60:61]
	s_nop 0
	v_min3_f32 v154, v152, v153, v83
	v_pk_add_f32 v[152:153], v[20:21], v[60:61]
	s_nop 0
	v_min3_f32 v152, v152, v153, v86
	v_pk_add_f32 v[86:87], v[16:17], v[60:61]
	s_nop 0
	v_min3_f32 v81, v86, v87, v81
	v_pk_add_f32 v[86:87], v[12:13], v[60:61]
	s_nop 0
	v_min3_f32 v86, v86, v87, v82
	v_pk_add_f32 v[82:83], v[8:9], v[60:61]
	s_nop 0
	v_min3_f32 v84, v82, v83, v84
	v_pk_add_f32 v[82:83], v[4:5], v[60:61]
	v_pk_add_f32 v[60:61], v[0:1], v[60:61]
	v_min3_f32 v82, v82, v83, v85
	v_min3_f32 v83, v60, v61, v148
	v_pk_add_f32 v[60:61], v[28:29], v[56:57]
	s_nop 0
	v_min3_f32 v85, v60, v61, v149
	v_pk_add_f32 v[60:61], v[24:25], v[56:57]
	s_nop 0
	v_min3_f32 v87, v60, v61, v146
	v_pk_add_f32 v[60:61], v[20:21], v[56:57]
	s_nop 0
	v_min3_f32 v146, v60, v61, v147
	v_pk_add_f32 v[60:61], v[16:17], v[56:57]
	s_nop 0
	v_min3_f32 v144, v60, v61, v144
	v_pk_add_f32 v[60:61], v[12:13], v[56:57]
	s_nop 0
	v_min3_f32 v145, v60, v61, v145
	v_pk_add_f32 v[60:61], v[8:9], v[56:57]
	s_nop 0
	v_min3_f32 v142, v60, v61, v142
	v_pk_add_f32 v[60:61], v[4:5], v[56:57]
	v_pk_add_f32 v[56:57], v[0:1], v[56:57]
	v_min3_f32 v143, v60, v61, v143
	v_min3_f32 v139, v56, v57, v139
	v_pk_add_f32 v[56:57], v[28:29], v[52:53]
	s_nop 0
	;; [unrolled: 22-line block ×5, first 2 shown]
	v_min3_f32 v116, v44, v45, v116
	v_pk_add_f32 v[44:45], v[24:25], v[40:41]
	s_nop 0
	v_min3_f32 v113, v44, v45, v113
	v_pk_add_f32 v[44:45], v[20:21], v[40:41]
	s_nop 0
	;; [unrolled: 3-line block ×5, first 2 shown]
	v_min3_f32 v109, v44, v45, v109
	v_pk_add_f32 v[44:45], v[4:5], v[40:41]
	v_pk_add_f32 v[40:41], v[0:1], v[40:41]
	v_min3_f32 v110, v44, v45, v110
	v_min3_f32 v147, v40, v41, v107
	v_pk_add_f32 v[40:41], v[28:29], v[36:37]
	v_pk_add_f32 v[28:29], v[28:29], v[32:33]
	v_min3_f32 v148, v40, v41, v108
	v_pk_add_f32 v[40:41], v[24:25], v[36:37]
	v_pk_add_f32 v[24:25], v[24:25], v[32:33]
	v_min3_f32 v149, v40, v41, v105
	v_pk_add_f32 v[40:41], v[20:21], v[36:37]
	v_min3_f32 v24, v24, v25, v97
	v_min3_f32 v153, v40, v41, v106
	v_pk_add_f32 v[40:41], v[16:17], v[36:37]
	v_pk_add_f32 v[16:17], v[16:17], v[32:33]
	v_min3_f32 v155, v40, v41, v103
	v_pk_add_f32 v[40:41], v[12:13], v[36:37]
	v_min3_f32 v16, v16, v17, v94
	v_min3_f32 v156, v40, v41, v104
	v_pk_add_f32 v[40:41], v[8:9], v[36:37]
	v_pk_add_f32 v[8:9], v[8:9], v[32:33]
	v_min3_f32 v157, v40, v41, v101
	v_pk_add_f32 v[40:41], v[4:5], v[36:37]
	v_pk_add_f32 v[36:37], v[0:1], v[36:37]
	;; [unrolled: 1-line block ×4, first 2 shown]
	v_min3_f32 v4, v4, v5, v93
	v_min3_f32 v5, v0, v1, v96
	v_pk_add_f32 v[0:1], v[30:31], v[62:63]
	v_min3_f32 v36, v36, v37, v99
	v_min3_f32 v37, v0, v1, v151
	v_pk_add_f32 v[0:1], v[26:27], v[62:63]
	;; [unrolled: 3-line block ×4, first 2 shown]
	v_pk_add_f32 v[12:13], v[12:13], v[32:33]
	v_min3_f32 v44, v0, v1, v81
	v_pk_add_f32 v[0:1], v[14:15], v[62:63]
	v_min3_f32 v12, v12, v13, v95
	v_min3_f32 v45, v0, v1, v86
	v_pk_add_f32 v[0:1], v[10:11], v[62:63]
	v_pk_add_f32 v[20:21], v[20:21], v[32:33]
	v_min3_f32 v48, v0, v1, v84
	v_pk_add_f32 v[0:1], v[6:7], v[62:63]
	v_min3_f32 v20, v20, v21, v98
	v_min3_f32 v49, v0, v1, v82
	v_pk_add_f32 v[0:1], v[2:3], v[62:63]
	v_min3_f32 v28, v28, v29, v100
	v_min3_f32 v52, v0, v1, v83
	v_pk_add_f32 v[0:1], v[30:31], v[58:59]
	s_nop 0
	v_min3_f32 v53, v0, v1, v85
	v_pk_add_f32 v[0:1], v[26:27], v[58:59]
	s_nop 0
	;; [unrolled: 3-line block ×56, first 2 shown]
	v_min3_f32 v121, v0, v1, v5
	s_cbranch_vccz .LBB56_26
; %bb.41:                               ;   in Loop: Header=BB56_28 Depth=1
	v_mov_b32_e32 v36, 0
	s_branch .LBB56_27
.LBB56_42:
	s_load_dwordx2 s[14:15], s[0:1], 0x70
	s_load_dword s4, s[0:1], 0x50
	s_load_dword s5, s[0:1], 0x68
	ds_read_b128 v[32:35], v78 offset:4096
	ds_read_b128 v[60:63], v79 offset:9216
	v_add_u32_e32 v68, s24, v76
	s_waitcnt lgkmcnt(0)
	s_mul_i32 s0, s3, s15
	s_mul_hi_u32 s1, s3, s14
	s_mul_i32 s2, s13, s14
	s_add_i32 s0, s1, s0
	s_add_i32 s1, s0, s2
	s_mul_i32 s0, s3, s14
	s_lshl_b64 s[0:1], s[0:1], 2
	v_pk_add_f32 v[0:1], v[32:33], v[60:61]
	s_add_u32 s0, s10, s0
	v_min3_f32 v2, v0, v1, v87
	v_pk_add_f32 v[0:1], v[34:35], v[62:63]
	v_add_u32_e32 v141, s22, v77
	s_addc_u32 s1, s11, s1
	v_min3_f32 v2, v0, v1, v2
	v_add_u32_e32 v64, 32, v68
	v_mad_i64_i32 v[0:1], s[2:3], v141, s5, 0
	v_ashrrev_i32_e32 v69, 31, v68
	v_ashrrev_i32_e32 v65, 31, v64
	v_lshl_add_u64 v[88:89], v[0:1], 2, s[0:1]
	v_mad_i64_i32 v[0:1], s[2:3], v141, s4, 0
	v_max_f32_e32 v2, v2, v2
	s_mov_b64 vcc, s[6:7]
	s_cbranch_vccz .LBB56_44
; %bb.43:
	v_min_f32_e32 v3, 0, v2
	v_lshl_add_u64 v[4:5], v[68:69], 2, v[88:89]
	s_mov_b32 s10, 0
	global_store_dword v[4:5], v3, off
	s_mov_b64 s[2:3], 0
	s_branch .LBB56_45
.LBB56_44:
	s_mov_b64 s[2:3], -1
                                        ; implicit-def: $sgpr10
.LBB56_45:
	ds_read_b128 v[28:31], v78 offset:4608
	ds_read_b128 v[24:27], v78 offset:5120
	v_lshl_add_u64 v[90:91], v[0:1], 2, s[8:9]
	s_andn2_b64 vcc, exec, s[2:3]
	v_lshlrev_b64 v[72:73], 2, v[68:69]
	s_cbranch_vccnz .LBB56_47
; %bb.46:
	v_lshl_add_u64 v[0:1], v[90:91], 0, v[72:73]
	flat_load_dword v3, v[0:1]
	v_lshl_add_u64 v[0:1], v[88:89], 0, v[72:73]
	s_waitcnt vmcnt(0) lgkmcnt(0)
	v_mul_f32_e32 v3, s12, v3
	v_min_f32_e32 v2, v3, v2
	global_store_dword v[0:1], v2, off
	v_lshl_add_u64 v[0:1], v[64:65], 2, v[90:91]
	flat_load_dword v0, v[0:1]
	s_waitcnt vmcnt(0) lgkmcnt(0)
	v_mul_f32_e32 v70, s12, v0
	s_branch .LBB56_48
.LBB56_47:
	v_mov_b32_e32 v70, s10
.LBB56_48:
	ds_read_b128 v[20:23], v78 offset:5632
	ds_read_b128 v[16:19], v78 offset:6144
	;; [unrolled: 1-line block ×12, first 2 shown]
	s_waitcnt lgkmcnt(13)
	v_pk_add_f32 v[66:67], v[28:29], v[60:61]
	s_mov_b64 vcc, s[6:7]
	v_min3_f32 v71, v66, v67, v83
	s_waitcnt lgkmcnt(12)
	v_pk_add_f32 v[66:67], v[24:25], v[60:61]
	s_nop 0
	v_min3_f32 v74, v66, v67, v86
	v_pk_add_f32 v[66:67], v[30:31], v[62:63]
	s_nop 0
	v_min_f32_e32 v76, v66, v67
	v_pk_add_f32 v[66:67], v[26:27], v[62:63]
	v_min3_f32 v76, v70, v76, v71
	v_min3_f32 v77, v66, v67, v74
	v_add_u32_e32 v74, 64, v68
	v_add_u32_e32 v66, 0x60, v68
	v_lshl_add_u64 v[70:71], v[64:65], 2, v[88:89]
	v_ashrrev_i32_e32 v75, 31, v74
	v_ashrrev_i32_e32 v67, 31, v66
	global_store_dword v[70:71], v76, off
	v_max_f32_e32 v70, v77, v77
	s_cbranch_vccz .LBB56_51
; %bb.49:
	v_min_f32_e32 v71, 0, v70
	v_lshl_add_u64 v[76:77], v[74:75], 2, v[88:89]
	s_mov_b32 s10, 0
	global_store_dword v[76:77], v71, off
	v_lshlrev_b64 v[78:79], 2, v[74:75]
	s_cbranch_execz .LBB56_52
; %bb.50:
	v_mov_b32_e32 v76, s10
	s_branch .LBB56_53
.LBB56_51:
                                        ; implicit-def: $sgpr10
	v_lshlrev_b64 v[78:79], 2, v[74:75]
.LBB56_52:
	v_lshl_add_u64 v[76:77], v[90:91], 0, v[78:79]
	flat_load_dword v71, v[76:77]
	v_lshl_add_u64 v[76:77], v[88:89], 0, v[78:79]
	s_waitcnt vmcnt(0) lgkmcnt(0)
	v_mul_f32_e32 v71, s12, v71
	v_min_f32_e32 v70, v71, v70
	global_store_dword v[76:77], v70, off
	v_lshl_add_u64 v[70:71], v[66:67], 2, v[90:91]
	flat_load_dword v70, v[70:71]
	s_waitcnt vmcnt(0) lgkmcnt(0)
	v_mul_f32_e32 v76, s12, v70
.LBB56_53:
	s_waitcnt lgkmcnt(11)
	v_pk_add_f32 v[70:71], v[20:21], v[60:61]
	s_mov_b64 vcc, s[6:7]
	v_min3_f32 v77, v70, v71, v81
	s_waitcnt lgkmcnt(10)
	v_pk_add_f32 v[70:71], v[16:17], v[60:61]
	s_nop 0
	v_min3_f32 v80, v70, v71, v82
	v_pk_add_f32 v[70:71], v[22:23], v[62:63]
	s_nop 0
	v_min_f32_e32 v82, v70, v71
	v_pk_add_f32 v[70:71], v[18:19], v[62:63]
	v_min3_f32 v82, v76, v82, v77
	v_min3_f32 v83, v70, v71, v80
	v_add_u32_e32 v80, 0x80, v68
	v_add_u32_e32 v70, 0xa0, v68
	v_lshl_add_u64 v[76:77], v[66:67], 2, v[88:89]
	v_ashrrev_i32_e32 v81, 31, v80
	v_ashrrev_i32_e32 v71, 31, v70
	global_store_dword v[76:77], v82, off
	v_max_f32_e32 v76, v83, v83
	s_cbranch_vccz .LBB56_56
; %bb.54:
	v_min_f32_e32 v77, 0, v76
	v_lshl_add_u64 v[82:83], v[80:81], 2, v[88:89]
	s_mov_b32 s10, 0
	global_store_dword v[82:83], v77, off
	v_lshlrev_b64 v[82:83], 2, v[80:81]
	s_cbranch_execz .LBB56_57
; %bb.55:
	v_mov_b32_e32 v86, s10
	s_branch .LBB56_58
.LBB56_56:
                                        ; implicit-def: $sgpr10
	v_lshlrev_b64 v[82:83], 2, v[80:81]
.LBB56_57:
	v_lshl_add_u64 v[86:87], v[90:91], 0, v[82:83]
	flat_load_dword v77, v[86:87]
	v_lshl_add_u64 v[86:87], v[88:89], 0, v[82:83]
	s_waitcnt vmcnt(0) lgkmcnt(0)
	v_mul_f32_e32 v77, s12, v77
	v_min_f32_e32 v76, v77, v76
	global_store_dword v[86:87], v76, off
	v_lshl_add_u64 v[76:77], v[70:71], 2, v[90:91]
	flat_load_dword v76, v[76:77]
	s_waitcnt vmcnt(0) lgkmcnt(0)
	v_mul_f32_e32 v86, s12, v76
.LBB56_58:
	s_waitcnt lgkmcnt(9)
	v_pk_add_f32 v[76:77], v[12:13], v[60:61]
	s_mov_b64 vcc, s[6:7]
	v_min3_f32 v87, v76, v77, v84
	s_waitcnt lgkmcnt(8)
	v_pk_add_f32 v[76:77], v[8:9], v[60:61]
	s_nop 0
	v_min3_f32 v84, v76, v77, v85
	v_pk_add_f32 v[76:77], v[14:15], v[62:63]
	s_nop 0
	v_min_f32_e32 v150, v76, v77
	v_pk_add_f32 v[76:77], v[10:11], v[62:63]
	v_min3_f32 v150, v86, v150, v87
	v_min3_f32 v151, v76, v77, v84
	v_add_u32_e32 v84, 0xc0, v68
	v_add_u32_e32 v76, 0xe0, v68
	v_lshl_add_u64 v[86:87], v[70:71], 2, v[88:89]
	v_ashrrev_i32_e32 v85, 31, v84
	v_ashrrev_i32_e32 v77, 31, v76
	global_store_dword v[86:87], v150, off
	v_max_f32_e32 v150, v151, v151
	s_cbranch_vccz .LBB56_61
; %bb.59:
	v_min_f32_e32 v151, 0, v150
	v_lshl_add_u64 v[86:87], v[84:85], 2, v[88:89]
	s_mov_b32 s10, 0
	global_store_dword v[86:87], v151, off
	v_lshlrev_b64 v[86:87], 2, v[84:85]
	s_cbranch_execz .LBB56_62
; %bb.60:
	v_mov_b32_e32 v90, s10
	s_branch .LBB56_63
.LBB56_61:
                                        ; implicit-def: $sgpr10
	v_lshlrev_b64 v[86:87], 2, v[84:85]
.LBB56_62:
	v_lshl_add_u64 v[152:153], v[90:91], 0, v[86:87]
	flat_load_dword v151, v[152:153]
	v_lshl_add_u64 v[152:153], v[88:89], 0, v[86:87]
	v_lshl_add_u64 v[90:91], v[76:77], 2, v[90:91]
	s_waitcnt vmcnt(0) lgkmcnt(0)
	v_mul_f32_e32 v151, s12, v151
	v_min_f32_e32 v150, v151, v150
	global_store_dword v[152:153], v150, off
	flat_load_dword v90, v[90:91]
	s_waitcnt vmcnt(0) lgkmcnt(0)
	v_mul_f32_e32 v90, s12, v90
.LBB56_63:
	s_waitcnt lgkmcnt(7)
	v_pk_add_f32 v[60:61], v[0:1], v[60:61]
	s_mov_b64 vcc, s[6:7]
	v_min3_f32 v91, v60, v61, v148
	s_waitcnt lgkmcnt(6)
	v_pk_add_f32 v[60:61], v[32:33], v[56:57]
	s_nop 0
	v_min3_f32 v148, v60, v61, v149
	v_pk_add_f32 v[60:61], v[2:3], v[62:63]
	s_nop 0
	v_min_f32_e32 v62, v60, v61
	v_pk_add_f32 v[60:61], v[34:35], v[58:59]
	v_min3_f32 v62, v90, v62, v91
	v_min3_f32 v148, v60, v61, v148
	v_lshl_add_u64 v[60:61], v[76:77], 2, v[88:89]
	global_store_dword v[60:61], v62, off
	v_add_u32_e32 v62, 8, v141
	v_mad_i64_i32 v[60:61], s[2:3], v62, s5, 0
	v_lshl_add_u64 v[60:61], v[60:61], 2, s[0:1]
	v_mad_i64_i32 v[62:63], s[2:3], v62, s4, 0
	v_max_f32_e32 v88, v148, v148
	s_cbranch_vccz .LBB56_66
; %bb.64:
	v_min_f32_e32 v89, 0, v88
	v_lshl_add_u64 v[90:91], v[68:69], 2, v[60:61]
	s_mov_b32 s10, 0
	global_store_dword v[90:91], v89, off
	v_lshl_add_u64 v[62:63], v[62:63], 2, s[8:9]
	s_cbranch_execz .LBB56_67
; %bb.65:
	v_mov_b32_e32 v88, s10
	s_branch .LBB56_68
.LBB56_66:
                                        ; implicit-def: $sgpr10
	v_lshl_add_u64 v[62:63], v[62:63], 2, s[8:9]
.LBB56_67:
	v_lshl_add_u64 v[90:91], v[62:63], 0, v[72:73]
	flat_load_dword v89, v[90:91]
	v_lshl_add_u64 v[90:91], v[60:61], 0, v[72:73]
	s_waitcnt vmcnt(0) lgkmcnt(0)
	v_mul_f32_e32 v89, s12, v89
	v_min_f32_e32 v88, v89, v88
	global_store_dword v[90:91], v88, off
	v_lshl_add_u64 v[88:89], v[64:65], 2, v[62:63]
	flat_load_dword v88, v[88:89]
	s_waitcnt vmcnt(0) lgkmcnt(0)
	v_mul_f32_e32 v88, s12, v88
.LBB56_68:
	v_pk_add_f32 v[90:91], v[28:29], v[56:57]
	s_mov_b64 vcc, s[6:7]
	v_min3_f32 v89, v90, v91, v146
	v_pk_add_f32 v[90:91], v[24:25], v[56:57]
	s_nop 0
	v_min3_f32 v146, v90, v91, v147
	v_pk_add_f32 v[90:91], v[30:31], v[58:59]
	s_nop 0
	v_min_f32_e32 v147, v90, v91
	v_pk_add_f32 v[90:91], v[26:27], v[58:59]
	s_nop 0
	v_min3_f32 v90, v90, v91, v146
	v_min3_f32 v91, v88, v147, v89
	v_lshl_add_u64 v[88:89], v[64:65], 2, v[60:61]
	global_store_dword v[88:89], v91, off
	v_max_f32_e32 v88, v90, v90
	s_cbranch_vccz .LBB56_71
; %bb.69:
	v_min_f32_e32 v89, 0, v88
	v_lshl_add_u64 v[90:91], v[74:75], 2, v[60:61]
	s_mov_b32 s10, 0
	global_store_dword v[90:91], v89, off
	s_cbranch_execz .LBB56_72
; %bb.70:
	v_mov_b32_e32 v88, s10
	s_branch .LBB56_73
.LBB56_71:
                                        ; implicit-def: $sgpr10
.LBB56_72:
	v_lshl_add_u64 v[90:91], v[62:63], 0, v[78:79]
	flat_load_dword v89, v[90:91]
	v_lshl_add_u64 v[90:91], v[60:61], 0, v[78:79]
	s_waitcnt vmcnt(0) lgkmcnt(0)
	v_mul_f32_e32 v89, s12, v89
	v_min_f32_e32 v88, v89, v88
	global_store_dword v[90:91], v88, off
	v_lshl_add_u64 v[88:89], v[66:67], 2, v[62:63]
	flat_load_dword v88, v[88:89]
	s_waitcnt vmcnt(0) lgkmcnt(0)
	v_mul_f32_e32 v88, s12, v88
.LBB56_73:
	v_pk_add_f32 v[90:91], v[20:21], v[56:57]
	s_mov_b64 vcc, s[6:7]
	v_min3_f32 v89, v90, v91, v144
	v_pk_add_f32 v[90:91], v[16:17], v[56:57]
	s_nop 0
	v_min3_f32 v144, v90, v91, v145
	v_pk_add_f32 v[90:91], v[22:23], v[58:59]
	s_nop 0
	v_min_f32_e32 v145, v90, v91
	v_pk_add_f32 v[90:91], v[18:19], v[58:59]
	s_nop 0
	v_min3_f32 v90, v90, v91, v144
	v_min3_f32 v91, v88, v145, v89
	v_lshl_add_u64 v[88:89], v[66:67], 2, v[60:61]
	global_store_dword v[88:89], v91, off
	v_max_f32_e32 v88, v90, v90
	s_cbranch_vccz .LBB56_76
; %bb.74:
	v_min_f32_e32 v89, 0, v88
	v_lshl_add_u64 v[90:91], v[80:81], 2, v[60:61]
	s_mov_b32 s10, 0
	global_store_dword v[90:91], v89, off
	s_cbranch_execz .LBB56_77
; %bb.75:
	v_mov_b32_e32 v88, s10
	s_branch .LBB56_78
.LBB56_76:
                                        ; implicit-def: $sgpr10
.LBB56_77:
	v_lshl_add_u64 v[90:91], v[62:63], 0, v[82:83]
	flat_load_dword v89, v[90:91]
	v_lshl_add_u64 v[90:91], v[60:61], 0, v[82:83]
	s_waitcnt vmcnt(0) lgkmcnt(0)
	v_mul_f32_e32 v89, s12, v89
	v_min_f32_e32 v88, v89, v88
	global_store_dword v[90:91], v88, off
	v_lshl_add_u64 v[88:89], v[70:71], 2, v[62:63]
	flat_load_dword v88, v[88:89]
	s_waitcnt vmcnt(0) lgkmcnt(0)
	v_mul_f32_e32 v88, s12, v88
.LBB56_78:
	v_pk_add_f32 v[90:91], v[12:13], v[56:57]
	s_mov_b64 vcc, s[6:7]
	v_min3_f32 v89, v90, v91, v142
	v_pk_add_f32 v[90:91], v[8:9], v[56:57]
	s_nop 0
	v_min3_f32 v142, v90, v91, v143
	v_pk_add_f32 v[90:91], v[14:15], v[58:59]
	s_nop 0
	v_min_f32_e32 v143, v90, v91
	v_pk_add_f32 v[90:91], v[10:11], v[58:59]
	s_nop 0
	v_min3_f32 v90, v90, v91, v142
	v_min3_f32 v91, v88, v143, v89
	v_lshl_add_u64 v[88:89], v[70:71], 2, v[60:61]
	global_store_dword v[88:89], v91, off
	v_max_f32_e32 v88, v90, v90
	s_cbranch_vccz .LBB56_81
; %bb.79:
	v_min_f32_e32 v89, 0, v88
	v_lshl_add_u64 v[90:91], v[84:85], 2, v[60:61]
	s_mov_b32 s10, 0
	global_store_dword v[90:91], v89, off
	s_cbranch_execz .LBB56_82
; %bb.80:
	v_mov_b32_e32 v62, s10
	s_branch .LBB56_83
.LBB56_81:
                                        ; implicit-def: $sgpr10
.LBB56_82:
	v_lshl_add_u64 v[90:91], v[62:63], 0, v[86:87]
	flat_load_dword v89, v[90:91]
	v_lshl_add_u64 v[90:91], v[60:61], 0, v[86:87]
	v_lshl_add_u64 v[62:63], v[76:77], 2, v[62:63]
	s_waitcnt vmcnt(0) lgkmcnt(0)
	v_mul_f32_e32 v89, s12, v89
	v_min_f32_e32 v88, v89, v88
	global_store_dword v[90:91], v88, off
	flat_load_dword v62, v[62:63]
	s_waitcnt vmcnt(0) lgkmcnt(0)
	v_mul_f32_e32 v62, s12, v62
.LBB56_83:
	v_pk_add_f32 v[56:57], v[0:1], v[56:57]
	s_mov_b64 vcc, s[6:7]
	v_min3_f32 v63, v56, v57, v139
	s_waitcnt lgkmcnt(5)
	v_pk_add_f32 v[56:57], v[32:33], v[52:53]
	s_nop 0
	v_min3_f32 v88, v56, v57, v140
	v_pk_add_f32 v[56:57], v[2:3], v[58:59]
	s_nop 0
	v_min_f32_e32 v58, v56, v57
	v_pk_add_f32 v[56:57], v[34:35], v[54:55]
	v_min3_f32 v58, v62, v58, v63
	v_min3_f32 v88, v56, v57, v88
	v_lshl_add_u64 v[56:57], v[76:77], 2, v[60:61]
	global_store_dword v[56:57], v58, off
	v_add_u32_e32 v58, 16, v141
	v_mad_i64_i32 v[56:57], s[2:3], v58, s5, 0
	v_lshl_add_u64 v[56:57], v[56:57], 2, s[0:1]
	v_mad_i64_i32 v[58:59], s[2:3], v58, s4, 0
	v_max_f32_e32 v60, v88, v88
	s_cbranch_vccz .LBB56_86
; %bb.84:
	v_min_f32_e32 v61, 0, v60
	v_lshl_add_u64 v[62:63], v[68:69], 2, v[56:57]
	s_mov_b32 s10, 0
	global_store_dword v[62:63], v61, off
	v_lshl_add_u64 v[58:59], v[58:59], 2, s[8:9]
	s_cbranch_execz .LBB56_87
; %bb.85:
	v_mov_b32_e32 v60, s10
	s_branch .LBB56_88
.LBB56_86:
                                        ; implicit-def: $sgpr10
	v_lshl_add_u64 v[58:59], v[58:59], 2, s[8:9]
.LBB56_87:
	v_lshl_add_u64 v[62:63], v[58:59], 0, v[72:73]
	flat_load_dword v61, v[62:63]
	v_lshl_add_u64 v[62:63], v[56:57], 0, v[72:73]
	s_waitcnt vmcnt(0) lgkmcnt(0)
	v_mul_f32_e32 v61, s12, v61
	v_min_f32_e32 v60, v61, v60
	global_store_dword v[62:63], v60, off
	v_lshl_add_u64 v[60:61], v[64:65], 2, v[58:59]
	flat_load_dword v60, v[60:61]
	s_waitcnt vmcnt(0) lgkmcnt(0)
	v_mul_f32_e32 v60, s12, v60
.LBB56_88:
	v_pk_add_f32 v[62:63], v[28:29], v[52:53]
	s_mov_b64 vcc, s[6:7]
	v_min3_f32 v61, v62, v63, v137
	v_pk_add_f32 v[62:63], v[24:25], v[52:53]
	s_nop 0
	v_min3_f32 v88, v62, v63, v138
	v_pk_add_f32 v[62:63], v[30:31], v[54:55]
	s_nop 0
	v_min_f32_e32 v89, v62, v63
	v_pk_add_f32 v[62:63], v[26:27], v[54:55]
	s_nop 0
	v_min3_f32 v62, v62, v63, v88
	v_min3_f32 v63, v60, v89, v61
	v_lshl_add_u64 v[60:61], v[64:65], 2, v[56:57]
	global_store_dword v[60:61], v63, off
	v_max_f32_e32 v60, v62, v62
	s_cbranch_vccz .LBB56_91
; %bb.89:
	v_min_f32_e32 v61, 0, v60
	v_lshl_add_u64 v[62:63], v[74:75], 2, v[56:57]
	s_mov_b32 s10, 0
	global_store_dword v[62:63], v61, off
	s_cbranch_execz .LBB56_92
; %bb.90:
	v_mov_b32_e32 v60, s10
	s_branch .LBB56_93
.LBB56_91:
                                        ; implicit-def: $sgpr10
.LBB56_92:
	v_lshl_add_u64 v[62:63], v[58:59], 0, v[78:79]
	flat_load_dword v61, v[62:63]
	v_lshl_add_u64 v[62:63], v[56:57], 0, v[78:79]
	s_waitcnt vmcnt(0) lgkmcnt(0)
	v_mul_f32_e32 v61, s12, v61
	v_min_f32_e32 v60, v61, v60
	global_store_dword v[62:63], v60, off
	v_lshl_add_u64 v[60:61], v[66:67], 2, v[58:59]
	flat_load_dword v60, v[60:61]
	s_waitcnt vmcnt(0) lgkmcnt(0)
	v_mul_f32_e32 v60, s12, v60
.LBB56_93:
	v_pk_add_f32 v[62:63], v[20:21], v[52:53]
	s_mov_b64 vcc, s[6:7]
	v_min3_f32 v61, v62, v63, v135
	v_pk_add_f32 v[62:63], v[16:17], v[52:53]
	s_nop 0
	v_min3_f32 v88, v62, v63, v136
	v_pk_add_f32 v[62:63], v[22:23], v[54:55]
	s_nop 0
	v_min_f32_e32 v89, v62, v63
	v_pk_add_f32 v[62:63], v[18:19], v[54:55]
	s_nop 0
	v_min3_f32 v62, v62, v63, v88
	v_min3_f32 v63, v60, v89, v61
	v_lshl_add_u64 v[60:61], v[66:67], 2, v[56:57]
	global_store_dword v[60:61], v63, off
	v_max_f32_e32 v60, v62, v62
	s_cbranch_vccz .LBB56_96
; %bb.94:
	v_min_f32_e32 v61, 0, v60
	v_lshl_add_u64 v[62:63], v[80:81], 2, v[56:57]
	s_mov_b32 s10, 0
	global_store_dword v[62:63], v61, off
	s_cbranch_execz .LBB56_97
; %bb.95:
	v_mov_b32_e32 v60, s10
	s_branch .LBB56_98
.LBB56_96:
                                        ; implicit-def: $sgpr10
.LBB56_97:
	v_lshl_add_u64 v[62:63], v[58:59], 0, v[82:83]
	flat_load_dword v61, v[62:63]
	v_lshl_add_u64 v[62:63], v[56:57], 0, v[82:83]
	s_waitcnt vmcnt(0) lgkmcnt(0)
	v_mul_f32_e32 v61, s12, v61
	v_min_f32_e32 v60, v61, v60
	global_store_dword v[62:63], v60, off
	v_lshl_add_u64 v[60:61], v[70:71], 2, v[58:59]
	flat_load_dword v60, v[60:61]
	s_waitcnt vmcnt(0) lgkmcnt(0)
	v_mul_f32_e32 v60, s12, v60
.LBB56_98:
	v_pk_add_f32 v[62:63], v[12:13], v[52:53]
	s_mov_b64 vcc, s[6:7]
	v_min3_f32 v61, v62, v63, v131
	v_pk_add_f32 v[62:63], v[8:9], v[52:53]
	s_nop 0
	v_min3_f32 v88, v62, v63, v132
	v_pk_add_f32 v[62:63], v[14:15], v[54:55]
	s_nop 0
	v_min_f32_e32 v89, v62, v63
	v_pk_add_f32 v[62:63], v[10:11], v[54:55]
	s_nop 0
	v_min3_f32 v62, v62, v63, v88
	v_min3_f32 v63, v60, v89, v61
	v_lshl_add_u64 v[60:61], v[70:71], 2, v[56:57]
	global_store_dword v[60:61], v63, off
	v_max_f32_e32 v60, v62, v62
	s_cbranch_vccz .LBB56_101
; %bb.99:
	v_min_f32_e32 v61, 0, v60
	v_lshl_add_u64 v[62:63], v[84:85], 2, v[56:57]
	s_mov_b32 s10, 0
	global_store_dword v[62:63], v61, off
	s_cbranch_execz .LBB56_102
; %bb.100:
	v_mov_b32_e32 v58, s10
	s_branch .LBB56_103
.LBB56_101:
                                        ; implicit-def: $sgpr10
.LBB56_102:
	v_lshl_add_u64 v[62:63], v[58:59], 0, v[86:87]
	flat_load_dword v61, v[62:63]
	v_lshl_add_u64 v[62:63], v[56:57], 0, v[86:87]
	v_lshl_add_u64 v[58:59], v[76:77], 2, v[58:59]
	s_waitcnt vmcnt(0) lgkmcnt(0)
	v_mul_f32_e32 v61, s12, v61
	v_min_f32_e32 v60, v61, v60
	global_store_dword v[62:63], v60, off
	flat_load_dword v58, v[58:59]
	s_waitcnt vmcnt(0) lgkmcnt(0)
	v_mul_f32_e32 v58, s12, v58
.LBB56_103:
	v_pk_add_f32 v[52:53], v[0:1], v[52:53]
	s_mov_b64 vcc, s[6:7]
	v_min3_f32 v59, v52, v53, v134
	s_waitcnt lgkmcnt(4)
	v_pk_add_f32 v[52:53], v[32:33], v[48:49]
	s_nop 0
	v_min3_f32 v60, v52, v53, v133
	v_pk_add_f32 v[52:53], v[2:3], v[54:55]
	s_nop 0
	v_min_f32_e32 v54, v52, v53
	v_pk_add_f32 v[52:53], v[34:35], v[50:51]
	v_min3_f32 v54, v58, v54, v59
	v_min3_f32 v60, v52, v53, v60
	v_lshl_add_u64 v[52:53], v[76:77], 2, v[56:57]
	global_store_dword v[52:53], v54, off
	v_add_u32_e32 v54, 24, v141
	v_mad_i64_i32 v[52:53], s[2:3], v54, s5, 0
	v_lshl_add_u64 v[52:53], v[52:53], 2, s[0:1]
	v_mad_i64_i32 v[54:55], s[2:3], v54, s4, 0
	v_max_f32_e32 v56, v60, v60
	s_cbranch_vccz .LBB56_106
; %bb.104:
	v_min_f32_e32 v57, 0, v56
	v_lshl_add_u64 v[58:59], v[68:69], 2, v[52:53]
	s_mov_b32 s10, 0
	global_store_dword v[58:59], v57, off
	v_lshl_add_u64 v[54:55], v[54:55], 2, s[8:9]
	s_cbranch_execz .LBB56_107
; %bb.105:
	v_mov_b32_e32 v56, s10
	s_branch .LBB56_108
.LBB56_106:
                                        ; implicit-def: $sgpr10
	v_lshl_add_u64 v[54:55], v[54:55], 2, s[8:9]
.LBB56_107:
	v_lshl_add_u64 v[58:59], v[54:55], 0, v[72:73]
	flat_load_dword v57, v[58:59]
	v_lshl_add_u64 v[58:59], v[52:53], 0, v[72:73]
	s_waitcnt vmcnt(0) lgkmcnt(0)
	v_mul_f32_e32 v57, s12, v57
	v_min_f32_e32 v56, v57, v56
	global_store_dword v[58:59], v56, off
	v_lshl_add_u64 v[56:57], v[64:65], 2, v[54:55]
	flat_load_dword v56, v[56:57]
	s_waitcnt vmcnt(0) lgkmcnt(0)
	v_mul_f32_e32 v56, s12, v56
.LBB56_108:
	v_pk_add_f32 v[58:59], v[28:29], v[48:49]
	s_mov_b64 vcc, s[6:7]
	v_min3_f32 v57, v58, v59, v130
	v_pk_add_f32 v[58:59], v[24:25], v[48:49]
	s_nop 0
	v_min3_f32 v60, v58, v59, v129
	v_pk_add_f32 v[58:59], v[30:31], v[50:51]
	s_nop 0
	v_min_f32_e32 v61, v58, v59
	v_pk_add_f32 v[58:59], v[26:27], v[50:51]
	s_nop 0
	v_min3_f32 v58, v58, v59, v60
	v_min3_f32 v59, v56, v61, v57
	v_lshl_add_u64 v[56:57], v[64:65], 2, v[52:53]
	global_store_dword v[56:57], v59, off
	v_max_f32_e32 v56, v58, v58
	s_cbranch_vccz .LBB56_111
; %bb.109:
	v_min_f32_e32 v57, 0, v56
	v_lshl_add_u64 v[58:59], v[74:75], 2, v[52:53]
	s_mov_b32 s10, 0
	global_store_dword v[58:59], v57, off
	s_cbranch_execz .LBB56_112
; %bb.110:
	v_mov_b32_e32 v56, s10
	s_branch .LBB56_113
.LBB56_111:
                                        ; implicit-def: $sgpr10
.LBB56_112:
	v_lshl_add_u64 v[58:59], v[54:55], 0, v[78:79]
	flat_load_dword v57, v[58:59]
	v_lshl_add_u64 v[58:59], v[52:53], 0, v[78:79]
	s_waitcnt vmcnt(0) lgkmcnt(0)
	v_mul_f32_e32 v57, s12, v57
	v_min_f32_e32 v56, v57, v56
	global_store_dword v[58:59], v56, off
	v_lshl_add_u64 v[56:57], v[66:67], 2, v[54:55]
	flat_load_dword v56, v[56:57]
	s_waitcnt vmcnt(0) lgkmcnt(0)
	v_mul_f32_e32 v56, s12, v56
.LBB56_113:
	v_pk_add_f32 v[58:59], v[20:21], v[48:49]
	s_mov_b64 vcc, s[6:7]
	v_min3_f32 v57, v58, v59, v128
	v_pk_add_f32 v[58:59], v[16:17], v[48:49]
	s_nop 0
	v_min3_f32 v60, v58, v59, v127
	v_pk_add_f32 v[58:59], v[22:23], v[50:51]
	s_nop 0
	v_min_f32_e32 v61, v58, v59
	v_pk_add_f32 v[58:59], v[18:19], v[50:51]
	s_nop 0
	v_min3_f32 v58, v58, v59, v60
	v_min3_f32 v59, v56, v61, v57
	v_lshl_add_u64 v[56:57], v[66:67], 2, v[52:53]
	global_store_dword v[56:57], v59, off
	v_max_f32_e32 v56, v58, v58
	s_cbranch_vccz .LBB56_116
; %bb.114:
	v_min_f32_e32 v57, 0, v56
	v_lshl_add_u64 v[58:59], v[80:81], 2, v[52:53]
	s_mov_b32 s10, 0
	global_store_dword v[58:59], v57, off
	s_cbranch_execz .LBB56_117
; %bb.115:
	v_mov_b32_e32 v56, s10
	s_branch .LBB56_118
.LBB56_116:
                                        ; implicit-def: $sgpr10
.LBB56_117:
	v_lshl_add_u64 v[58:59], v[54:55], 0, v[82:83]
	flat_load_dword v57, v[58:59]
	v_lshl_add_u64 v[58:59], v[52:53], 0, v[82:83]
	s_waitcnt vmcnt(0) lgkmcnt(0)
	v_mul_f32_e32 v57, s12, v57
	v_min_f32_e32 v56, v57, v56
	global_store_dword v[58:59], v56, off
	v_lshl_add_u64 v[56:57], v[70:71], 2, v[54:55]
	flat_load_dword v56, v[56:57]
	s_waitcnt vmcnt(0) lgkmcnt(0)
	v_mul_f32_e32 v56, s12, v56
.LBB56_118:
	v_pk_add_f32 v[58:59], v[12:13], v[48:49]
	s_mov_b64 vcc, s[6:7]
	v_min3_f32 v57, v58, v59, v126
	v_pk_add_f32 v[58:59], v[8:9], v[48:49]
	s_nop 0
	v_min3_f32 v60, v58, v59, v125
	v_pk_add_f32 v[58:59], v[14:15], v[50:51]
	s_nop 0
	v_min_f32_e32 v61, v58, v59
	v_pk_add_f32 v[58:59], v[10:11], v[50:51]
	s_nop 0
	v_min3_f32 v58, v58, v59, v60
	v_min3_f32 v59, v56, v61, v57
	v_lshl_add_u64 v[56:57], v[70:71], 2, v[52:53]
	global_store_dword v[56:57], v59, off
	v_max_f32_e32 v56, v58, v58
	s_cbranch_vccz .LBB56_121
; %bb.119:
	v_min_f32_e32 v57, 0, v56
	v_lshl_add_u64 v[58:59], v[84:85], 2, v[52:53]
	s_mov_b32 s10, 0
	global_store_dword v[58:59], v57, off
	s_cbranch_execz .LBB56_122
; %bb.120:
	v_mov_b32_e32 v54, s10
	s_branch .LBB56_123
.LBB56_121:
                                        ; implicit-def: $sgpr10
.LBB56_122:
	v_lshl_add_u64 v[58:59], v[54:55], 0, v[86:87]
	flat_load_dword v57, v[58:59]
	v_lshl_add_u64 v[58:59], v[52:53], 0, v[86:87]
	v_lshl_add_u64 v[54:55], v[76:77], 2, v[54:55]
	s_waitcnt vmcnt(0) lgkmcnt(0)
	v_mul_f32_e32 v57, s12, v57
	v_min_f32_e32 v56, v57, v56
	global_store_dword v[58:59], v56, off
	flat_load_dword v54, v[54:55]
	s_waitcnt vmcnt(0) lgkmcnt(0)
	v_mul_f32_e32 v54, s12, v54
.LBB56_123:
	v_pk_add_f32 v[48:49], v[0:1], v[48:49]
	s_mov_b64 vcc, s[6:7]
	v_min3_f32 v55, v48, v49, v124
	s_waitcnt lgkmcnt(3)
	v_pk_add_f32 v[48:49], v[32:33], v[44:45]
	s_nop 0
	v_min3_f32 v56, v48, v49, v123
	v_pk_add_f32 v[48:49], v[2:3], v[50:51]
	s_nop 0
	v_min_f32_e32 v50, v48, v49
	v_pk_add_f32 v[48:49], v[34:35], v[46:47]
	v_min3_f32 v50, v54, v50, v55
	v_min3_f32 v56, v48, v49, v56
	v_lshl_add_u64 v[48:49], v[76:77], 2, v[52:53]
	global_store_dword v[48:49], v50, off
	v_add_u32_e32 v50, 32, v141
	v_mad_i64_i32 v[48:49], s[2:3], v50, s5, 0
	v_lshl_add_u64 v[48:49], v[48:49], 2, s[0:1]
	v_mad_i64_i32 v[50:51], s[2:3], v50, s4, 0
	v_max_f32_e32 v52, v56, v56
	s_cbranch_vccz .LBB56_126
; %bb.124:
	v_min_f32_e32 v53, 0, v52
	v_lshl_add_u64 v[54:55], v[68:69], 2, v[48:49]
	s_mov_b32 s10, 0
	global_store_dword v[54:55], v53, off
	v_lshl_add_u64 v[50:51], v[50:51], 2, s[8:9]
	s_cbranch_execz .LBB56_127
; %bb.125:
	v_mov_b32_e32 v52, s10
	s_branch .LBB56_128
.LBB56_126:
                                        ; implicit-def: $sgpr10
	v_lshl_add_u64 v[50:51], v[50:51], 2, s[8:9]
.LBB56_127:
	v_lshl_add_u64 v[54:55], v[50:51], 0, v[72:73]
	flat_load_dword v53, v[54:55]
	v_lshl_add_u64 v[54:55], v[48:49], 0, v[72:73]
	s_waitcnt vmcnt(0) lgkmcnt(0)
	v_mul_f32_e32 v53, s12, v53
	v_min_f32_e32 v52, v53, v52
	global_store_dword v[54:55], v52, off
	v_lshl_add_u64 v[52:53], v[64:65], 2, v[50:51]
	flat_load_dword v52, v[52:53]
	s_waitcnt vmcnt(0) lgkmcnt(0)
	v_mul_f32_e32 v52, s12, v52
.LBB56_128:
	v_pk_add_f32 v[54:55], v[28:29], v[44:45]
	s_mov_b64 vcc, s[6:7]
	v_min3_f32 v53, v54, v55, v122
	v_pk_add_f32 v[54:55], v[24:25], v[44:45]
	s_nop 0
	v_min3_f32 v56, v54, v55, v121
	v_pk_add_f32 v[54:55], v[30:31], v[46:47]
	s_nop 0
	v_min_f32_e32 v57, v54, v55
	v_pk_add_f32 v[54:55], v[26:27], v[46:47]
	s_nop 0
	v_min3_f32 v54, v54, v55, v56
	v_min3_f32 v55, v52, v57, v53
	v_lshl_add_u64 v[52:53], v[64:65], 2, v[48:49]
	global_store_dword v[52:53], v55, off
	v_max_f32_e32 v52, v54, v54
	s_cbranch_vccz .LBB56_131
; %bb.129:
	v_min_f32_e32 v53, 0, v52
	v_lshl_add_u64 v[54:55], v[74:75], 2, v[48:49]
	s_mov_b32 s10, 0
	global_store_dword v[54:55], v53, off
	s_cbranch_execz .LBB56_132
; %bb.130:
	v_mov_b32_e32 v52, s10
	s_branch .LBB56_133
.LBB56_131:
                                        ; implicit-def: $sgpr10
.LBB56_132:
	v_lshl_add_u64 v[54:55], v[50:51], 0, v[78:79]
	flat_load_dword v53, v[54:55]
	v_lshl_add_u64 v[54:55], v[48:49], 0, v[78:79]
	s_waitcnt vmcnt(0) lgkmcnt(0)
	v_mul_f32_e32 v53, s12, v53
	v_min_f32_e32 v52, v53, v52
	global_store_dword v[54:55], v52, off
	v_lshl_add_u64 v[52:53], v[66:67], 2, v[50:51]
	flat_load_dword v52, v[52:53]
	s_waitcnt vmcnt(0) lgkmcnt(0)
	v_mul_f32_e32 v52, s12, v52
.LBB56_133:
	v_pk_add_f32 v[54:55], v[20:21], v[44:45]
	s_mov_b64 vcc, s[6:7]
	v_min3_f32 v53, v54, v55, v120
	v_pk_add_f32 v[54:55], v[16:17], v[44:45]
	s_nop 0
	v_min3_f32 v56, v54, v55, v119
	v_pk_add_f32 v[54:55], v[22:23], v[46:47]
	s_nop 0
	v_min_f32_e32 v57, v54, v55
	v_pk_add_f32 v[54:55], v[18:19], v[46:47]
	s_nop 0
	v_min3_f32 v54, v54, v55, v56
	v_min3_f32 v55, v52, v57, v53
	v_lshl_add_u64 v[52:53], v[66:67], 2, v[48:49]
	global_store_dword v[52:53], v55, off
	v_max_f32_e32 v52, v54, v54
	s_cbranch_vccz .LBB56_136
; %bb.134:
	v_min_f32_e32 v53, 0, v52
	v_lshl_add_u64 v[54:55], v[80:81], 2, v[48:49]
	s_mov_b32 s10, 0
	global_store_dword v[54:55], v53, off
	s_cbranch_execz .LBB56_137
; %bb.135:
	v_mov_b32_e32 v52, s10
	s_branch .LBB56_138
.LBB56_136:
                                        ; implicit-def: $sgpr10
.LBB56_137:
	v_lshl_add_u64 v[54:55], v[50:51], 0, v[82:83]
	flat_load_dword v53, v[54:55]
	v_lshl_add_u64 v[54:55], v[48:49], 0, v[82:83]
	s_waitcnt vmcnt(0) lgkmcnt(0)
	v_mul_f32_e32 v53, s12, v53
	v_min_f32_e32 v52, v53, v52
	global_store_dword v[54:55], v52, off
	v_lshl_add_u64 v[52:53], v[70:71], 2, v[50:51]
	flat_load_dword v52, v[52:53]
	s_waitcnt vmcnt(0) lgkmcnt(0)
	v_mul_f32_e32 v52, s12, v52
.LBB56_138:
	v_pk_add_f32 v[54:55], v[12:13], v[44:45]
	s_mov_b64 vcc, s[6:7]
	v_min3_f32 v53, v54, v55, v118
	v_pk_add_f32 v[54:55], v[8:9], v[44:45]
	s_nop 0
	v_min3_f32 v56, v54, v55, v117
	v_pk_add_f32 v[54:55], v[14:15], v[46:47]
	s_nop 0
	v_min_f32_e32 v57, v54, v55
	v_pk_add_f32 v[54:55], v[10:11], v[46:47]
	s_nop 0
	v_min3_f32 v54, v54, v55, v56
	v_min3_f32 v55, v52, v57, v53
	v_lshl_add_u64 v[52:53], v[70:71], 2, v[48:49]
	global_store_dword v[52:53], v55, off
	v_max_f32_e32 v52, v54, v54
	s_cbranch_vccz .LBB56_141
; %bb.139:
	v_min_f32_e32 v53, 0, v52
	v_lshl_add_u64 v[54:55], v[84:85], 2, v[48:49]
	s_mov_b32 s10, 0
	global_store_dword v[54:55], v53, off
	s_cbranch_execz .LBB56_142
; %bb.140:
	v_mov_b32_e32 v50, s10
	s_branch .LBB56_143
.LBB56_141:
                                        ; implicit-def: $sgpr10
.LBB56_142:
	v_lshl_add_u64 v[54:55], v[50:51], 0, v[86:87]
	flat_load_dword v53, v[54:55]
	v_lshl_add_u64 v[54:55], v[48:49], 0, v[86:87]
	v_lshl_add_u64 v[50:51], v[76:77], 2, v[50:51]
	s_waitcnt vmcnt(0) lgkmcnt(0)
	v_mul_f32_e32 v53, s12, v53
	v_min_f32_e32 v52, v53, v52
	global_store_dword v[54:55], v52, off
	flat_load_dword v50, v[50:51]
	s_waitcnt vmcnt(0) lgkmcnt(0)
	v_mul_f32_e32 v50, s12, v50
.LBB56_143:
	v_pk_add_f32 v[44:45], v[0:1], v[44:45]
	s_mov_b64 vcc, s[6:7]
	v_min3_f32 v51, v44, v45, v115
	s_waitcnt lgkmcnt(2)
	v_pk_add_f32 v[44:45], v[32:33], v[40:41]
	s_nop 0
	v_min3_f32 v52, v44, v45, v116
	v_pk_add_f32 v[44:45], v[2:3], v[46:47]
	s_nop 0
	v_min_f32_e32 v46, v44, v45
	v_pk_add_f32 v[44:45], v[34:35], v[42:43]
	v_min3_f32 v46, v50, v46, v51
	v_min3_f32 v52, v44, v45, v52
	v_lshl_add_u64 v[44:45], v[76:77], 2, v[48:49]
	global_store_dword v[44:45], v46, off
	v_add_u32_e32 v46, 40, v141
	v_mad_i64_i32 v[44:45], s[2:3], v46, s5, 0
	v_lshl_add_u64 v[44:45], v[44:45], 2, s[0:1]
	v_mad_i64_i32 v[46:47], s[2:3], v46, s4, 0
	v_max_f32_e32 v48, v52, v52
	s_cbranch_vccz .LBB56_146
; %bb.144:
	v_min_f32_e32 v49, 0, v48
	v_lshl_add_u64 v[50:51], v[68:69], 2, v[44:45]
	s_mov_b32 s10, 0
	global_store_dword v[50:51], v49, off
	v_lshl_add_u64 v[46:47], v[46:47], 2, s[8:9]
	s_cbranch_execz .LBB56_147
; %bb.145:
	v_mov_b32_e32 v48, s10
	s_branch .LBB56_148
.LBB56_146:
                                        ; implicit-def: $sgpr10
	v_lshl_add_u64 v[46:47], v[46:47], 2, s[8:9]
.LBB56_147:
	v_lshl_add_u64 v[50:51], v[46:47], 0, v[72:73]
	flat_load_dword v49, v[50:51]
	v_lshl_add_u64 v[50:51], v[44:45], 0, v[72:73]
	s_waitcnt vmcnt(0) lgkmcnt(0)
	v_mul_f32_e32 v49, s12, v49
	v_min_f32_e32 v48, v49, v48
	global_store_dword v[50:51], v48, off
	v_lshl_add_u64 v[48:49], v[64:65], 2, v[46:47]
	flat_load_dword v48, v[48:49]
	s_waitcnt vmcnt(0) lgkmcnt(0)
	v_mul_f32_e32 v48, s12, v48
.LBB56_148:
	v_pk_add_f32 v[50:51], v[28:29], v[40:41]
	s_mov_b64 vcc, s[6:7]
	v_min3_f32 v49, v50, v51, v113
	v_pk_add_f32 v[50:51], v[24:25], v[40:41]
	s_nop 0
	v_min3_f32 v52, v50, v51, v114
	v_pk_add_f32 v[50:51], v[30:31], v[42:43]
	s_nop 0
	v_min_f32_e32 v53, v50, v51
	v_pk_add_f32 v[50:51], v[26:27], v[42:43]
	s_nop 0
	v_min3_f32 v50, v50, v51, v52
	v_min3_f32 v51, v48, v53, v49
	v_lshl_add_u64 v[48:49], v[64:65], 2, v[44:45]
	global_store_dword v[48:49], v51, off
	v_max_f32_e32 v48, v50, v50
	s_cbranch_vccz .LBB56_151
; %bb.149:
	v_min_f32_e32 v49, 0, v48
	v_lshl_add_u64 v[50:51], v[74:75], 2, v[44:45]
	s_mov_b32 s10, 0
	global_store_dword v[50:51], v49, off
	s_cbranch_execz .LBB56_152
; %bb.150:
	v_mov_b32_e32 v48, s10
	s_branch .LBB56_153
.LBB56_151:
                                        ; implicit-def: $sgpr10
.LBB56_152:
	v_lshl_add_u64 v[50:51], v[46:47], 0, v[78:79]
	flat_load_dword v49, v[50:51]
	v_lshl_add_u64 v[50:51], v[44:45], 0, v[78:79]
	s_waitcnt vmcnt(0) lgkmcnt(0)
	v_mul_f32_e32 v49, s12, v49
	v_min_f32_e32 v48, v49, v48
	global_store_dword v[50:51], v48, off
	v_lshl_add_u64 v[48:49], v[66:67], 2, v[46:47]
	flat_load_dword v48, v[48:49]
	s_waitcnt vmcnt(0) lgkmcnt(0)
	v_mul_f32_e32 v48, s12, v48
.LBB56_153:
	v_pk_add_f32 v[50:51], v[20:21], v[40:41]
	s_mov_b64 vcc, s[6:7]
	v_min3_f32 v49, v50, v51, v111
	v_pk_add_f32 v[50:51], v[16:17], v[40:41]
	s_nop 0
	v_min3_f32 v52, v50, v51, v112
	v_pk_add_f32 v[50:51], v[22:23], v[42:43]
	s_nop 0
	v_min_f32_e32 v53, v50, v51
	v_pk_add_f32 v[50:51], v[18:19], v[42:43]
	s_nop 0
	v_min3_f32 v50, v50, v51, v52
	v_min3_f32 v51, v48, v53, v49
	v_lshl_add_u64 v[48:49], v[66:67], 2, v[44:45]
	global_store_dword v[48:49], v51, off
	v_max_f32_e32 v48, v50, v50
	s_cbranch_vccz .LBB56_156
; %bb.154:
	v_min_f32_e32 v49, 0, v48
	v_lshl_add_u64 v[50:51], v[80:81], 2, v[44:45]
	s_mov_b32 s10, 0
	global_store_dword v[50:51], v49, off
	s_cbranch_execz .LBB56_157
; %bb.155:
	v_mov_b32_e32 v48, s10
	s_branch .LBB56_158
.LBB56_156:
                                        ; implicit-def: $sgpr10
.LBB56_157:
	v_lshl_add_u64 v[50:51], v[46:47], 0, v[82:83]
	flat_load_dword v49, v[50:51]
	v_lshl_add_u64 v[50:51], v[44:45], 0, v[82:83]
	s_waitcnt vmcnt(0) lgkmcnt(0)
	v_mul_f32_e32 v49, s12, v49
	v_min_f32_e32 v48, v49, v48
	global_store_dword v[50:51], v48, off
	v_lshl_add_u64 v[48:49], v[70:71], 2, v[46:47]
	flat_load_dword v48, v[48:49]
	s_waitcnt vmcnt(0) lgkmcnt(0)
	v_mul_f32_e32 v48, s12, v48
.LBB56_158:
	v_pk_add_f32 v[50:51], v[12:13], v[40:41]
	s_mov_b64 vcc, s[6:7]
	v_min3_f32 v49, v50, v51, v109
	v_pk_add_f32 v[50:51], v[8:9], v[40:41]
	s_nop 0
	v_min3_f32 v52, v50, v51, v110
	v_pk_add_f32 v[50:51], v[14:15], v[42:43]
	s_nop 0
	v_min_f32_e32 v53, v50, v51
	v_pk_add_f32 v[50:51], v[10:11], v[42:43]
	s_nop 0
	v_min3_f32 v50, v50, v51, v52
	v_min3_f32 v51, v48, v53, v49
	v_lshl_add_u64 v[48:49], v[70:71], 2, v[44:45]
	global_store_dword v[48:49], v51, off
	v_max_f32_e32 v48, v50, v50
	s_cbranch_vccz .LBB56_161
; %bb.159:
	v_min_f32_e32 v49, 0, v48
	v_lshl_add_u64 v[50:51], v[84:85], 2, v[44:45]
	s_mov_b32 s10, 0
	global_store_dword v[50:51], v49, off
	s_cbranch_execz .LBB56_162
; %bb.160:
	v_mov_b32_e32 v46, s10
	s_branch .LBB56_163
.LBB56_161:
                                        ; implicit-def: $sgpr10
.LBB56_162:
	v_lshl_add_u64 v[50:51], v[46:47], 0, v[86:87]
	flat_load_dword v49, v[50:51]
	v_lshl_add_u64 v[50:51], v[44:45], 0, v[86:87]
	v_lshl_add_u64 v[46:47], v[76:77], 2, v[46:47]
	s_waitcnt vmcnt(0) lgkmcnt(0)
	v_mul_f32_e32 v49, s12, v49
	v_min_f32_e32 v48, v49, v48
	global_store_dword v[50:51], v48, off
	flat_load_dword v46, v[46:47]
	s_waitcnt vmcnt(0) lgkmcnt(0)
	v_mul_f32_e32 v46, s12, v46
.LBB56_163:
	v_pk_add_f32 v[40:41], v[0:1], v[40:41]
	s_mov_b64 vcc, s[6:7]
	v_min3_f32 v47, v40, v41, v107
	s_waitcnt lgkmcnt(1)
	v_pk_add_f32 v[40:41], v[32:33], v[36:37]
	s_nop 0
	v_min3_f32 v48, v40, v41, v108
	v_pk_add_f32 v[40:41], v[2:3], v[42:43]
	s_nop 0
	v_min_f32_e32 v42, v40, v41
	v_pk_add_f32 v[40:41], v[34:35], v[38:39]
	v_min3_f32 v42, v46, v42, v47
	v_min3_f32 v48, v40, v41, v48
	v_lshl_add_u64 v[40:41], v[76:77], 2, v[44:45]
	global_store_dword v[40:41], v42, off
	v_add_u32_e32 v42, 48, v141
	v_mad_i64_i32 v[40:41], s[2:3], v42, s5, 0
	v_lshl_add_u64 v[40:41], v[40:41], 2, s[0:1]
	v_mad_i64_i32 v[42:43], s[2:3], v42, s4, 0
	v_max_f32_e32 v44, v48, v48
	s_cbranch_vccz .LBB56_166
; %bb.164:
	v_min_f32_e32 v45, 0, v44
	v_lshl_add_u64 v[46:47], v[68:69], 2, v[40:41]
	s_mov_b32 s10, 0
	global_store_dword v[46:47], v45, off
	v_lshl_add_u64 v[42:43], v[42:43], 2, s[8:9]
	s_cbranch_execz .LBB56_167
; %bb.165:
	v_mov_b32_e32 v44, s10
	s_branch .LBB56_168
.LBB56_166:
                                        ; implicit-def: $sgpr10
	v_lshl_add_u64 v[42:43], v[42:43], 2, s[8:9]
.LBB56_167:
	v_lshl_add_u64 v[46:47], v[42:43], 0, v[72:73]
	flat_load_dword v45, v[46:47]
	v_lshl_add_u64 v[46:47], v[40:41], 0, v[72:73]
	s_waitcnt vmcnt(0) lgkmcnt(0)
	v_mul_f32_e32 v45, s12, v45
	v_min_f32_e32 v44, v45, v44
	global_store_dword v[46:47], v44, off
	v_lshl_add_u64 v[44:45], v[64:65], 2, v[42:43]
	flat_load_dword v44, v[44:45]
	s_waitcnt vmcnt(0) lgkmcnt(0)
	v_mul_f32_e32 v44, s12, v44
.LBB56_168:
	v_pk_add_f32 v[46:47], v[28:29], v[36:37]
	s_mov_b64 vcc, s[6:7]
	v_min3_f32 v45, v46, v47, v105
	v_pk_add_f32 v[46:47], v[24:25], v[36:37]
	s_nop 0
	v_min3_f32 v48, v46, v47, v106
	v_pk_add_f32 v[46:47], v[30:31], v[38:39]
	s_nop 0
	v_min_f32_e32 v49, v46, v47
	v_pk_add_f32 v[46:47], v[26:27], v[38:39]
	s_nop 0
	v_min3_f32 v46, v46, v47, v48
	v_min3_f32 v47, v44, v49, v45
	v_lshl_add_u64 v[44:45], v[64:65], 2, v[40:41]
	global_store_dword v[44:45], v47, off
	v_max_f32_e32 v44, v46, v46
	s_cbranch_vccz .LBB56_171
; %bb.169:
	v_min_f32_e32 v45, 0, v44
	v_lshl_add_u64 v[46:47], v[74:75], 2, v[40:41]
	s_mov_b32 s10, 0
	global_store_dword v[46:47], v45, off
	s_cbranch_execz .LBB56_172
; %bb.170:
	v_mov_b32_e32 v44, s10
	s_branch .LBB56_173
.LBB56_171:
                                        ; implicit-def: $sgpr10
.LBB56_172:
	v_lshl_add_u64 v[46:47], v[42:43], 0, v[78:79]
	flat_load_dword v45, v[46:47]
	v_lshl_add_u64 v[46:47], v[40:41], 0, v[78:79]
	s_waitcnt vmcnt(0) lgkmcnt(0)
	v_mul_f32_e32 v45, s12, v45
	v_min_f32_e32 v44, v45, v44
	global_store_dword v[46:47], v44, off
	v_lshl_add_u64 v[44:45], v[66:67], 2, v[42:43]
	flat_load_dword v44, v[44:45]
	s_waitcnt vmcnt(0) lgkmcnt(0)
	v_mul_f32_e32 v44, s12, v44
.LBB56_173:
	v_pk_add_f32 v[46:47], v[20:21], v[36:37]
	s_mov_b64 vcc, s[6:7]
	v_min3_f32 v45, v46, v47, v103
	v_pk_add_f32 v[46:47], v[16:17], v[36:37]
	s_nop 0
	v_min3_f32 v48, v46, v47, v104
	v_pk_add_f32 v[46:47], v[22:23], v[38:39]
	s_nop 0
	v_min_f32_e32 v49, v46, v47
	v_pk_add_f32 v[46:47], v[18:19], v[38:39]
	s_nop 0
	v_min3_f32 v46, v46, v47, v48
	v_min3_f32 v47, v44, v49, v45
	v_lshl_add_u64 v[44:45], v[66:67], 2, v[40:41]
	global_store_dword v[44:45], v47, off
	v_max_f32_e32 v44, v46, v46
	s_cbranch_vccz .LBB56_176
; %bb.174:
	v_min_f32_e32 v45, 0, v44
	v_lshl_add_u64 v[46:47], v[80:81], 2, v[40:41]
	s_mov_b32 s10, 0
	global_store_dword v[46:47], v45, off
	s_cbranch_execz .LBB56_177
; %bb.175:
	v_mov_b32_e32 v44, s10
	s_branch .LBB56_178
.LBB56_176:
                                        ; implicit-def: $sgpr10
.LBB56_177:
	v_lshl_add_u64 v[46:47], v[42:43], 0, v[82:83]
	flat_load_dword v45, v[46:47]
	v_lshl_add_u64 v[46:47], v[40:41], 0, v[82:83]
	s_waitcnt vmcnt(0) lgkmcnt(0)
	v_mul_f32_e32 v45, s12, v45
	v_min_f32_e32 v44, v45, v44
	global_store_dword v[46:47], v44, off
	v_lshl_add_u64 v[44:45], v[70:71], 2, v[42:43]
	flat_load_dword v44, v[44:45]
	s_waitcnt vmcnt(0) lgkmcnt(0)
	v_mul_f32_e32 v44, s12, v44
.LBB56_178:
	v_pk_add_f32 v[46:47], v[12:13], v[36:37]
	s_mov_b64 vcc, s[6:7]
	v_min3_f32 v45, v46, v47, v101
	v_pk_add_f32 v[46:47], v[8:9], v[36:37]
	s_nop 0
	v_min3_f32 v48, v46, v47, v102
	v_pk_add_f32 v[46:47], v[14:15], v[38:39]
	s_nop 0
	v_min_f32_e32 v49, v46, v47
	v_pk_add_f32 v[46:47], v[10:11], v[38:39]
	s_nop 0
	v_min3_f32 v46, v46, v47, v48
	v_min3_f32 v47, v44, v49, v45
	v_lshl_add_u64 v[44:45], v[70:71], 2, v[40:41]
	global_store_dword v[44:45], v47, off
	v_max_f32_e32 v44, v46, v46
	s_cbranch_vccz .LBB56_181
; %bb.179:
	v_min_f32_e32 v45, 0, v44
	v_lshl_add_u64 v[46:47], v[84:85], 2, v[40:41]
	s_mov_b32 s10, 0
	global_store_dword v[46:47], v45, off
	s_cbranch_execz .LBB56_182
; %bb.180:
	v_mov_b32_e32 v42, s10
	s_branch .LBB56_183
.LBB56_181:
                                        ; implicit-def: $sgpr10
.LBB56_182:
	v_lshl_add_u64 v[46:47], v[42:43], 0, v[86:87]
	flat_load_dword v45, v[46:47]
	v_lshl_add_u64 v[46:47], v[40:41], 0, v[86:87]
	v_lshl_add_u64 v[42:43], v[76:77], 2, v[42:43]
	s_waitcnt vmcnt(0) lgkmcnt(0)
	v_mul_f32_e32 v45, s12, v45
	v_min_f32_e32 v44, v45, v44
	global_store_dword v[46:47], v44, off
	flat_load_dword v42, v[42:43]
	s_waitcnt vmcnt(0) lgkmcnt(0)
	v_mul_f32_e32 v42, s12, v42
.LBB56_183:
	v_pk_add_f32 v[36:37], v[0:1], v[36:37]
	s_waitcnt lgkmcnt(0)
	v_pk_add_f32 v[32:33], v[32:33], v[4:5]
	v_min3_f32 v36, v36, v37, v99
	v_min3_f32 v37, v32, v33, v100
	v_pk_add_f32 v[32:33], v[2:3], v[38:39]
	s_mov_b64 vcc, s[6:7]
	v_min_f32_e32 v38, v32, v33
	v_pk_add_f32 v[32:33], v[34:35], v[6:7]
	v_min3_f32 v34, v42, v38, v36
	v_min3_f32 v37, v32, v33, v37
	v_lshl_add_u64 v[32:33], v[76:77], 2, v[40:41]
	global_store_dword v[32:33], v34, off
	v_add_u32_e32 v34, 56, v141
	v_mad_i64_i32 v[32:33], s[2:3], v34, s5, 0
	v_lshl_add_u64 v[32:33], v[32:33], 2, s[0:1]
	v_mad_i64_i32 v[34:35], s[0:1], v34, s4, 0
	v_max_f32_e32 v36, v37, v37
	s_cbranch_vccz .LBB56_186
; %bb.184:
	v_min_f32_e32 v37, 0, v36
	v_lshl_add_u64 v[38:39], v[68:69], 2, v[32:33]
	s_mov_b32 s2, 0
	global_store_dword v[38:39], v37, off
	v_lshl_add_u64 v[34:35], v[34:35], 2, s[8:9]
	s_cbranch_execz .LBB56_187
; %bb.185:
	v_mov_b32_e32 v36, s2
	s_branch .LBB56_188
.LBB56_186:
                                        ; implicit-def: $sgpr2
	v_lshl_add_u64 v[34:35], v[34:35], 2, s[8:9]
.LBB56_187:
	v_lshl_add_u64 v[38:39], v[34:35], 0, v[72:73]
	flat_load_dword v37, v[38:39]
	v_lshl_add_u64 v[38:39], v[32:33], 0, v[72:73]
	s_waitcnt vmcnt(0) lgkmcnt(0)
	v_mul_f32_e32 v37, s12, v37
	v_min_f32_e32 v36, v37, v36
	global_store_dword v[38:39], v36, off
	v_lshl_add_u64 v[36:37], v[64:65], 2, v[34:35]
	flat_load_dword v36, v[36:37]
	s_waitcnt vmcnt(0) lgkmcnt(0)
	v_mul_f32_e32 v36, s12, v36
.LBB56_188:
	v_pk_add_f32 v[28:29], v[28:29], v[4:5]
	v_pk_add_f32 v[24:25], v[24:25], v[4:5]
	v_min3_f32 v28, v28, v29, v97
	v_min3_f32 v29, v24, v25, v98
	v_pk_add_f32 v[24:25], v[30:31], v[6:7]
	s_mov_b64 vcc, s[6:7]
	v_min_f32_e32 v30, v24, v25
	v_pk_add_f32 v[24:25], v[26:27], v[6:7]
	v_min3_f32 v27, v36, v30, v28
	v_min3_f32 v26, v24, v25, v29
	v_lshl_add_u64 v[24:25], v[64:65], 2, v[32:33]
	global_store_dword v[24:25], v27, off
	v_max_f32_e32 v24, v26, v26
	s_cbranch_vccz .LBB56_191
; %bb.189:
	v_min_f32_e32 v25, 0, v24
	v_lshl_add_u64 v[26:27], v[74:75], 2, v[32:33]
	s_mov_b32 s2, 0
	global_store_dword v[26:27], v25, off
	s_cbranch_execz .LBB56_192
; %bb.190:
	v_mov_b32_e32 v24, s2
	s_branch .LBB56_193
.LBB56_191:
                                        ; implicit-def: $sgpr2
.LBB56_192:
	v_lshl_add_u64 v[26:27], v[34:35], 0, v[78:79]
	flat_load_dword v25, v[26:27]
	v_lshl_add_u64 v[26:27], v[32:33], 0, v[78:79]
	s_waitcnt vmcnt(0) lgkmcnt(0)
	v_mul_f32_e32 v25, s12, v25
	v_min_f32_e32 v24, v25, v24
	global_store_dword v[26:27], v24, off
	v_lshl_add_u64 v[24:25], v[66:67], 2, v[34:35]
	flat_load_dword v24, v[24:25]
	s_waitcnt vmcnt(0) lgkmcnt(0)
	v_mul_f32_e32 v24, s12, v24
.LBB56_193:
	v_pk_add_f32 v[20:21], v[20:21], v[4:5]
	v_pk_add_f32 v[16:17], v[16:17], v[4:5]
	v_min3_f32 v20, v20, v21, v94
	v_min3_f32 v21, v16, v17, v95
	v_pk_add_f32 v[16:17], v[22:23], v[6:7]
	s_mov_b64 vcc, s[6:7]
	v_min_f32_e32 v22, v16, v17
	v_pk_add_f32 v[16:17], v[18:19], v[6:7]
	v_min3_f32 v19, v24, v22, v20
	v_min3_f32 v18, v16, v17, v21
	v_lshl_add_u64 v[16:17], v[66:67], 2, v[32:33]
	global_store_dword v[16:17], v19, off
	v_max_f32_e32 v16, v18, v18
	s_cbranch_vccz .LBB56_196
; %bb.194:
	v_min_f32_e32 v17, 0, v16
	v_lshl_add_u64 v[18:19], v[80:81], 2, v[32:33]
	s_mov_b32 s2, 0
	global_store_dword v[18:19], v17, off
	s_cbranch_execz .LBB56_197
; %bb.195:
	v_mov_b32_e32 v16, s2
	s_branch .LBB56_198
.LBB56_196:
                                        ; implicit-def: $sgpr2
.LBB56_197:
	v_lshl_add_u64 v[18:19], v[34:35], 0, v[82:83]
	flat_load_dword v17, v[18:19]
	v_lshl_add_u64 v[18:19], v[32:33], 0, v[82:83]
	s_waitcnt vmcnt(0) lgkmcnt(0)
	v_mul_f32_e32 v17, s12, v17
	v_min_f32_e32 v16, v17, v16
	global_store_dword v[18:19], v16, off
	v_lshl_add_u64 v[16:17], v[70:71], 2, v[34:35]
	flat_load_dword v16, v[16:17]
	s_waitcnt vmcnt(0) lgkmcnt(0)
	v_mul_f32_e32 v16, s12, v16
.LBB56_198:
	;; [unrolled: 38-line block ×3, first 2 shown]
	v_pk_add_f32 v[2:3], v[2:3], v[6:7]
	v_pk_add_f32 v[0:1], v[0:1], v[4:5]
	v_min_f32_e32 v2, v2, v3
	v_min3_f32 v0, v0, v1, v96
	v_min3_f32 v2, v8, v2, v0
	v_lshl_add_u64 v[0:1], v[76:77], 2, v[32:33]
	global_store_dword v[0:1], v2, off
	s_endpgm
	.section	.rodata,"a",@progbits
	.p2align	6, 0x0
	.amdhsa_kernel _ZN12_GLOBAL__N_120geam_min_plus_kernelIf15HIP_vector_typeIfLj2EEfLi32ELi8ELi256ELi64ELi4ELi64ELi4ELi4ELi64ELc78ELc78ELb0ELb0ELb1EfKffEEviiiT16_PT17_ilS6_ilS4_S6_ilPT18_ili26rocblas_geam_ex_operation_
		.amdhsa_group_segment_fixed_size 10240
		.amdhsa_private_segment_fixed_size 0
		.amdhsa_kernarg_size 128
		.amdhsa_user_sgpr_count 2
		.amdhsa_user_sgpr_dispatch_ptr 0
		.amdhsa_user_sgpr_queue_ptr 0
		.amdhsa_user_sgpr_kernarg_segment_ptr 1
		.amdhsa_user_sgpr_dispatch_id 0
		.amdhsa_user_sgpr_kernarg_preload_length 0
		.amdhsa_user_sgpr_kernarg_preload_offset 0
		.amdhsa_user_sgpr_private_segment_size 0
		.amdhsa_uses_dynamic_stack 0
		.amdhsa_enable_private_segment 0
		.amdhsa_system_sgpr_workgroup_id_x 1
		.amdhsa_system_sgpr_workgroup_id_y 0
		.amdhsa_system_sgpr_workgroup_id_z 1
		.amdhsa_system_sgpr_workgroup_info 0
		.amdhsa_system_vgpr_workitem_id 1
		.amdhsa_next_free_vgpr 172
		.amdhsa_next_free_sgpr 30
		.amdhsa_accum_offset 172
		.amdhsa_reserve_vcc 1
		.amdhsa_float_round_mode_32 0
		.amdhsa_float_round_mode_16_64 0
		.amdhsa_float_denorm_mode_32 3
		.amdhsa_float_denorm_mode_16_64 3
		.amdhsa_dx10_clamp 1
		.amdhsa_ieee_mode 1
		.amdhsa_fp16_overflow 0
		.amdhsa_tg_split 0
		.amdhsa_exception_fp_ieee_invalid_op 0
		.amdhsa_exception_fp_denorm_src 0
		.amdhsa_exception_fp_ieee_div_zero 0
		.amdhsa_exception_fp_ieee_overflow 0
		.amdhsa_exception_fp_ieee_underflow 0
		.amdhsa_exception_fp_ieee_inexact 0
		.amdhsa_exception_int_div_zero 0
	.end_amdhsa_kernel
	.section	.text._ZN12_GLOBAL__N_120geam_min_plus_kernelIf15HIP_vector_typeIfLj2EEfLi32ELi8ELi256ELi64ELi4ELi64ELi4ELi4ELi64ELc78ELc78ELb0ELb0ELb1EfKffEEviiiT16_PT17_ilS6_ilS4_S6_ilPT18_ili26rocblas_geam_ex_operation_,"axG",@progbits,_ZN12_GLOBAL__N_120geam_min_plus_kernelIf15HIP_vector_typeIfLj2EEfLi32ELi8ELi256ELi64ELi4ELi64ELi4ELi4ELi64ELc78ELc78ELb0ELb0ELb1EfKffEEviiiT16_PT17_ilS6_ilS4_S6_ilPT18_ili26rocblas_geam_ex_operation_,comdat
.Lfunc_end56:
	.size	_ZN12_GLOBAL__N_120geam_min_plus_kernelIf15HIP_vector_typeIfLj2EEfLi32ELi8ELi256ELi64ELi4ELi64ELi4ELi4ELi64ELc78ELc78ELb0ELb0ELb1EfKffEEviiiT16_PT17_ilS6_ilS4_S6_ilPT18_ili26rocblas_geam_ex_operation_, .Lfunc_end56-_ZN12_GLOBAL__N_120geam_min_plus_kernelIf15HIP_vector_typeIfLj2EEfLi32ELi8ELi256ELi64ELi4ELi64ELi4ELi4ELi64ELc78ELc78ELb0ELb0ELb1EfKffEEviiiT16_PT17_ilS6_ilS4_S6_ilPT18_ili26rocblas_geam_ex_operation_
                                        ; -- End function
	.section	.AMDGPU.csdata,"",@progbits
; Kernel info:
; codeLenInByte = 16580
; NumSgprs: 36
; NumVgprs: 172
; NumAgprs: 0
; TotalNumVgprs: 172
; ScratchSize: 0
; MemoryBound: 0
; FloatMode: 240
; IeeeMode: 1
; LDSByteSize: 10240 bytes/workgroup (compile time only)
; SGPRBlocks: 4
; VGPRBlocks: 21
; NumSGPRsForWavesPerEU: 36
; NumVGPRsForWavesPerEU: 172
; AccumOffset: 172
; Occupancy: 2
; WaveLimiterHint : 1
; COMPUTE_PGM_RSRC2:SCRATCH_EN: 0
; COMPUTE_PGM_RSRC2:USER_SGPR: 2
; COMPUTE_PGM_RSRC2:TRAP_HANDLER: 0
; COMPUTE_PGM_RSRC2:TGID_X_EN: 1
; COMPUTE_PGM_RSRC2:TGID_Y_EN: 0
; COMPUTE_PGM_RSRC2:TGID_Z_EN: 1
; COMPUTE_PGM_RSRC2:TIDIG_COMP_CNT: 1
; COMPUTE_PGM_RSRC3_GFX90A:ACCUM_OFFSET: 42
; COMPUTE_PGM_RSRC3_GFX90A:TG_SPLIT: 0
	.section	.text._ZN12_GLOBAL__N_120geam_min_plus_kernelIf15HIP_vector_typeIfLj2EEfLi32ELi8ELi256ELi64ELi4ELi64ELi4ELi4ELi64ELc78ELc78ELb0ELb1ELb1EPKfS3_fEEviiiT16_PT17_ilS7_ilS5_S7_ilPT18_ili26rocblas_geam_ex_operation_,"axG",@progbits,_ZN12_GLOBAL__N_120geam_min_plus_kernelIf15HIP_vector_typeIfLj2EEfLi32ELi8ELi256ELi64ELi4ELi64ELi4ELi4ELi64ELc78ELc78ELb0ELb1ELb1EPKfS3_fEEviiiT16_PT17_ilS7_ilS5_S7_ilPT18_ili26rocblas_geam_ex_operation_,comdat
	.globl	_ZN12_GLOBAL__N_120geam_min_plus_kernelIf15HIP_vector_typeIfLj2EEfLi32ELi8ELi256ELi64ELi4ELi64ELi4ELi4ELi64ELc78ELc78ELb0ELb1ELb1EPKfS3_fEEviiiT16_PT17_ilS7_ilS5_S7_ilPT18_ili26rocblas_geam_ex_operation_ ; -- Begin function _ZN12_GLOBAL__N_120geam_min_plus_kernelIf15HIP_vector_typeIfLj2EEfLi32ELi8ELi256ELi64ELi4ELi64ELi4ELi4ELi64ELc78ELc78ELb0ELb1ELb1EPKfS3_fEEviiiT16_PT17_ilS7_ilS5_S7_ilPT18_ili26rocblas_geam_ex_operation_
	.p2align	8
	.type	_ZN12_GLOBAL__N_120geam_min_plus_kernelIf15HIP_vector_typeIfLj2EEfLi32ELi8ELi256ELi64ELi4ELi64ELi4ELi4ELi64ELc78ELc78ELb0ELb1ELb1EPKfS3_fEEviiiT16_PT17_ilS7_ilS5_S7_ilPT18_ili26rocblas_geam_ex_operation_,@function
_ZN12_GLOBAL__N_120geam_min_plus_kernelIf15HIP_vector_typeIfLj2EEfLi32ELi8ELi256ELi64ELi4ELi64ELi4ELi4ELi64ELc78ELc78ELb0ELb1ELb1EPKfS3_fEEviiiT16_PT17_ilS7_ilS5_S7_ilPT18_ili26rocblas_geam_ex_operation_: ; @_ZN12_GLOBAL__N_120geam_min_plus_kernelIf15HIP_vector_typeIfLj2EEfLi32ELi8ELi256ELi64ELi4ELi64ELi4ELi4ELi64ELc78ELc78ELb0ELb1ELb1EPKfS3_fEEviiiT16_PT17_ilS7_ilS5_S7_ilPT18_ili26rocblas_geam_ex_operation_
; %bb.0:
	s_load_dwordx4 s[12:15], s[0:1], 0x10
	s_load_dwordx4 s[4:7], s[0:1], 0x28
	s_mov_b32 s16, s3
	s_mov_b32 s17, 0
	s_lshl_b64 s[18:19], s[16:17], 2
	s_waitcnt lgkmcnt(0)
	s_add_u32 s12, s12, s18
	s_load_dwordx4 s[8:11], s[0:1], 0x40
	s_addc_u32 s13, s13, s19
	s_load_dword s34, s[12:13], 0x0
	s_load_dwordx2 s[20:21], s[0:1], 0x50
	s_mov_b64 s[30:31], 0
	s_waitcnt lgkmcnt(0)
	s_add_u32 s10, s10, s18
	s_addc_u32 s11, s11, s19
	v_cmp_eq_f32_e64 s[18:19], s34, 0
	v_cmp_neq_f32_e64 s[12:13], s34, 0
	s_and_b64 vcc, exec, s[18:19]
	s_mov_b64 s[18:19], 0
	s_cbranch_vccnz .LBB57_2
; %bb.1:
	s_mul_i32 s3, s16, s5
	s_mul_hi_u32 s5, s16, s4
	s_add_i32 s5, s5, s3
	s_mul_i32 s4, s16, s4
	s_lshl_b64 s[4:5], s[4:5], 2
	s_add_u32 s18, s14, s4
	s_addc_u32 s19, s15, s5
.LBB57_2:
	s_load_dword s33, s[10:11], 0x0
	s_andn2_b64 vcc, exec, s[12:13]
	s_cbranch_vccnz .LBB57_4
; %bb.3:
	s_mul_i32 s3, s16, s9
	s_mul_hi_u32 s4, s16, s8
	s_add_i32 s5, s4, s3
	s_mul_i32 s4, s16, s8
	s_lshl_b64 s[4:5], s[4:5], 2
	s_add_u32 s30, s6, s4
	s_addc_u32 s31, s7, s5
.LBB57_4:
	s_load_dwordx4 s[12:15], s[0:1], 0x60
	s_waitcnt lgkmcnt(0)
	v_cmp_eq_f32_e64 s[4:5], s33, 0
	v_cmp_neq_f32_e64 s[26:27], s33, 0
	s_and_b64 vcc, exec, s[4:5]
	s_cbranch_vccnz .LBB57_6
; %bb.5:
	s_mul_i32 s3, s16, s13
	s_mul_hi_u32 s4, s16, s12
	s_add_i32 s5, s4, s3
	s_mul_i32 s4, s16, s12
	s_lshl_b64 s[4:5], s[4:5], 2
	s_add_u32 s24, s20, s4
	s_addc_u32 s25, s21, s5
	s_branch .LBB57_7
.LBB57_6:
	s_mov_b64 s[24:25], 0
.LBB57_7:
	s_load_dwordx4 s[20:23], s[0:1], 0x0
	v_and_b32_e32 v70, 0x3ff, v0
	v_bfe_u32 v71, v0, 10, 10
	s_waitcnt lgkmcnt(0)
	s_load_dword s23, s[0:1], 0x20
	v_lshl_add_u32 v7, v71, 5, v70
	s_add_i32 s3, s20, -1
	s_ashr_i32 s4, s3, 31
	s_lshr_b32 s4, s4, 24
	s_add_i32 s3, s3, s4
	s_ashr_i32 s3, s3, 8
	s_add_i32 s4, s3, 1
	v_cvt_f32_u32_e32 v1, s4
	s_not_b32 s3, s3
	v_and_b32_e32 v2, 63, v7
	v_lshrrev_b32_e32 v72, 6, v7
	v_rcp_iflag_f32_e32 v0, v1
	v_cmp_le_i32_e64 s[8:9], s22, v72
	v_cmp_eq_f32_e64 s[28:29], s34, 0
	v_mov_b32_e32 v4, 0x7f7fffff
	v_mul_f32_e32 v0, 0x4f7ffffe, v0
	v_cvt_u32_f32_e32 v0, v0
	s_nop 0
	v_readfirstlane_b32 s5, v0
	s_mul_i32 s3, s3, s5
	s_mul_hi_u32 s3, s5, s3
	s_add_i32 s5, s5, s3
	s_mul_hi_u32 s3, s2, s5
	s_mul_i32 s5, s3, s4
	s_sub_i32 s5, s2, s5
	s_add_i32 s6, s3, 1
	s_sub_i32 s7, s5, s4
	s_cmp_ge_u32 s5, s4
	s_cselect_b32 s3, s6, s3
	s_cselect_b32 s5, s7, s5
	s_add_i32 s6, s3, 1
	s_cmp_ge_u32 s5, s4
	s_cselect_b32 s10, s6, s3
	s_mul_i32 s3, s10, s4
	s_sub_i32 s2, s2, s3
	s_add_i32 s36, s22, -1
	s_lshl_b32 s17, s2, 8
	v_min_i32_e32 v0, s36, v72
	v_or_b32_e32 v64, s17, v2
	s_waitcnt lgkmcnt(0)
	v_mad_i64_i32 v[0:1], s[2:3], s23, v0, 0
	v_cmp_le_i32_e32 vcc, s20, v64
	s_or_b64 s[2:3], s[8:9], vcc
	v_cndmask_b32_e64 v3, 0, v4, s[2:3]
	s_or_b64 s[2:3], s[28:29], s[2:3]
	v_lshl_add_u64 v[0:1], v[0:1], 2, s[18:19]
	s_xor_b64 s[4:5], s[2:3], -1
	v_ashrrev_i32_e32 v65, 31, v64
	s_and_saveexec_b64 s[2:3], s[4:5]
	s_cbranch_execz .LBB57_9
; %bb.8:
	v_lshl_add_u64 v[8:9], v[64:65], 2, v[0:1]
	flat_load_dword v3, v[8:9]
	s_waitcnt vmcnt(0) lgkmcnt(0)
	v_mul_f32_e32 v3, s34, v3
.LBB57_9:
	s_or_b64 exec, exec, s[2:3]
	v_or_b32_e32 v5, 64, v64
	v_cmp_le_i32_e64 s[2:3], s20, v5
	s_or_b64 s[4:5], s[8:9], s[2:3]
	v_cndmask_b32_e64 v4, 0, v4, s[4:5]
	s_or_b64 s[4:5], s[28:29], s[4:5]
	s_xor_b64 s[6:7], s[4:5], -1
	s_and_saveexec_b64 s[4:5], s[6:7]
	s_cbranch_execz .LBB57_11
; %bb.10:
	v_lshl_add_u64 v[4:5], v[64:65], 2, v[0:1]
	flat_load_dword v4, v[4:5] offset:256
	s_waitcnt vmcnt(0) lgkmcnt(0)
	v_mul_f32_e32 v4, s34, v4
.LBB57_11:
	s_or_b64 exec, exec, s[4:5]
	v_or_b32_e32 v5, 0x80, v64
	v_cmp_le_i32_e64 s[4:5], s20, v5
	v_mov_b32_e32 v6, 0x7f7fffff
	s_or_b64 s[6:7], s[8:9], s[4:5]
	v_cndmask_b32_e64 v5, 0, v6, s[6:7]
	s_or_b64 s[6:7], s[28:29], s[6:7]
	s_xor_b64 s[12:13], s[6:7], -1
	s_and_saveexec_b64 s[6:7], s[12:13]
	s_cbranch_execz .LBB57_13
; %bb.12:
	v_lshl_add_u64 v[8:9], v[64:65], 2, v[0:1]
	flat_load_dword v5, v[8:9] offset:512
	s_waitcnt vmcnt(0) lgkmcnt(0)
	v_mul_f32_e32 v5, s34, v5
.LBB57_13:
	s_or_b64 exec, exec, s[6:7]
	v_or_b32_e32 v8, 0xc0, v64
	v_cmp_le_i32_e64 s[6:7], s20, v8
	s_or_b64 s[8:9], s[8:9], s[6:7]
	v_cndmask_b32_e64 v6, 0, v6, s[8:9]
	s_or_b64 s[8:9], s[28:29], s[8:9]
	s_xor_b64 s[12:13], s[8:9], -1
	s_and_saveexec_b64 s[8:9], s[12:13]
	s_cbranch_execz .LBB57_15
; %bb.14:
	v_lshl_add_u64 v[0:1], v[64:65], 2, v[0:1]
	flat_load_dword v0, v[0:1] offset:768
	s_waitcnt vmcnt(0) lgkmcnt(0)
	v_mul_f32_e32 v6, s34, v0
.LBB57_15:
	s_or_b64 exec, exec, s[8:9]
	v_lshrrev_b32_e32 v7, 2, v7
	s_lshl_b32 s35, s10, 6
	s_load_dword s38, s[0:1], 0x38
	v_and_b32_e32 v75, 3, v70
	v_add_u32_e32 v57, s35, v7
	v_cmp_le_i32_e64 s[10:11], s22, v75
	v_cmp_le_i32_e64 s[8:9], s21, v57
	v_mov_b32_e32 v9, 0x7f7fffff
	s_or_b64 s[10:11], s[10:11], s[8:9]
	v_cndmask_b32_e64 v8, 0, v9, s[10:11]
	s_or_b64 s[10:11], s[28:29], s[10:11]
	s_xor_b64 s[12:13], s[10:11], -1
	s_and_saveexec_b64 s[10:11], s[12:13]
	s_cbranch_execz .LBB57_17
; %bb.16:
	v_min_u32_e32 v8, s36, v75
	s_waitcnt lgkmcnt(0)
	v_mad_i64_i32 v[0:1], s[12:13], v57, s38, 0
	v_lshl_add_u64 v[0:1], v[0:1], 2, s[30:31]
	v_lshlrev_b32_e32 v10, 2, v8
	v_mov_b32_e32 v11, 0
	v_lshl_add_u64 v[0:1], v[0:1], 0, v[10:11]
	flat_load_dword v0, v[0:1]
	s_waitcnt vmcnt(0) lgkmcnt(0)
	v_mul_f32_e32 v8, s34, v0
.LBB57_17:
	s_or_b64 exec, exec, s[10:11]
	v_add_u32_e32 v0, 4, v72
	v_cmp_le_i32_e64 s[10:11], s22, v0
	v_min_i32_e32 v0, s36, v0
	v_mad_i64_i32 v[0:1], s[12:13], s23, v0, 0
	s_or_b64 s[12:13], vcc, s[10:11]
	s_nop 0
	v_cndmask_b32_e64 v58, 0, v9, s[12:13]
	s_or_b64 s[12:13], s[28:29], s[12:13]
	v_lshl_add_u64 v[0:1], v[0:1], 2, s[18:19]
	s_xor_b64 s[40:41], s[12:13], -1
	s_and_saveexec_b64 s[12:13], s[40:41]
	s_cbranch_execz .LBB57_19
; %bb.18:
	v_lshl_add_u64 v[10:11], v[64:65], 2, v[0:1]
	flat_load_dword v9, v[10:11]
	s_waitcnt vmcnt(0) lgkmcnt(0)
	v_mul_f32_e32 v58, s34, v9
.LBB57_19:
	s_or_b64 exec, exec, s[12:13]
	v_mov_b32_e32 v9, 0x7f7fffff
	s_or_b64 s[12:13], s[2:3], s[10:11]
	v_cndmask_b32_e64 v59, 0, v9, s[12:13]
	s_or_b64 s[12:13], s[28:29], s[12:13]
	s_xor_b64 s[40:41], s[12:13], -1
	s_and_saveexec_b64 s[12:13], s[40:41]
	s_cbranch_execz .LBB57_21
; %bb.20:
	v_lshl_add_u64 v[10:11], v[64:65], 2, v[0:1]
	flat_load_dword v10, v[10:11] offset:256
	s_waitcnt vmcnt(0) lgkmcnt(0)
	v_mul_f32_e32 v59, s34, v10
.LBB57_21:
	s_or_b64 exec, exec, s[12:13]
	s_or_b64 s[12:13], s[4:5], s[10:11]
	v_cndmask_b32_e64 v60, 0, v9, s[12:13]
	s_or_b64 s[12:13], s[28:29], s[12:13]
	s_xor_b64 s[40:41], s[12:13], -1
	s_and_saveexec_b64 s[12:13], s[40:41]
	s_cbranch_execz .LBB57_23
; %bb.22:
	v_lshl_add_u64 v[10:11], v[64:65], 2, v[0:1]
	flat_load_dword v9, v[10:11] offset:512
	s_waitcnt vmcnt(0) lgkmcnt(0)
	v_mul_f32_e32 v60, s34, v9
.LBB57_23:
	s_or_b64 exec, exec, s[12:13]
	v_mov_b32_e32 v9, 0x7f7fffff
	s_or_b64 s[10:11], s[6:7], s[10:11]
	v_cndmask_b32_e64 v61, 0, v9, s[10:11]
	s_or_b64 s[10:11], s[28:29], s[10:11]
	s_xor_b64 s[12:13], s[10:11], -1
	s_and_saveexec_b64 s[10:11], s[12:13]
	s_cbranch_execz .LBB57_25
; %bb.24:
	v_lshl_add_u64 v[0:1], v[64:65], 2, v[0:1]
	flat_load_dword v0, v[0:1] offset:768
	s_waitcnt vmcnt(0) lgkmcnt(0)
	v_mul_f32_e32 v61, s34, v0
.LBB57_25:
	s_or_b64 exec, exec, s[10:11]
	v_or_b32_e32 v0, 4, v75
	v_cmp_le_i32_e64 s[10:11], s22, v0
	s_or_b64 s[10:11], s[10:11], s[8:9]
	s_mov_b32 s12, 0x7f7fffff
	v_cndmask_b32_e64 v62, 0, v9, s[10:11]
	s_or_b64 s[10:11], s[28:29], s[10:11]
	s_xor_b64 s[40:41], s[10:11], -1
	s_and_saveexec_b64 s[10:11], s[40:41]
	s_cbranch_execz .LBB57_27
; %bb.26:
	v_min_u32_e32 v9, s36, v0
	s_waitcnt lgkmcnt(0)
	v_mad_i64_i32 v[0:1], s[40:41], v57, s38, 0
	v_lshl_add_u64 v[0:1], v[0:1], 2, s[30:31]
	v_lshlrev_b32_e32 v10, 2, v9
	v_mov_b32_e32 v11, 0
	v_lshl_add_u64 v[0:1], v[0:1], 0, v[10:11]
	flat_load_dword v0, v[0:1]
	s_waitcnt vmcnt(0) lgkmcnt(0)
	v_mul_f32_e32 v62, s34, v0
.LBB57_27:
	s_or_b64 exec, exec, s[10:11]
	v_lshlrev_b32_e32 v0, 2, v72
	v_lshlrev_b32_e32 v56, 2, v75
	v_lshl_add_u32 v76, v2, 4, v0
	v_lshl_or_b32 v63, v7, 4, v56
	v_lshlrev_b32_e32 v73, 4, v70
	v_lshlrev_b32_e32 v74, 4, v71
	ds_write2st64_b32 v76, v3, v4 offset1:4
	ds_write2st64_b32 v76, v5, v6 offset0:8 offset1:12
	ds_write_b32 v63, v8 offset:8192
	s_waitcnt lgkmcnt(0)
	s_barrier
	ds_read_b128 v[12:15], v73
	ds_read_b128 v[20:23], v73 offset:512
	ds_read_b128 v[24:27], v73 offset:1024
	;; [unrolled: 1-line block ×13, first 2 shown]
	s_waitcnt lgkmcnt(5)
	v_pk_add_f32 v[66:67], v[12:13], v[52:53]
	s_cmp_lt_i32 s22, 9
	v_min3_f32 v68, v66, v67, s12
	v_pk_add_f32 v[66:67], v[20:21], v[52:53]
	s_nop 0
	v_min3_f32 v69, v66, v67, s12
	v_pk_add_f32 v[66:67], v[24:25], v[52:53]
	s_nop 0
	v_min3_f32 v77, v66, v67, s12
	v_pk_add_f32 v[66:67], v[28:29], v[52:53]
	s_nop 0
	v_min3_f32 v78, v66, v67, s12
	v_pk_add_f32 v[66:67], v[16:17], v[52:53]
	s_nop 0
	v_min3_f32 v79, v66, v67, s12
	v_pk_add_f32 v[66:67], v[8:9], v[52:53]
	s_nop 0
	v_min3_f32 v80, v66, v67, s12
	v_pk_add_f32 v[66:67], v[4:5], v[52:53]
	v_pk_add_f32 v[52:53], v[0:1], v[52:53]
	v_min3_f32 v66, v66, v67, s12
	v_min3_f32 v67, v52, v53, s12
	s_waitcnt lgkmcnt(4)
	v_pk_add_f32 v[52:53], v[12:13], v[48:49]
	s_nop 0
	v_min3_f32 v81, v52, v53, s12
	v_pk_add_f32 v[52:53], v[20:21], v[48:49]
	s_nop 0
	v_min3_f32 v82, v52, v53, s12
	v_pk_add_f32 v[52:53], v[24:25], v[48:49]
	s_nop 0
	v_min3_f32 v83, v52, v53, s12
	v_pk_add_f32 v[52:53], v[28:29], v[48:49]
	s_nop 0
	v_min3_f32 v84, v52, v53, s12
	v_pk_add_f32 v[52:53], v[16:17], v[48:49]
	s_nop 0
	v_min3_f32 v85, v52, v53, s12
	v_pk_add_f32 v[52:53], v[8:9], v[48:49]
	s_nop 0
	v_min3_f32 v86, v52, v53, s12
	v_pk_add_f32 v[52:53], v[4:5], v[48:49]
	v_pk_add_f32 v[48:49], v[0:1], v[48:49]
	v_min3_f32 v52, v52, v53, s12
	v_min3_f32 v53, v48, v49, s12
	s_waitcnt lgkmcnt(3)
	v_pk_add_f32 v[48:49], v[12:13], v[44:45]
	s_nop 0
	;; [unrolled: 23-line block ×4, first 2 shown]
	v_min3_f32 v101, v40, v41, s12
	v_pk_add_f32 v[40:41], v[20:21], v[36:37]
	s_nop 0
	v_min3_f32 v102, v40, v41, s12
	v_pk_add_f32 v[40:41], v[24:25], v[36:37]
	s_nop 0
	;; [unrolled: 3-line block ×5, first 2 shown]
	v_min3_f32 v106, v40, v41, s12
	v_pk_add_f32 v[40:41], v[4:5], v[36:37]
	v_pk_add_f32 v[36:37], v[0:1], v[36:37]
	v_min3_f32 v107, v40, v41, s12
	v_min3_f32 v108, v36, v37, s12
	s_waitcnt lgkmcnt(0)
	v_pk_add_f32 v[36:37], v[12:13], v[32:33]
	v_pk_add_f32 v[40:41], v[4:5], v[32:33]
	v_min3_f32 v126, v36, v37, s12
	v_pk_add_f32 v[36:37], v[20:21], v[32:33]
	v_min3_f32 v40, v40, v41, s12
	v_min3_f32 v146, v36, v37, s12
	v_pk_add_f32 v[36:37], v[24:25], v[32:33]
	s_nop 0
	v_min3_f32 v147, v36, v37, s12
	v_pk_add_f32 v[36:37], v[28:29], v[32:33]
	s_nop 0
	;; [unrolled: 3-line block ×10, first 2 shown]
	v_min3_f32 v66, v36, v37, s12
	v_pk_add_f32 v[36:37], v[8:9], v[32:33]
	v_pk_add_f32 v[32:33], v[0:1], v[32:33]
	v_min3_f32 v68, v36, v37, s12
	v_min3_f32 v41, v32, v33, s12
	v_pk_add_f32 v[32:33], v[14:15], v[50:51]
	v_pk_add_f32 v[36:37], v[2:3], v[54:55]
	v_min3_f32 v140, v32, v33, v81
	v_pk_add_f32 v[32:33], v[22:23], v[50:51]
	v_min3_f32 v141, v36, v37, v67
	v_min3_f32 v139, v32, v33, v82
	v_pk_add_f32 v[32:33], v[26:27], v[50:51]
	s_nop 0
	v_min3_f32 v138, v32, v33, v83
	v_pk_add_f32 v[32:33], v[30:31], v[50:51]
	s_nop 0
	;; [unrolled: 3-line block ×5, first 2 shown]
	v_min3_f32 v134, v32, v33, v52
	v_pk_add_f32 v[32:33], v[2:3], v[50:51]
	ds_read_b128 v[48:51], v74 offset:8960
	v_min3_f32 v133, v32, v33, v53
	ds_read_b128 v[52:55], v74 offset:9088
	v_pk_add_f32 v[32:33], v[14:15], v[46:47]
	ds_write2st64_b32 v76, v58, v59 offset0:16 offset1:20
	ds_write2st64_b32 v76, v60, v61 offset0:24 offset1:28
	ds_write_b32 v63, v62 offset:9216
	v_min3_f32 v132, v32, v33, v87
	v_pk_add_f32 v[32:33], v[22:23], v[46:47]
	s_waitcnt lgkmcnt(4)
	v_pk_add_f32 v[36:37], v[24:25], v[48:49]
	v_min3_f32 v131, v32, v33, v88
	v_pk_add_f32 v[32:33], v[26:27], v[46:47]
	s_waitcnt lgkmcnt(0)
	v_min3_f32 v130, v32, v33, v89
	v_pk_add_f32 v[32:33], v[30:31], v[46:47]
	s_barrier
	v_min3_f32 v129, v32, v33, v90
	v_pk_add_f32 v[32:33], v[18:19], v[46:47]
	s_nop 0
	v_min3_f32 v128, v32, v33, v91
	v_pk_add_f32 v[32:33], v[10:11], v[46:47]
	s_nop 0
	;; [unrolled: 3-line block ×3, first 2 shown]
	v_min3_f32 v123, v32, v33, v93
	v_pk_add_f32 v[32:33], v[12:13], v[48:49]
	v_pk_add_f32 v[12:13], v[12:13], v[52:53]
	v_min3_f32 v67, v32, v33, s12
	v_pk_add_f32 v[32:33], v[20:21], v[48:49]
	s_nop 0
	v_min3_f32 v69, v32, v33, s12
	v_pk_add_f32 v[32:33], v[2:3], v[46:47]
	v_min3_f32 v46, v36, v37, s12
	v_min3_f32 v127, v32, v33, v94
	v_pk_add_f32 v[32:33], v[14:15], v[42:43]
	v_pk_add_f32 v[36:37], v[28:29], v[48:49]
	v_min3_f32 v124, v32, v33, v95
	v_pk_add_f32 v[32:33], v[22:23], v[42:43]
	v_min3_f32 v47, v36, v37, s12
	v_min3_f32 v122, v32, v33, v96
	v_pk_add_f32 v[32:33], v[26:27], v[42:43]
	v_pk_add_f32 v[36:37], v[4:5], v[48:49]
	v_min3_f32 v121, v32, v33, v97
	v_pk_add_f32 v[32:33], v[30:31], v[42:43]
	v_pk_add_f32 v[4:5], v[4:5], v[52:53]
	v_min3_f32 v120, v32, v33, v98
	v_pk_add_f32 v[32:33], v[18:19], v[42:43]
	v_min3_f32 v4, v4, v5, s12
	v_min3_f32 v119, v32, v33, v99
	v_pk_add_f32 v[32:33], v[10:11], v[42:43]
	s_nop 0
	v_min3_f32 v118, v32, v33, v100
	v_pk_add_f32 v[32:33], v[6:7], v[42:43]
	s_nop 0
	;; [unrolled: 3-line block ×3, first 2 shown]
	v_min3_f32 v44, v32, v33, s12
	v_pk_add_f32 v[32:33], v[8:9], v[48:49]
	v_pk_add_f32 v[8:9], v[8:9], v[52:53]
	v_min3_f32 v80, v32, v33, s12
	v_pk_add_f32 v[32:33], v[2:3], v[42:43]
	v_min3_f32 v42, v36, v37, s12
	v_min3_f32 v116, v32, v33, v45
	v_pk_add_f32 v[32:33], v[14:15], v[38:39]
	v_pk_add_f32 v[36:37], v[0:1], v[48:49]
	v_min3_f32 v115, v32, v33, v101
	v_pk_add_f32 v[32:33], v[22:23], v[38:39]
	v_pk_add_f32 v[0:1], v[0:1], v[52:53]
	v_min3_f32 v114, v32, v33, v102
	v_pk_add_f32 v[32:33], v[26:27], v[38:39]
	v_min3_f32 v5, v0, v1, s12
	v_min3_f32 v113, v32, v33, v103
	v_pk_add_f32 v[32:33], v[30:31], v[38:39]
	v_pk_add_f32 v[0:1], v[14:15], v[54:55]
	v_min3_f32 v112, v32, v33, v104
	v_pk_add_f32 v[32:33], v[18:19], v[38:39]
	v_min3_f32 v36, v36, v37, s12
	v_min3_f32 v111, v32, v33, v105
	v_pk_add_f32 v[32:33], v[10:11], v[38:39]
	s_nop 0
	v_min3_f32 v110, v32, v33, v106
	v_pk_add_f32 v[32:33], v[6:7], v[38:39]
	s_nop 0
	;; [unrolled: 3-line block ×10, first 2 shown]
	v_min3_f32 v101, v32, v33, v40
	v_min3_f32 v32, v12, v13, s12
	v_pk_add_f32 v[12:13], v[20:21], v[52:53]
	v_pk_add_f32 v[20:21], v[24:25], v[52:53]
	v_min3_f32 v33, v12, v13, s12
	v_pk_add_f32 v[12:13], v[2:3], v[34:35]
	v_min3_f32 v91, v0, v1, v32
	v_min3_f32 v100, v12, v13, v41
	v_pk_add_f32 v[12:13], v[14:15], v[50:51]
	v_pk_add_f32 v[0:1], v[22:23], v[54:55]
	v_min3_f32 v99, v12, v13, v67
	v_pk_add_f32 v[12:13], v[22:23], v[50:51]
	;; [unrolled: 6-line block ×4, first 2 shown]
	v_min3_f32 v20, v20, v21, s12
	v_min3_f32 v94, v12, v13, v80
	v_pk_add_f32 v[12:13], v[6:7], v[50:51]
	v_min3_f32 v89, v0, v1, v24
	v_min3_f32 v93, v12, v13, v42
	v_pk_add_f32 v[12:13], v[16:17], v[52:53]
	v_pk_add_f32 v[0:1], v[30:31], v[54:55]
	v_min3_f32 v12, v12, v13, s12
	v_min3_f32 v87, v0, v1, v20
	v_pk_add_f32 v[0:1], v[18:19], v[54:55]
	v_min3_f32 v13, v8, v9, s12
	v_min3_f32 v86, v0, v1, v12
	v_pk_add_f32 v[0:1], v[10:11], v[54:55]
	v_pk_add_f32 v[8:9], v[2:3], v[50:51]
	v_min3_f32 v85, v0, v1, v13
	v_pk_add_f32 v[0:1], v[6:7], v[54:55]
	v_min3_f32 v92, v8, v9, v36
	v_min3_f32 v84, v0, v1, v4
	v_pk_add_f32 v[0:1], v[2:3], v[54:55]
	s_nop 0
	v_min3_f32 v88, v0, v1, v5
	s_cbranch_scc1 .LBB57_50
; %bb.28:
	v_mov_b32_e32 v0, 0x1000
	v_lshl_add_u32 v126, v70, 4, v0
	v_mov_b32_e32 v0, 0x2400
	v_lshl_add_u32 v146, v71, 4, v0
	v_mad_i64_i32 v[0:1], s[10:11], s38, v57, 0
	v_mov_b32_e32 v57, 0
	v_lshl_add_u64 v[0:1], v[0:1], 2, v[56:57]
	v_lshl_add_u64 v[0:1], v[0:1], 0, s[30:31]
	v_add_u32_e32 v80, 0x2000, v63
	v_add_u32_e32 v81, 0x2000, v74
	;; [unrolled: 1-line block ×4, first 2 shown]
	s_add_i32 s37, s22, -8
	v_lshl_add_u64 v[66:67], v[0:1], 0, 48
	s_mov_b32 s30, 0
	v_mov_b32_e32 v147, 0x7f7fffff
	s_branch .LBB57_30
.LBB57_29:                              ;   in Loop: Header=BB57_30 Depth=1
	s_or_b64 exec, exec, s[10:11]
	ds_read_b128 v[0:3], v73
	ds_read_b128 v[4:7], v73 offset:512
	ds_read_b128 v[8:11], v73 offset:1024
	;; [unrolled: 1-line block ×7, first 2 shown]
	ds_read_b128 v[116:119], v81
	ds_read_b128 v[120:123], v81 offset:128
	ds_read_b128 v[152:155], v81 offset:256
	;; [unrolled: 1-line block ×7, first 2 shown]
	s_waitcnt lgkmcnt(7)
	v_pk_add_f32 v[124:125], v[0:1], v[116:117]
	s_add_i32 s30, s30, 8
	v_min3_f32 v37, v124, v125, v37
	v_pk_add_f32 v[124:125], v[4:5], v[116:117]
	s_cmp_ge_i32 s30, s37
	v_min3_f32 v127, v124, v125, v40
	v_pk_add_f32 v[124:125], v[8:9], v[116:117]
	v_lshl_add_u64 v[66:67], v[66:67], 0, 32
	v_min3_f32 v124, v124, v125, v41
	v_pk_add_f32 v[40:41], v[12:13], v[116:117]
	ds_write2st64_b32 v82, v148, v149 offset1:4
	ds_write2st64_b32 v82, v150, v151 offset0:8 offset1:12
	ds_write_b32 v83, v36
	v_min3_f32 v44, v40, v41, v44
	v_pk_add_f32 v[40:41], v[16:17], v[116:117]
	s_waitcnt lgkmcnt(0)
	v_min3_f32 v45, v40, v41, v45
	v_pk_add_f32 v[40:41], v[20:21], v[116:117]
	s_barrier
	v_min3_f32 v48, v40, v41, v48
	v_pk_add_f32 v[40:41], v[24:25], v[116:117]
	s_nop 0
	v_min3_f32 v49, v40, v41, v49
	v_pk_add_f32 v[40:41], v[28:29], v[116:117]
	s_nop 0
	;; [unrolled: 3-line block ×42, first 2 shown]
	v_min3_f32 v42, v40, v41, v42
	v_pk_add_f32 v[40:41], v[0:1], v[168:169]
	v_pk_add_f32 v[0:1], v[0:1], v[32:33]
	v_min3_f32 v43, v40, v41, v43
	v_min3_f32 v39, v0, v1, v39
	v_pk_add_f32 v[0:1], v[4:5], v[32:33]
	v_pk_add_f32 v[40:41], v[4:5], v[168:169]
	v_min3_f32 v4, v0, v1, v109
	v_pk_add_f32 v[0:1], v[8:9], v[32:33]
	v_min3_f32 v153, v40, v41, v103
	v_min3_f32 v5, v0, v1, v110
	v_pk_add_f32 v[0:1], v[12:13], v[32:33]
	v_pk_add_f32 v[40:41], v[8:9], v[168:169]
	v_min3_f32 v8, v0, v1, v111
	;; [unrolled: 6-line block ×7, first 2 shown]
	v_pk_add_f32 v[0:1], v[26:27], v[118:119]
	v_min3_f32 v38, v40, v41, v38
	v_min3_f32 v78, v0, v1, v49
	v_pk_add_f32 v[0:1], v[30:31], v[118:119]
	s_nop 0
	v_min3_f32 v141, v0, v1, v52
	v_pk_add_f32 v[0:1], v[2:3], v[122:123]
	s_nop 0
	;; [unrolled: 3-line block ×57, first 2 shown]
	v_min3_f32 v88, v0, v1, v16
	s_cbranch_scc1 .LBB57_50
.LBB57_30:                              ; =>This Inner Loop Header: Depth=1
	v_add_u32_e32 v68, s30, v72
	v_add_u32_e32 v0, 8, v68
	v_cmp_le_i32_e64 s[10:11], s22, v0
	v_min_i32_e32 v0, s36, v0
	v_mad_i64_i32 v[0:1], s[12:13], v0, s23, 0
	s_or_b64 s[12:13], vcc, s[10:11]
	v_lshl_add_u64 v[0:1], v[0:1], 2, s[18:19]
	v_cndmask_b32_e64 v69, 0, v147, s[12:13]
	s_or_b64 s[12:13], s[28:29], s[12:13]
	s_xor_b64 s[38:39], s[12:13], -1
	v_lshl_add_u64 v[0:1], v[64:65], 2, v[0:1]
	s_and_saveexec_b64 s[12:13], s[38:39]
	s_cbranch_execz .LBB57_32
; %bb.31:                               ;   in Loop: Header=BB57_30 Depth=1
	flat_load_dword v2, v[0:1]
	s_waitcnt vmcnt(0) lgkmcnt(0)
	v_mul_f32_e32 v69, s34, v2
.LBB57_32:                              ;   in Loop: Header=BB57_30 Depth=1
	s_or_b64 exec, exec, s[12:13]
	s_or_b64 s[12:13], s[2:3], s[10:11]
	v_cndmask_b32_e64 v148, 0, v147, s[12:13]
	s_or_b64 s[12:13], s[28:29], s[12:13]
	s_xor_b64 s[38:39], s[12:13], -1
	s_and_saveexec_b64 s[12:13], s[38:39]
	s_cbranch_execz .LBB57_34
; %bb.33:                               ;   in Loop: Header=BB57_30 Depth=1
	flat_load_dword v2, v[0:1] offset:256
	s_waitcnt vmcnt(0) lgkmcnt(0)
	v_mul_f32_e32 v148, s34, v2
.LBB57_34:                              ;   in Loop: Header=BB57_30 Depth=1
	s_or_b64 exec, exec, s[12:13]
	s_or_b64 s[12:13], s[4:5], s[10:11]
	v_cndmask_b32_e64 v149, 0, v147, s[12:13]
	s_or_b64 s[12:13], s[28:29], s[12:13]
	s_xor_b64 s[38:39], s[12:13], -1
	s_and_saveexec_b64 s[12:13], s[38:39]
	s_cbranch_execz .LBB57_36
; %bb.35:                               ;   in Loop: Header=BB57_30 Depth=1
	flat_load_dword v2, v[0:1] offset:512
	s_waitcnt vmcnt(0) lgkmcnt(0)
	v_mul_f32_e32 v149, s34, v2
.LBB57_36:                              ;   in Loop: Header=BB57_30 Depth=1
	;; [unrolled: 12-line block ×3, first 2 shown]
	s_or_b64 exec, exec, s[10:11]
	v_add_u32_e32 v152, s30, v75
	v_add_u32_e32 v0, 8, v152
	v_cmp_le_i32_e64 s[10:11], s22, v0
	s_or_b64 s[10:11], s[10:11], s[8:9]
	s_nop 0
	v_cndmask_b32_e64 v151, 0, v147, s[10:11]
	s_or_b64 s[10:11], s[28:29], s[10:11]
	s_xor_b64 s[10:11], s[10:11], -1
	s_and_saveexec_b64 s[12:13], s[10:11]
	s_cbranch_execz .LBB57_40
; %bb.39:                               ;   in Loop: Header=BB57_30 Depth=1
	v_add_co_u32_e64 v0, s[10:11], -16, v66
	s_nop 1
	v_addc_co_u32_e64 v1, s[10:11], -1, v67, s[10:11]
	flat_load_dword v0, v[0:1]
	s_waitcnt vmcnt(0) lgkmcnt(0)
	v_mul_f32_e32 v151, s34, v0
.LBB57_40:                              ;   in Loop: Header=BB57_30 Depth=1
	s_or_b64 exec, exec, s[12:13]
	ds_read_b128 v[28:31], v126
	ds_read_b128 v[24:27], v126 offset:512
	ds_read_b128 v[20:23], v126 offset:1024
	;; [unrolled: 1-line block ×7, first 2 shown]
	ds_read_b128 v[60:63], v146
	ds_read_b128 v[56:59], v146 offset:128
	ds_read_b128 v[52:55], v146 offset:256
	;; [unrolled: 1-line block ×7, first 2 shown]
	v_add_u32_e32 v68, 12, v68
	v_cmp_le_i32_e64 s[10:11], s22, v68
	v_min_i32_e32 v68, s36, v68
	ds_write2st64_b32 v76, v69, v148 offset1:4
	ds_write2st64_b32 v76, v149, v150 offset0:8 offset1:12
	ds_write_b32 v80, v151
	v_mad_i64_i32 v[68:69], s[12:13], v68, s23, 0
	s_or_b64 s[12:13], vcc, s[10:11]
	v_lshl_add_u64 v[68:69], v[68:69], 2, s[18:19]
	v_cndmask_b32_e64 v148, 0, v147, s[12:13]
	s_or_b64 s[12:13], s[28:29], s[12:13]
	s_xor_b64 s[38:39], s[12:13], -1
	v_lshl_add_u64 v[68:69], v[64:65], 2, v[68:69]
	s_waitcnt lgkmcnt(0)
	s_barrier
	s_and_saveexec_b64 s[12:13], s[38:39]
	s_cbranch_execz .LBB57_42
; %bb.41:                               ;   in Loop: Header=BB57_30 Depth=1
	flat_load_dword v148, v[68:69]
	s_waitcnt vmcnt(0) lgkmcnt(0)
	v_mul_f32_e32 v148, s34, v148
.LBB57_42:                              ;   in Loop: Header=BB57_30 Depth=1
	s_or_b64 exec, exec, s[12:13]
	s_or_b64 s[12:13], s[2:3], s[10:11]
	v_cndmask_b32_e64 v149, 0, v147, s[12:13]
	s_or_b64 s[12:13], s[28:29], s[12:13]
	s_xor_b64 s[38:39], s[12:13], -1
	s_and_saveexec_b64 s[12:13], s[38:39]
	s_cbranch_execz .LBB57_44
; %bb.43:                               ;   in Loop: Header=BB57_30 Depth=1
	flat_load_dword v149, v[68:69] offset:256
	s_waitcnt vmcnt(0) lgkmcnt(0)
	v_mul_f32_e32 v149, s34, v149
.LBB57_44:                              ;   in Loop: Header=BB57_30 Depth=1
	s_or_b64 exec, exec, s[12:13]
	s_or_b64 s[12:13], s[4:5], s[10:11]
	v_cndmask_b32_e64 v150, 0, v147, s[12:13]
	s_or_b64 s[12:13], s[28:29], s[12:13]
	s_xor_b64 s[38:39], s[12:13], -1
	s_and_saveexec_b64 s[12:13], s[38:39]
	s_cbranch_execz .LBB57_46
; %bb.45:                               ;   in Loop: Header=BB57_30 Depth=1
	flat_load_dword v150, v[68:69] offset:512
	s_waitcnt vmcnt(0) lgkmcnt(0)
	v_mul_f32_e32 v150, s34, v150
.LBB57_46:                              ;   in Loop: Header=BB57_30 Depth=1
	;; [unrolled: 12-line block ×3, first 2 shown]
	s_or_b64 exec, exec, s[10:11]
	v_pk_add_f32 v[68:69], v[28:29], v[60:61]
	s_nop 0
	v_min3_f32 v145, v68, v69, v145
	v_pk_add_f32 v[68:69], v[24:25], v[60:61]
	s_nop 0
	v_min3_f32 v144, v68, v69, v144
	v_pk_add_f32 v[68:69], v[20:21], v[60:61]
	s_nop 0
	v_min3_f32 v143, v68, v69, v143
	v_pk_add_f32 v[68:69], v[16:17], v[60:61]
	s_nop 0
	v_min3_f32 v142, v68, v69, v142
	v_pk_add_f32 v[68:69], v[12:13], v[60:61]
	s_nop 0
	v_min3_f32 v79, v68, v69, v79
	v_pk_add_f32 v[68:69], v[8:9], v[60:61]
	s_nop 0
	v_min3_f32 v77, v68, v69, v77
	v_pk_add_f32 v[68:69], v[4:5], v[60:61]
	v_pk_add_f32 v[60:61], v[0:1], v[60:61]
	v_min3_f32 v68, v68, v69, v78
	v_min3_f32 v69, v60, v61, v141
	v_pk_add_f32 v[60:61], v[28:29], v[56:57]
	s_nop 0
	v_min3_f32 v78, v60, v61, v140
	v_pk_add_f32 v[60:61], v[24:25], v[56:57]
	s_nop 0
	v_min3_f32 v139, v60, v61, v139
	v_pk_add_f32 v[60:61], v[20:21], v[56:57]
	s_nop 0
	v_min3_f32 v138, v60, v61, v138
	v_pk_add_f32 v[60:61], v[16:17], v[56:57]
	s_nop 0
	v_min3_f32 v137, v60, v61, v137
	v_pk_add_f32 v[60:61], v[12:13], v[56:57]
	s_nop 0
	v_min3_f32 v136, v60, v61, v136
	v_pk_add_f32 v[60:61], v[8:9], v[56:57]
	s_nop 0
	v_min3_f32 v135, v60, v61, v135
	v_pk_add_f32 v[60:61], v[4:5], v[56:57]
	v_pk_add_f32 v[56:57], v[0:1], v[56:57]
	v_min3_f32 v134, v60, v61, v134
	v_min3_f32 v133, v56, v57, v133
	;; [unrolled: 22-line block ×6, first 2 shown]
	v_pk_add_f32 v[40:41], v[28:29], v[36:37]
	v_pk_add_f32 v[28:29], v[28:29], v[32:33]
	v_min3_f32 v153, v40, v41, v99
	v_pk_add_f32 v[40:41], v[24:25], v[36:37]
	v_pk_add_f32 v[24:25], v[24:25], v[32:33]
	v_min3_f32 v154, v40, v41, v98
	;; [unrolled: 3-line block ×6, first 2 shown]
	v_pk_add_f32 v[40:41], v[4:5], v[36:37]
	v_pk_add_f32 v[36:37], v[0:1], v[36:37]
	v_pk_add_f32 v[4:5], v[4:5], v[32:33]
	v_pk_add_f32 v[0:1], v[0:1], v[32:33]
	v_min3_f32 v4, v4, v5, v84
	v_min3_f32 v5, v0, v1, v88
	v_pk_add_f32 v[0:1], v[30:31], v[62:63]
	v_min3_f32 v36, v36, v37, v92
	v_min3_f32 v37, v0, v1, v145
	v_pk_add_f32 v[0:1], v[26:27], v[62:63]
	;; [unrolled: 3-line block ×9, first 2 shown]
	s_nop 0
	v_min3_f32 v53, v0, v1, v78
	v_pk_add_f32 v[0:1], v[26:27], v[58:59]
	s_nop 0
	v_min3_f32 v56, v0, v1, v139
	v_pk_add_f32 v[0:1], v[22:23], v[58:59]
	s_nop 0
	v_min3_f32 v57, v0, v1, v138
	v_pk_add_f32 v[0:1], v[18:19], v[58:59]
	s_nop 0
	v_min3_f32 v60, v0, v1, v137
	v_pk_add_f32 v[0:1], v[14:15], v[58:59]
	s_nop 0
	v_min3_f32 v61, v0, v1, v136
	v_pk_add_f32 v[0:1], v[10:11], v[58:59]
	s_nop 0
	v_min3_f32 v62, v0, v1, v135
	v_pk_add_f32 v[0:1], v[6:7], v[58:59]
	s_nop 0
	v_min3_f32 v63, v0, v1, v134
	v_pk_add_f32 v[0:1], v[2:3], v[58:59]
	s_nop 0
	v_min3_f32 v58, v0, v1, v133
	v_pk_add_f32 v[0:1], v[30:31], v[54:55]
	s_nop 0
	v_min3_f32 v59, v0, v1, v132
	v_pk_add_f32 v[0:1], v[26:27], v[54:55]
	s_nop 0
	v_min3_f32 v68, v0, v1, v131
	v_pk_add_f32 v[0:1], v[22:23], v[54:55]
	s_nop 0
	v_min3_f32 v69, v0, v1, v130
	v_pk_add_f32 v[0:1], v[18:19], v[54:55]
	s_nop 0
	v_min3_f32 v77, v0, v1, v129
	v_pk_add_f32 v[0:1], v[14:15], v[54:55]
	s_nop 0
	v_min3_f32 v78, v0, v1, v128
	v_pk_add_f32 v[0:1], v[10:11], v[54:55]
	s_nop 0
	v_min3_f32 v79, v0, v1, v125
	v_pk_add_f32 v[0:1], v[6:7], v[54:55]
	s_nop 0
	v_min3_f32 v84, v0, v1, v123
	v_pk_add_f32 v[0:1], v[2:3], v[54:55]
	s_nop 0
	v_min3_f32 v54, v0, v1, v127
	v_pk_add_f32 v[0:1], v[30:31], v[50:51]
	s_nop 0
	v_min3_f32 v55, v0, v1, v124
	v_pk_add_f32 v[0:1], v[26:27], v[50:51]
	s_nop 0
	v_min3_f32 v85, v0, v1, v122
	v_pk_add_f32 v[0:1], v[22:23], v[50:51]
	s_nop 0
	v_min3_f32 v86, v0, v1, v121
	v_pk_add_f32 v[0:1], v[18:19], v[50:51]
	s_nop 0
	v_min3_f32 v87, v0, v1, v120
	v_pk_add_f32 v[0:1], v[14:15], v[50:51]
	s_nop 0
	v_min3_f32 v88, v0, v1, v119
	v_pk_add_f32 v[0:1], v[10:11], v[50:51]
	s_nop 0
	v_min3_f32 v89, v0, v1, v118
	v_pk_add_f32 v[0:1], v[6:7], v[50:51]
	s_nop 0
	v_min3_f32 v90, v0, v1, v117
	v_pk_add_f32 v[0:1], v[2:3], v[50:51]
	s_nop 0
	v_min3_f32 v50, v0, v1, v116
	v_pk_add_f32 v[0:1], v[30:31], v[46:47]
	s_nop 0
	v_min3_f32 v51, v0, v1, v115
	v_pk_add_f32 v[0:1], v[26:27], v[46:47]
	s_nop 0
	v_min3_f32 v91, v0, v1, v114
	v_pk_add_f32 v[0:1], v[22:23], v[46:47]
	s_nop 0
	v_min3_f32 v92, v0, v1, v113
	v_pk_add_f32 v[0:1], v[18:19], v[46:47]
	s_nop 0
	v_min3_f32 v93, v0, v1, v112
	v_pk_add_f32 v[0:1], v[14:15], v[46:47]
	s_nop 0
	v_min3_f32 v94, v0, v1, v111
	v_pk_add_f32 v[0:1], v[10:11], v[46:47]
	s_nop 0
	v_min3_f32 v95, v0, v1, v110
	v_pk_add_f32 v[0:1], v[6:7], v[46:47]
	s_nop 0
	v_min3_f32 v96, v0, v1, v109
	v_pk_add_f32 v[0:1], v[2:3], v[46:47]
	s_nop 0
	v_min3_f32 v46, v0, v1, v108
	v_pk_add_f32 v[0:1], v[30:31], v[42:43]
	s_nop 0
	v_min3_f32 v47, v0, v1, v107
	v_pk_add_f32 v[0:1], v[26:27], v[42:43]
	s_nop 0
	v_min3_f32 v97, v0, v1, v106
	v_pk_add_f32 v[0:1], v[22:23], v[42:43]
	s_nop 0
	v_min3_f32 v98, v0, v1, v105
	v_pk_add_f32 v[0:1], v[18:19], v[42:43]
	s_nop 0
	v_min3_f32 v99, v0, v1, v104
	v_pk_add_f32 v[0:1], v[14:15], v[42:43]
	s_nop 0
	v_min3_f32 v100, v0, v1, v103
	v_pk_add_f32 v[0:1], v[10:11], v[42:43]
	s_nop 0
	v_min3_f32 v101, v0, v1, v102
	v_pk_add_f32 v[0:1], v[6:7], v[42:43]
	s_nop 0
	v_min3_f32 v102, v0, v1, v140
	v_pk_add_f32 v[0:1], v[2:3], v[42:43]
	s_nop 0
	v_min3_f32 v42, v0, v1, v141
	v_pk_add_f32 v[0:1], v[30:31], v[38:39]
	s_nop 0
	v_min3_f32 v43, v0, v1, v153
	v_pk_add_f32 v[0:1], v[26:27], v[38:39]
	s_nop 0
	v_min3_f32 v103, v0, v1, v154
	v_pk_add_f32 v[0:1], v[22:23], v[38:39]
	s_nop 0
	v_min3_f32 v104, v0, v1, v155
	v_pk_add_f32 v[0:1], v[18:19], v[38:39]
	s_nop 0
	v_min3_f32 v105, v0, v1, v156
	v_pk_add_f32 v[0:1], v[14:15], v[38:39]
	s_nop 0
	v_min3_f32 v106, v0, v1, v157
	v_pk_add_f32 v[0:1], v[10:11], v[38:39]
	s_nop 0
	v_min3_f32 v107, v0, v1, v158
	v_pk_add_f32 v[0:1], v[6:7], v[38:39]
	s_nop 0
	v_min3_f32 v108, v0, v1, v159
	v_pk_add_f32 v[0:1], v[2:3], v[38:39]
	s_nop 0
	v_min3_f32 v38, v0, v1, v36
	v_pk_add_f32 v[0:1], v[30:31], v[34:35]
	s_nop 0
	v_min3_f32 v39, v0, v1, v28
	v_pk_add_f32 v[0:1], v[26:27], v[34:35]
	s_nop 0
	v_min3_f32 v109, v0, v1, v24
	v_pk_add_f32 v[0:1], v[22:23], v[34:35]
	s_nop 0
	v_min3_f32 v110, v0, v1, v20
	v_pk_add_f32 v[0:1], v[18:19], v[34:35]
	s_nop 0
	v_min3_f32 v111, v0, v1, v16
	v_pk_add_f32 v[0:1], v[14:15], v[34:35]
	s_nop 0
	v_min3_f32 v112, v0, v1, v12
	v_pk_add_f32 v[0:1], v[10:11], v[34:35]
	s_nop 0
	v_min3_f32 v113, v0, v1, v8
	v_pk_add_f32 v[0:1], v[6:7], v[34:35]
	s_nop 0
	v_min3_f32 v114, v0, v1, v4
	v_pk_add_f32 v[0:1], v[2:3], v[34:35]
	s_nop 0
	v_min3_f32 v115, v0, v1, v5
	v_add_u32_e32 v0, 12, v152
	v_cmp_le_i32_e64 s[10:11], s22, v0
	s_or_b64 s[10:11], s[10:11], s[8:9]
	s_nop 0
	v_cndmask_b32_e64 v36, 0, v147, s[10:11]
	s_or_b64 s[10:11], s[28:29], s[10:11]
	s_xor_b64 s[12:13], s[10:11], -1
	s_and_saveexec_b64 s[10:11], s[12:13]
	s_cbranch_execz .LBB57_29
; %bb.49:                               ;   in Loop: Header=BB57_30 Depth=1
	flat_load_dword v0, v[66:67]
	s_waitcnt vmcnt(0) lgkmcnt(0)
	v_mul_f32_e32 v36, s34, v0
	s_branch .LBB57_29
.LBB57_50:
	s_load_dwordx2 s[2:3], s[0:1], 0x78
	s_load_dword s29, s[0:1], 0x58
	s_load_dword s28, s[0:1], 0x70
	ds_read_b128 v[32:35], v73 offset:4096
	ds_read_b128 v[28:31], v73 offset:4608
	;; [unrolled: 1-line block ×16, first 2 shown]
	v_add_u32_e32 v126, s35, v71
	s_waitcnt lgkmcnt(0)
	s_mul_i32 s1, s16, s3
	s_mul_hi_u32 s3, s16, s2
	s_mul_i32 s0, s16, s2
	s_add_i32 s1, s3, s1
	s_lshl_b64 s[0:1], s[0:1], 2
	s_add_u32 s22, s14, s0
	s_addc_u32 s23, s15, s1
	v_mad_i64_i32 v[66:67], s[0:1], v126, s29, 0
	v_add_u32_e32 v64, s17, v70
	v_lshl_add_u64 v[82:83], v[66:67], 2, s[24:25]
	v_mad_i64_i32 v[66:67], s[0:1], v126, s28, 0
	v_cmp_gt_i32_e64 s[18:19], s21, v126
	v_lshl_add_u64 v[80:81], v[66:67], 2, s[22:23]
	v_cmp_gt_i32_e64 s[2:3], s20, v64
	v_cndmask_b32_e64 v66, 0, 1, s[26:27]
	s_and_b64 s[6:7], s[2:3], s[18:19]
	v_ashrrev_i32_e32 v65, 31, v64
	v_cmp_ne_u32_e64 s[0:1], 1, v66
	s_and_saveexec_b64 s[4:5], s[6:7]
	s_cbranch_execz .LBB57_55
; %bb.51:
	s_and_b64 vcc, exec, s[0:1]
	s_cbranch_vccnz .LBB57_53
; %bb.52:
	v_lshl_add_u64 v[66:67], v[64:65], 2, v[82:83]
	flat_load_dword v66, v[66:67]
	s_waitcnt vmcnt(0) lgkmcnt(0)
	v_mul_f32_e32 v66, s33, v66
	s_branch .LBB57_54
.LBB57_53:
	v_mov_b32_e32 v66, 0
.LBB57_54:
	v_pk_add_f32 v[68:69], v[32:33], v[60:61]
	s_nop 0
	v_min3_f32 v67, v68, v69, v145
	v_pk_add_f32 v[68:69], v[34:35], v[62:63]
	s_nop 0
	v_min_f32_e32 v68, v68, v69
	v_min3_f32 v68, v66, v68, v67
	v_lshl_add_u64 v[66:67], v[64:65], 2, v[80:81]
	global_store_dword v[66:67], v68, off
.LBB57_55:
	s_or_b64 exec, exec, s[4:5]
	v_add_u32_e32 v66, 32, v64
	v_cmp_gt_i32_e64 s[4:5], s20, v66
	s_and_b64 s[8:9], s[4:5], s[18:19]
	v_ashrrev_i32_e32 v67, 31, v66
	s_and_saveexec_b64 s[6:7], s[8:9]
	s_cbranch_execz .LBB57_60
; %bb.56:
	s_and_b64 vcc, exec, s[0:1]
	s_cbranch_vccnz .LBB57_58
; %bb.57:
	v_lshl_add_u64 v[68:69], v[66:67], 2, v[82:83]
	flat_load_dword v68, v[68:69]
	s_waitcnt vmcnt(0) lgkmcnt(0)
	v_mul_f32_e32 v68, s33, v68
	s_branch .LBB57_59
.LBB57_58:
	v_mov_b32_e32 v68, 0
.LBB57_59:
	v_pk_add_f32 v[70:71], v[28:29], v[60:61]
	s_nop 0
	v_min3_f32 v69, v70, v71, v144
	v_pk_add_f32 v[70:71], v[30:31], v[62:63]
	s_nop 0
	v_min_f32_e32 v70, v70, v71
	v_min3_f32 v70, v68, v70, v69
	v_lshl_add_u64 v[68:69], v[66:67], 2, v[80:81]
	global_store_dword v[68:69], v70, off
.LBB57_60:
	s_or_b64 exec, exec, s[6:7]
	v_add_u32_e32 v68, 64, v64
	v_cmp_gt_i32_e64 s[6:7], s20, v68
	s_and_b64 s[10:11], s[6:7], s[18:19]
	v_ashrrev_i32_e32 v69, 31, v68
	;; [unrolled: 29-line block ×7, first 2 shown]
	s_and_saveexec_b64 s[18:19], s[26:27]
	s_cbranch_execz .LBB57_90
; %bb.86:
	s_and_b64 vcc, exec, s[0:1]
	s_cbranch_vccnz .LBB57_88
; %bb.87:
	v_lshl_add_u64 v[82:83], v[78:79], 2, v[82:83]
	flat_load_dword v82, v[82:83]
	s_waitcnt vmcnt(0) lgkmcnt(0)
	v_mul_f32_e32 v82, s33, v82
	s_branch .LBB57_89
.LBB57_88:
	v_mov_b32_e32 v82, 0
.LBB57_89:
	v_pk_add_f32 v[60:61], v[0:1], v[60:61]
	s_nop 0
	v_min3_f32 v83, v60, v61, v141
	v_pk_add_f32 v[60:61], v[2:3], v[62:63]
	s_nop 0
	v_min_f32_e32 v60, v60, v61
	v_min3_f32 v62, v82, v60, v83
	v_lshl_add_u64 v[60:61], v[78:79], 2, v[80:81]
	global_store_dword v[60:61], v62, off
.LBB57_90:
	s_or_b64 exec, exec, s[18:19]
	v_add_u32_e32 v80, 8, v126
	v_mad_i64_i32 v[60:61], s[26:27], v80, s29, 0
	v_cmp_gt_i32_e64 s[18:19], s21, v80
	v_lshl_add_u64 v[62:63], v[60:61], 2, s[24:25]
	v_mad_i64_i32 v[60:61], s[26:27], v80, s28, 0
	v_lshl_add_u64 v[60:61], v[60:61], 2, s[22:23]
	s_and_b64 s[30:31], s[2:3], s[18:19]
	s_and_saveexec_b64 s[26:27], s[30:31]
	s_cbranch_execnz .LBB57_98
; %bb.91:
	s_or_b64 exec, exec, s[26:27]
	s_and_b64 s[30:31], s[4:5], s[18:19]
	s_and_saveexec_b64 s[26:27], s[30:31]
	s_cbranch_execnz .LBB57_102
.LBB57_92:
	s_or_b64 exec, exec, s[26:27]
	s_and_b64 s[30:31], s[6:7], s[18:19]
	s_and_saveexec_b64 s[26:27], s[30:31]
	s_cbranch_execnz .LBB57_106
.LBB57_93:
	s_or_b64 exec, exec, s[26:27]
	s_and_b64 s[30:31], s[8:9], s[18:19]
	s_and_saveexec_b64 s[26:27], s[30:31]
	s_cbranch_execnz .LBB57_110
.LBB57_94:
	s_or_b64 exec, exec, s[26:27]
	s_and_b64 s[30:31], s[10:11], s[18:19]
	s_and_saveexec_b64 s[26:27], s[30:31]
	s_cbranch_execnz .LBB57_114
.LBB57_95:
	s_or_b64 exec, exec, s[26:27]
	s_and_b64 s[30:31], s[12:13], s[18:19]
	s_and_saveexec_b64 s[26:27], s[30:31]
	s_cbranch_execnz .LBB57_118
.LBB57_96:
	s_or_b64 exec, exec, s[26:27]
	s_and_b64 s[30:31], s[14:15], s[18:19]
	s_and_saveexec_b64 s[26:27], s[30:31]
	s_cbranch_execnz .LBB57_122
.LBB57_97:
	s_or_b64 exec, exec, s[26:27]
	s_and_b64 s[26:27], s[16:17], s[18:19]
	s_and_saveexec_b64 s[18:19], s[26:27]
	s_cbranch_execnz .LBB57_126
	s_branch .LBB57_130
.LBB57_98:
	s_and_b64 vcc, exec, s[0:1]
	s_cbranch_vccnz .LBB57_100
; %bb.99:
	v_lshl_add_u64 v[80:81], v[64:65], 2, v[62:63]
	flat_load_dword v80, v[80:81]
	s_waitcnt vmcnt(0) lgkmcnt(0)
	v_mul_f32_e32 v80, s33, v80
	s_branch .LBB57_101
.LBB57_100:
	v_mov_b32_e32 v80, 0
.LBB57_101:
	v_pk_add_f32 v[82:83], v[32:33], v[56:57]
	s_nop 0
	v_min3_f32 v81, v82, v83, v140
	v_pk_add_f32 v[82:83], v[34:35], v[58:59]
	s_nop 0
	v_min_f32_e32 v82, v82, v83
	v_min3_f32 v82, v80, v82, v81
	v_lshl_add_u64 v[80:81], v[64:65], 2, v[60:61]
	global_store_dword v[80:81], v82, off
	s_or_b64 exec, exec, s[26:27]
	s_and_b64 s[30:31], s[4:5], s[18:19]
	s_and_saveexec_b64 s[26:27], s[30:31]
	s_cbranch_execz .LBB57_92
.LBB57_102:
	s_and_b64 vcc, exec, s[0:1]
	s_cbranch_vccnz .LBB57_104
; %bb.103:
	v_lshl_add_u64 v[80:81], v[66:67], 2, v[62:63]
	flat_load_dword v80, v[80:81]
	s_waitcnt vmcnt(0) lgkmcnt(0)
	v_mul_f32_e32 v80, s33, v80
	s_branch .LBB57_105
.LBB57_104:
	v_mov_b32_e32 v80, 0
.LBB57_105:
	v_pk_add_f32 v[82:83], v[28:29], v[56:57]
	s_nop 0
	v_min3_f32 v81, v82, v83, v139
	v_pk_add_f32 v[82:83], v[30:31], v[58:59]
	s_nop 0
	v_min_f32_e32 v82, v82, v83
	v_min3_f32 v82, v80, v82, v81
	v_lshl_add_u64 v[80:81], v[66:67], 2, v[60:61]
	global_store_dword v[80:81], v82, off
	s_or_b64 exec, exec, s[26:27]
	s_and_b64 s[30:31], s[6:7], s[18:19]
	s_and_saveexec_b64 s[26:27], s[30:31]
	s_cbranch_execz .LBB57_93
.LBB57_106:
	s_and_b64 vcc, exec, s[0:1]
	s_cbranch_vccnz .LBB57_108
; %bb.107:
	v_lshl_add_u64 v[80:81], v[68:69], 2, v[62:63]
	flat_load_dword v80, v[80:81]
	s_waitcnt vmcnt(0) lgkmcnt(0)
	v_mul_f32_e32 v80, s33, v80
	s_branch .LBB57_109
.LBB57_108:
	v_mov_b32_e32 v80, 0
.LBB57_109:
	v_pk_add_f32 v[82:83], v[24:25], v[56:57]
	s_nop 0
	v_min3_f32 v81, v82, v83, v138
	v_pk_add_f32 v[82:83], v[26:27], v[58:59]
	s_nop 0
	v_min_f32_e32 v82, v82, v83
	v_min3_f32 v82, v80, v82, v81
	v_lshl_add_u64 v[80:81], v[68:69], 2, v[60:61]
	global_store_dword v[80:81], v82, off
	s_or_b64 exec, exec, s[26:27]
	s_and_b64 s[30:31], s[8:9], s[18:19]
	s_and_saveexec_b64 s[26:27], s[30:31]
	s_cbranch_execz .LBB57_94
.LBB57_110:
	s_and_b64 vcc, exec, s[0:1]
	s_cbranch_vccnz .LBB57_112
; %bb.111:
	v_lshl_add_u64 v[80:81], v[70:71], 2, v[62:63]
	flat_load_dword v80, v[80:81]
	s_waitcnt vmcnt(0) lgkmcnt(0)
	v_mul_f32_e32 v80, s33, v80
	s_branch .LBB57_113
.LBB57_112:
	v_mov_b32_e32 v80, 0
.LBB57_113:
	v_pk_add_f32 v[82:83], v[20:21], v[56:57]
	s_nop 0
	v_min3_f32 v81, v82, v83, v137
	v_pk_add_f32 v[82:83], v[22:23], v[58:59]
	s_nop 0
	v_min_f32_e32 v82, v82, v83
	v_min3_f32 v82, v80, v82, v81
	v_lshl_add_u64 v[80:81], v[70:71], 2, v[60:61]
	global_store_dword v[80:81], v82, off
	s_or_b64 exec, exec, s[26:27]
	s_and_b64 s[30:31], s[10:11], s[18:19]
	s_and_saveexec_b64 s[26:27], s[30:31]
	s_cbranch_execz .LBB57_95
.LBB57_114:
	s_and_b64 vcc, exec, s[0:1]
	s_cbranch_vccnz .LBB57_116
; %bb.115:
	v_lshl_add_u64 v[80:81], v[72:73], 2, v[62:63]
	flat_load_dword v80, v[80:81]
	s_waitcnt vmcnt(0) lgkmcnt(0)
	v_mul_f32_e32 v80, s33, v80
	s_branch .LBB57_117
.LBB57_116:
	v_mov_b32_e32 v80, 0
.LBB57_117:
	v_pk_add_f32 v[82:83], v[16:17], v[56:57]
	s_nop 0
	v_min3_f32 v81, v82, v83, v136
	v_pk_add_f32 v[82:83], v[18:19], v[58:59]
	s_nop 0
	v_min_f32_e32 v82, v82, v83
	v_min3_f32 v82, v80, v82, v81
	v_lshl_add_u64 v[80:81], v[72:73], 2, v[60:61]
	global_store_dword v[80:81], v82, off
	s_or_b64 exec, exec, s[26:27]
	s_and_b64 s[30:31], s[12:13], s[18:19]
	s_and_saveexec_b64 s[26:27], s[30:31]
	s_cbranch_execz .LBB57_96
.LBB57_118:
	s_and_b64 vcc, exec, s[0:1]
	s_cbranch_vccnz .LBB57_120
; %bb.119:
	v_lshl_add_u64 v[80:81], v[74:75], 2, v[62:63]
	flat_load_dword v80, v[80:81]
	s_waitcnt vmcnt(0) lgkmcnt(0)
	v_mul_f32_e32 v80, s33, v80
	s_branch .LBB57_121
.LBB57_120:
	v_mov_b32_e32 v80, 0
.LBB57_121:
	v_pk_add_f32 v[82:83], v[12:13], v[56:57]
	s_nop 0
	v_min3_f32 v81, v82, v83, v135
	v_pk_add_f32 v[82:83], v[14:15], v[58:59]
	s_nop 0
	v_min_f32_e32 v82, v82, v83
	v_min3_f32 v82, v80, v82, v81
	v_lshl_add_u64 v[80:81], v[74:75], 2, v[60:61]
	global_store_dword v[80:81], v82, off
	s_or_b64 exec, exec, s[26:27]
	s_and_b64 s[30:31], s[14:15], s[18:19]
	s_and_saveexec_b64 s[26:27], s[30:31]
	s_cbranch_execz .LBB57_97
.LBB57_122:
	s_and_b64 vcc, exec, s[0:1]
	s_cbranch_vccnz .LBB57_124
; %bb.123:
	v_lshl_add_u64 v[80:81], v[76:77], 2, v[62:63]
	flat_load_dword v80, v[80:81]
	s_waitcnt vmcnt(0) lgkmcnt(0)
	v_mul_f32_e32 v80, s33, v80
	s_branch .LBB57_125
.LBB57_124:
	v_mov_b32_e32 v80, 0
.LBB57_125:
	v_pk_add_f32 v[82:83], v[8:9], v[56:57]
	s_nop 0
	v_min3_f32 v81, v82, v83, v134
	v_pk_add_f32 v[82:83], v[10:11], v[58:59]
	s_nop 0
	v_min_f32_e32 v82, v82, v83
	v_min3_f32 v82, v80, v82, v81
	v_lshl_add_u64 v[80:81], v[76:77], 2, v[60:61]
	global_store_dword v[80:81], v82, off
	s_or_b64 exec, exec, s[26:27]
	s_and_b64 s[26:27], s[16:17], s[18:19]
	s_and_saveexec_b64 s[18:19], s[26:27]
	s_cbranch_execz .LBB57_130
.LBB57_126:
	s_and_b64 vcc, exec, s[0:1]
	s_cbranch_vccnz .LBB57_128
; %bb.127:
	v_lshl_add_u64 v[62:63], v[78:79], 2, v[62:63]
	flat_load_dword v62, v[62:63]
	s_waitcnt vmcnt(0) lgkmcnt(0)
	v_mul_f32_e32 v62, s33, v62
	s_branch .LBB57_129
.LBB57_128:
	v_mov_b32_e32 v62, 0
.LBB57_129:
	v_pk_add_f32 v[56:57], v[0:1], v[56:57]
	s_nop 0
	v_min3_f32 v63, v56, v57, v133
	v_pk_add_f32 v[56:57], v[2:3], v[58:59]
	s_nop 0
	v_min_f32_e32 v56, v56, v57
	v_min3_f32 v58, v62, v56, v63
	v_lshl_add_u64 v[56:57], v[78:79], 2, v[60:61]
	global_store_dword v[56:57], v58, off
.LBB57_130:
	s_or_b64 exec, exec, s[18:19]
	v_add_u32_e32 v60, 16, v126
	v_mad_i64_i32 v[56:57], s[26:27], v60, s29, 0
	v_cmp_gt_i32_e64 s[18:19], s21, v60
	v_lshl_add_u64 v[58:59], v[56:57], 2, s[24:25]
	v_mad_i64_i32 v[56:57], s[26:27], v60, s28, 0
	v_lshl_add_u64 v[56:57], v[56:57], 2, s[22:23]
	s_and_b64 s[30:31], s[2:3], s[18:19]
	s_and_saveexec_b64 s[26:27], s[30:31]
	s_cbranch_execnz .LBB57_138
; %bb.131:
	s_or_b64 exec, exec, s[26:27]
	s_and_b64 s[30:31], s[4:5], s[18:19]
	s_and_saveexec_b64 s[26:27], s[30:31]
	s_cbranch_execnz .LBB57_142
.LBB57_132:
	s_or_b64 exec, exec, s[26:27]
	s_and_b64 s[30:31], s[6:7], s[18:19]
	s_and_saveexec_b64 s[26:27], s[30:31]
	s_cbranch_execnz .LBB57_146
.LBB57_133:
	s_or_b64 exec, exec, s[26:27]
	s_and_b64 s[30:31], s[8:9], s[18:19]
	s_and_saveexec_b64 s[26:27], s[30:31]
	s_cbranch_execnz .LBB57_150
.LBB57_134:
	s_or_b64 exec, exec, s[26:27]
	s_and_b64 s[30:31], s[10:11], s[18:19]
	s_and_saveexec_b64 s[26:27], s[30:31]
	s_cbranch_execnz .LBB57_154
.LBB57_135:
	s_or_b64 exec, exec, s[26:27]
	s_and_b64 s[30:31], s[12:13], s[18:19]
	s_and_saveexec_b64 s[26:27], s[30:31]
	s_cbranch_execnz .LBB57_158
.LBB57_136:
	s_or_b64 exec, exec, s[26:27]
	s_and_b64 s[30:31], s[14:15], s[18:19]
	s_and_saveexec_b64 s[26:27], s[30:31]
	s_cbranch_execnz .LBB57_162
.LBB57_137:
	s_or_b64 exec, exec, s[26:27]
	s_and_b64 s[26:27], s[16:17], s[18:19]
	s_and_saveexec_b64 s[18:19], s[26:27]
	s_cbranch_execnz .LBB57_166
	s_branch .LBB57_170
.LBB57_138:
	s_and_b64 vcc, exec, s[0:1]
	s_cbranch_vccnz .LBB57_140
; %bb.139:
	v_lshl_add_u64 v[60:61], v[64:65], 2, v[58:59]
	flat_load_dword v60, v[60:61]
	s_waitcnt vmcnt(0) lgkmcnt(0)
	v_mul_f32_e32 v60, s33, v60
	s_branch .LBB57_141
.LBB57_140:
	v_mov_b32_e32 v60, 0
.LBB57_141:
	v_pk_add_f32 v[62:63], v[32:33], v[52:53]
	s_nop 0
	v_min3_f32 v61, v62, v63, v132
	v_pk_add_f32 v[62:63], v[34:35], v[54:55]
	s_nop 0
	v_min_f32_e32 v62, v62, v63
	v_min3_f32 v62, v60, v62, v61
	v_lshl_add_u64 v[60:61], v[64:65], 2, v[56:57]
	global_store_dword v[60:61], v62, off
	s_or_b64 exec, exec, s[26:27]
	s_and_b64 s[30:31], s[4:5], s[18:19]
	s_and_saveexec_b64 s[26:27], s[30:31]
	s_cbranch_execz .LBB57_132
.LBB57_142:
	s_and_b64 vcc, exec, s[0:1]
	s_cbranch_vccnz .LBB57_144
; %bb.143:
	v_lshl_add_u64 v[60:61], v[66:67], 2, v[58:59]
	flat_load_dword v60, v[60:61]
	s_waitcnt vmcnt(0) lgkmcnt(0)
	v_mul_f32_e32 v60, s33, v60
	s_branch .LBB57_145
.LBB57_144:
	v_mov_b32_e32 v60, 0
.LBB57_145:
	v_pk_add_f32 v[62:63], v[28:29], v[52:53]
	s_nop 0
	v_min3_f32 v61, v62, v63, v131
	v_pk_add_f32 v[62:63], v[30:31], v[54:55]
	s_nop 0
	v_min_f32_e32 v62, v62, v63
	v_min3_f32 v62, v60, v62, v61
	v_lshl_add_u64 v[60:61], v[66:67], 2, v[56:57]
	global_store_dword v[60:61], v62, off
	s_or_b64 exec, exec, s[26:27]
	s_and_b64 s[30:31], s[6:7], s[18:19]
	s_and_saveexec_b64 s[26:27], s[30:31]
	s_cbranch_execz .LBB57_133
.LBB57_146:
	s_and_b64 vcc, exec, s[0:1]
	s_cbranch_vccnz .LBB57_148
; %bb.147:
	v_lshl_add_u64 v[60:61], v[68:69], 2, v[58:59]
	flat_load_dword v60, v[60:61]
	s_waitcnt vmcnt(0) lgkmcnt(0)
	v_mul_f32_e32 v60, s33, v60
	s_branch .LBB57_149
.LBB57_148:
	v_mov_b32_e32 v60, 0
.LBB57_149:
	v_pk_add_f32 v[62:63], v[24:25], v[52:53]
	s_nop 0
	v_min3_f32 v61, v62, v63, v130
	v_pk_add_f32 v[62:63], v[26:27], v[54:55]
	s_nop 0
	v_min_f32_e32 v62, v62, v63
	v_min3_f32 v62, v60, v62, v61
	v_lshl_add_u64 v[60:61], v[68:69], 2, v[56:57]
	global_store_dword v[60:61], v62, off
	s_or_b64 exec, exec, s[26:27]
	s_and_b64 s[30:31], s[8:9], s[18:19]
	s_and_saveexec_b64 s[26:27], s[30:31]
	s_cbranch_execz .LBB57_134
.LBB57_150:
	s_and_b64 vcc, exec, s[0:1]
	s_cbranch_vccnz .LBB57_152
; %bb.151:
	v_lshl_add_u64 v[60:61], v[70:71], 2, v[58:59]
	flat_load_dword v60, v[60:61]
	s_waitcnt vmcnt(0) lgkmcnt(0)
	v_mul_f32_e32 v60, s33, v60
	s_branch .LBB57_153
.LBB57_152:
	v_mov_b32_e32 v60, 0
.LBB57_153:
	v_pk_add_f32 v[62:63], v[20:21], v[52:53]
	s_nop 0
	v_min3_f32 v61, v62, v63, v129
	v_pk_add_f32 v[62:63], v[22:23], v[54:55]
	s_nop 0
	v_min_f32_e32 v62, v62, v63
	v_min3_f32 v62, v60, v62, v61
	v_lshl_add_u64 v[60:61], v[70:71], 2, v[56:57]
	global_store_dword v[60:61], v62, off
	s_or_b64 exec, exec, s[26:27]
	s_and_b64 s[30:31], s[10:11], s[18:19]
	s_and_saveexec_b64 s[26:27], s[30:31]
	s_cbranch_execz .LBB57_135
.LBB57_154:
	s_and_b64 vcc, exec, s[0:1]
	s_cbranch_vccnz .LBB57_156
; %bb.155:
	v_lshl_add_u64 v[60:61], v[72:73], 2, v[58:59]
	flat_load_dword v60, v[60:61]
	s_waitcnt vmcnt(0) lgkmcnt(0)
	v_mul_f32_e32 v60, s33, v60
	s_branch .LBB57_157
.LBB57_156:
	v_mov_b32_e32 v60, 0
.LBB57_157:
	v_pk_add_f32 v[62:63], v[16:17], v[52:53]
	s_nop 0
	v_min3_f32 v61, v62, v63, v128
	v_pk_add_f32 v[62:63], v[18:19], v[54:55]
	s_nop 0
	v_min_f32_e32 v62, v62, v63
	v_min3_f32 v62, v60, v62, v61
	v_lshl_add_u64 v[60:61], v[72:73], 2, v[56:57]
	global_store_dword v[60:61], v62, off
	s_or_b64 exec, exec, s[26:27]
	s_and_b64 s[30:31], s[12:13], s[18:19]
	s_and_saveexec_b64 s[26:27], s[30:31]
	s_cbranch_execz .LBB57_136
.LBB57_158:
	s_and_b64 vcc, exec, s[0:1]
	s_cbranch_vccnz .LBB57_160
; %bb.159:
	v_lshl_add_u64 v[60:61], v[74:75], 2, v[58:59]
	flat_load_dword v60, v[60:61]
	s_waitcnt vmcnt(0) lgkmcnt(0)
	v_mul_f32_e32 v60, s33, v60
	s_branch .LBB57_161
.LBB57_160:
	v_mov_b32_e32 v60, 0
.LBB57_161:
	v_pk_add_f32 v[62:63], v[12:13], v[52:53]
	s_nop 0
	v_min3_f32 v61, v62, v63, v125
	v_pk_add_f32 v[62:63], v[14:15], v[54:55]
	s_nop 0
	v_min_f32_e32 v62, v62, v63
	v_min3_f32 v62, v60, v62, v61
	v_lshl_add_u64 v[60:61], v[74:75], 2, v[56:57]
	global_store_dword v[60:61], v62, off
	s_or_b64 exec, exec, s[26:27]
	s_and_b64 s[30:31], s[14:15], s[18:19]
	s_and_saveexec_b64 s[26:27], s[30:31]
	s_cbranch_execz .LBB57_137
.LBB57_162:
	s_and_b64 vcc, exec, s[0:1]
	s_cbranch_vccnz .LBB57_164
; %bb.163:
	v_lshl_add_u64 v[60:61], v[76:77], 2, v[58:59]
	flat_load_dword v60, v[60:61]
	s_waitcnt vmcnt(0) lgkmcnt(0)
	v_mul_f32_e32 v60, s33, v60
	s_branch .LBB57_165
.LBB57_164:
	v_mov_b32_e32 v60, 0
.LBB57_165:
	v_pk_add_f32 v[62:63], v[8:9], v[52:53]
	s_nop 0
	v_min3_f32 v61, v62, v63, v123
	v_pk_add_f32 v[62:63], v[10:11], v[54:55]
	s_nop 0
	v_min_f32_e32 v62, v62, v63
	v_min3_f32 v62, v60, v62, v61
	v_lshl_add_u64 v[60:61], v[76:77], 2, v[56:57]
	global_store_dword v[60:61], v62, off
	s_or_b64 exec, exec, s[26:27]
	s_and_b64 s[26:27], s[16:17], s[18:19]
	s_and_saveexec_b64 s[18:19], s[26:27]
	s_cbranch_execz .LBB57_170
.LBB57_166:
	s_and_b64 vcc, exec, s[0:1]
	s_cbranch_vccnz .LBB57_168
; %bb.167:
	v_lshl_add_u64 v[58:59], v[78:79], 2, v[58:59]
	flat_load_dword v58, v[58:59]
	s_waitcnt vmcnt(0) lgkmcnt(0)
	v_mul_f32_e32 v58, s33, v58
	s_branch .LBB57_169
.LBB57_168:
	v_mov_b32_e32 v58, 0
.LBB57_169:
	v_pk_add_f32 v[52:53], v[0:1], v[52:53]
	s_nop 0
	v_min3_f32 v59, v52, v53, v127
	v_pk_add_f32 v[52:53], v[2:3], v[54:55]
	s_nop 0
	v_min_f32_e32 v52, v52, v53
	v_min3_f32 v54, v58, v52, v59
	v_lshl_add_u64 v[52:53], v[78:79], 2, v[56:57]
	global_store_dword v[52:53], v54, off
.LBB57_170:
	s_or_b64 exec, exec, s[18:19]
	v_add_u32_e32 v56, 24, v126
	v_mad_i64_i32 v[52:53], s[26:27], v56, s29, 0
	v_cmp_gt_i32_e64 s[18:19], s21, v56
	v_lshl_add_u64 v[54:55], v[52:53], 2, s[24:25]
	v_mad_i64_i32 v[52:53], s[26:27], v56, s28, 0
	v_lshl_add_u64 v[52:53], v[52:53], 2, s[22:23]
	s_and_b64 s[30:31], s[2:3], s[18:19]
	s_and_saveexec_b64 s[26:27], s[30:31]
	s_cbranch_execnz .LBB57_178
; %bb.171:
	s_or_b64 exec, exec, s[26:27]
	s_and_b64 s[30:31], s[4:5], s[18:19]
	s_and_saveexec_b64 s[26:27], s[30:31]
	s_cbranch_execnz .LBB57_182
.LBB57_172:
	s_or_b64 exec, exec, s[26:27]
	s_and_b64 s[30:31], s[6:7], s[18:19]
	s_and_saveexec_b64 s[26:27], s[30:31]
	s_cbranch_execnz .LBB57_186
.LBB57_173:
	s_or_b64 exec, exec, s[26:27]
	s_and_b64 s[30:31], s[8:9], s[18:19]
	s_and_saveexec_b64 s[26:27], s[30:31]
	s_cbranch_execnz .LBB57_190
.LBB57_174:
	s_or_b64 exec, exec, s[26:27]
	s_and_b64 s[30:31], s[10:11], s[18:19]
	s_and_saveexec_b64 s[26:27], s[30:31]
	s_cbranch_execnz .LBB57_194
.LBB57_175:
	s_or_b64 exec, exec, s[26:27]
	s_and_b64 s[30:31], s[12:13], s[18:19]
	s_and_saveexec_b64 s[26:27], s[30:31]
	s_cbranch_execnz .LBB57_198
.LBB57_176:
	s_or_b64 exec, exec, s[26:27]
	s_and_b64 s[30:31], s[14:15], s[18:19]
	s_and_saveexec_b64 s[26:27], s[30:31]
	s_cbranch_execnz .LBB57_202
.LBB57_177:
	s_or_b64 exec, exec, s[26:27]
	s_and_b64 s[26:27], s[16:17], s[18:19]
	s_and_saveexec_b64 s[18:19], s[26:27]
	s_cbranch_execnz .LBB57_206
	s_branch .LBB57_210
.LBB57_178:
	s_and_b64 vcc, exec, s[0:1]
	s_cbranch_vccnz .LBB57_180
; %bb.179:
	v_lshl_add_u64 v[56:57], v[64:65], 2, v[54:55]
	flat_load_dword v56, v[56:57]
	s_waitcnt vmcnt(0) lgkmcnt(0)
	v_mul_f32_e32 v56, s33, v56
	s_branch .LBB57_181
.LBB57_180:
	v_mov_b32_e32 v56, 0
.LBB57_181:
	v_pk_add_f32 v[58:59], v[32:33], v[48:49]
	s_nop 0
	v_min3_f32 v57, v58, v59, v124
	v_pk_add_f32 v[58:59], v[34:35], v[50:51]
	s_nop 0
	v_min_f32_e32 v58, v58, v59
	v_min3_f32 v58, v56, v58, v57
	v_lshl_add_u64 v[56:57], v[64:65], 2, v[52:53]
	global_store_dword v[56:57], v58, off
	s_or_b64 exec, exec, s[26:27]
	s_and_b64 s[30:31], s[4:5], s[18:19]
	s_and_saveexec_b64 s[26:27], s[30:31]
	s_cbranch_execz .LBB57_172
.LBB57_182:
	s_and_b64 vcc, exec, s[0:1]
	s_cbranch_vccnz .LBB57_184
; %bb.183:
	v_lshl_add_u64 v[56:57], v[66:67], 2, v[54:55]
	flat_load_dword v56, v[56:57]
	s_waitcnt vmcnt(0) lgkmcnt(0)
	v_mul_f32_e32 v56, s33, v56
	s_branch .LBB57_185
.LBB57_184:
	v_mov_b32_e32 v56, 0
.LBB57_185:
	v_pk_add_f32 v[58:59], v[28:29], v[48:49]
	s_nop 0
	v_min3_f32 v57, v58, v59, v122
	v_pk_add_f32 v[58:59], v[30:31], v[50:51]
	s_nop 0
	v_min_f32_e32 v58, v58, v59
	v_min3_f32 v58, v56, v58, v57
	v_lshl_add_u64 v[56:57], v[66:67], 2, v[52:53]
	global_store_dword v[56:57], v58, off
	s_or_b64 exec, exec, s[26:27]
	s_and_b64 s[30:31], s[6:7], s[18:19]
	s_and_saveexec_b64 s[26:27], s[30:31]
	s_cbranch_execz .LBB57_173
.LBB57_186:
	s_and_b64 vcc, exec, s[0:1]
	s_cbranch_vccnz .LBB57_188
; %bb.187:
	v_lshl_add_u64 v[56:57], v[68:69], 2, v[54:55]
	flat_load_dword v56, v[56:57]
	s_waitcnt vmcnt(0) lgkmcnt(0)
	v_mul_f32_e32 v56, s33, v56
	s_branch .LBB57_189
.LBB57_188:
	v_mov_b32_e32 v56, 0
.LBB57_189:
	v_pk_add_f32 v[58:59], v[24:25], v[48:49]
	s_nop 0
	v_min3_f32 v57, v58, v59, v121
	v_pk_add_f32 v[58:59], v[26:27], v[50:51]
	s_nop 0
	v_min_f32_e32 v58, v58, v59
	v_min3_f32 v58, v56, v58, v57
	v_lshl_add_u64 v[56:57], v[68:69], 2, v[52:53]
	global_store_dword v[56:57], v58, off
	s_or_b64 exec, exec, s[26:27]
	s_and_b64 s[30:31], s[8:9], s[18:19]
	s_and_saveexec_b64 s[26:27], s[30:31]
	s_cbranch_execz .LBB57_174
.LBB57_190:
	s_and_b64 vcc, exec, s[0:1]
	s_cbranch_vccnz .LBB57_192
; %bb.191:
	v_lshl_add_u64 v[56:57], v[70:71], 2, v[54:55]
	flat_load_dword v56, v[56:57]
	s_waitcnt vmcnt(0) lgkmcnt(0)
	v_mul_f32_e32 v56, s33, v56
	s_branch .LBB57_193
.LBB57_192:
	v_mov_b32_e32 v56, 0
.LBB57_193:
	v_pk_add_f32 v[58:59], v[20:21], v[48:49]
	s_nop 0
	v_min3_f32 v57, v58, v59, v120
	v_pk_add_f32 v[58:59], v[22:23], v[50:51]
	s_nop 0
	v_min_f32_e32 v58, v58, v59
	v_min3_f32 v58, v56, v58, v57
	v_lshl_add_u64 v[56:57], v[70:71], 2, v[52:53]
	global_store_dword v[56:57], v58, off
	s_or_b64 exec, exec, s[26:27]
	s_and_b64 s[30:31], s[10:11], s[18:19]
	s_and_saveexec_b64 s[26:27], s[30:31]
	s_cbranch_execz .LBB57_175
.LBB57_194:
	s_and_b64 vcc, exec, s[0:1]
	s_cbranch_vccnz .LBB57_196
; %bb.195:
	v_lshl_add_u64 v[56:57], v[72:73], 2, v[54:55]
	flat_load_dword v56, v[56:57]
	s_waitcnt vmcnt(0) lgkmcnt(0)
	v_mul_f32_e32 v56, s33, v56
	s_branch .LBB57_197
.LBB57_196:
	v_mov_b32_e32 v56, 0
.LBB57_197:
	v_pk_add_f32 v[58:59], v[16:17], v[48:49]
	s_nop 0
	v_min3_f32 v57, v58, v59, v119
	v_pk_add_f32 v[58:59], v[18:19], v[50:51]
	s_nop 0
	v_min_f32_e32 v58, v58, v59
	v_min3_f32 v58, v56, v58, v57
	v_lshl_add_u64 v[56:57], v[72:73], 2, v[52:53]
	global_store_dword v[56:57], v58, off
	s_or_b64 exec, exec, s[26:27]
	s_and_b64 s[30:31], s[12:13], s[18:19]
	s_and_saveexec_b64 s[26:27], s[30:31]
	s_cbranch_execz .LBB57_176
.LBB57_198:
	s_and_b64 vcc, exec, s[0:1]
	s_cbranch_vccnz .LBB57_200
; %bb.199:
	v_lshl_add_u64 v[56:57], v[74:75], 2, v[54:55]
	flat_load_dword v56, v[56:57]
	s_waitcnt vmcnt(0) lgkmcnt(0)
	v_mul_f32_e32 v56, s33, v56
	s_branch .LBB57_201
.LBB57_200:
	v_mov_b32_e32 v56, 0
.LBB57_201:
	v_pk_add_f32 v[58:59], v[12:13], v[48:49]
	s_nop 0
	v_min3_f32 v57, v58, v59, v118
	v_pk_add_f32 v[58:59], v[14:15], v[50:51]
	s_nop 0
	v_min_f32_e32 v58, v58, v59
	v_min3_f32 v58, v56, v58, v57
	v_lshl_add_u64 v[56:57], v[74:75], 2, v[52:53]
	global_store_dword v[56:57], v58, off
	s_or_b64 exec, exec, s[26:27]
	s_and_b64 s[30:31], s[14:15], s[18:19]
	s_and_saveexec_b64 s[26:27], s[30:31]
	s_cbranch_execz .LBB57_177
.LBB57_202:
	s_and_b64 vcc, exec, s[0:1]
	s_cbranch_vccnz .LBB57_204
; %bb.203:
	v_lshl_add_u64 v[56:57], v[76:77], 2, v[54:55]
	flat_load_dword v56, v[56:57]
	s_waitcnt vmcnt(0) lgkmcnt(0)
	v_mul_f32_e32 v56, s33, v56
	s_branch .LBB57_205
.LBB57_204:
	v_mov_b32_e32 v56, 0
.LBB57_205:
	v_pk_add_f32 v[58:59], v[8:9], v[48:49]
	s_nop 0
	v_min3_f32 v57, v58, v59, v117
	v_pk_add_f32 v[58:59], v[10:11], v[50:51]
	s_nop 0
	v_min_f32_e32 v58, v58, v59
	v_min3_f32 v58, v56, v58, v57
	v_lshl_add_u64 v[56:57], v[76:77], 2, v[52:53]
	global_store_dword v[56:57], v58, off
	s_or_b64 exec, exec, s[26:27]
	s_and_b64 s[26:27], s[16:17], s[18:19]
	s_and_saveexec_b64 s[18:19], s[26:27]
	s_cbranch_execz .LBB57_210
.LBB57_206:
	s_and_b64 vcc, exec, s[0:1]
	s_cbranch_vccnz .LBB57_208
; %bb.207:
	v_lshl_add_u64 v[54:55], v[78:79], 2, v[54:55]
	flat_load_dword v54, v[54:55]
	s_waitcnt vmcnt(0) lgkmcnt(0)
	v_mul_f32_e32 v54, s33, v54
	s_branch .LBB57_209
.LBB57_208:
	v_mov_b32_e32 v54, 0
.LBB57_209:
	v_pk_add_f32 v[48:49], v[0:1], v[48:49]
	s_nop 0
	v_min3_f32 v55, v48, v49, v116
	v_pk_add_f32 v[48:49], v[2:3], v[50:51]
	s_nop 0
	v_min_f32_e32 v48, v48, v49
	v_min3_f32 v50, v54, v48, v55
	v_lshl_add_u64 v[48:49], v[78:79], 2, v[52:53]
	global_store_dword v[48:49], v50, off
.LBB57_210:
	s_or_b64 exec, exec, s[18:19]
	v_add_u32_e32 v52, 32, v126
	v_mad_i64_i32 v[48:49], s[26:27], v52, s29, 0
	v_cmp_gt_i32_e64 s[18:19], s21, v52
	v_lshl_add_u64 v[50:51], v[48:49], 2, s[24:25]
	v_mad_i64_i32 v[48:49], s[26:27], v52, s28, 0
	v_lshl_add_u64 v[48:49], v[48:49], 2, s[22:23]
	s_and_b64 s[30:31], s[2:3], s[18:19]
	s_and_saveexec_b64 s[26:27], s[30:31]
	s_cbranch_execnz .LBB57_218
; %bb.211:
	s_or_b64 exec, exec, s[26:27]
	s_and_b64 s[30:31], s[4:5], s[18:19]
	s_and_saveexec_b64 s[26:27], s[30:31]
	s_cbranch_execnz .LBB57_222
.LBB57_212:
	s_or_b64 exec, exec, s[26:27]
	s_and_b64 s[30:31], s[6:7], s[18:19]
	s_and_saveexec_b64 s[26:27], s[30:31]
	s_cbranch_execnz .LBB57_226
.LBB57_213:
	s_or_b64 exec, exec, s[26:27]
	s_and_b64 s[30:31], s[8:9], s[18:19]
	s_and_saveexec_b64 s[26:27], s[30:31]
	s_cbranch_execnz .LBB57_230
.LBB57_214:
	s_or_b64 exec, exec, s[26:27]
	s_and_b64 s[30:31], s[10:11], s[18:19]
	s_and_saveexec_b64 s[26:27], s[30:31]
	s_cbranch_execnz .LBB57_234
.LBB57_215:
	s_or_b64 exec, exec, s[26:27]
	s_and_b64 s[30:31], s[12:13], s[18:19]
	s_and_saveexec_b64 s[26:27], s[30:31]
	s_cbranch_execnz .LBB57_238
.LBB57_216:
	s_or_b64 exec, exec, s[26:27]
	s_and_b64 s[30:31], s[14:15], s[18:19]
	s_and_saveexec_b64 s[26:27], s[30:31]
	s_cbranch_execnz .LBB57_242
.LBB57_217:
	s_or_b64 exec, exec, s[26:27]
	s_and_b64 s[26:27], s[16:17], s[18:19]
	s_and_saveexec_b64 s[18:19], s[26:27]
	s_cbranch_execnz .LBB57_246
	s_branch .LBB57_250
.LBB57_218:
	s_and_b64 vcc, exec, s[0:1]
	s_cbranch_vccnz .LBB57_220
; %bb.219:
	v_lshl_add_u64 v[52:53], v[64:65], 2, v[50:51]
	flat_load_dword v52, v[52:53]
	s_waitcnt vmcnt(0) lgkmcnt(0)
	v_mul_f32_e32 v52, s33, v52
	s_branch .LBB57_221
.LBB57_220:
	v_mov_b32_e32 v52, 0
.LBB57_221:
	v_pk_add_f32 v[54:55], v[32:33], v[44:45]
	s_nop 0
	v_min3_f32 v53, v54, v55, v115
	v_pk_add_f32 v[54:55], v[34:35], v[46:47]
	s_nop 0
	v_min_f32_e32 v54, v54, v55
	v_min3_f32 v54, v52, v54, v53
	v_lshl_add_u64 v[52:53], v[64:65], 2, v[48:49]
	global_store_dword v[52:53], v54, off
	s_or_b64 exec, exec, s[26:27]
	s_and_b64 s[30:31], s[4:5], s[18:19]
	s_and_saveexec_b64 s[26:27], s[30:31]
	s_cbranch_execz .LBB57_212
.LBB57_222:
	s_and_b64 vcc, exec, s[0:1]
	s_cbranch_vccnz .LBB57_224
; %bb.223:
	v_lshl_add_u64 v[52:53], v[66:67], 2, v[50:51]
	flat_load_dword v52, v[52:53]
	s_waitcnt vmcnt(0) lgkmcnt(0)
	v_mul_f32_e32 v52, s33, v52
	s_branch .LBB57_225
.LBB57_224:
	v_mov_b32_e32 v52, 0
.LBB57_225:
	v_pk_add_f32 v[54:55], v[28:29], v[44:45]
	s_nop 0
	v_min3_f32 v53, v54, v55, v114
	v_pk_add_f32 v[54:55], v[30:31], v[46:47]
	s_nop 0
	v_min_f32_e32 v54, v54, v55
	v_min3_f32 v54, v52, v54, v53
	v_lshl_add_u64 v[52:53], v[66:67], 2, v[48:49]
	global_store_dword v[52:53], v54, off
	s_or_b64 exec, exec, s[26:27]
	s_and_b64 s[30:31], s[6:7], s[18:19]
	s_and_saveexec_b64 s[26:27], s[30:31]
	s_cbranch_execz .LBB57_213
.LBB57_226:
	s_and_b64 vcc, exec, s[0:1]
	s_cbranch_vccnz .LBB57_228
; %bb.227:
	v_lshl_add_u64 v[52:53], v[68:69], 2, v[50:51]
	flat_load_dword v52, v[52:53]
	s_waitcnt vmcnt(0) lgkmcnt(0)
	v_mul_f32_e32 v52, s33, v52
	s_branch .LBB57_229
.LBB57_228:
	v_mov_b32_e32 v52, 0
.LBB57_229:
	v_pk_add_f32 v[54:55], v[24:25], v[44:45]
	s_nop 0
	v_min3_f32 v53, v54, v55, v113
	v_pk_add_f32 v[54:55], v[26:27], v[46:47]
	s_nop 0
	v_min_f32_e32 v54, v54, v55
	v_min3_f32 v54, v52, v54, v53
	v_lshl_add_u64 v[52:53], v[68:69], 2, v[48:49]
	global_store_dword v[52:53], v54, off
	s_or_b64 exec, exec, s[26:27]
	s_and_b64 s[30:31], s[8:9], s[18:19]
	s_and_saveexec_b64 s[26:27], s[30:31]
	s_cbranch_execz .LBB57_214
.LBB57_230:
	s_and_b64 vcc, exec, s[0:1]
	s_cbranch_vccnz .LBB57_232
; %bb.231:
	v_lshl_add_u64 v[52:53], v[70:71], 2, v[50:51]
	flat_load_dword v52, v[52:53]
	s_waitcnt vmcnt(0) lgkmcnt(0)
	v_mul_f32_e32 v52, s33, v52
	s_branch .LBB57_233
.LBB57_232:
	v_mov_b32_e32 v52, 0
.LBB57_233:
	v_pk_add_f32 v[54:55], v[20:21], v[44:45]
	s_nop 0
	v_min3_f32 v53, v54, v55, v112
	v_pk_add_f32 v[54:55], v[22:23], v[46:47]
	s_nop 0
	v_min_f32_e32 v54, v54, v55
	v_min3_f32 v54, v52, v54, v53
	v_lshl_add_u64 v[52:53], v[70:71], 2, v[48:49]
	global_store_dword v[52:53], v54, off
	s_or_b64 exec, exec, s[26:27]
	s_and_b64 s[30:31], s[10:11], s[18:19]
	s_and_saveexec_b64 s[26:27], s[30:31]
	s_cbranch_execz .LBB57_215
.LBB57_234:
	s_and_b64 vcc, exec, s[0:1]
	s_cbranch_vccnz .LBB57_236
; %bb.235:
	v_lshl_add_u64 v[52:53], v[72:73], 2, v[50:51]
	flat_load_dword v52, v[52:53]
	s_waitcnt vmcnt(0) lgkmcnt(0)
	v_mul_f32_e32 v52, s33, v52
	s_branch .LBB57_237
.LBB57_236:
	v_mov_b32_e32 v52, 0
.LBB57_237:
	v_pk_add_f32 v[54:55], v[16:17], v[44:45]
	s_nop 0
	v_min3_f32 v53, v54, v55, v111
	v_pk_add_f32 v[54:55], v[18:19], v[46:47]
	s_nop 0
	v_min_f32_e32 v54, v54, v55
	v_min3_f32 v54, v52, v54, v53
	v_lshl_add_u64 v[52:53], v[72:73], 2, v[48:49]
	global_store_dword v[52:53], v54, off
	s_or_b64 exec, exec, s[26:27]
	s_and_b64 s[30:31], s[12:13], s[18:19]
	s_and_saveexec_b64 s[26:27], s[30:31]
	s_cbranch_execz .LBB57_216
.LBB57_238:
	s_and_b64 vcc, exec, s[0:1]
	s_cbranch_vccnz .LBB57_240
; %bb.239:
	v_lshl_add_u64 v[52:53], v[74:75], 2, v[50:51]
	flat_load_dword v52, v[52:53]
	s_waitcnt vmcnt(0) lgkmcnt(0)
	v_mul_f32_e32 v52, s33, v52
	s_branch .LBB57_241
.LBB57_240:
	v_mov_b32_e32 v52, 0
.LBB57_241:
	v_pk_add_f32 v[54:55], v[12:13], v[44:45]
	s_nop 0
	v_min3_f32 v53, v54, v55, v110
	v_pk_add_f32 v[54:55], v[14:15], v[46:47]
	s_nop 0
	v_min_f32_e32 v54, v54, v55
	v_min3_f32 v54, v52, v54, v53
	v_lshl_add_u64 v[52:53], v[74:75], 2, v[48:49]
	global_store_dword v[52:53], v54, off
	s_or_b64 exec, exec, s[26:27]
	s_and_b64 s[30:31], s[14:15], s[18:19]
	s_and_saveexec_b64 s[26:27], s[30:31]
	s_cbranch_execz .LBB57_217
.LBB57_242:
	s_and_b64 vcc, exec, s[0:1]
	s_cbranch_vccnz .LBB57_244
; %bb.243:
	v_lshl_add_u64 v[52:53], v[76:77], 2, v[50:51]
	flat_load_dword v52, v[52:53]
	s_waitcnt vmcnt(0) lgkmcnt(0)
	v_mul_f32_e32 v52, s33, v52
	s_branch .LBB57_245
.LBB57_244:
	v_mov_b32_e32 v52, 0
.LBB57_245:
	v_pk_add_f32 v[54:55], v[8:9], v[44:45]
	s_nop 0
	v_min3_f32 v53, v54, v55, v109
	v_pk_add_f32 v[54:55], v[10:11], v[46:47]
	s_nop 0
	v_min_f32_e32 v54, v54, v55
	v_min3_f32 v54, v52, v54, v53
	v_lshl_add_u64 v[52:53], v[76:77], 2, v[48:49]
	global_store_dword v[52:53], v54, off
	s_or_b64 exec, exec, s[26:27]
	s_and_b64 s[26:27], s[16:17], s[18:19]
	s_and_saveexec_b64 s[18:19], s[26:27]
	s_cbranch_execz .LBB57_250
.LBB57_246:
	s_and_b64 vcc, exec, s[0:1]
	s_cbranch_vccnz .LBB57_248
; %bb.247:
	v_lshl_add_u64 v[50:51], v[78:79], 2, v[50:51]
	flat_load_dword v50, v[50:51]
	s_waitcnt vmcnt(0) lgkmcnt(0)
	v_mul_f32_e32 v50, s33, v50
	s_branch .LBB57_249
.LBB57_248:
	v_mov_b32_e32 v50, 0
.LBB57_249:
	v_pk_add_f32 v[44:45], v[0:1], v[44:45]
	s_nop 0
	v_min3_f32 v51, v44, v45, v108
	v_pk_add_f32 v[44:45], v[2:3], v[46:47]
	s_nop 0
	v_min_f32_e32 v44, v44, v45
	v_min3_f32 v46, v50, v44, v51
	v_lshl_add_u64 v[44:45], v[78:79], 2, v[48:49]
	global_store_dword v[44:45], v46, off
.LBB57_250:
	s_or_b64 exec, exec, s[18:19]
	v_add_u32_e32 v48, 40, v126
	v_mad_i64_i32 v[44:45], s[26:27], v48, s29, 0
	v_cmp_gt_i32_e64 s[18:19], s21, v48
	v_lshl_add_u64 v[46:47], v[44:45], 2, s[24:25]
	v_mad_i64_i32 v[44:45], s[26:27], v48, s28, 0
	v_lshl_add_u64 v[44:45], v[44:45], 2, s[22:23]
	s_and_b64 s[30:31], s[2:3], s[18:19]
	s_and_saveexec_b64 s[26:27], s[30:31]
	s_cbranch_execnz .LBB57_258
; %bb.251:
	s_or_b64 exec, exec, s[26:27]
	s_and_b64 s[30:31], s[4:5], s[18:19]
	s_and_saveexec_b64 s[26:27], s[30:31]
	s_cbranch_execnz .LBB57_262
.LBB57_252:
	s_or_b64 exec, exec, s[26:27]
	s_and_b64 s[30:31], s[6:7], s[18:19]
	s_and_saveexec_b64 s[26:27], s[30:31]
	s_cbranch_execnz .LBB57_266
.LBB57_253:
	s_or_b64 exec, exec, s[26:27]
	s_and_b64 s[30:31], s[8:9], s[18:19]
	s_and_saveexec_b64 s[26:27], s[30:31]
	s_cbranch_execnz .LBB57_270
.LBB57_254:
	s_or_b64 exec, exec, s[26:27]
	s_and_b64 s[30:31], s[10:11], s[18:19]
	s_and_saveexec_b64 s[26:27], s[30:31]
	s_cbranch_execnz .LBB57_274
.LBB57_255:
	s_or_b64 exec, exec, s[26:27]
	s_and_b64 s[30:31], s[12:13], s[18:19]
	s_and_saveexec_b64 s[26:27], s[30:31]
	s_cbranch_execnz .LBB57_278
.LBB57_256:
	s_or_b64 exec, exec, s[26:27]
	s_and_b64 s[30:31], s[14:15], s[18:19]
	s_and_saveexec_b64 s[26:27], s[30:31]
	s_cbranch_execnz .LBB57_282
.LBB57_257:
	s_or_b64 exec, exec, s[26:27]
	s_and_b64 s[26:27], s[16:17], s[18:19]
	s_and_saveexec_b64 s[18:19], s[26:27]
	s_cbranch_execnz .LBB57_286
	s_branch .LBB57_290
.LBB57_258:
	s_and_b64 vcc, exec, s[0:1]
	s_cbranch_vccnz .LBB57_260
; %bb.259:
	v_lshl_add_u64 v[48:49], v[64:65], 2, v[46:47]
	flat_load_dword v48, v[48:49]
	s_waitcnt vmcnt(0) lgkmcnt(0)
	v_mul_f32_e32 v48, s33, v48
	s_branch .LBB57_261
.LBB57_260:
	v_mov_b32_e32 v48, 0
.LBB57_261:
	v_pk_add_f32 v[50:51], v[32:33], v[40:41]
	s_nop 0
	v_min3_f32 v49, v50, v51, v107
	v_pk_add_f32 v[50:51], v[34:35], v[42:43]
	s_nop 0
	v_min_f32_e32 v50, v50, v51
	v_min3_f32 v50, v48, v50, v49
	v_lshl_add_u64 v[48:49], v[64:65], 2, v[44:45]
	global_store_dword v[48:49], v50, off
	s_or_b64 exec, exec, s[26:27]
	s_and_b64 s[30:31], s[4:5], s[18:19]
	s_and_saveexec_b64 s[26:27], s[30:31]
	s_cbranch_execz .LBB57_252
.LBB57_262:
	s_and_b64 vcc, exec, s[0:1]
	s_cbranch_vccnz .LBB57_264
; %bb.263:
	v_lshl_add_u64 v[48:49], v[66:67], 2, v[46:47]
	flat_load_dword v48, v[48:49]
	s_waitcnt vmcnt(0) lgkmcnt(0)
	v_mul_f32_e32 v48, s33, v48
	s_branch .LBB57_265
.LBB57_264:
	v_mov_b32_e32 v48, 0
.LBB57_265:
	v_pk_add_f32 v[50:51], v[28:29], v[40:41]
	s_nop 0
	v_min3_f32 v49, v50, v51, v106
	v_pk_add_f32 v[50:51], v[30:31], v[42:43]
	s_nop 0
	v_min_f32_e32 v50, v50, v51
	v_min3_f32 v50, v48, v50, v49
	v_lshl_add_u64 v[48:49], v[66:67], 2, v[44:45]
	global_store_dword v[48:49], v50, off
	s_or_b64 exec, exec, s[26:27]
	s_and_b64 s[30:31], s[6:7], s[18:19]
	s_and_saveexec_b64 s[26:27], s[30:31]
	s_cbranch_execz .LBB57_253
.LBB57_266:
	s_and_b64 vcc, exec, s[0:1]
	s_cbranch_vccnz .LBB57_268
; %bb.267:
	v_lshl_add_u64 v[48:49], v[68:69], 2, v[46:47]
	flat_load_dword v48, v[48:49]
	s_waitcnt vmcnt(0) lgkmcnt(0)
	v_mul_f32_e32 v48, s33, v48
	s_branch .LBB57_269
.LBB57_268:
	v_mov_b32_e32 v48, 0
.LBB57_269:
	v_pk_add_f32 v[50:51], v[24:25], v[40:41]
	s_nop 0
	v_min3_f32 v49, v50, v51, v105
	v_pk_add_f32 v[50:51], v[26:27], v[42:43]
	s_nop 0
	v_min_f32_e32 v50, v50, v51
	v_min3_f32 v50, v48, v50, v49
	v_lshl_add_u64 v[48:49], v[68:69], 2, v[44:45]
	global_store_dword v[48:49], v50, off
	s_or_b64 exec, exec, s[26:27]
	s_and_b64 s[30:31], s[8:9], s[18:19]
	s_and_saveexec_b64 s[26:27], s[30:31]
	s_cbranch_execz .LBB57_254
.LBB57_270:
	s_and_b64 vcc, exec, s[0:1]
	s_cbranch_vccnz .LBB57_272
; %bb.271:
	v_lshl_add_u64 v[48:49], v[70:71], 2, v[46:47]
	flat_load_dword v48, v[48:49]
	s_waitcnt vmcnt(0) lgkmcnt(0)
	v_mul_f32_e32 v48, s33, v48
	s_branch .LBB57_273
.LBB57_272:
	v_mov_b32_e32 v48, 0
.LBB57_273:
	v_pk_add_f32 v[50:51], v[20:21], v[40:41]
	s_nop 0
	v_min3_f32 v49, v50, v51, v104
	v_pk_add_f32 v[50:51], v[22:23], v[42:43]
	s_nop 0
	v_min_f32_e32 v50, v50, v51
	v_min3_f32 v50, v48, v50, v49
	v_lshl_add_u64 v[48:49], v[70:71], 2, v[44:45]
	global_store_dword v[48:49], v50, off
	s_or_b64 exec, exec, s[26:27]
	s_and_b64 s[30:31], s[10:11], s[18:19]
	s_and_saveexec_b64 s[26:27], s[30:31]
	s_cbranch_execz .LBB57_255
.LBB57_274:
	s_and_b64 vcc, exec, s[0:1]
	s_cbranch_vccnz .LBB57_276
; %bb.275:
	v_lshl_add_u64 v[48:49], v[72:73], 2, v[46:47]
	flat_load_dword v48, v[48:49]
	s_waitcnt vmcnt(0) lgkmcnt(0)
	v_mul_f32_e32 v48, s33, v48
	s_branch .LBB57_277
.LBB57_276:
	v_mov_b32_e32 v48, 0
.LBB57_277:
	v_pk_add_f32 v[50:51], v[16:17], v[40:41]
	s_nop 0
	v_min3_f32 v49, v50, v51, v103
	v_pk_add_f32 v[50:51], v[18:19], v[42:43]
	s_nop 0
	v_min_f32_e32 v50, v50, v51
	v_min3_f32 v50, v48, v50, v49
	v_lshl_add_u64 v[48:49], v[72:73], 2, v[44:45]
	global_store_dword v[48:49], v50, off
	s_or_b64 exec, exec, s[26:27]
	s_and_b64 s[30:31], s[12:13], s[18:19]
	s_and_saveexec_b64 s[26:27], s[30:31]
	s_cbranch_execz .LBB57_256
.LBB57_278:
	s_and_b64 vcc, exec, s[0:1]
	s_cbranch_vccnz .LBB57_280
; %bb.279:
	v_lshl_add_u64 v[48:49], v[74:75], 2, v[46:47]
	flat_load_dword v48, v[48:49]
	s_waitcnt vmcnt(0) lgkmcnt(0)
	v_mul_f32_e32 v48, s33, v48
	s_branch .LBB57_281
.LBB57_280:
	v_mov_b32_e32 v48, 0
.LBB57_281:
	v_pk_add_f32 v[50:51], v[12:13], v[40:41]
	s_nop 0
	v_min3_f32 v49, v50, v51, v102
	v_pk_add_f32 v[50:51], v[14:15], v[42:43]
	s_nop 0
	v_min_f32_e32 v50, v50, v51
	v_min3_f32 v50, v48, v50, v49
	v_lshl_add_u64 v[48:49], v[74:75], 2, v[44:45]
	global_store_dword v[48:49], v50, off
	s_or_b64 exec, exec, s[26:27]
	s_and_b64 s[30:31], s[14:15], s[18:19]
	s_and_saveexec_b64 s[26:27], s[30:31]
	s_cbranch_execz .LBB57_257
.LBB57_282:
	s_and_b64 vcc, exec, s[0:1]
	s_cbranch_vccnz .LBB57_284
; %bb.283:
	v_lshl_add_u64 v[48:49], v[76:77], 2, v[46:47]
	flat_load_dword v48, v[48:49]
	s_waitcnt vmcnt(0) lgkmcnt(0)
	v_mul_f32_e32 v48, s33, v48
	s_branch .LBB57_285
.LBB57_284:
	v_mov_b32_e32 v48, 0
.LBB57_285:
	v_pk_add_f32 v[50:51], v[8:9], v[40:41]
	s_nop 0
	v_min3_f32 v49, v50, v51, v101
	v_pk_add_f32 v[50:51], v[10:11], v[42:43]
	s_nop 0
	v_min_f32_e32 v50, v50, v51
	v_min3_f32 v50, v48, v50, v49
	v_lshl_add_u64 v[48:49], v[76:77], 2, v[44:45]
	global_store_dword v[48:49], v50, off
	s_or_b64 exec, exec, s[26:27]
	s_and_b64 s[26:27], s[16:17], s[18:19]
	s_and_saveexec_b64 s[18:19], s[26:27]
	s_cbranch_execz .LBB57_290
.LBB57_286:
	s_and_b64 vcc, exec, s[0:1]
	s_cbranch_vccnz .LBB57_288
; %bb.287:
	v_lshl_add_u64 v[46:47], v[78:79], 2, v[46:47]
	flat_load_dword v46, v[46:47]
	s_waitcnt vmcnt(0) lgkmcnt(0)
	v_mul_f32_e32 v46, s33, v46
	s_branch .LBB57_289
.LBB57_288:
	v_mov_b32_e32 v46, 0
.LBB57_289:
	v_pk_add_f32 v[40:41], v[0:1], v[40:41]
	s_nop 0
	v_min3_f32 v47, v40, v41, v100
	v_pk_add_f32 v[40:41], v[2:3], v[42:43]
	s_nop 0
	v_min_f32_e32 v40, v40, v41
	v_min3_f32 v42, v46, v40, v47
	v_lshl_add_u64 v[40:41], v[78:79], 2, v[44:45]
	global_store_dword v[40:41], v42, off
.LBB57_290:
	s_or_b64 exec, exec, s[18:19]
	v_add_u32_e32 v44, 48, v126
	v_mad_i64_i32 v[40:41], s[26:27], v44, s29, 0
	v_cmp_gt_i32_e64 s[18:19], s21, v44
	v_lshl_add_u64 v[42:43], v[40:41], 2, s[24:25]
	v_mad_i64_i32 v[40:41], s[26:27], v44, s28, 0
	v_lshl_add_u64 v[40:41], v[40:41], 2, s[22:23]
	s_and_b64 s[30:31], s[2:3], s[18:19]
	s_and_saveexec_b64 s[26:27], s[30:31]
	s_cbranch_execnz .LBB57_298
; %bb.291:
	s_or_b64 exec, exec, s[26:27]
	s_and_b64 s[30:31], s[4:5], s[18:19]
	s_and_saveexec_b64 s[26:27], s[30:31]
	s_cbranch_execnz .LBB57_302
.LBB57_292:
	s_or_b64 exec, exec, s[26:27]
	s_and_b64 s[30:31], s[6:7], s[18:19]
	s_and_saveexec_b64 s[26:27], s[30:31]
	s_cbranch_execnz .LBB57_306
.LBB57_293:
	s_or_b64 exec, exec, s[26:27]
	s_and_b64 s[30:31], s[8:9], s[18:19]
	s_and_saveexec_b64 s[26:27], s[30:31]
	s_cbranch_execnz .LBB57_310
.LBB57_294:
	s_or_b64 exec, exec, s[26:27]
	s_and_b64 s[30:31], s[10:11], s[18:19]
	s_and_saveexec_b64 s[26:27], s[30:31]
	s_cbranch_execnz .LBB57_314
.LBB57_295:
	s_or_b64 exec, exec, s[26:27]
	s_and_b64 s[30:31], s[12:13], s[18:19]
	s_and_saveexec_b64 s[26:27], s[30:31]
	s_cbranch_execnz .LBB57_318
.LBB57_296:
	s_or_b64 exec, exec, s[26:27]
	s_and_b64 s[30:31], s[14:15], s[18:19]
	s_and_saveexec_b64 s[26:27], s[30:31]
	s_cbranch_execnz .LBB57_322
.LBB57_297:
	s_or_b64 exec, exec, s[26:27]
	s_and_b64 s[26:27], s[16:17], s[18:19]
	s_and_saveexec_b64 s[18:19], s[26:27]
	s_cbranch_execnz .LBB57_326
	s_branch .LBB57_330
.LBB57_298:
	s_and_b64 vcc, exec, s[0:1]
	s_cbranch_vccnz .LBB57_300
; %bb.299:
	v_lshl_add_u64 v[44:45], v[64:65], 2, v[42:43]
	flat_load_dword v44, v[44:45]
	s_waitcnt vmcnt(0) lgkmcnt(0)
	v_mul_f32_e32 v44, s33, v44
	s_branch .LBB57_301
.LBB57_300:
	v_mov_b32_e32 v44, 0
.LBB57_301:
	v_pk_add_f32 v[46:47], v[32:33], v[36:37]
	s_nop 0
	v_min3_f32 v45, v46, v47, v99
	v_pk_add_f32 v[46:47], v[34:35], v[38:39]
	s_nop 0
	v_min_f32_e32 v46, v46, v47
	v_min3_f32 v46, v44, v46, v45
	v_lshl_add_u64 v[44:45], v[64:65], 2, v[40:41]
	global_store_dword v[44:45], v46, off
	s_or_b64 exec, exec, s[26:27]
	s_and_b64 s[30:31], s[4:5], s[18:19]
	s_and_saveexec_b64 s[26:27], s[30:31]
	s_cbranch_execz .LBB57_292
.LBB57_302:
	s_and_b64 vcc, exec, s[0:1]
	s_cbranch_vccnz .LBB57_304
; %bb.303:
	v_lshl_add_u64 v[44:45], v[66:67], 2, v[42:43]
	flat_load_dword v44, v[44:45]
	s_waitcnt vmcnt(0) lgkmcnt(0)
	v_mul_f32_e32 v44, s33, v44
	s_branch .LBB57_305
.LBB57_304:
	v_mov_b32_e32 v44, 0
.LBB57_305:
	v_pk_add_f32 v[46:47], v[28:29], v[36:37]
	s_nop 0
	v_min3_f32 v45, v46, v47, v98
	v_pk_add_f32 v[46:47], v[30:31], v[38:39]
	s_nop 0
	v_min_f32_e32 v46, v46, v47
	v_min3_f32 v46, v44, v46, v45
	v_lshl_add_u64 v[44:45], v[66:67], 2, v[40:41]
	global_store_dword v[44:45], v46, off
	s_or_b64 exec, exec, s[26:27]
	s_and_b64 s[30:31], s[6:7], s[18:19]
	s_and_saveexec_b64 s[26:27], s[30:31]
	s_cbranch_execz .LBB57_293
.LBB57_306:
	s_and_b64 vcc, exec, s[0:1]
	s_cbranch_vccnz .LBB57_308
; %bb.307:
	v_lshl_add_u64 v[44:45], v[68:69], 2, v[42:43]
	flat_load_dword v44, v[44:45]
	s_waitcnt vmcnt(0) lgkmcnt(0)
	v_mul_f32_e32 v44, s33, v44
	s_branch .LBB57_309
.LBB57_308:
	v_mov_b32_e32 v44, 0
.LBB57_309:
	v_pk_add_f32 v[46:47], v[24:25], v[36:37]
	s_nop 0
	v_min3_f32 v45, v46, v47, v97
	v_pk_add_f32 v[46:47], v[26:27], v[38:39]
	s_nop 0
	v_min_f32_e32 v46, v46, v47
	v_min3_f32 v46, v44, v46, v45
	v_lshl_add_u64 v[44:45], v[68:69], 2, v[40:41]
	global_store_dword v[44:45], v46, off
	s_or_b64 exec, exec, s[26:27]
	s_and_b64 s[30:31], s[8:9], s[18:19]
	s_and_saveexec_b64 s[26:27], s[30:31]
	s_cbranch_execz .LBB57_294
.LBB57_310:
	s_and_b64 vcc, exec, s[0:1]
	s_cbranch_vccnz .LBB57_312
; %bb.311:
	v_lshl_add_u64 v[44:45], v[70:71], 2, v[42:43]
	flat_load_dword v44, v[44:45]
	s_waitcnt vmcnt(0) lgkmcnt(0)
	v_mul_f32_e32 v44, s33, v44
	s_branch .LBB57_313
.LBB57_312:
	v_mov_b32_e32 v44, 0
.LBB57_313:
	v_pk_add_f32 v[46:47], v[20:21], v[36:37]
	s_nop 0
	v_min3_f32 v45, v46, v47, v96
	v_pk_add_f32 v[46:47], v[22:23], v[38:39]
	s_nop 0
	v_min_f32_e32 v46, v46, v47
	v_min3_f32 v46, v44, v46, v45
	v_lshl_add_u64 v[44:45], v[70:71], 2, v[40:41]
	global_store_dword v[44:45], v46, off
	s_or_b64 exec, exec, s[26:27]
	s_and_b64 s[30:31], s[10:11], s[18:19]
	s_and_saveexec_b64 s[26:27], s[30:31]
	s_cbranch_execz .LBB57_295
.LBB57_314:
	s_and_b64 vcc, exec, s[0:1]
	s_cbranch_vccnz .LBB57_316
; %bb.315:
	v_lshl_add_u64 v[44:45], v[72:73], 2, v[42:43]
	flat_load_dword v44, v[44:45]
	s_waitcnt vmcnt(0) lgkmcnt(0)
	v_mul_f32_e32 v44, s33, v44
	s_branch .LBB57_317
.LBB57_316:
	v_mov_b32_e32 v44, 0
.LBB57_317:
	v_pk_add_f32 v[46:47], v[16:17], v[36:37]
	s_nop 0
	v_min3_f32 v45, v46, v47, v95
	v_pk_add_f32 v[46:47], v[18:19], v[38:39]
	s_nop 0
	v_min_f32_e32 v46, v46, v47
	v_min3_f32 v46, v44, v46, v45
	v_lshl_add_u64 v[44:45], v[72:73], 2, v[40:41]
	global_store_dword v[44:45], v46, off
	s_or_b64 exec, exec, s[26:27]
	s_and_b64 s[30:31], s[12:13], s[18:19]
	s_and_saveexec_b64 s[26:27], s[30:31]
	s_cbranch_execz .LBB57_296
.LBB57_318:
	s_and_b64 vcc, exec, s[0:1]
	s_cbranch_vccnz .LBB57_320
; %bb.319:
	v_lshl_add_u64 v[44:45], v[74:75], 2, v[42:43]
	flat_load_dword v44, v[44:45]
	s_waitcnt vmcnt(0) lgkmcnt(0)
	v_mul_f32_e32 v44, s33, v44
	s_branch .LBB57_321
.LBB57_320:
	v_mov_b32_e32 v44, 0
.LBB57_321:
	v_pk_add_f32 v[46:47], v[12:13], v[36:37]
	s_nop 0
	v_min3_f32 v45, v46, v47, v94
	v_pk_add_f32 v[46:47], v[14:15], v[38:39]
	s_nop 0
	v_min_f32_e32 v46, v46, v47
	v_min3_f32 v46, v44, v46, v45
	v_lshl_add_u64 v[44:45], v[74:75], 2, v[40:41]
	global_store_dword v[44:45], v46, off
	s_or_b64 exec, exec, s[26:27]
	s_and_b64 s[30:31], s[14:15], s[18:19]
	s_and_saveexec_b64 s[26:27], s[30:31]
	s_cbranch_execz .LBB57_297
.LBB57_322:
	s_and_b64 vcc, exec, s[0:1]
	s_cbranch_vccnz .LBB57_324
; %bb.323:
	v_lshl_add_u64 v[44:45], v[76:77], 2, v[42:43]
	flat_load_dword v44, v[44:45]
	s_waitcnt vmcnt(0) lgkmcnt(0)
	v_mul_f32_e32 v44, s33, v44
	s_branch .LBB57_325
.LBB57_324:
	v_mov_b32_e32 v44, 0
.LBB57_325:
	v_pk_add_f32 v[46:47], v[8:9], v[36:37]
	s_nop 0
	v_min3_f32 v45, v46, v47, v93
	v_pk_add_f32 v[46:47], v[10:11], v[38:39]
	s_nop 0
	v_min_f32_e32 v46, v46, v47
	v_min3_f32 v46, v44, v46, v45
	v_lshl_add_u64 v[44:45], v[76:77], 2, v[40:41]
	global_store_dword v[44:45], v46, off
	s_or_b64 exec, exec, s[26:27]
	s_and_b64 s[26:27], s[16:17], s[18:19]
	s_and_saveexec_b64 s[18:19], s[26:27]
	s_cbranch_execz .LBB57_330
.LBB57_326:
	s_and_b64 vcc, exec, s[0:1]
	s_cbranch_vccnz .LBB57_328
; %bb.327:
	v_lshl_add_u64 v[42:43], v[78:79], 2, v[42:43]
	flat_load_dword v42, v[42:43]
	s_waitcnt vmcnt(0) lgkmcnt(0)
	v_mul_f32_e32 v42, s33, v42
	s_branch .LBB57_329
.LBB57_328:
	v_mov_b32_e32 v42, 0
.LBB57_329:
	v_pk_add_f32 v[36:37], v[0:1], v[36:37]
	s_nop 0
	v_min3_f32 v43, v36, v37, v92
	v_pk_add_f32 v[36:37], v[2:3], v[38:39]
	s_nop 0
	v_min_f32_e32 v36, v36, v37
	v_min3_f32 v38, v42, v36, v43
	v_lshl_add_u64 v[36:37], v[78:79], 2, v[40:41]
	global_store_dword v[36:37], v38, off
.LBB57_330:
	s_or_b64 exec, exec, s[18:19]
	v_add_u32_e32 v40, 56, v126
	v_cmp_gt_i32_e64 s[18:19], s21, v40
	v_mad_i64_i32 v[36:37], s[20:21], v40, s29, 0
	v_lshl_add_u64 v[38:39], v[36:37], 2, s[24:25]
	v_mad_i64_i32 v[36:37], s[20:21], v40, s28, 0
	v_lshl_add_u64 v[36:37], v[36:37], 2, s[22:23]
	s_and_b64 s[20:21], s[2:3], s[18:19]
	s_and_saveexec_b64 s[2:3], s[20:21]
	s_cbranch_execnz .LBB57_339
; %bb.331:
	s_or_b64 exec, exec, s[2:3]
	s_and_b64 s[4:5], s[4:5], s[18:19]
	s_and_saveexec_b64 s[2:3], s[4:5]
	s_cbranch_execnz .LBB57_343
.LBB57_332:
	s_or_b64 exec, exec, s[2:3]
	s_and_b64 s[4:5], s[6:7], s[18:19]
	s_and_saveexec_b64 s[2:3], s[4:5]
	s_cbranch_execnz .LBB57_347
.LBB57_333:
	s_or_b64 exec, exec, s[2:3]
	s_and_b64 s[4:5], s[8:9], s[18:19]
	s_and_saveexec_b64 s[2:3], s[4:5]
	s_cbranch_execnz .LBB57_351
.LBB57_334:
	s_or_b64 exec, exec, s[2:3]
	s_and_b64 s[4:5], s[10:11], s[18:19]
	s_and_saveexec_b64 s[2:3], s[4:5]
	s_cbranch_execnz .LBB57_355
.LBB57_335:
	s_or_b64 exec, exec, s[2:3]
	s_and_b64 s[4:5], s[12:13], s[18:19]
	s_and_saveexec_b64 s[2:3], s[4:5]
	s_cbranch_execnz .LBB57_359
.LBB57_336:
	s_or_b64 exec, exec, s[2:3]
	s_and_b64 s[4:5], s[14:15], s[18:19]
	s_and_saveexec_b64 s[2:3], s[4:5]
	s_cbranch_execnz .LBB57_363
.LBB57_337:
	s_or_b64 exec, exec, s[2:3]
	s_and_b64 s[2:3], s[16:17], s[18:19]
	s_and_saveexec_b64 s[4:5], s[2:3]
	s_cbranch_execnz .LBB57_367
.LBB57_338:
	s_endpgm
.LBB57_339:
	s_and_b64 vcc, exec, s[0:1]
	s_cbranch_vccnz .LBB57_341
; %bb.340:
	v_lshl_add_u64 v[40:41], v[64:65], 2, v[38:39]
	flat_load_dword v40, v[40:41]
	s_waitcnt vmcnt(0) lgkmcnt(0)
	v_mul_f32_e32 v40, s33, v40
	s_branch .LBB57_342
.LBB57_341:
	v_mov_b32_e32 v40, 0
.LBB57_342:
	v_pk_add_f32 v[32:33], v[32:33], v[4:5]
	s_nop 0
	v_min3_f32 v41, v32, v33, v91
	v_pk_add_f32 v[32:33], v[34:35], v[6:7]
	s_nop 0
	v_min_f32_e32 v32, v32, v33
	v_min3_f32 v34, v40, v32, v41
	v_lshl_add_u64 v[32:33], v[64:65], 2, v[36:37]
	global_store_dword v[32:33], v34, off
	s_or_b64 exec, exec, s[2:3]
	s_and_b64 s[4:5], s[4:5], s[18:19]
	s_and_saveexec_b64 s[2:3], s[4:5]
	s_cbranch_execz .LBB57_332
.LBB57_343:
	s_and_b64 vcc, exec, s[0:1]
	s_cbranch_vccnz .LBB57_345
; %bb.344:
	v_lshl_add_u64 v[32:33], v[66:67], 2, v[38:39]
	flat_load_dword v32, v[32:33]
	s_waitcnt vmcnt(0) lgkmcnt(0)
	v_mul_f32_e32 v32, s33, v32
	s_branch .LBB57_346
.LBB57_345:
	v_mov_b32_e32 v32, 0
.LBB57_346:
	v_pk_add_f32 v[28:29], v[28:29], v[4:5]
	s_nop 0
	v_min3_f32 v33, v28, v29, v90
	v_pk_add_f32 v[28:29], v[30:31], v[6:7]
	s_nop 0
	v_min_f32_e32 v28, v28, v29
	v_min3_f32 v30, v32, v28, v33
	v_lshl_add_u64 v[28:29], v[66:67], 2, v[36:37]
	global_store_dword v[28:29], v30, off
	s_or_b64 exec, exec, s[2:3]
	s_and_b64 s[4:5], s[6:7], s[18:19]
	s_and_saveexec_b64 s[2:3], s[4:5]
	s_cbranch_execz .LBB57_333
.LBB57_347:
	s_and_b64 vcc, exec, s[0:1]
	s_cbranch_vccnz .LBB57_349
; %bb.348:
	v_lshl_add_u64 v[28:29], v[68:69], 2, v[38:39]
	flat_load_dword v28, v[28:29]
	s_waitcnt vmcnt(0) lgkmcnt(0)
	v_mul_f32_e32 v28, s33, v28
	s_branch .LBB57_350
.LBB57_349:
	v_mov_b32_e32 v28, 0
.LBB57_350:
	v_pk_add_f32 v[24:25], v[24:25], v[4:5]
	s_nop 0
	v_min3_f32 v29, v24, v25, v89
	v_pk_add_f32 v[24:25], v[26:27], v[6:7]
	s_nop 0
	v_min_f32_e32 v24, v24, v25
	v_min3_f32 v26, v28, v24, v29
	v_lshl_add_u64 v[24:25], v[68:69], 2, v[36:37]
	global_store_dword v[24:25], v26, off
	s_or_b64 exec, exec, s[2:3]
	s_and_b64 s[4:5], s[8:9], s[18:19]
	s_and_saveexec_b64 s[2:3], s[4:5]
	s_cbranch_execz .LBB57_334
.LBB57_351:
	s_and_b64 vcc, exec, s[0:1]
	s_cbranch_vccnz .LBB57_353
; %bb.352:
	v_lshl_add_u64 v[24:25], v[70:71], 2, v[38:39]
	flat_load_dword v24, v[24:25]
	s_waitcnt vmcnt(0) lgkmcnt(0)
	v_mul_f32_e32 v24, s33, v24
	s_branch .LBB57_354
.LBB57_353:
	v_mov_b32_e32 v24, 0
.LBB57_354:
	v_pk_add_f32 v[20:21], v[20:21], v[4:5]
	s_nop 0
	v_min3_f32 v25, v20, v21, v87
	v_pk_add_f32 v[20:21], v[22:23], v[6:7]
	s_nop 0
	v_min_f32_e32 v20, v20, v21
	v_min3_f32 v22, v24, v20, v25
	v_lshl_add_u64 v[20:21], v[70:71], 2, v[36:37]
	global_store_dword v[20:21], v22, off
	s_or_b64 exec, exec, s[2:3]
	s_and_b64 s[4:5], s[10:11], s[18:19]
	s_and_saveexec_b64 s[2:3], s[4:5]
	s_cbranch_execz .LBB57_335
.LBB57_355:
	s_and_b64 vcc, exec, s[0:1]
	s_cbranch_vccnz .LBB57_357
; %bb.356:
	v_lshl_add_u64 v[20:21], v[72:73], 2, v[38:39]
	flat_load_dword v20, v[20:21]
	s_waitcnt vmcnt(0) lgkmcnt(0)
	v_mul_f32_e32 v20, s33, v20
	s_branch .LBB57_358
.LBB57_357:
	v_mov_b32_e32 v20, 0
.LBB57_358:
	v_pk_add_f32 v[16:17], v[16:17], v[4:5]
	s_nop 0
	v_min3_f32 v21, v16, v17, v86
	v_pk_add_f32 v[16:17], v[18:19], v[6:7]
	s_nop 0
	v_min_f32_e32 v16, v16, v17
	v_min3_f32 v18, v20, v16, v21
	v_lshl_add_u64 v[16:17], v[72:73], 2, v[36:37]
	global_store_dword v[16:17], v18, off
	s_or_b64 exec, exec, s[2:3]
	s_and_b64 s[4:5], s[12:13], s[18:19]
	s_and_saveexec_b64 s[2:3], s[4:5]
	s_cbranch_execz .LBB57_336
.LBB57_359:
	s_and_b64 vcc, exec, s[0:1]
	s_cbranch_vccnz .LBB57_361
; %bb.360:
	v_lshl_add_u64 v[16:17], v[74:75], 2, v[38:39]
	flat_load_dword v16, v[16:17]
	s_waitcnt vmcnt(0) lgkmcnt(0)
	v_mul_f32_e32 v16, s33, v16
	s_branch .LBB57_362
.LBB57_361:
	v_mov_b32_e32 v16, 0
.LBB57_362:
	v_pk_add_f32 v[12:13], v[12:13], v[4:5]
	s_nop 0
	v_min3_f32 v17, v12, v13, v85
	v_pk_add_f32 v[12:13], v[14:15], v[6:7]
	s_nop 0
	v_min_f32_e32 v12, v12, v13
	v_min3_f32 v14, v16, v12, v17
	v_lshl_add_u64 v[12:13], v[74:75], 2, v[36:37]
	global_store_dword v[12:13], v14, off
	s_or_b64 exec, exec, s[2:3]
	s_and_b64 s[4:5], s[14:15], s[18:19]
	s_and_saveexec_b64 s[2:3], s[4:5]
	s_cbranch_execz .LBB57_337
.LBB57_363:
	s_and_b64 vcc, exec, s[0:1]
	s_cbranch_vccnz .LBB57_365
; %bb.364:
	v_lshl_add_u64 v[12:13], v[76:77], 2, v[38:39]
	flat_load_dword v12, v[12:13]
	s_waitcnt vmcnt(0) lgkmcnt(0)
	v_mul_f32_e32 v12, s33, v12
	s_branch .LBB57_366
.LBB57_365:
	v_mov_b32_e32 v12, 0
.LBB57_366:
	v_pk_add_f32 v[8:9], v[8:9], v[4:5]
	s_nop 0
	v_min3_f32 v13, v8, v9, v84
	v_pk_add_f32 v[8:9], v[10:11], v[6:7]
	s_nop 0
	v_min_f32_e32 v8, v8, v9
	v_min3_f32 v10, v12, v8, v13
	v_lshl_add_u64 v[8:9], v[76:77], 2, v[36:37]
	global_store_dword v[8:9], v10, off
	s_or_b64 exec, exec, s[2:3]
	s_and_b64 s[2:3], s[16:17], s[18:19]
	s_and_saveexec_b64 s[4:5], s[2:3]
	s_cbranch_execz .LBB57_338
.LBB57_367:
	s_and_b64 vcc, exec, s[0:1]
	s_cbranch_vccnz .LBB57_369
; %bb.368:
	v_lshl_add_u64 v[8:9], v[78:79], 2, v[38:39]
	flat_load_dword v8, v[8:9]
	s_waitcnt vmcnt(0) lgkmcnt(0)
	v_mul_f32_e32 v8, s33, v8
	s_branch .LBB57_370
.LBB57_369:
	v_mov_b32_e32 v8, 0
.LBB57_370:
	v_pk_add_f32 v[0:1], v[0:1], v[4:5]
	s_nop 0
	v_min3_f32 v4, v0, v1, v88
	v_pk_add_f32 v[0:1], v[2:3], v[6:7]
	s_nop 0
	v_min_f32_e32 v0, v0, v1
	v_min3_f32 v2, v8, v0, v4
	v_lshl_add_u64 v[0:1], v[78:79], 2, v[36:37]
	global_store_dword v[0:1], v2, off
	s_endpgm
	.section	.rodata,"a",@progbits
	.p2align	6, 0x0
	.amdhsa_kernel _ZN12_GLOBAL__N_120geam_min_plus_kernelIf15HIP_vector_typeIfLj2EEfLi32ELi8ELi256ELi64ELi4ELi64ELi4ELi4ELi64ELc78ELc78ELb0ELb1ELb1EPKfS3_fEEviiiT16_PT17_ilS7_ilS5_S7_ilPT18_ili26rocblas_geam_ex_operation_
		.amdhsa_group_segment_fixed_size 10240
		.amdhsa_private_segment_fixed_size 0
		.amdhsa_kernarg_size 136
		.amdhsa_user_sgpr_count 2
		.amdhsa_user_sgpr_dispatch_ptr 0
		.amdhsa_user_sgpr_queue_ptr 0
		.amdhsa_user_sgpr_kernarg_segment_ptr 1
		.amdhsa_user_sgpr_dispatch_id 0
		.amdhsa_user_sgpr_kernarg_preload_length 0
		.amdhsa_user_sgpr_kernarg_preload_offset 0
		.amdhsa_user_sgpr_private_segment_size 0
		.amdhsa_uses_dynamic_stack 0
		.amdhsa_enable_private_segment 0
		.amdhsa_system_sgpr_workgroup_id_x 1
		.amdhsa_system_sgpr_workgroup_id_y 0
		.amdhsa_system_sgpr_workgroup_id_z 1
		.amdhsa_system_sgpr_workgroup_info 0
		.amdhsa_system_vgpr_workitem_id 1
		.amdhsa_next_free_vgpr 172
		.amdhsa_next_free_sgpr 42
		.amdhsa_accum_offset 172
		.amdhsa_reserve_vcc 1
		.amdhsa_float_round_mode_32 0
		.amdhsa_float_round_mode_16_64 0
		.amdhsa_float_denorm_mode_32 3
		.amdhsa_float_denorm_mode_16_64 3
		.amdhsa_dx10_clamp 1
		.amdhsa_ieee_mode 1
		.amdhsa_fp16_overflow 0
		.amdhsa_tg_split 0
		.amdhsa_exception_fp_ieee_invalid_op 0
		.amdhsa_exception_fp_denorm_src 0
		.amdhsa_exception_fp_ieee_div_zero 0
		.amdhsa_exception_fp_ieee_overflow 0
		.amdhsa_exception_fp_ieee_underflow 0
		.amdhsa_exception_fp_ieee_inexact 0
		.amdhsa_exception_int_div_zero 0
	.end_amdhsa_kernel
	.section	.text._ZN12_GLOBAL__N_120geam_min_plus_kernelIf15HIP_vector_typeIfLj2EEfLi32ELi8ELi256ELi64ELi4ELi64ELi4ELi4ELi64ELc78ELc78ELb0ELb1ELb1EPKfS3_fEEviiiT16_PT17_ilS7_ilS5_S7_ilPT18_ili26rocblas_geam_ex_operation_,"axG",@progbits,_ZN12_GLOBAL__N_120geam_min_plus_kernelIf15HIP_vector_typeIfLj2EEfLi32ELi8ELi256ELi64ELi4ELi64ELi4ELi4ELi64ELc78ELc78ELb0ELb1ELb1EPKfS3_fEEviiiT16_PT17_ilS7_ilS5_S7_ilPT18_ili26rocblas_geam_ex_operation_,comdat
.Lfunc_end57:
	.size	_ZN12_GLOBAL__N_120geam_min_plus_kernelIf15HIP_vector_typeIfLj2EEfLi32ELi8ELi256ELi64ELi4ELi64ELi4ELi4ELi64ELc78ELc78ELb0ELb1ELb1EPKfS3_fEEviiiT16_PT17_ilS7_ilS5_S7_ilPT18_ili26rocblas_geam_ex_operation_, .Lfunc_end57-_ZN12_GLOBAL__N_120geam_min_plus_kernelIf15HIP_vector_typeIfLj2EEfLi32ELi8ELi256ELi64ELi4ELi64ELi4ELi4ELi64ELc78ELc78ELb0ELb1ELb1EPKfS3_fEEviiiT16_PT17_ilS7_ilS5_S7_ilPT18_ili26rocblas_geam_ex_operation_
                                        ; -- End function
	.section	.AMDGPU.csdata,"",@progbits
; Kernel info:
; codeLenInByte = 18728
; NumSgprs: 48
; NumVgprs: 172
; NumAgprs: 0
; TotalNumVgprs: 172
; ScratchSize: 0
; MemoryBound: 0
; FloatMode: 240
; IeeeMode: 1
; LDSByteSize: 10240 bytes/workgroup (compile time only)
; SGPRBlocks: 5
; VGPRBlocks: 21
; NumSGPRsForWavesPerEU: 48
; NumVGPRsForWavesPerEU: 172
; AccumOffset: 172
; Occupancy: 2
; WaveLimiterHint : 0
; COMPUTE_PGM_RSRC2:SCRATCH_EN: 0
; COMPUTE_PGM_RSRC2:USER_SGPR: 2
; COMPUTE_PGM_RSRC2:TRAP_HANDLER: 0
; COMPUTE_PGM_RSRC2:TGID_X_EN: 1
; COMPUTE_PGM_RSRC2:TGID_Y_EN: 0
; COMPUTE_PGM_RSRC2:TGID_Z_EN: 1
; COMPUTE_PGM_RSRC2:TIDIG_COMP_CNT: 1
; COMPUTE_PGM_RSRC3_GFX90A:ACCUM_OFFSET: 42
; COMPUTE_PGM_RSRC3_GFX90A:TG_SPLIT: 0
	.section	.text._ZN12_GLOBAL__N_120geam_min_plus_kernelIf15HIP_vector_typeIfLj2EEfLi32ELi8ELi256ELi64ELi4ELi64ELi4ELi4ELi64ELc78ELc78ELb1ELb1ELb1EfKffEEviiiT16_PT17_ilS6_ilS4_S6_ilPT18_ili26rocblas_geam_ex_operation_,"axG",@progbits,_ZN12_GLOBAL__N_120geam_min_plus_kernelIf15HIP_vector_typeIfLj2EEfLi32ELi8ELi256ELi64ELi4ELi64ELi4ELi4ELi64ELc78ELc78ELb1ELb1ELb1EfKffEEviiiT16_PT17_ilS6_ilS4_S6_ilPT18_ili26rocblas_geam_ex_operation_,comdat
	.globl	_ZN12_GLOBAL__N_120geam_min_plus_kernelIf15HIP_vector_typeIfLj2EEfLi32ELi8ELi256ELi64ELi4ELi64ELi4ELi4ELi64ELc78ELc78ELb1ELb1ELb1EfKffEEviiiT16_PT17_ilS6_ilS4_S6_ilPT18_ili26rocblas_geam_ex_operation_ ; -- Begin function _ZN12_GLOBAL__N_120geam_min_plus_kernelIf15HIP_vector_typeIfLj2EEfLi32ELi8ELi256ELi64ELi4ELi64ELi4ELi4ELi64ELc78ELc78ELb1ELb1ELb1EfKffEEviiiT16_PT17_ilS6_ilS4_S6_ilPT18_ili26rocblas_geam_ex_operation_
	.p2align	8
	.type	_ZN12_GLOBAL__N_120geam_min_plus_kernelIf15HIP_vector_typeIfLj2EEfLi32ELi8ELi256ELi64ELi4ELi64ELi4ELi4ELi64ELc78ELc78ELb1ELb1ELb1EfKffEEviiiT16_PT17_ilS6_ilS4_S6_ilPT18_ili26rocblas_geam_ex_operation_,@function
_ZN12_GLOBAL__N_120geam_min_plus_kernelIf15HIP_vector_typeIfLj2EEfLi32ELi8ELi256ELi64ELi4ELi64ELi4ELi4ELi64ELc78ELc78ELb1ELb1ELb1EfKffEEviiiT16_PT17_ilS6_ilS4_S6_ilPT18_ili26rocblas_geam_ex_operation_: ; @_ZN12_GLOBAL__N_120geam_min_plus_kernelIf15HIP_vector_typeIfLj2EEfLi32ELi8ELi256ELi64ELi4ELi64ELi4ELi4ELi64ELc78ELc78ELb1ELb1ELb1EfKffEEviiiT16_PT17_ilS6_ilS4_S6_ilPT18_ili26rocblas_geam_ex_operation_
; %bb.0:
	s_load_dwordx4 s[20:23], s[0:1], 0x0
	s_load_dwordx4 s[4:7], s[0:1], 0x20
	s_waitcnt lgkmcnt(0)
	v_cmp_eq_f32_e64 s[8:9], s23, 0
	s_and_b64 vcc, exec, s[8:9]
	s_cbranch_vccnz .LBB58_3
; %bb.1:
	s_load_dwordx2 s[10:11], s[0:1], 0x10
	s_mul_i32 s5, s3, s5
	s_mul_hi_u32 s12, s3, s4
	s_add_i32 s5, s12, s5
	s_mul_i32 s4, s3, s4
	s_lshl_b64 s[4:5], s[4:5], 2
	s_waitcnt lgkmcnt(0)
	s_add_u32 s26, s10, s4
	s_addc_u32 s27, s11, s5
	s_andn2_b64 vcc, exec, s[8:9]
	s_cbranch_vccnz .LBB58_4
.LBB58_2:
	s_mov_b32 s19, 0
	s_mov_b64 s[28:29], 0
	s_cbranch_execz .LBB58_5
	s_branch .LBB58_6
.LBB58_3:
	s_mov_b64 s[26:27], 0
	s_andn2_b64 vcc, exec, s[8:9]
	s_cbranch_vccz .LBB58_2
.LBB58_4:
                                        ; implicit-def: $sgpr28_sgpr29
                                        ; implicit-def: $sgpr18_sgpr19
.LBB58_5:
	s_load_dwordx2 s[4:5], s[0:1], 0x38
	s_mov_b32 s19, 0
	s_waitcnt lgkmcnt(0)
	s_mul_i32 s5, s3, s5
	s_mul_hi_u32 s8, s3, s4
	s_add_i32 s5, s8, s5
	s_mul_i32 s4, s3, s4
	s_lshl_b64 s[4:5], s[4:5], 2
	s_add_u32 s28, s6, s4
	s_addc_u32 s29, s7, s5
.LBB58_6:
	s_load_dword s33, s[0:1], 0x40
	s_load_dwordx4 s[12:15], s[0:1], 0x58
	s_waitcnt lgkmcnt(0)
	v_cmp_eq_f32_e64 s[4:5], s33, 0
	v_cmp_neq_f32_e64 s[16:17], s33, 0
	s_and_b64 vcc, exec, s[4:5]
	s_cbranch_vccnz .LBB58_8
; %bb.7:
	s_load_dwordx2 s[4:5], s[0:1], 0x48
	s_mul_i32 s6, s3, s13
	s_mul_hi_u32 s7, s3, s12
	s_add_i32 s6, s7, s6
	s_mul_i32 s7, s19, s12
	s_add_i32 s7, s6, s7
	s_mul_i32 s6, s3, s12
	s_lshl_b64 s[6:7], s[6:7], 2
	s_waitcnt lgkmcnt(0)
	s_add_u32 s24, s4, s6
	s_addc_u32 s25, s5, s7
	s_branch .LBB58_9
.LBB58_8:
	s_mov_b64 s[24:25], 0
.LBB58_9:
	s_add_i32 s4, s20, -1
	s_ashr_i32 s5, s4, 31
	s_lshr_b32 s5, s5, 24
	s_add_i32 s4, s4, s5
	s_ashr_i32 s4, s4, 8
	s_add_i32 s5, s4, 1
	v_cvt_f32_u32_e32 v1, s5
	v_and_b32_e32 v74, 0x3ff, v0
	v_bfe_u32 v75, v0, 10, 10
	s_not_b32 s4, s4
	v_rcp_iflag_f32_e32 v1, v1
	s_load_dword s30, s[0:1], 0x18
	v_lshl_add_u32 v7, v75, 5, v74
	v_and_b32_e32 v2, 63, v7
	v_mul_f32_e32 v0, 0x4f7ffffe, v1
	v_cvt_u32_f32_e32 v0, v0
	v_lshrrev_b32_e32 v76, 6, v7
	v_mov_b32_e32 v3, 0x7f7fffff
	v_mov_b32_e32 v4, 0x7f7fffff
	v_readfirstlane_b32 s6, v0
	s_mul_i32 s4, s4, s6
	s_mul_hi_u32 s4, s6, s4
	s_add_i32 s6, s6, s4
	s_mul_hi_u32 s4, s2, s6
	s_mul_i32 s6, s4, s5
	s_sub_i32 s6, s2, s6
	s_add_i32 s7, s4, 1
	s_sub_i32 s8, s6, s5
	s_cmp_ge_u32 s6, s5
	s_cselect_b32 s4, s7, s4
	s_cselect_b32 s6, s8, s6
	s_add_i32 s7, s4, 1
	s_cmp_ge_u32 s6, s5
	s_cselect_b32 s12, s7, s4
	s_mul_i32 s4, s12, s5
	s_sub_i32 s2, s2, s4
	s_lshl_b32 s2, s2, 8
	v_or_b32_e32 v56, s2, v2
	v_cmp_le_i32_e64 s[8:9], s22, v76
	s_waitcnt lgkmcnt(0)
	v_mad_i64_i32 v[0:1], s[4:5], s30, v76, 0
	v_cmp_le_i32_e32 vcc, s20, v56
	s_or_b64 s[4:5], s[8:9], vcc
	v_lshl_add_u64 v[0:1], v[0:1], 2, s[26:27]
	s_xor_b64 s[6:7], s[4:5], -1
	v_ashrrev_i32_e32 v57, 31, v56
	s_and_saveexec_b64 s[4:5], s[6:7]
	s_cbranch_execz .LBB58_11
; %bb.10:
	v_lshl_add_u64 v[4:5], v[56:57], 2, v[0:1]
	flat_load_dword v4, v[4:5]
.LBB58_11:
	s_or_b64 exec, exec, s[4:5]
	v_or_b32_e32 v5, 64, v56
	v_cmp_le_i32_e64 s[10:11], s20, v5
	s_or_b64 s[4:5], s[8:9], s[10:11]
	s_xor_b64 s[6:7], s[4:5], -1
	s_and_saveexec_b64 s[4:5], s[6:7]
	s_cbranch_execz .LBB58_13
; %bb.12:
	v_lshl_add_u64 v[8:9], v[56:57], 2, v[0:1]
	flat_load_dword v3, v[8:9] offset:256
.LBB58_13:
	s_or_b64 exec, exec, s[4:5]
	v_or_b32_e32 v5, 0x80, v56
	v_cmp_le_i32_e64 s[4:5], s20, v5
	s_or_b64 s[6:7], s[8:9], s[4:5]
	s_ashr_i32 s31, s30, 31
	s_xor_b64 s[34:35], s[6:7], -1
	v_mov_b32_e32 v5, 0x7f7fffff
	v_mov_b32_e32 v6, 0x7f7fffff
	s_and_saveexec_b64 s[6:7], s[34:35]
	s_cbranch_execz .LBB58_15
; %bb.14:
	v_lshl_add_u64 v[8:9], v[56:57], 2, v[0:1]
	flat_load_dword v6, v[8:9] offset:512
.LBB58_15:
	s_or_b64 exec, exec, s[6:7]
	v_or_b32_e32 v8, 0xc0, v56
	v_cmp_le_i32_e64 s[6:7], s20, v8
	s_or_b64 s[8:9], s[8:9], s[6:7]
	s_xor_b64 s[34:35], s[8:9], -1
	s_and_saveexec_b64 s[8:9], s[34:35]
	s_cbranch_execz .LBB58_17
; %bb.16:
	v_lshl_add_u64 v[0:1], v[56:57], 2, v[0:1]
	flat_load_dword v5, v[0:1] offset:768
.LBB58_17:
	s_or_b64 exec, exec, s[8:9]
	s_load_dword s36, s[0:1], 0x30
	v_lshrrev_b32_e32 v7, 2, v7
	s_lshl_b32 s18, s12, 6
	v_add_u32_e32 v60, s18, v7
	v_and_b32_e32 v79, 3, v74
	v_cmp_le_i32_e64 s[12:13], s21, v60
	v_cmp_gt_i32_e64 s[8:9], s22, v79
	s_xor_b64 s[12:13], s[12:13], -1
	s_and_b64 s[34:35], s[8:9], s[12:13]
	v_mov_b32_e32 v61, 0x7f7fffff
	v_lshlrev_b32_e32 v58, 2, v79
	v_mov_b32_e32 v8, 0x7f7fffff
	s_and_saveexec_b64 s[8:9], s[34:35]
	s_cbranch_execz .LBB58_19
; %bb.18:
	s_waitcnt lgkmcnt(0)
	v_mad_i64_i32 v[0:1], s[34:35], v60, s36, 0
	v_lshl_add_u64 v[0:1], v[0:1], 2, s[28:29]
	v_mov_b32_e32 v59, 0
	v_lshl_add_u64 v[0:1], v[0:1], 0, v[58:59]
	flat_load_dword v8, v[0:1]
.LBB58_19:
	s_or_b64 exec, exec, s[8:9]
	v_add_u32_e32 v0, 4, v76
	v_cmp_le_i32_e64 s[8:9], s22, v0
	v_mad_i64_i32 v[0:1], s[34:35], s30, v0, 0
	s_or_b64 s[34:35], vcc, s[8:9]
	v_lshl_add_u64 v[0:1], v[0:1], 2, s[26:27]
	s_xor_b64 s[38:39], s[34:35], -1
	s_and_saveexec_b64 s[34:35], s[38:39]
	s_cbranch_execz .LBB58_21
; %bb.20:
	v_lshl_add_u64 v[10:11], v[56:57], 2, v[0:1]
	flat_load_dword v61, v[10:11]
.LBB58_21:
	s_or_b64 exec, exec, s[34:35]
	s_or_b64 s[34:35], s[10:11], s[8:9]
	s_xor_b64 s[38:39], s[34:35], -1
	v_mov_b32_e32 v62, 0x7f7fffff
	v_mov_b32_e32 v63, 0x7f7fffff
	s_and_saveexec_b64 s[34:35], s[38:39]
	s_cbranch_execz .LBB58_23
; %bb.22:
	v_lshl_add_u64 v[10:11], v[56:57], 2, v[0:1]
	flat_load_dword v63, v[10:11] offset:256
.LBB58_23:
	s_or_b64 exec, exec, s[34:35]
	s_or_b64 s[34:35], s[4:5], s[8:9]
	s_xor_b64 s[38:39], s[34:35], -1
	s_and_saveexec_b64 s[34:35], s[38:39]
	s_cbranch_execz .LBB58_25
; %bb.24:
	v_lshl_add_u64 v[10:11], v[56:57], 2, v[0:1]
	flat_load_dword v62, v[10:11] offset:512
.LBB58_25:
	s_or_b64 exec, exec, s[34:35]
	s_or_b64 s[8:9], s[6:7], s[8:9]
	s_xor_b64 s[34:35], s[8:9], -1
	v_mov_b32_e32 v59, 0x7f7fffff
	v_mov_b32_e32 v64, 0x7f7fffff
	s_and_saveexec_b64 s[8:9], s[34:35]
	s_cbranch_execz .LBB58_27
; %bb.26:
	v_lshl_add_u64 v[0:1], v[56:57], 2, v[0:1]
	flat_load_dword v64, v[0:1] offset:768
.LBB58_27:
	s_or_b64 exec, exec, s[8:9]
	v_or_b32_e32 v0, 4, v79
	v_cmp_gt_i32_e64 s[8:9], s22, v0
	s_and_b64 s[34:35], s[8:9], s[12:13]
	s_and_saveexec_b64 s[8:9], s[34:35]
	s_cbranch_execz .LBB58_29
; %bb.28:
	s_waitcnt lgkmcnt(0)
	v_mad_i64_i32 v[0:1], s[34:35], v60, s36, 0
	v_lshl_add_u64 v[0:1], v[0:1], 2, s[28:29]
	v_mov_b32_e32 v59, 0
	v_lshl_add_u64 v[0:1], v[0:1], 0, v[58:59]
	flat_load_dword v59, v[0:1] offset:16
.LBB58_29:
	s_or_b64 exec, exec, s[8:9]
	v_lshlrev_b32_e32 v0, 2, v76
	v_lshl_add_u32 v80, v2, 4, v0
	v_lshl_or_b32 v65, v7, 4, v58
	v_lshlrev_b32_e32 v77, 4, v74
	v_lshlrev_b32_e32 v78, 4, v75
	s_waitcnt vmcnt(0) lgkmcnt(0)
	ds_write2st64_b32 v80, v4, v3 offset1:4
	ds_write2st64_b32 v80, v6, v5 offset0:8 offset1:12
	ds_write_b32 v65, v8 offset:8192
	s_waitcnt lgkmcnt(0)
	s_barrier
	ds_read_b128 v[12:15], v77
	ds_read_b128 v[20:23], v77 offset:512
	ds_read_b128 v[24:27], v77 offset:1024
	;; [unrolled: 1-line block ×13, first 2 shown]
	s_waitcnt lgkmcnt(5)
	v_pk_add_f32 v[66:67], v[12:13], v[52:53]
	s_mov_b32 s8, 0x7f7fffff
	v_min3_f32 v68, v66, v67, s8
	v_pk_add_f32 v[66:67], v[20:21], v[52:53]
	s_cmp_lt_i32 s22, 9
	v_min3_f32 v69, v66, v67, s8
	v_pk_add_f32 v[66:67], v[24:25], v[52:53]
	s_nop 0
	v_min3_f32 v70, v66, v67, s8
	v_pk_add_f32 v[66:67], v[28:29], v[52:53]
	s_nop 0
	v_min3_f32 v71, v66, v67, s8
	v_pk_add_f32 v[66:67], v[16:17], v[52:53]
	s_nop 0
	v_min3_f32 v72, v66, v67, s8
	v_pk_add_f32 v[66:67], v[8:9], v[52:53]
	s_nop 0
	v_min3_f32 v73, v66, v67, s8
	v_pk_add_f32 v[66:67], v[4:5], v[52:53]
	v_pk_add_f32 v[52:53], v[0:1], v[52:53]
	v_min3_f32 v66, v66, v67, s8
	v_min3_f32 v67, v52, v53, s8
	s_waitcnt lgkmcnt(4)
	v_pk_add_f32 v[52:53], v[12:13], v[48:49]
	s_nop 0
	v_min3_f32 v81, v52, v53, s8
	v_pk_add_f32 v[52:53], v[20:21], v[48:49]
	s_nop 0
	v_min3_f32 v82, v52, v53, s8
	v_pk_add_f32 v[52:53], v[24:25], v[48:49]
	s_nop 0
	v_min3_f32 v83, v52, v53, s8
	v_pk_add_f32 v[52:53], v[28:29], v[48:49]
	s_nop 0
	v_min3_f32 v84, v52, v53, s8
	v_pk_add_f32 v[52:53], v[16:17], v[48:49]
	s_nop 0
	v_min3_f32 v85, v52, v53, s8
	v_pk_add_f32 v[52:53], v[8:9], v[48:49]
	s_nop 0
	v_min3_f32 v86, v52, v53, s8
	v_pk_add_f32 v[52:53], v[4:5], v[48:49]
	v_pk_add_f32 v[48:49], v[0:1], v[48:49]
	v_min3_f32 v52, v52, v53, s8
	v_min3_f32 v87, v48, v49, s8
	s_waitcnt lgkmcnt(3)
	v_pk_add_f32 v[48:49], v[12:13], v[44:45]
	s_nop 0
	v_min3_f32 v88, v48, v49, s8
	v_pk_add_f32 v[48:49], v[20:21], v[44:45]
	s_nop 0
	;; [unrolled: 23-line block ×5, first 2 shown]
	v_min3_f32 v149, v36, v37, s8
	v_pk_add_f32 v[36:37], v[24:25], v[32:33]
	s_nop 0
	v_min3_f32 v150, v36, v37, s8
	v_pk_add_f32 v[36:37], v[28:29], v[32:33]
	s_nop 0
	;; [unrolled: 3-line block ×11, first 2 shown]
	v_min3_f32 v66, v36, v37, s8
	v_pk_add_f32 v[36:37], v[4:5], v[32:33]
	v_pk_add_f32 v[32:33], v[0:1], v[32:33]
	v_min3_f32 v68, v36, v37, s8
	v_pk_add_f32 v[36:37], v[2:3], v[54:55]
	s_nop 0
	v_min3_f32 v141, v36, v37, v67
	v_pk_add_f32 v[36:37], v[14:15], v[50:51]
	v_min3_f32 v67, v32, v33, s8
	v_min3_f32 v140, v36, v37, v81
	v_pk_add_f32 v[36:37], v[22:23], v[50:51]
	s_nop 0
	v_min3_f32 v139, v36, v37, v82
	v_pk_add_f32 v[36:37], v[26:27], v[50:51]
	s_nop 0
	;; [unrolled: 3-line block ×6, first 2 shown]
	v_min3_f32 v131, v36, v37, v52
	ds_read_b128 v[52:55], v78 offset:8960
	v_pk_add_f32 v[36:37], v[2:3], v[50:51]
	ds_read_b128 v[48:51], v78 offset:9088
	v_min3_f32 v136, v36, v37, v87
	ds_write2st64_b32 v80, v61, v63 offset0:16 offset1:20
	ds_write2st64_b32 v80, v62, v64 offset0:24 offset1:28
	ds_write_b32 v65, v59 offset:9216
	s_waitcnt lgkmcnt(4)
	v_pk_add_f32 v[32:33], v[12:13], v[52:53]
	v_pk_add_f32 v[36:37], v[28:29], v[52:53]
	v_min3_f32 v69, v32, v33, s8
	v_pk_add_f32 v[32:33], v[14:15], v[46:47]
	s_waitcnt lgkmcnt(3)
	v_pk_add_f32 v[12:13], v[12:13], v[48:49]
	v_min3_f32 v134, v32, v33, v88
	v_pk_add_f32 v[32:33], v[22:23], v[46:47]
	s_waitcnt lgkmcnt(0)
	v_min3_f32 v132, v32, v33, v89
	v_pk_add_f32 v[32:33], v[26:27], v[46:47]
	s_barrier
	v_min3_f32 v130, v32, v33, v90
	v_pk_add_f32 v[32:33], v[30:31], v[46:47]
	s_nop 0
	v_min3_f32 v129, v32, v33, v91
	v_pk_add_f32 v[32:33], v[18:19], v[46:47]
	s_nop 0
	;; [unrolled: 3-line block ×6, first 2 shown]
	v_min3_f32 v71, v32, v33, s8
	v_pk_add_f32 v[32:33], v[2:3], v[46:47]
	v_min3_f32 v46, v36, v37, s8
	v_min3_f32 v125, v32, v33, v95
	v_pk_add_f32 v[32:33], v[14:15], v[42:43]
	v_pk_add_f32 v[36:37], v[16:17], v[52:53]
	v_min3_f32 v124, v32, v33, v96
	v_pk_add_f32 v[32:33], v[22:23], v[42:43]
	v_min3_f32 v47, v36, v37, s8
	v_min3_f32 v122, v32, v33, v97
	v_pk_add_f32 v[32:33], v[26:27], v[42:43]
	v_pk_add_f32 v[36:37], v[0:1], v[52:53]
	v_min3_f32 v121, v32, v33, v98
	v_pk_add_f32 v[32:33], v[30:31], v[42:43]
	v_min3_f32 v36, v36, v37, s8
	v_min3_f32 v120, v32, v33, v99
	v_pk_add_f32 v[32:33], v[18:19], v[42:43]
	v_min3_f32 v37, v12, v13, s8
	v_min3_f32 v119, v32, v33, v100
	v_pk_add_f32 v[32:33], v[10:11], v[42:43]
	v_pk_add_f32 v[12:13], v[14:15], v[34:35]
	v_min3_f32 v118, v32, v33, v101
	v_pk_add_f32 v[32:33], v[6:7], v[42:43]
	v_pk_add_f32 v[0:1], v[0:1], v[48:49]
	;; [unrolled: 3-line block ×3, first 2 shown]
	v_min3_f32 v44, v32, v33, s8
	v_pk_add_f32 v[32:33], v[4:5], v[52:53]
	v_min3_f32 v16, v16, v17, s8
	v_min3_f32 v72, v32, v33, s8
	v_pk_add_f32 v[32:33], v[2:3], v[42:43]
	v_pk_add_f32 v[8:9], v[8:9], v[48:49]
	v_min3_f32 v116, v32, v33, v45
	v_pk_add_f32 v[32:33], v[14:15], v[38:39]
	v_min3_f32 v8, v8, v9, s8
	v_min3_f32 v115, v32, v33, v102
	v_pk_add_f32 v[32:33], v[22:23], v[38:39]
	v_pk_add_f32 v[4:5], v[4:5], v[48:49]
	v_min3_f32 v114, v32, v33, v103
	v_pk_add_f32 v[32:33], v[26:27], v[38:39]
	v_min3_f32 v9, v4, v5, s8
	v_min3_f32 v113, v32, v33, v104
	v_pk_add_f32 v[32:33], v[30:31], v[38:39]
	v_pk_add_f32 v[4:5], v[2:3], v[54:55]
	v_min3_f32 v112, v32, v33, v105
	v_pk_add_f32 v[32:33], v[18:19], v[38:39]
	v_min3_f32 v92, v4, v5, v36
	v_min3_f32 v111, v32, v33, v106
	v_pk_add_f32 v[32:33], v[10:11], v[38:39]
	s_nop 0
	v_min3_f32 v110, v32, v33, v107
	v_min3_f32 v107, v12, v13, v123
	v_pk_add_f32 v[12:13], v[22:23], v[34:35]
	v_pk_add_f32 v[32:33], v[6:7], v[38:39]
	v_min3_f32 v106, v12, v13, v149
	v_pk_add_f32 v[12:13], v[26:27], v[34:35]
	v_min3_f32 v109, v32, v33, v40
	v_min3_f32 v105, v12, v13, v150
	v_pk_add_f32 v[12:13], v[30:31], v[34:35]
	v_pk_add_f32 v[32:33], v[2:3], v[38:39]
	v_min3_f32 v104, v12, v13, v151
	v_pk_add_f32 v[12:13], v[18:19], v[34:35]
	v_min3_f32 v108, v32, v33, v41
	v_min3_f32 v103, v12, v13, v152
	v_pk_add_f32 v[12:13], v[10:11], v[34:35]
	s_nop 0
	v_min3_f32 v102, v12, v13, v66
	v_pk_add_f32 v[12:13], v[6:7], v[34:35]
	s_nop 0
	v_min3_f32 v101, v12, v13, v68
	v_pk_add_f32 v[12:13], v[20:21], v[48:49]
	v_pk_add_f32 v[20:21], v[28:29], v[48:49]
	v_min3_f32 v32, v12, v13, s8
	v_pk_add_f32 v[12:13], v[24:25], v[48:49]
	v_min3_f32 v20, v20, v21, s8
	v_min3_f32 v24, v12, v13, s8
	v_pk_add_f32 v[12:13], v[2:3], v[34:35]
	s_nop 0
	v_min3_f32 v100, v12, v13, v67
	v_pk_add_f32 v[12:13], v[14:15], v[54:55]
	s_nop 0
	;; [unrolled: 3-line block ×8, first 2 shown]
	v_min3_f32 v93, v12, v13, v72
	v_min3_f32 v12, v0, v1, s8
	v_pk_add_f32 v[0:1], v[14:15], v[50:51]
	s_nop 0
	v_min3_f32 v91, v0, v1, v37
	v_pk_add_f32 v[0:1], v[22:23], v[50:51]
	s_nop 0
	;; [unrolled: 3-line block ×8, first 2 shown]
	v_min3_f32 v88, v0, v1, v12
	s_cbranch_scc1 .LBB58_52
; %bb.30:
	v_mov_b32_e32 v0, 0x1000
	v_lshl_add_u32 v149, v74, 4, v0
	v_mov_b32_e32 v0, 0x2400
	v_lshl_add_u32 v150, v75, 4, v0
	v_mad_i64_i32 v[0:1], s[8:9], s36, v60, 0
	v_mov_b32_e32 v59, 0
	v_lshl_add_u64 v[0:1], v[0:1], 2, v[58:59]
	v_lshl_add_u64 v[0:1], v[0:1], 0, s[28:29]
	v_add_u32_e32 v81, 0x2000, v65
	v_add_u32_e32 v123, 0x2400, v65
	v_lshl_add_u64 v[64:65], v[0:1], 0, 48
	v_add_u32_e32 v0, 8, v76
	v_mad_i64_i32 v[0:1], s[8:9], v0, s30, 0
	v_lshlrev_b64 v[66:67], 2, v[0:1]
	v_add_u32_e32 v0, 12, v76
	v_mad_i64_i32 v[0:1], s[8:9], v0, s30, 0
	v_add_u32_e32 v82, 0x2000, v78
	v_add_u32_e32 v83, 0x1000, v80
	s_add_i32 s23, s22, -8
	v_lshl_add_u64 v[68:69], v[56:57], 2, s[26:27]
	s_lshl_b64 s[26:27], s[30:31], 5
	v_lshlrev_b64 v[70:71], 2, v[0:1]
	s_mov_b32 s30, 0
	s_branch .LBB58_32
.LBB58_31:                              ;   in Loop: Header=BB58_32 Depth=1
	s_or_b64 exec, exec, s[8:9]
	ds_read_b128 v[0:3], v77
	ds_read_b128 v[4:7], v77 offset:512
	ds_read_b128 v[8:11], v77 offset:1024
	ds_read_b128 v[12:15], v77 offset:1536
	ds_read_b128 v[16:19], v77 offset:2048
	ds_read_b128 v[20:23], v77 offset:2560
	ds_read_b128 v[24:27], v77 offset:3072
	ds_read_b128 v[28:31], v77 offset:3584
	ds_read_b128 v[118:121], v82
	ds_read_b128 v[124:127], v82 offset:128
	ds_read_b128 v[156:159], v82 offset:256
	;; [unrolled: 1-line block ×7, first 2 shown]
	s_waitcnt lgkmcnt(0)
	v_pk_add_f32 v[128:129], v[0:1], v[118:119]
	s_add_i32 s30, s30, 8
	v_min3_f32 v122, v128, v129, v36
	v_pk_add_f32 v[128:129], v[4:5], v[118:119]
	v_lshl_add_u64 v[64:65], v[64:65], 0, 32
	v_min3_f32 v128, v128, v129, v37
	v_pk_add_f32 v[36:37], v[8:9], v[118:119]
	s_cmp_ge_i32 s30, s23
	v_min3_f32 v40, v36, v37, v40
	v_pk_add_f32 v[36:37], v[12:13], v[118:119]
	v_lshl_add_u64 v[68:69], v[68:69], 0, s[26:27]
	v_min3_f32 v41, v36, v37, v41
	v_pk_add_f32 v[36:37], v[16:17], v[118:119]
	s_waitcnt vmcnt(0)
	ds_write2st64_b32 v83, v151, v153 offset1:4
	ds_write2st64_b32 v83, v152, v155 offset0:8 offset1:12
	ds_write_b32 v123, v154
	v_min3_f32 v44, v36, v37, v44
	v_pk_add_f32 v[36:37], v[20:21], v[118:119]
	s_waitcnt lgkmcnt(0)
	v_min3_f32 v45, v36, v37, v45
	v_pk_add_f32 v[36:37], v[24:25], v[118:119]
	s_barrier
	v_min3_f32 v48, v36, v37, v48
	v_pk_add_f32 v[36:37], v[28:29], v[118:119]
	s_nop 0
	v_min3_f32 v49, v36, v37, v49
	v_pk_add_f32 v[36:37], v[0:1], v[124:125]
	s_nop 0
	;; [unrolled: 3-line block ×41, first 2 shown]
	v_min3_f32 v42, v36, v37, v42
	v_pk_add_f32 v[36:37], v[0:1], v[172:173]
	v_pk_add_f32 v[0:1], v[0:1], v[32:33]
	v_min3_f32 v43, v36, v37, v43
	v_pk_add_f32 v[36:37], v[4:5], v[172:173]
	s_nop 0
	v_min3_f32 v160, v36, v37, v105
	v_pk_add_f32 v[36:37], v[8:9], v[172:173]
	s_nop 0
	;; [unrolled: 3-line block ×7, first 2 shown]
	v_min3_f32 v36, v36, v37, v38
	v_min3_f32 v37, v0, v1, v39
	v_pk_add_f32 v[0:1], v[4:5], v[32:33]
	s_nop 0
	v_min3_f32 v4, v0, v1, v111
	v_pk_add_f32 v[0:1], v[8:9], v[32:33]
	s_nop 0
	;; [unrolled: 3-line block ×71, first 2 shown]
	v_min3_f32 v88, v0, v1, v16
	s_cbranch_scc1 .LBB58_52
.LBB58_32:                              ; =>This Inner Loop Header: Depth=1
	v_add_u32_e32 v72, s30, v76
	v_add_u32_e32 v0, 8, v72
	v_cmp_le_i32_e64 s[8:9], s22, v0
	s_or_b64 s[28:29], vcc, s[8:9]
	s_xor_b64 s[34:35], s[28:29], -1
	v_mov_b32_e32 v73, 0x7f7fffff
	v_lshl_add_u64 v[0:1], v[68:69], 0, v[66:67]
	v_mov_b32_e32 v152, 0x7f7fffff
	s_and_saveexec_b64 s[28:29], s[34:35]
	s_cbranch_execz .LBB58_34
; %bb.33:                               ;   in Loop: Header=BB58_32 Depth=1
	flat_load_dword v152, v[0:1]
.LBB58_34:                              ;   in Loop: Header=BB58_32 Depth=1
	s_or_b64 exec, exec, s[28:29]
	s_or_b64 s[28:29], s[10:11], s[8:9]
	s_xor_b64 s[34:35], s[28:29], -1
	s_and_saveexec_b64 s[28:29], s[34:35]
	s_cbranch_execz .LBB58_36
; %bb.35:                               ;   in Loop: Header=BB58_32 Depth=1
	flat_load_dword v73, v[0:1] offset:256
.LBB58_36:                              ;   in Loop: Header=BB58_32 Depth=1
	s_or_b64 exec, exec, s[28:29]
	s_or_b64 s[28:29], s[4:5], s[8:9]
	s_xor_b64 s[34:35], s[28:29], -1
	v_mov_b32_e32 v153, 0x7f7fffff
	v_mov_b32_e32 v154, 0x7f7fffff
	s_and_saveexec_b64 s[28:29], s[34:35]
	s_cbranch_execz .LBB58_38
; %bb.37:                               ;   in Loop: Header=BB58_32 Depth=1
	flat_load_dword v154, v[0:1] offset:512
.LBB58_38:                              ;   in Loop: Header=BB58_32 Depth=1
	s_or_b64 exec, exec, s[28:29]
	s_or_b64 s[8:9], s[6:7], s[8:9]
	s_xor_b64 s[28:29], s[8:9], -1
	s_and_saveexec_b64 s[8:9], s[28:29]
	s_cbranch_execz .LBB58_40
; %bb.39:                               ;   in Loop: Header=BB58_32 Depth=1
	flat_load_dword v153, v[0:1] offset:768
.LBB58_40:                              ;   in Loop: Header=BB58_32 Depth=1
	s_or_b64 exec, exec, s[8:9]
	v_add_u32_e32 v156, s30, v79
	v_add_u32_e32 v0, 8, v156
	v_cmp_gt_i32_e64 s[8:9], s22, v0
	s_and_b64 s[8:9], s[8:9], s[12:13]
	v_mov_b32_e32 v151, 0x7f7fffff
	v_mov_b32_e32 v155, 0x7f7fffff
	s_and_saveexec_b64 s[28:29], s[8:9]
	s_cbranch_execz .LBB58_42
; %bb.41:                               ;   in Loop: Header=BB58_32 Depth=1
	v_add_co_u32_e64 v0, s[8:9], -16, v64
	s_nop 1
	v_addc_co_u32_e64 v1, s[8:9], -1, v65, s[8:9]
	flat_load_dword v155, v[0:1]
.LBB58_42:                              ;   in Loop: Header=BB58_32 Depth=1
	s_or_b64 exec, exec, s[28:29]
	ds_read_b128 v[28:31], v149
	ds_read_b128 v[24:27], v149 offset:512
	ds_read_b128 v[20:23], v149 offset:1024
	;; [unrolled: 1-line block ×7, first 2 shown]
	ds_read_b128 v[60:63], v150
	ds_read_b128 v[56:59], v150 offset:128
	ds_read_b128 v[52:55], v150 offset:256
	;; [unrolled: 1-line block ×7, first 2 shown]
	v_add_u32_e32 v72, 12, v72
	v_cmp_le_i32_e64 s[8:9], s22, v72
	s_or_b64 s[28:29], vcc, s[8:9]
	s_waitcnt vmcnt(0) lgkmcnt(0)
	ds_write2st64_b32 v80, v152, v73 offset1:4
	ds_write2st64_b32 v80, v154, v153 offset0:8 offset1:12
	ds_write_b32 v81, v155
	s_xor_b64 s[34:35], s[28:29], -1
	v_lshl_add_u64 v[72:73], v[68:69], 0, v[70:71]
	s_waitcnt lgkmcnt(0)
	s_barrier
	s_and_saveexec_b64 s[28:29], s[34:35]
	s_cbranch_execz .LBB58_44
; %bb.43:                               ;   in Loop: Header=BB58_32 Depth=1
	flat_load_dword v151, v[72:73]
.LBB58_44:                              ;   in Loop: Header=BB58_32 Depth=1
	s_or_b64 exec, exec, s[28:29]
	s_or_b64 s[28:29], s[10:11], s[8:9]
	s_xor_b64 s[34:35], s[28:29], -1
	v_mov_b32_e32 v152, 0x7f7fffff
	v_mov_b32_e32 v153, 0x7f7fffff
	s_and_saveexec_b64 s[28:29], s[34:35]
	s_cbranch_execz .LBB58_46
; %bb.45:                               ;   in Loop: Header=BB58_32 Depth=1
	flat_load_dword v153, v[72:73] offset:256
.LBB58_46:                              ;   in Loop: Header=BB58_32 Depth=1
	s_or_b64 exec, exec, s[28:29]
	s_or_b64 s[28:29], s[4:5], s[8:9]
	s_xor_b64 s[34:35], s[28:29], -1
	s_and_saveexec_b64 s[28:29], s[34:35]
	s_cbranch_execz .LBB58_48
; %bb.47:                               ;   in Loop: Header=BB58_32 Depth=1
	flat_load_dword v152, v[72:73] offset:512
.LBB58_48:                              ;   in Loop: Header=BB58_32 Depth=1
	s_or_b64 exec, exec, s[28:29]
	s_or_b64 s[8:9], s[6:7], s[8:9]
	s_xor_b64 s[28:29], s[8:9], -1
	v_mov_b32_e32 v154, 0x7f7fffff
	v_mov_b32_e32 v155, 0x7f7fffff
	s_and_saveexec_b64 s[8:9], s[28:29]
	s_cbranch_execz .LBB58_50
; %bb.49:                               ;   in Loop: Header=BB58_32 Depth=1
	flat_load_dword v155, v[72:73] offset:768
.LBB58_50:                              ;   in Loop: Header=BB58_32 Depth=1
	s_or_b64 exec, exec, s[8:9]
	v_pk_add_f32 v[72:73], v[28:29], v[60:61]
	s_nop 0
	v_min3_f32 v148, v72, v73, v148
	v_pk_add_f32 v[72:73], v[24:25], v[60:61]
	s_nop 0
	v_min3_f32 v147, v72, v73, v147
	v_pk_add_f32 v[72:73], v[20:21], v[60:61]
	s_nop 0
	v_min3_f32 v146, v72, v73, v146
	v_pk_add_f32 v[72:73], v[16:17], v[60:61]
	s_nop 0
	v_min3_f32 v145, v72, v73, v145
	v_pk_add_f32 v[72:73], v[12:13], v[60:61]
	s_nop 0
	v_min3_f32 v144, v72, v73, v144
	v_pk_add_f32 v[72:73], v[8:9], v[60:61]
	s_nop 0
	v_min3_f32 v143, v72, v73, v143
	v_pk_add_f32 v[72:73], v[4:5], v[60:61]
	v_pk_add_f32 v[60:61], v[0:1], v[60:61]
	v_min3_f32 v72, v72, v73, v142
	v_min3_f32 v73, v60, v61, v141
	v_pk_add_f32 v[60:61], v[28:29], v[56:57]
	s_nop 0
	v_min3_f32 v140, v60, v61, v140
	v_pk_add_f32 v[60:61], v[24:25], v[56:57]
	s_nop 0
	v_min3_f32 v139, v60, v61, v139
	v_pk_add_f32 v[60:61], v[20:21], v[56:57]
	s_nop 0
	v_min3_f32 v138, v60, v61, v138
	v_pk_add_f32 v[60:61], v[16:17], v[56:57]
	s_nop 0
	v_min3_f32 v137, v60, v61, v137
	v_pk_add_f32 v[60:61], v[12:13], v[56:57]
	s_nop 0
	v_min3_f32 v135, v60, v61, v135
	v_pk_add_f32 v[60:61], v[8:9], v[56:57]
	s_nop 0
	v_min3_f32 v133, v60, v61, v133
	v_pk_add_f32 v[60:61], v[4:5], v[56:57]
	v_pk_add_f32 v[56:57], v[0:1], v[56:57]
	v_min3_f32 v131, v60, v61, v131
	v_min3_f32 v136, v56, v57, v136
	;; [unrolled: 22-line block ×6, first 2 shown]
	v_pk_add_f32 v[40:41], v[28:29], v[36:37]
	v_pk_add_f32 v[28:29], v[28:29], v[32:33]
	v_min3_f32 v158, v40, v41, v99
	v_pk_add_f32 v[40:41], v[24:25], v[36:37]
	v_pk_add_f32 v[24:25], v[24:25], v[32:33]
	v_min3_f32 v159, v40, v41, v98
	;; [unrolled: 3-line block ×6, first 2 shown]
	v_pk_add_f32 v[40:41], v[4:5], v[36:37]
	v_pk_add_f32 v[36:37], v[0:1], v[36:37]
	;; [unrolled: 1-line block ×4, first 2 shown]
	v_min3_f32 v4, v4, v5, v84
	v_min3_f32 v5, v0, v1, v88
	v_pk_add_f32 v[0:1], v[30:31], v[62:63]
	v_min3_f32 v165, v36, v37, v92
	v_min3_f32 v36, v0, v1, v148
	v_pk_add_f32 v[0:1], v[26:27], v[62:63]
	;; [unrolled: 3-line block ×9, first 2 shown]
	s_nop 0
	v_min3_f32 v52, v0, v1, v140
	v_pk_add_f32 v[0:1], v[26:27], v[58:59]
	s_nop 0
	v_min3_f32 v53, v0, v1, v139
	v_pk_add_f32 v[0:1], v[22:23], v[58:59]
	;; [unrolled: 3-line block ×55, first 2 shown]
	s_nop 0
	v_min3_f32 v117, v0, v1, v5
	v_add_u32_e32 v0, 12, v156
	v_cmp_gt_i32_e64 s[8:9], s22, v0
	s_and_b64 s[28:29], s[8:9], s[12:13]
	s_and_saveexec_b64 s[8:9], s[28:29]
	s_cbranch_execz .LBB58_31
; %bb.51:                               ;   in Loop: Header=BB58_32 Depth=1
	flat_load_dword v154, v[64:65]
	s_branch .LBB58_31
.LBB58_52:
	s_load_dwordx2 s[4:5], s[0:1], 0x70
	s_load_dword s29, s[0:1], 0x50
	s_load_dword s28, s[0:1], 0x68
	ds_read_b128 v[32:35], v77 offset:4096
	ds_read_b128 v[28:31], v77 offset:4608
	;; [unrolled: 1-line block ×16, first 2 shown]
	v_add_u32_e32 v123, s18, v75
	s_waitcnt lgkmcnt(0)
	s_mul_i32 s0, s3, s5
	s_mul_hi_u32 s1, s3, s4
	s_mul_i32 s5, s19, s4
	s_add_i32 s0, s1, s0
	s_add_i32 s1, s0, s5
	s_mul_i32 s0, s3, s4
	s_lshl_b64 s[0:1], s[0:1], 2
	s_add_u32 s22, s14, s0
	s_addc_u32 s23, s15, s1
	v_mad_i64_i32 v[66:67], s[0:1], v123, s29, 0
	v_add_u32_e32 v64, s2, v74
	v_lshl_add_u64 v[82:83], v[66:67], 2, s[24:25]
	v_mad_i64_i32 v[66:67], s[0:1], v123, s28, 0
	v_cmp_gt_i32_e64 s[18:19], s21, v123
	v_lshl_add_u64 v[80:81], v[66:67], 2, s[22:23]
	v_cmp_gt_i32_e64 s[2:3], s20, v64
	v_cndmask_b32_e64 v66, 0, 1, s[16:17]
	s_and_b64 s[6:7], s[2:3], s[18:19]
	v_ashrrev_i32_e32 v65, 31, v64
	v_cmp_ne_u32_e64 s[0:1], 1, v66
	s_and_saveexec_b64 s[4:5], s[6:7]
	s_cbranch_execz .LBB58_57
; %bb.53:
	s_and_b64 vcc, exec, s[0:1]
	s_cbranch_vccnz .LBB58_55
; %bb.54:
	v_lshl_add_u64 v[66:67], v[64:65], 2, v[82:83]
	flat_load_dword v66, v[66:67]
	s_waitcnt vmcnt(0) lgkmcnt(0)
	v_mul_f32_e32 v66, s33, v66
	s_branch .LBB58_56
.LBB58_55:
	v_mov_b32_e32 v66, 0
.LBB58_56:
	v_pk_add_f32 v[68:69], v[32:33], v[60:61]
	s_nop 0
	v_min3_f32 v67, v68, v69, v148
	v_pk_add_f32 v[68:69], v[34:35], v[62:63]
	s_nop 0
	v_min_f32_e32 v68, v68, v69
	v_min3_f32 v68, v66, v68, v67
	v_lshl_add_u64 v[66:67], v[64:65], 2, v[80:81]
	global_store_dword v[66:67], v68, off
.LBB58_57:
	s_or_b64 exec, exec, s[4:5]
	v_add_u32_e32 v66, 32, v64
	v_cmp_gt_i32_e64 s[4:5], s20, v66
	s_and_b64 s[8:9], s[4:5], s[18:19]
	v_ashrrev_i32_e32 v67, 31, v66
	s_and_saveexec_b64 s[6:7], s[8:9]
	s_cbranch_execz .LBB58_62
; %bb.58:
	s_and_b64 vcc, exec, s[0:1]
	s_cbranch_vccnz .LBB58_60
; %bb.59:
	v_lshl_add_u64 v[68:69], v[66:67], 2, v[82:83]
	flat_load_dword v68, v[68:69]
	s_waitcnt vmcnt(0) lgkmcnt(0)
	v_mul_f32_e32 v68, s33, v68
	s_branch .LBB58_61
.LBB58_60:
	v_mov_b32_e32 v68, 0
.LBB58_61:
	v_pk_add_f32 v[70:71], v[28:29], v[60:61]
	s_nop 0
	v_min3_f32 v69, v70, v71, v147
	v_pk_add_f32 v[70:71], v[30:31], v[62:63]
	s_nop 0
	v_min_f32_e32 v70, v70, v71
	v_min3_f32 v70, v68, v70, v69
	v_lshl_add_u64 v[68:69], v[66:67], 2, v[80:81]
	global_store_dword v[68:69], v70, off
.LBB58_62:
	s_or_b64 exec, exec, s[6:7]
	v_add_u32_e32 v68, 64, v64
	v_cmp_gt_i32_e64 s[6:7], s20, v68
	s_and_b64 s[10:11], s[6:7], s[18:19]
	v_ashrrev_i32_e32 v69, 31, v68
	;; [unrolled: 29-line block ×7, first 2 shown]
	s_and_saveexec_b64 s[18:19], s[26:27]
	s_cbranch_execz .LBB58_92
; %bb.88:
	s_and_b64 vcc, exec, s[0:1]
	s_cbranch_vccnz .LBB58_90
; %bb.89:
	v_lshl_add_u64 v[82:83], v[78:79], 2, v[82:83]
	flat_load_dword v82, v[82:83]
	s_waitcnt vmcnt(0) lgkmcnt(0)
	v_mul_f32_e32 v82, s33, v82
	s_branch .LBB58_91
.LBB58_90:
	v_mov_b32_e32 v82, 0
.LBB58_91:
	v_pk_add_f32 v[60:61], v[0:1], v[60:61]
	s_nop 0
	v_min3_f32 v83, v60, v61, v141
	v_pk_add_f32 v[60:61], v[2:3], v[62:63]
	s_nop 0
	v_min_f32_e32 v60, v60, v61
	v_min3_f32 v62, v82, v60, v83
	v_lshl_add_u64 v[60:61], v[78:79], 2, v[80:81]
	global_store_dword v[60:61], v62, off
.LBB58_92:
	s_or_b64 exec, exec, s[18:19]
	v_add_u32_e32 v80, 8, v123
	v_mad_i64_i32 v[60:61], s[26:27], v80, s29, 0
	v_cmp_gt_i32_e64 s[18:19], s21, v80
	v_lshl_add_u64 v[62:63], v[60:61], 2, s[24:25]
	v_mad_i64_i32 v[60:61], s[26:27], v80, s28, 0
	v_lshl_add_u64 v[60:61], v[60:61], 2, s[22:23]
	s_and_b64 s[30:31], s[2:3], s[18:19]
	s_and_saveexec_b64 s[26:27], s[30:31]
	s_cbranch_execnz .LBB58_100
; %bb.93:
	s_or_b64 exec, exec, s[26:27]
	s_and_b64 s[30:31], s[4:5], s[18:19]
	s_and_saveexec_b64 s[26:27], s[30:31]
	s_cbranch_execnz .LBB58_104
.LBB58_94:
	s_or_b64 exec, exec, s[26:27]
	s_and_b64 s[30:31], s[6:7], s[18:19]
	s_and_saveexec_b64 s[26:27], s[30:31]
	s_cbranch_execnz .LBB58_108
.LBB58_95:
	s_or_b64 exec, exec, s[26:27]
	s_and_b64 s[30:31], s[8:9], s[18:19]
	s_and_saveexec_b64 s[26:27], s[30:31]
	s_cbranch_execnz .LBB58_112
.LBB58_96:
	s_or_b64 exec, exec, s[26:27]
	s_and_b64 s[30:31], s[10:11], s[18:19]
	s_and_saveexec_b64 s[26:27], s[30:31]
	s_cbranch_execnz .LBB58_116
.LBB58_97:
	s_or_b64 exec, exec, s[26:27]
	s_and_b64 s[30:31], s[12:13], s[18:19]
	s_and_saveexec_b64 s[26:27], s[30:31]
	s_cbranch_execnz .LBB58_120
.LBB58_98:
	s_or_b64 exec, exec, s[26:27]
	s_and_b64 s[30:31], s[14:15], s[18:19]
	s_and_saveexec_b64 s[26:27], s[30:31]
	s_cbranch_execnz .LBB58_124
.LBB58_99:
	s_or_b64 exec, exec, s[26:27]
	s_and_b64 s[26:27], s[16:17], s[18:19]
	s_and_saveexec_b64 s[18:19], s[26:27]
	s_cbranch_execnz .LBB58_128
	s_branch .LBB58_132
.LBB58_100:
	s_and_b64 vcc, exec, s[0:1]
	s_cbranch_vccnz .LBB58_102
; %bb.101:
	v_lshl_add_u64 v[80:81], v[64:65], 2, v[62:63]
	flat_load_dword v80, v[80:81]
	s_waitcnt vmcnt(0) lgkmcnt(0)
	v_mul_f32_e32 v80, s33, v80
	s_branch .LBB58_103
.LBB58_102:
	v_mov_b32_e32 v80, 0
.LBB58_103:
	v_pk_add_f32 v[82:83], v[32:33], v[56:57]
	s_nop 0
	v_min3_f32 v81, v82, v83, v140
	v_pk_add_f32 v[82:83], v[34:35], v[58:59]
	s_nop 0
	v_min_f32_e32 v82, v82, v83
	v_min3_f32 v82, v80, v82, v81
	v_lshl_add_u64 v[80:81], v[64:65], 2, v[60:61]
	global_store_dword v[80:81], v82, off
	s_or_b64 exec, exec, s[26:27]
	s_and_b64 s[30:31], s[4:5], s[18:19]
	s_and_saveexec_b64 s[26:27], s[30:31]
	s_cbranch_execz .LBB58_94
.LBB58_104:
	s_and_b64 vcc, exec, s[0:1]
	s_cbranch_vccnz .LBB58_106
; %bb.105:
	v_lshl_add_u64 v[80:81], v[66:67], 2, v[62:63]
	flat_load_dword v80, v[80:81]
	s_waitcnt vmcnt(0) lgkmcnt(0)
	v_mul_f32_e32 v80, s33, v80
	s_branch .LBB58_107
.LBB58_106:
	v_mov_b32_e32 v80, 0
.LBB58_107:
	v_pk_add_f32 v[82:83], v[28:29], v[56:57]
	s_nop 0
	v_min3_f32 v81, v82, v83, v139
	v_pk_add_f32 v[82:83], v[30:31], v[58:59]
	s_nop 0
	v_min_f32_e32 v82, v82, v83
	v_min3_f32 v82, v80, v82, v81
	v_lshl_add_u64 v[80:81], v[66:67], 2, v[60:61]
	global_store_dword v[80:81], v82, off
	s_or_b64 exec, exec, s[26:27]
	s_and_b64 s[30:31], s[6:7], s[18:19]
	s_and_saveexec_b64 s[26:27], s[30:31]
	s_cbranch_execz .LBB58_95
.LBB58_108:
	s_and_b64 vcc, exec, s[0:1]
	s_cbranch_vccnz .LBB58_110
; %bb.109:
	v_lshl_add_u64 v[80:81], v[68:69], 2, v[62:63]
	flat_load_dword v80, v[80:81]
	s_waitcnt vmcnt(0) lgkmcnt(0)
	v_mul_f32_e32 v80, s33, v80
	s_branch .LBB58_111
.LBB58_110:
	v_mov_b32_e32 v80, 0
.LBB58_111:
	v_pk_add_f32 v[82:83], v[24:25], v[56:57]
	s_nop 0
	v_min3_f32 v81, v82, v83, v138
	v_pk_add_f32 v[82:83], v[26:27], v[58:59]
	s_nop 0
	v_min_f32_e32 v82, v82, v83
	v_min3_f32 v82, v80, v82, v81
	v_lshl_add_u64 v[80:81], v[68:69], 2, v[60:61]
	global_store_dword v[80:81], v82, off
	s_or_b64 exec, exec, s[26:27]
	s_and_b64 s[30:31], s[8:9], s[18:19]
	s_and_saveexec_b64 s[26:27], s[30:31]
	s_cbranch_execz .LBB58_96
.LBB58_112:
	s_and_b64 vcc, exec, s[0:1]
	s_cbranch_vccnz .LBB58_114
; %bb.113:
	v_lshl_add_u64 v[80:81], v[70:71], 2, v[62:63]
	flat_load_dword v80, v[80:81]
	s_waitcnt vmcnt(0) lgkmcnt(0)
	v_mul_f32_e32 v80, s33, v80
	s_branch .LBB58_115
.LBB58_114:
	v_mov_b32_e32 v80, 0
.LBB58_115:
	v_pk_add_f32 v[82:83], v[20:21], v[56:57]
	s_nop 0
	v_min3_f32 v81, v82, v83, v137
	v_pk_add_f32 v[82:83], v[22:23], v[58:59]
	s_nop 0
	v_min_f32_e32 v82, v82, v83
	v_min3_f32 v82, v80, v82, v81
	v_lshl_add_u64 v[80:81], v[70:71], 2, v[60:61]
	global_store_dword v[80:81], v82, off
	s_or_b64 exec, exec, s[26:27]
	s_and_b64 s[30:31], s[10:11], s[18:19]
	s_and_saveexec_b64 s[26:27], s[30:31]
	s_cbranch_execz .LBB58_97
.LBB58_116:
	s_and_b64 vcc, exec, s[0:1]
	s_cbranch_vccnz .LBB58_118
; %bb.117:
	v_lshl_add_u64 v[80:81], v[72:73], 2, v[62:63]
	flat_load_dword v80, v[80:81]
	s_waitcnt vmcnt(0) lgkmcnt(0)
	v_mul_f32_e32 v80, s33, v80
	s_branch .LBB58_119
.LBB58_118:
	v_mov_b32_e32 v80, 0
.LBB58_119:
	v_pk_add_f32 v[82:83], v[16:17], v[56:57]
	s_nop 0
	v_min3_f32 v81, v82, v83, v135
	v_pk_add_f32 v[82:83], v[18:19], v[58:59]
	s_nop 0
	v_min_f32_e32 v82, v82, v83
	v_min3_f32 v82, v80, v82, v81
	v_lshl_add_u64 v[80:81], v[72:73], 2, v[60:61]
	global_store_dword v[80:81], v82, off
	s_or_b64 exec, exec, s[26:27]
	s_and_b64 s[30:31], s[12:13], s[18:19]
	s_and_saveexec_b64 s[26:27], s[30:31]
	s_cbranch_execz .LBB58_98
.LBB58_120:
	s_and_b64 vcc, exec, s[0:1]
	s_cbranch_vccnz .LBB58_122
; %bb.121:
	v_lshl_add_u64 v[80:81], v[74:75], 2, v[62:63]
	flat_load_dword v80, v[80:81]
	s_waitcnt vmcnt(0) lgkmcnt(0)
	v_mul_f32_e32 v80, s33, v80
	s_branch .LBB58_123
.LBB58_122:
	v_mov_b32_e32 v80, 0
.LBB58_123:
	v_pk_add_f32 v[82:83], v[12:13], v[56:57]
	s_nop 0
	v_min3_f32 v81, v82, v83, v133
	v_pk_add_f32 v[82:83], v[14:15], v[58:59]
	s_nop 0
	v_min_f32_e32 v82, v82, v83
	v_min3_f32 v82, v80, v82, v81
	v_lshl_add_u64 v[80:81], v[74:75], 2, v[60:61]
	global_store_dword v[80:81], v82, off
	s_or_b64 exec, exec, s[26:27]
	s_and_b64 s[30:31], s[14:15], s[18:19]
	s_and_saveexec_b64 s[26:27], s[30:31]
	s_cbranch_execz .LBB58_99
.LBB58_124:
	s_and_b64 vcc, exec, s[0:1]
	s_cbranch_vccnz .LBB58_126
; %bb.125:
	v_lshl_add_u64 v[80:81], v[76:77], 2, v[62:63]
	flat_load_dword v80, v[80:81]
	s_waitcnt vmcnt(0) lgkmcnt(0)
	v_mul_f32_e32 v80, s33, v80
	s_branch .LBB58_127
.LBB58_126:
	v_mov_b32_e32 v80, 0
.LBB58_127:
	v_pk_add_f32 v[82:83], v[8:9], v[56:57]
	s_nop 0
	v_min3_f32 v81, v82, v83, v131
	v_pk_add_f32 v[82:83], v[10:11], v[58:59]
	s_nop 0
	v_min_f32_e32 v82, v82, v83
	v_min3_f32 v82, v80, v82, v81
	v_lshl_add_u64 v[80:81], v[76:77], 2, v[60:61]
	global_store_dword v[80:81], v82, off
	s_or_b64 exec, exec, s[26:27]
	s_and_b64 s[26:27], s[16:17], s[18:19]
	s_and_saveexec_b64 s[18:19], s[26:27]
	s_cbranch_execz .LBB58_132
.LBB58_128:
	s_and_b64 vcc, exec, s[0:1]
	s_cbranch_vccnz .LBB58_130
; %bb.129:
	v_lshl_add_u64 v[62:63], v[78:79], 2, v[62:63]
	flat_load_dword v62, v[62:63]
	s_waitcnt vmcnt(0) lgkmcnt(0)
	v_mul_f32_e32 v62, s33, v62
	s_branch .LBB58_131
.LBB58_130:
	v_mov_b32_e32 v62, 0
.LBB58_131:
	v_pk_add_f32 v[56:57], v[0:1], v[56:57]
	s_nop 0
	v_min3_f32 v63, v56, v57, v136
	v_pk_add_f32 v[56:57], v[2:3], v[58:59]
	s_nop 0
	v_min_f32_e32 v56, v56, v57
	v_min3_f32 v58, v62, v56, v63
	v_lshl_add_u64 v[56:57], v[78:79], 2, v[60:61]
	global_store_dword v[56:57], v58, off
.LBB58_132:
	s_or_b64 exec, exec, s[18:19]
	v_add_u32_e32 v60, 16, v123
	v_mad_i64_i32 v[56:57], s[26:27], v60, s29, 0
	v_cmp_gt_i32_e64 s[18:19], s21, v60
	v_lshl_add_u64 v[58:59], v[56:57], 2, s[24:25]
	v_mad_i64_i32 v[56:57], s[26:27], v60, s28, 0
	v_lshl_add_u64 v[56:57], v[56:57], 2, s[22:23]
	s_and_b64 s[30:31], s[2:3], s[18:19]
	s_and_saveexec_b64 s[26:27], s[30:31]
	s_cbranch_execnz .LBB58_140
; %bb.133:
	s_or_b64 exec, exec, s[26:27]
	s_and_b64 s[30:31], s[4:5], s[18:19]
	s_and_saveexec_b64 s[26:27], s[30:31]
	s_cbranch_execnz .LBB58_144
.LBB58_134:
	s_or_b64 exec, exec, s[26:27]
	s_and_b64 s[30:31], s[6:7], s[18:19]
	s_and_saveexec_b64 s[26:27], s[30:31]
	s_cbranch_execnz .LBB58_148
.LBB58_135:
	s_or_b64 exec, exec, s[26:27]
	s_and_b64 s[30:31], s[8:9], s[18:19]
	s_and_saveexec_b64 s[26:27], s[30:31]
	s_cbranch_execnz .LBB58_152
.LBB58_136:
	s_or_b64 exec, exec, s[26:27]
	s_and_b64 s[30:31], s[10:11], s[18:19]
	s_and_saveexec_b64 s[26:27], s[30:31]
	s_cbranch_execnz .LBB58_156
.LBB58_137:
	s_or_b64 exec, exec, s[26:27]
	s_and_b64 s[30:31], s[12:13], s[18:19]
	s_and_saveexec_b64 s[26:27], s[30:31]
	s_cbranch_execnz .LBB58_160
.LBB58_138:
	s_or_b64 exec, exec, s[26:27]
	s_and_b64 s[30:31], s[14:15], s[18:19]
	s_and_saveexec_b64 s[26:27], s[30:31]
	s_cbranch_execnz .LBB58_164
.LBB58_139:
	s_or_b64 exec, exec, s[26:27]
	s_and_b64 s[26:27], s[16:17], s[18:19]
	s_and_saveexec_b64 s[18:19], s[26:27]
	s_cbranch_execnz .LBB58_168
	s_branch .LBB58_172
.LBB58_140:
	s_and_b64 vcc, exec, s[0:1]
	s_cbranch_vccnz .LBB58_142
; %bb.141:
	v_lshl_add_u64 v[60:61], v[64:65], 2, v[58:59]
	flat_load_dword v60, v[60:61]
	s_waitcnt vmcnt(0) lgkmcnt(0)
	v_mul_f32_e32 v60, s33, v60
	s_branch .LBB58_143
.LBB58_142:
	v_mov_b32_e32 v60, 0
.LBB58_143:
	v_pk_add_f32 v[62:63], v[32:33], v[52:53]
	s_nop 0
	v_min3_f32 v61, v62, v63, v134
	v_pk_add_f32 v[62:63], v[34:35], v[54:55]
	s_nop 0
	v_min_f32_e32 v62, v62, v63
	v_min3_f32 v62, v60, v62, v61
	v_lshl_add_u64 v[60:61], v[64:65], 2, v[56:57]
	global_store_dword v[60:61], v62, off
	s_or_b64 exec, exec, s[26:27]
	s_and_b64 s[30:31], s[4:5], s[18:19]
	s_and_saveexec_b64 s[26:27], s[30:31]
	s_cbranch_execz .LBB58_134
.LBB58_144:
	s_and_b64 vcc, exec, s[0:1]
	s_cbranch_vccnz .LBB58_146
; %bb.145:
	v_lshl_add_u64 v[60:61], v[66:67], 2, v[58:59]
	flat_load_dword v60, v[60:61]
	s_waitcnt vmcnt(0) lgkmcnt(0)
	v_mul_f32_e32 v60, s33, v60
	s_branch .LBB58_147
.LBB58_146:
	v_mov_b32_e32 v60, 0
.LBB58_147:
	v_pk_add_f32 v[62:63], v[28:29], v[52:53]
	s_nop 0
	v_min3_f32 v61, v62, v63, v132
	v_pk_add_f32 v[62:63], v[30:31], v[54:55]
	s_nop 0
	v_min_f32_e32 v62, v62, v63
	v_min3_f32 v62, v60, v62, v61
	v_lshl_add_u64 v[60:61], v[66:67], 2, v[56:57]
	global_store_dword v[60:61], v62, off
	s_or_b64 exec, exec, s[26:27]
	s_and_b64 s[30:31], s[6:7], s[18:19]
	s_and_saveexec_b64 s[26:27], s[30:31]
	s_cbranch_execz .LBB58_135
.LBB58_148:
	s_and_b64 vcc, exec, s[0:1]
	s_cbranch_vccnz .LBB58_150
; %bb.149:
	v_lshl_add_u64 v[60:61], v[68:69], 2, v[58:59]
	flat_load_dword v60, v[60:61]
	s_waitcnt vmcnt(0) lgkmcnt(0)
	v_mul_f32_e32 v60, s33, v60
	s_branch .LBB58_151
.LBB58_150:
	v_mov_b32_e32 v60, 0
.LBB58_151:
	v_pk_add_f32 v[62:63], v[24:25], v[52:53]
	s_nop 0
	v_min3_f32 v61, v62, v63, v130
	v_pk_add_f32 v[62:63], v[26:27], v[54:55]
	s_nop 0
	v_min_f32_e32 v62, v62, v63
	v_min3_f32 v62, v60, v62, v61
	v_lshl_add_u64 v[60:61], v[68:69], 2, v[56:57]
	global_store_dword v[60:61], v62, off
	s_or_b64 exec, exec, s[26:27]
	s_and_b64 s[30:31], s[8:9], s[18:19]
	s_and_saveexec_b64 s[26:27], s[30:31]
	s_cbranch_execz .LBB58_136
.LBB58_152:
	s_and_b64 vcc, exec, s[0:1]
	s_cbranch_vccnz .LBB58_154
; %bb.153:
	v_lshl_add_u64 v[60:61], v[70:71], 2, v[58:59]
	flat_load_dword v60, v[60:61]
	s_waitcnt vmcnt(0) lgkmcnt(0)
	v_mul_f32_e32 v60, s33, v60
	s_branch .LBB58_155
.LBB58_154:
	v_mov_b32_e32 v60, 0
.LBB58_155:
	v_pk_add_f32 v[62:63], v[20:21], v[52:53]
	s_nop 0
	v_min3_f32 v61, v62, v63, v129
	v_pk_add_f32 v[62:63], v[22:23], v[54:55]
	s_nop 0
	v_min_f32_e32 v62, v62, v63
	v_min3_f32 v62, v60, v62, v61
	v_lshl_add_u64 v[60:61], v[70:71], 2, v[56:57]
	global_store_dword v[60:61], v62, off
	s_or_b64 exec, exec, s[26:27]
	s_and_b64 s[30:31], s[10:11], s[18:19]
	s_and_saveexec_b64 s[26:27], s[30:31]
	s_cbranch_execz .LBB58_137
.LBB58_156:
	s_and_b64 vcc, exec, s[0:1]
	s_cbranch_vccnz .LBB58_158
; %bb.157:
	v_lshl_add_u64 v[60:61], v[72:73], 2, v[58:59]
	flat_load_dword v60, v[60:61]
	s_waitcnt vmcnt(0) lgkmcnt(0)
	v_mul_f32_e32 v60, s33, v60
	s_branch .LBB58_159
.LBB58_158:
	v_mov_b32_e32 v60, 0
.LBB58_159:
	v_pk_add_f32 v[62:63], v[16:17], v[52:53]
	s_nop 0
	v_min3_f32 v61, v62, v63, v128
	v_pk_add_f32 v[62:63], v[18:19], v[54:55]
	s_nop 0
	v_min_f32_e32 v62, v62, v63
	v_min3_f32 v62, v60, v62, v61
	v_lshl_add_u64 v[60:61], v[72:73], 2, v[56:57]
	global_store_dword v[60:61], v62, off
	s_or_b64 exec, exec, s[26:27]
	s_and_b64 s[30:31], s[12:13], s[18:19]
	s_and_saveexec_b64 s[26:27], s[30:31]
	s_cbranch_execz .LBB58_138
.LBB58_160:
	s_and_b64 vcc, exec, s[0:1]
	s_cbranch_vccnz .LBB58_162
; %bb.161:
	v_lshl_add_u64 v[60:61], v[74:75], 2, v[58:59]
	flat_load_dword v60, v[60:61]
	s_waitcnt vmcnt(0) lgkmcnt(0)
	v_mul_f32_e32 v60, s33, v60
	s_branch .LBB58_163
.LBB58_162:
	v_mov_b32_e32 v60, 0
.LBB58_163:
	v_pk_add_f32 v[62:63], v[12:13], v[52:53]
	s_nop 0
	v_min3_f32 v61, v62, v63, v127
	v_pk_add_f32 v[62:63], v[14:15], v[54:55]
	s_nop 0
	v_min_f32_e32 v62, v62, v63
	v_min3_f32 v62, v60, v62, v61
	v_lshl_add_u64 v[60:61], v[74:75], 2, v[56:57]
	global_store_dword v[60:61], v62, off
	s_or_b64 exec, exec, s[26:27]
	s_and_b64 s[30:31], s[14:15], s[18:19]
	s_and_saveexec_b64 s[26:27], s[30:31]
	s_cbranch_execz .LBB58_139
.LBB58_164:
	s_and_b64 vcc, exec, s[0:1]
	s_cbranch_vccnz .LBB58_166
; %bb.165:
	v_lshl_add_u64 v[60:61], v[76:77], 2, v[58:59]
	flat_load_dword v60, v[60:61]
	s_waitcnt vmcnt(0) lgkmcnt(0)
	v_mul_f32_e32 v60, s33, v60
	s_branch .LBB58_167
.LBB58_166:
	v_mov_b32_e32 v60, 0
.LBB58_167:
	v_pk_add_f32 v[62:63], v[8:9], v[52:53]
	s_nop 0
	v_min3_f32 v61, v62, v63, v126
	v_pk_add_f32 v[62:63], v[10:11], v[54:55]
	s_nop 0
	v_min_f32_e32 v62, v62, v63
	v_min3_f32 v62, v60, v62, v61
	v_lshl_add_u64 v[60:61], v[76:77], 2, v[56:57]
	global_store_dword v[60:61], v62, off
	s_or_b64 exec, exec, s[26:27]
	s_and_b64 s[26:27], s[16:17], s[18:19]
	s_and_saveexec_b64 s[18:19], s[26:27]
	s_cbranch_execz .LBB58_172
.LBB58_168:
	s_and_b64 vcc, exec, s[0:1]
	s_cbranch_vccnz .LBB58_170
; %bb.169:
	v_lshl_add_u64 v[58:59], v[78:79], 2, v[58:59]
	flat_load_dword v58, v[58:59]
	s_waitcnt vmcnt(0) lgkmcnt(0)
	v_mul_f32_e32 v58, s33, v58
	s_branch .LBB58_171
.LBB58_170:
	v_mov_b32_e32 v58, 0
.LBB58_171:
	v_pk_add_f32 v[52:53], v[0:1], v[52:53]
	s_nop 0
	v_min3_f32 v59, v52, v53, v125
	v_pk_add_f32 v[52:53], v[2:3], v[54:55]
	s_nop 0
	v_min_f32_e32 v52, v52, v53
	v_min3_f32 v54, v58, v52, v59
	v_lshl_add_u64 v[52:53], v[78:79], 2, v[56:57]
	global_store_dword v[52:53], v54, off
.LBB58_172:
	s_or_b64 exec, exec, s[18:19]
	v_add_u32_e32 v56, 24, v123
	v_mad_i64_i32 v[52:53], s[26:27], v56, s29, 0
	v_cmp_gt_i32_e64 s[18:19], s21, v56
	v_lshl_add_u64 v[54:55], v[52:53], 2, s[24:25]
	v_mad_i64_i32 v[52:53], s[26:27], v56, s28, 0
	v_lshl_add_u64 v[52:53], v[52:53], 2, s[22:23]
	s_and_b64 s[30:31], s[2:3], s[18:19]
	s_and_saveexec_b64 s[26:27], s[30:31]
	s_cbranch_execnz .LBB58_180
; %bb.173:
	s_or_b64 exec, exec, s[26:27]
	s_and_b64 s[30:31], s[4:5], s[18:19]
	s_and_saveexec_b64 s[26:27], s[30:31]
	s_cbranch_execnz .LBB58_184
.LBB58_174:
	s_or_b64 exec, exec, s[26:27]
	s_and_b64 s[30:31], s[6:7], s[18:19]
	s_and_saveexec_b64 s[26:27], s[30:31]
	s_cbranch_execnz .LBB58_188
.LBB58_175:
	s_or_b64 exec, exec, s[26:27]
	s_and_b64 s[30:31], s[8:9], s[18:19]
	s_and_saveexec_b64 s[26:27], s[30:31]
	s_cbranch_execnz .LBB58_192
.LBB58_176:
	s_or_b64 exec, exec, s[26:27]
	s_and_b64 s[30:31], s[10:11], s[18:19]
	s_and_saveexec_b64 s[26:27], s[30:31]
	s_cbranch_execnz .LBB58_196
.LBB58_177:
	s_or_b64 exec, exec, s[26:27]
	s_and_b64 s[30:31], s[12:13], s[18:19]
	s_and_saveexec_b64 s[26:27], s[30:31]
	s_cbranch_execnz .LBB58_200
.LBB58_178:
	s_or_b64 exec, exec, s[26:27]
	s_and_b64 s[30:31], s[14:15], s[18:19]
	s_and_saveexec_b64 s[26:27], s[30:31]
	s_cbranch_execnz .LBB58_204
.LBB58_179:
	s_or_b64 exec, exec, s[26:27]
	s_and_b64 s[26:27], s[16:17], s[18:19]
	s_and_saveexec_b64 s[18:19], s[26:27]
	s_cbranch_execnz .LBB58_208
	s_branch .LBB58_212
.LBB58_180:
	s_and_b64 vcc, exec, s[0:1]
	s_cbranch_vccnz .LBB58_182
; %bb.181:
	v_lshl_add_u64 v[56:57], v[64:65], 2, v[54:55]
	flat_load_dword v56, v[56:57]
	s_waitcnt vmcnt(0) lgkmcnt(0)
	v_mul_f32_e32 v56, s33, v56
	s_branch .LBB58_183
.LBB58_182:
	v_mov_b32_e32 v56, 0
.LBB58_183:
	v_pk_add_f32 v[58:59], v[32:33], v[48:49]
	s_nop 0
	v_min3_f32 v57, v58, v59, v124
	v_pk_add_f32 v[58:59], v[34:35], v[50:51]
	s_nop 0
	v_min_f32_e32 v58, v58, v59
	v_min3_f32 v58, v56, v58, v57
	v_lshl_add_u64 v[56:57], v[64:65], 2, v[52:53]
	global_store_dword v[56:57], v58, off
	s_or_b64 exec, exec, s[26:27]
	s_and_b64 s[30:31], s[4:5], s[18:19]
	s_and_saveexec_b64 s[26:27], s[30:31]
	s_cbranch_execz .LBB58_174
.LBB58_184:
	s_and_b64 vcc, exec, s[0:1]
	s_cbranch_vccnz .LBB58_186
; %bb.185:
	v_lshl_add_u64 v[56:57], v[66:67], 2, v[54:55]
	flat_load_dword v56, v[56:57]
	s_waitcnt vmcnt(0) lgkmcnt(0)
	v_mul_f32_e32 v56, s33, v56
	s_branch .LBB58_187
.LBB58_186:
	v_mov_b32_e32 v56, 0
.LBB58_187:
	v_pk_add_f32 v[58:59], v[28:29], v[48:49]
	s_nop 0
	v_min3_f32 v57, v58, v59, v122
	v_pk_add_f32 v[58:59], v[30:31], v[50:51]
	s_nop 0
	v_min_f32_e32 v58, v58, v59
	v_min3_f32 v58, v56, v58, v57
	v_lshl_add_u64 v[56:57], v[66:67], 2, v[52:53]
	global_store_dword v[56:57], v58, off
	s_or_b64 exec, exec, s[26:27]
	s_and_b64 s[30:31], s[6:7], s[18:19]
	s_and_saveexec_b64 s[26:27], s[30:31]
	s_cbranch_execz .LBB58_175
.LBB58_188:
	s_and_b64 vcc, exec, s[0:1]
	s_cbranch_vccnz .LBB58_190
; %bb.189:
	v_lshl_add_u64 v[56:57], v[68:69], 2, v[54:55]
	flat_load_dword v56, v[56:57]
	s_waitcnt vmcnt(0) lgkmcnt(0)
	v_mul_f32_e32 v56, s33, v56
	s_branch .LBB58_191
.LBB58_190:
	v_mov_b32_e32 v56, 0
.LBB58_191:
	v_pk_add_f32 v[58:59], v[24:25], v[48:49]
	s_nop 0
	v_min3_f32 v57, v58, v59, v121
	v_pk_add_f32 v[58:59], v[26:27], v[50:51]
	s_nop 0
	v_min_f32_e32 v58, v58, v59
	v_min3_f32 v58, v56, v58, v57
	v_lshl_add_u64 v[56:57], v[68:69], 2, v[52:53]
	global_store_dword v[56:57], v58, off
	s_or_b64 exec, exec, s[26:27]
	s_and_b64 s[30:31], s[8:9], s[18:19]
	s_and_saveexec_b64 s[26:27], s[30:31]
	s_cbranch_execz .LBB58_176
.LBB58_192:
	s_and_b64 vcc, exec, s[0:1]
	s_cbranch_vccnz .LBB58_194
; %bb.193:
	v_lshl_add_u64 v[56:57], v[70:71], 2, v[54:55]
	flat_load_dword v56, v[56:57]
	s_waitcnt vmcnt(0) lgkmcnt(0)
	v_mul_f32_e32 v56, s33, v56
	s_branch .LBB58_195
.LBB58_194:
	v_mov_b32_e32 v56, 0
.LBB58_195:
	v_pk_add_f32 v[58:59], v[20:21], v[48:49]
	s_nop 0
	v_min3_f32 v57, v58, v59, v120
	v_pk_add_f32 v[58:59], v[22:23], v[50:51]
	s_nop 0
	v_min_f32_e32 v58, v58, v59
	v_min3_f32 v58, v56, v58, v57
	v_lshl_add_u64 v[56:57], v[70:71], 2, v[52:53]
	global_store_dword v[56:57], v58, off
	s_or_b64 exec, exec, s[26:27]
	s_and_b64 s[30:31], s[10:11], s[18:19]
	s_and_saveexec_b64 s[26:27], s[30:31]
	s_cbranch_execz .LBB58_177
.LBB58_196:
	s_and_b64 vcc, exec, s[0:1]
	s_cbranch_vccnz .LBB58_198
; %bb.197:
	v_lshl_add_u64 v[56:57], v[72:73], 2, v[54:55]
	flat_load_dword v56, v[56:57]
	s_waitcnt vmcnt(0) lgkmcnt(0)
	v_mul_f32_e32 v56, s33, v56
	s_branch .LBB58_199
.LBB58_198:
	v_mov_b32_e32 v56, 0
.LBB58_199:
	v_pk_add_f32 v[58:59], v[16:17], v[48:49]
	s_nop 0
	v_min3_f32 v57, v58, v59, v119
	v_pk_add_f32 v[58:59], v[18:19], v[50:51]
	s_nop 0
	v_min_f32_e32 v58, v58, v59
	v_min3_f32 v58, v56, v58, v57
	v_lshl_add_u64 v[56:57], v[72:73], 2, v[52:53]
	global_store_dword v[56:57], v58, off
	s_or_b64 exec, exec, s[26:27]
	s_and_b64 s[30:31], s[12:13], s[18:19]
	s_and_saveexec_b64 s[26:27], s[30:31]
	s_cbranch_execz .LBB58_178
.LBB58_200:
	s_and_b64 vcc, exec, s[0:1]
	s_cbranch_vccnz .LBB58_202
; %bb.201:
	v_lshl_add_u64 v[56:57], v[74:75], 2, v[54:55]
	flat_load_dword v56, v[56:57]
	s_waitcnt vmcnt(0) lgkmcnt(0)
	v_mul_f32_e32 v56, s33, v56
	s_branch .LBB58_203
.LBB58_202:
	v_mov_b32_e32 v56, 0
.LBB58_203:
	v_pk_add_f32 v[58:59], v[12:13], v[48:49]
	s_nop 0
	v_min3_f32 v57, v58, v59, v118
	v_pk_add_f32 v[58:59], v[14:15], v[50:51]
	s_nop 0
	v_min_f32_e32 v58, v58, v59
	v_min3_f32 v58, v56, v58, v57
	v_lshl_add_u64 v[56:57], v[74:75], 2, v[52:53]
	global_store_dword v[56:57], v58, off
	s_or_b64 exec, exec, s[26:27]
	s_and_b64 s[30:31], s[14:15], s[18:19]
	s_and_saveexec_b64 s[26:27], s[30:31]
	s_cbranch_execz .LBB58_179
.LBB58_204:
	s_and_b64 vcc, exec, s[0:1]
	s_cbranch_vccnz .LBB58_206
; %bb.205:
	v_lshl_add_u64 v[56:57], v[76:77], 2, v[54:55]
	flat_load_dword v56, v[56:57]
	s_waitcnt vmcnt(0) lgkmcnt(0)
	v_mul_f32_e32 v56, s33, v56
	s_branch .LBB58_207
.LBB58_206:
	v_mov_b32_e32 v56, 0
.LBB58_207:
	v_pk_add_f32 v[58:59], v[8:9], v[48:49]
	s_nop 0
	v_min3_f32 v57, v58, v59, v117
	v_pk_add_f32 v[58:59], v[10:11], v[50:51]
	s_nop 0
	v_min_f32_e32 v58, v58, v59
	v_min3_f32 v58, v56, v58, v57
	v_lshl_add_u64 v[56:57], v[76:77], 2, v[52:53]
	global_store_dword v[56:57], v58, off
	s_or_b64 exec, exec, s[26:27]
	s_and_b64 s[26:27], s[16:17], s[18:19]
	s_and_saveexec_b64 s[18:19], s[26:27]
	s_cbranch_execz .LBB58_212
.LBB58_208:
	s_and_b64 vcc, exec, s[0:1]
	s_cbranch_vccnz .LBB58_210
; %bb.209:
	v_lshl_add_u64 v[54:55], v[78:79], 2, v[54:55]
	flat_load_dword v54, v[54:55]
	s_waitcnt vmcnt(0) lgkmcnt(0)
	v_mul_f32_e32 v54, s33, v54
	s_branch .LBB58_211
.LBB58_210:
	v_mov_b32_e32 v54, 0
.LBB58_211:
	v_pk_add_f32 v[48:49], v[0:1], v[48:49]
	s_nop 0
	v_min3_f32 v55, v48, v49, v116
	v_pk_add_f32 v[48:49], v[2:3], v[50:51]
	s_nop 0
	v_min_f32_e32 v48, v48, v49
	v_min3_f32 v50, v54, v48, v55
	v_lshl_add_u64 v[48:49], v[78:79], 2, v[52:53]
	global_store_dword v[48:49], v50, off
.LBB58_212:
	s_or_b64 exec, exec, s[18:19]
	v_add_u32_e32 v52, 32, v123
	v_mad_i64_i32 v[48:49], s[26:27], v52, s29, 0
	v_cmp_gt_i32_e64 s[18:19], s21, v52
	v_lshl_add_u64 v[50:51], v[48:49], 2, s[24:25]
	v_mad_i64_i32 v[48:49], s[26:27], v52, s28, 0
	v_lshl_add_u64 v[48:49], v[48:49], 2, s[22:23]
	s_and_b64 s[30:31], s[2:3], s[18:19]
	s_and_saveexec_b64 s[26:27], s[30:31]
	s_cbranch_execnz .LBB58_220
; %bb.213:
	s_or_b64 exec, exec, s[26:27]
	s_and_b64 s[30:31], s[4:5], s[18:19]
	s_and_saveexec_b64 s[26:27], s[30:31]
	s_cbranch_execnz .LBB58_224
.LBB58_214:
	s_or_b64 exec, exec, s[26:27]
	s_and_b64 s[30:31], s[6:7], s[18:19]
	s_and_saveexec_b64 s[26:27], s[30:31]
	s_cbranch_execnz .LBB58_228
.LBB58_215:
	s_or_b64 exec, exec, s[26:27]
	s_and_b64 s[30:31], s[8:9], s[18:19]
	s_and_saveexec_b64 s[26:27], s[30:31]
	s_cbranch_execnz .LBB58_232
.LBB58_216:
	s_or_b64 exec, exec, s[26:27]
	s_and_b64 s[30:31], s[10:11], s[18:19]
	s_and_saveexec_b64 s[26:27], s[30:31]
	s_cbranch_execnz .LBB58_236
.LBB58_217:
	s_or_b64 exec, exec, s[26:27]
	s_and_b64 s[30:31], s[12:13], s[18:19]
	s_and_saveexec_b64 s[26:27], s[30:31]
	s_cbranch_execnz .LBB58_240
.LBB58_218:
	s_or_b64 exec, exec, s[26:27]
	s_and_b64 s[30:31], s[14:15], s[18:19]
	s_and_saveexec_b64 s[26:27], s[30:31]
	s_cbranch_execnz .LBB58_244
.LBB58_219:
	s_or_b64 exec, exec, s[26:27]
	s_and_b64 s[26:27], s[16:17], s[18:19]
	s_and_saveexec_b64 s[18:19], s[26:27]
	s_cbranch_execnz .LBB58_248
	s_branch .LBB58_252
.LBB58_220:
	s_and_b64 vcc, exec, s[0:1]
	s_cbranch_vccnz .LBB58_222
; %bb.221:
	v_lshl_add_u64 v[52:53], v[64:65], 2, v[50:51]
	flat_load_dword v52, v[52:53]
	s_waitcnt vmcnt(0) lgkmcnt(0)
	v_mul_f32_e32 v52, s33, v52
	s_branch .LBB58_223
.LBB58_222:
	v_mov_b32_e32 v52, 0
.LBB58_223:
	v_pk_add_f32 v[54:55], v[32:33], v[44:45]
	s_nop 0
	v_min3_f32 v53, v54, v55, v115
	v_pk_add_f32 v[54:55], v[34:35], v[46:47]
	s_nop 0
	v_min_f32_e32 v54, v54, v55
	v_min3_f32 v54, v52, v54, v53
	v_lshl_add_u64 v[52:53], v[64:65], 2, v[48:49]
	global_store_dword v[52:53], v54, off
	s_or_b64 exec, exec, s[26:27]
	s_and_b64 s[30:31], s[4:5], s[18:19]
	s_and_saveexec_b64 s[26:27], s[30:31]
	s_cbranch_execz .LBB58_214
.LBB58_224:
	s_and_b64 vcc, exec, s[0:1]
	s_cbranch_vccnz .LBB58_226
; %bb.225:
	v_lshl_add_u64 v[52:53], v[66:67], 2, v[50:51]
	flat_load_dword v52, v[52:53]
	s_waitcnt vmcnt(0) lgkmcnt(0)
	v_mul_f32_e32 v52, s33, v52
	s_branch .LBB58_227
.LBB58_226:
	v_mov_b32_e32 v52, 0
.LBB58_227:
	v_pk_add_f32 v[54:55], v[28:29], v[44:45]
	s_nop 0
	v_min3_f32 v53, v54, v55, v114
	v_pk_add_f32 v[54:55], v[30:31], v[46:47]
	s_nop 0
	v_min_f32_e32 v54, v54, v55
	v_min3_f32 v54, v52, v54, v53
	v_lshl_add_u64 v[52:53], v[66:67], 2, v[48:49]
	global_store_dword v[52:53], v54, off
	s_or_b64 exec, exec, s[26:27]
	s_and_b64 s[30:31], s[6:7], s[18:19]
	s_and_saveexec_b64 s[26:27], s[30:31]
	s_cbranch_execz .LBB58_215
.LBB58_228:
	s_and_b64 vcc, exec, s[0:1]
	s_cbranch_vccnz .LBB58_230
; %bb.229:
	v_lshl_add_u64 v[52:53], v[68:69], 2, v[50:51]
	flat_load_dword v52, v[52:53]
	s_waitcnt vmcnt(0) lgkmcnt(0)
	v_mul_f32_e32 v52, s33, v52
	s_branch .LBB58_231
.LBB58_230:
	v_mov_b32_e32 v52, 0
.LBB58_231:
	v_pk_add_f32 v[54:55], v[24:25], v[44:45]
	s_nop 0
	v_min3_f32 v53, v54, v55, v113
	v_pk_add_f32 v[54:55], v[26:27], v[46:47]
	s_nop 0
	v_min_f32_e32 v54, v54, v55
	v_min3_f32 v54, v52, v54, v53
	v_lshl_add_u64 v[52:53], v[68:69], 2, v[48:49]
	global_store_dword v[52:53], v54, off
	s_or_b64 exec, exec, s[26:27]
	s_and_b64 s[30:31], s[8:9], s[18:19]
	s_and_saveexec_b64 s[26:27], s[30:31]
	s_cbranch_execz .LBB58_216
.LBB58_232:
	s_and_b64 vcc, exec, s[0:1]
	s_cbranch_vccnz .LBB58_234
; %bb.233:
	v_lshl_add_u64 v[52:53], v[70:71], 2, v[50:51]
	flat_load_dword v52, v[52:53]
	s_waitcnt vmcnt(0) lgkmcnt(0)
	v_mul_f32_e32 v52, s33, v52
	s_branch .LBB58_235
.LBB58_234:
	v_mov_b32_e32 v52, 0
.LBB58_235:
	v_pk_add_f32 v[54:55], v[20:21], v[44:45]
	s_nop 0
	v_min3_f32 v53, v54, v55, v112
	v_pk_add_f32 v[54:55], v[22:23], v[46:47]
	s_nop 0
	v_min_f32_e32 v54, v54, v55
	v_min3_f32 v54, v52, v54, v53
	v_lshl_add_u64 v[52:53], v[70:71], 2, v[48:49]
	global_store_dword v[52:53], v54, off
	s_or_b64 exec, exec, s[26:27]
	s_and_b64 s[30:31], s[10:11], s[18:19]
	s_and_saveexec_b64 s[26:27], s[30:31]
	s_cbranch_execz .LBB58_217
.LBB58_236:
	s_and_b64 vcc, exec, s[0:1]
	s_cbranch_vccnz .LBB58_238
; %bb.237:
	v_lshl_add_u64 v[52:53], v[72:73], 2, v[50:51]
	flat_load_dword v52, v[52:53]
	s_waitcnt vmcnt(0) lgkmcnt(0)
	v_mul_f32_e32 v52, s33, v52
	s_branch .LBB58_239
.LBB58_238:
	v_mov_b32_e32 v52, 0
.LBB58_239:
	v_pk_add_f32 v[54:55], v[16:17], v[44:45]
	s_nop 0
	v_min3_f32 v53, v54, v55, v111
	v_pk_add_f32 v[54:55], v[18:19], v[46:47]
	s_nop 0
	v_min_f32_e32 v54, v54, v55
	v_min3_f32 v54, v52, v54, v53
	v_lshl_add_u64 v[52:53], v[72:73], 2, v[48:49]
	global_store_dword v[52:53], v54, off
	s_or_b64 exec, exec, s[26:27]
	s_and_b64 s[30:31], s[12:13], s[18:19]
	s_and_saveexec_b64 s[26:27], s[30:31]
	s_cbranch_execz .LBB58_218
.LBB58_240:
	s_and_b64 vcc, exec, s[0:1]
	s_cbranch_vccnz .LBB58_242
; %bb.241:
	v_lshl_add_u64 v[52:53], v[74:75], 2, v[50:51]
	flat_load_dword v52, v[52:53]
	s_waitcnt vmcnt(0) lgkmcnt(0)
	v_mul_f32_e32 v52, s33, v52
	s_branch .LBB58_243
.LBB58_242:
	v_mov_b32_e32 v52, 0
.LBB58_243:
	v_pk_add_f32 v[54:55], v[12:13], v[44:45]
	s_nop 0
	v_min3_f32 v53, v54, v55, v110
	v_pk_add_f32 v[54:55], v[14:15], v[46:47]
	s_nop 0
	v_min_f32_e32 v54, v54, v55
	v_min3_f32 v54, v52, v54, v53
	v_lshl_add_u64 v[52:53], v[74:75], 2, v[48:49]
	global_store_dword v[52:53], v54, off
	s_or_b64 exec, exec, s[26:27]
	s_and_b64 s[30:31], s[14:15], s[18:19]
	s_and_saveexec_b64 s[26:27], s[30:31]
	s_cbranch_execz .LBB58_219
.LBB58_244:
	s_and_b64 vcc, exec, s[0:1]
	s_cbranch_vccnz .LBB58_246
; %bb.245:
	v_lshl_add_u64 v[52:53], v[76:77], 2, v[50:51]
	flat_load_dword v52, v[52:53]
	s_waitcnt vmcnt(0) lgkmcnt(0)
	v_mul_f32_e32 v52, s33, v52
	s_branch .LBB58_247
.LBB58_246:
	v_mov_b32_e32 v52, 0
.LBB58_247:
	v_pk_add_f32 v[54:55], v[8:9], v[44:45]
	s_nop 0
	v_min3_f32 v53, v54, v55, v109
	v_pk_add_f32 v[54:55], v[10:11], v[46:47]
	s_nop 0
	v_min_f32_e32 v54, v54, v55
	v_min3_f32 v54, v52, v54, v53
	v_lshl_add_u64 v[52:53], v[76:77], 2, v[48:49]
	global_store_dword v[52:53], v54, off
	s_or_b64 exec, exec, s[26:27]
	s_and_b64 s[26:27], s[16:17], s[18:19]
	s_and_saveexec_b64 s[18:19], s[26:27]
	s_cbranch_execz .LBB58_252
.LBB58_248:
	s_and_b64 vcc, exec, s[0:1]
	s_cbranch_vccnz .LBB58_250
; %bb.249:
	v_lshl_add_u64 v[50:51], v[78:79], 2, v[50:51]
	flat_load_dword v50, v[50:51]
	s_waitcnt vmcnt(0) lgkmcnt(0)
	v_mul_f32_e32 v50, s33, v50
	s_branch .LBB58_251
.LBB58_250:
	v_mov_b32_e32 v50, 0
.LBB58_251:
	v_pk_add_f32 v[44:45], v[0:1], v[44:45]
	s_nop 0
	v_min3_f32 v51, v44, v45, v108
	v_pk_add_f32 v[44:45], v[2:3], v[46:47]
	s_nop 0
	v_min_f32_e32 v44, v44, v45
	v_min3_f32 v46, v50, v44, v51
	v_lshl_add_u64 v[44:45], v[78:79], 2, v[48:49]
	global_store_dword v[44:45], v46, off
.LBB58_252:
	s_or_b64 exec, exec, s[18:19]
	v_add_u32_e32 v48, 40, v123
	v_mad_i64_i32 v[44:45], s[26:27], v48, s29, 0
	v_cmp_gt_i32_e64 s[18:19], s21, v48
	v_lshl_add_u64 v[46:47], v[44:45], 2, s[24:25]
	v_mad_i64_i32 v[44:45], s[26:27], v48, s28, 0
	v_lshl_add_u64 v[44:45], v[44:45], 2, s[22:23]
	s_and_b64 s[30:31], s[2:3], s[18:19]
	s_and_saveexec_b64 s[26:27], s[30:31]
	s_cbranch_execnz .LBB58_260
; %bb.253:
	s_or_b64 exec, exec, s[26:27]
	s_and_b64 s[30:31], s[4:5], s[18:19]
	s_and_saveexec_b64 s[26:27], s[30:31]
	s_cbranch_execnz .LBB58_264
.LBB58_254:
	s_or_b64 exec, exec, s[26:27]
	s_and_b64 s[30:31], s[6:7], s[18:19]
	s_and_saveexec_b64 s[26:27], s[30:31]
	s_cbranch_execnz .LBB58_268
.LBB58_255:
	s_or_b64 exec, exec, s[26:27]
	s_and_b64 s[30:31], s[8:9], s[18:19]
	s_and_saveexec_b64 s[26:27], s[30:31]
	s_cbranch_execnz .LBB58_272
.LBB58_256:
	s_or_b64 exec, exec, s[26:27]
	s_and_b64 s[30:31], s[10:11], s[18:19]
	s_and_saveexec_b64 s[26:27], s[30:31]
	s_cbranch_execnz .LBB58_276
.LBB58_257:
	s_or_b64 exec, exec, s[26:27]
	s_and_b64 s[30:31], s[12:13], s[18:19]
	s_and_saveexec_b64 s[26:27], s[30:31]
	s_cbranch_execnz .LBB58_280
.LBB58_258:
	s_or_b64 exec, exec, s[26:27]
	s_and_b64 s[30:31], s[14:15], s[18:19]
	s_and_saveexec_b64 s[26:27], s[30:31]
	s_cbranch_execnz .LBB58_284
.LBB58_259:
	s_or_b64 exec, exec, s[26:27]
	s_and_b64 s[26:27], s[16:17], s[18:19]
	s_and_saveexec_b64 s[18:19], s[26:27]
	s_cbranch_execnz .LBB58_288
	s_branch .LBB58_292
.LBB58_260:
	s_and_b64 vcc, exec, s[0:1]
	s_cbranch_vccnz .LBB58_262
; %bb.261:
	v_lshl_add_u64 v[48:49], v[64:65], 2, v[46:47]
	flat_load_dword v48, v[48:49]
	s_waitcnt vmcnt(0) lgkmcnt(0)
	v_mul_f32_e32 v48, s33, v48
	s_branch .LBB58_263
.LBB58_262:
	v_mov_b32_e32 v48, 0
.LBB58_263:
	v_pk_add_f32 v[50:51], v[32:33], v[40:41]
	s_nop 0
	v_min3_f32 v49, v50, v51, v107
	v_pk_add_f32 v[50:51], v[34:35], v[42:43]
	s_nop 0
	v_min_f32_e32 v50, v50, v51
	v_min3_f32 v50, v48, v50, v49
	v_lshl_add_u64 v[48:49], v[64:65], 2, v[44:45]
	global_store_dword v[48:49], v50, off
	s_or_b64 exec, exec, s[26:27]
	s_and_b64 s[30:31], s[4:5], s[18:19]
	s_and_saveexec_b64 s[26:27], s[30:31]
	s_cbranch_execz .LBB58_254
.LBB58_264:
	s_and_b64 vcc, exec, s[0:1]
	s_cbranch_vccnz .LBB58_266
; %bb.265:
	v_lshl_add_u64 v[48:49], v[66:67], 2, v[46:47]
	flat_load_dword v48, v[48:49]
	s_waitcnt vmcnt(0) lgkmcnt(0)
	v_mul_f32_e32 v48, s33, v48
	s_branch .LBB58_267
.LBB58_266:
	v_mov_b32_e32 v48, 0
.LBB58_267:
	v_pk_add_f32 v[50:51], v[28:29], v[40:41]
	s_nop 0
	v_min3_f32 v49, v50, v51, v106
	v_pk_add_f32 v[50:51], v[30:31], v[42:43]
	s_nop 0
	v_min_f32_e32 v50, v50, v51
	v_min3_f32 v50, v48, v50, v49
	v_lshl_add_u64 v[48:49], v[66:67], 2, v[44:45]
	global_store_dword v[48:49], v50, off
	s_or_b64 exec, exec, s[26:27]
	s_and_b64 s[30:31], s[6:7], s[18:19]
	s_and_saveexec_b64 s[26:27], s[30:31]
	s_cbranch_execz .LBB58_255
.LBB58_268:
	s_and_b64 vcc, exec, s[0:1]
	s_cbranch_vccnz .LBB58_270
; %bb.269:
	v_lshl_add_u64 v[48:49], v[68:69], 2, v[46:47]
	flat_load_dword v48, v[48:49]
	s_waitcnt vmcnt(0) lgkmcnt(0)
	v_mul_f32_e32 v48, s33, v48
	s_branch .LBB58_271
.LBB58_270:
	v_mov_b32_e32 v48, 0
.LBB58_271:
	v_pk_add_f32 v[50:51], v[24:25], v[40:41]
	s_nop 0
	v_min3_f32 v49, v50, v51, v105
	v_pk_add_f32 v[50:51], v[26:27], v[42:43]
	s_nop 0
	v_min_f32_e32 v50, v50, v51
	v_min3_f32 v50, v48, v50, v49
	v_lshl_add_u64 v[48:49], v[68:69], 2, v[44:45]
	global_store_dword v[48:49], v50, off
	s_or_b64 exec, exec, s[26:27]
	s_and_b64 s[30:31], s[8:9], s[18:19]
	s_and_saveexec_b64 s[26:27], s[30:31]
	s_cbranch_execz .LBB58_256
.LBB58_272:
	s_and_b64 vcc, exec, s[0:1]
	s_cbranch_vccnz .LBB58_274
; %bb.273:
	v_lshl_add_u64 v[48:49], v[70:71], 2, v[46:47]
	flat_load_dword v48, v[48:49]
	s_waitcnt vmcnt(0) lgkmcnt(0)
	v_mul_f32_e32 v48, s33, v48
	s_branch .LBB58_275
.LBB58_274:
	v_mov_b32_e32 v48, 0
.LBB58_275:
	v_pk_add_f32 v[50:51], v[20:21], v[40:41]
	s_nop 0
	v_min3_f32 v49, v50, v51, v104
	v_pk_add_f32 v[50:51], v[22:23], v[42:43]
	s_nop 0
	v_min_f32_e32 v50, v50, v51
	v_min3_f32 v50, v48, v50, v49
	v_lshl_add_u64 v[48:49], v[70:71], 2, v[44:45]
	global_store_dword v[48:49], v50, off
	s_or_b64 exec, exec, s[26:27]
	s_and_b64 s[30:31], s[10:11], s[18:19]
	s_and_saveexec_b64 s[26:27], s[30:31]
	s_cbranch_execz .LBB58_257
.LBB58_276:
	s_and_b64 vcc, exec, s[0:1]
	s_cbranch_vccnz .LBB58_278
; %bb.277:
	v_lshl_add_u64 v[48:49], v[72:73], 2, v[46:47]
	flat_load_dword v48, v[48:49]
	s_waitcnt vmcnt(0) lgkmcnt(0)
	v_mul_f32_e32 v48, s33, v48
	s_branch .LBB58_279
.LBB58_278:
	v_mov_b32_e32 v48, 0
.LBB58_279:
	v_pk_add_f32 v[50:51], v[16:17], v[40:41]
	s_nop 0
	v_min3_f32 v49, v50, v51, v103
	v_pk_add_f32 v[50:51], v[18:19], v[42:43]
	s_nop 0
	v_min_f32_e32 v50, v50, v51
	v_min3_f32 v50, v48, v50, v49
	v_lshl_add_u64 v[48:49], v[72:73], 2, v[44:45]
	global_store_dword v[48:49], v50, off
	s_or_b64 exec, exec, s[26:27]
	s_and_b64 s[30:31], s[12:13], s[18:19]
	s_and_saveexec_b64 s[26:27], s[30:31]
	s_cbranch_execz .LBB58_258
.LBB58_280:
	s_and_b64 vcc, exec, s[0:1]
	s_cbranch_vccnz .LBB58_282
; %bb.281:
	v_lshl_add_u64 v[48:49], v[74:75], 2, v[46:47]
	flat_load_dword v48, v[48:49]
	s_waitcnt vmcnt(0) lgkmcnt(0)
	v_mul_f32_e32 v48, s33, v48
	s_branch .LBB58_283
.LBB58_282:
	v_mov_b32_e32 v48, 0
.LBB58_283:
	v_pk_add_f32 v[50:51], v[12:13], v[40:41]
	s_nop 0
	v_min3_f32 v49, v50, v51, v102
	v_pk_add_f32 v[50:51], v[14:15], v[42:43]
	s_nop 0
	v_min_f32_e32 v50, v50, v51
	v_min3_f32 v50, v48, v50, v49
	v_lshl_add_u64 v[48:49], v[74:75], 2, v[44:45]
	global_store_dword v[48:49], v50, off
	s_or_b64 exec, exec, s[26:27]
	s_and_b64 s[30:31], s[14:15], s[18:19]
	s_and_saveexec_b64 s[26:27], s[30:31]
	s_cbranch_execz .LBB58_259
.LBB58_284:
	s_and_b64 vcc, exec, s[0:1]
	s_cbranch_vccnz .LBB58_286
; %bb.285:
	v_lshl_add_u64 v[48:49], v[76:77], 2, v[46:47]
	flat_load_dword v48, v[48:49]
	s_waitcnt vmcnt(0) lgkmcnt(0)
	v_mul_f32_e32 v48, s33, v48
	s_branch .LBB58_287
.LBB58_286:
	v_mov_b32_e32 v48, 0
.LBB58_287:
	v_pk_add_f32 v[50:51], v[8:9], v[40:41]
	s_nop 0
	v_min3_f32 v49, v50, v51, v101
	v_pk_add_f32 v[50:51], v[10:11], v[42:43]
	s_nop 0
	v_min_f32_e32 v50, v50, v51
	v_min3_f32 v50, v48, v50, v49
	v_lshl_add_u64 v[48:49], v[76:77], 2, v[44:45]
	global_store_dword v[48:49], v50, off
	s_or_b64 exec, exec, s[26:27]
	s_and_b64 s[26:27], s[16:17], s[18:19]
	s_and_saveexec_b64 s[18:19], s[26:27]
	s_cbranch_execz .LBB58_292
.LBB58_288:
	s_and_b64 vcc, exec, s[0:1]
	s_cbranch_vccnz .LBB58_290
; %bb.289:
	v_lshl_add_u64 v[46:47], v[78:79], 2, v[46:47]
	flat_load_dword v46, v[46:47]
	s_waitcnt vmcnt(0) lgkmcnt(0)
	v_mul_f32_e32 v46, s33, v46
	s_branch .LBB58_291
.LBB58_290:
	v_mov_b32_e32 v46, 0
.LBB58_291:
	v_pk_add_f32 v[40:41], v[0:1], v[40:41]
	s_nop 0
	v_min3_f32 v47, v40, v41, v100
	v_pk_add_f32 v[40:41], v[2:3], v[42:43]
	s_nop 0
	v_min_f32_e32 v40, v40, v41
	v_min3_f32 v42, v46, v40, v47
	v_lshl_add_u64 v[40:41], v[78:79], 2, v[44:45]
	global_store_dword v[40:41], v42, off
.LBB58_292:
	s_or_b64 exec, exec, s[18:19]
	v_add_u32_e32 v44, 48, v123
	v_mad_i64_i32 v[40:41], s[26:27], v44, s29, 0
	v_cmp_gt_i32_e64 s[18:19], s21, v44
	v_lshl_add_u64 v[42:43], v[40:41], 2, s[24:25]
	v_mad_i64_i32 v[40:41], s[26:27], v44, s28, 0
	v_lshl_add_u64 v[40:41], v[40:41], 2, s[22:23]
	s_and_b64 s[30:31], s[2:3], s[18:19]
	s_and_saveexec_b64 s[26:27], s[30:31]
	s_cbranch_execnz .LBB58_300
; %bb.293:
	s_or_b64 exec, exec, s[26:27]
	s_and_b64 s[30:31], s[4:5], s[18:19]
	s_and_saveexec_b64 s[26:27], s[30:31]
	s_cbranch_execnz .LBB58_304
.LBB58_294:
	s_or_b64 exec, exec, s[26:27]
	s_and_b64 s[30:31], s[6:7], s[18:19]
	s_and_saveexec_b64 s[26:27], s[30:31]
	s_cbranch_execnz .LBB58_308
.LBB58_295:
	s_or_b64 exec, exec, s[26:27]
	s_and_b64 s[30:31], s[8:9], s[18:19]
	s_and_saveexec_b64 s[26:27], s[30:31]
	s_cbranch_execnz .LBB58_312
.LBB58_296:
	s_or_b64 exec, exec, s[26:27]
	s_and_b64 s[30:31], s[10:11], s[18:19]
	s_and_saveexec_b64 s[26:27], s[30:31]
	s_cbranch_execnz .LBB58_316
.LBB58_297:
	s_or_b64 exec, exec, s[26:27]
	s_and_b64 s[30:31], s[12:13], s[18:19]
	s_and_saveexec_b64 s[26:27], s[30:31]
	s_cbranch_execnz .LBB58_320
.LBB58_298:
	s_or_b64 exec, exec, s[26:27]
	s_and_b64 s[30:31], s[14:15], s[18:19]
	s_and_saveexec_b64 s[26:27], s[30:31]
	s_cbranch_execnz .LBB58_324
.LBB58_299:
	s_or_b64 exec, exec, s[26:27]
	s_and_b64 s[26:27], s[16:17], s[18:19]
	s_and_saveexec_b64 s[18:19], s[26:27]
	s_cbranch_execnz .LBB58_328
	s_branch .LBB58_332
.LBB58_300:
	s_and_b64 vcc, exec, s[0:1]
	s_cbranch_vccnz .LBB58_302
; %bb.301:
	v_lshl_add_u64 v[44:45], v[64:65], 2, v[42:43]
	flat_load_dword v44, v[44:45]
	s_waitcnt vmcnt(0) lgkmcnt(0)
	v_mul_f32_e32 v44, s33, v44
	s_branch .LBB58_303
.LBB58_302:
	v_mov_b32_e32 v44, 0
.LBB58_303:
	v_pk_add_f32 v[46:47], v[32:33], v[36:37]
	s_nop 0
	v_min3_f32 v45, v46, v47, v99
	v_pk_add_f32 v[46:47], v[34:35], v[38:39]
	s_nop 0
	v_min_f32_e32 v46, v46, v47
	v_min3_f32 v46, v44, v46, v45
	v_lshl_add_u64 v[44:45], v[64:65], 2, v[40:41]
	global_store_dword v[44:45], v46, off
	s_or_b64 exec, exec, s[26:27]
	s_and_b64 s[30:31], s[4:5], s[18:19]
	s_and_saveexec_b64 s[26:27], s[30:31]
	s_cbranch_execz .LBB58_294
.LBB58_304:
	s_and_b64 vcc, exec, s[0:1]
	s_cbranch_vccnz .LBB58_306
; %bb.305:
	v_lshl_add_u64 v[44:45], v[66:67], 2, v[42:43]
	flat_load_dword v44, v[44:45]
	s_waitcnt vmcnt(0) lgkmcnt(0)
	v_mul_f32_e32 v44, s33, v44
	s_branch .LBB58_307
.LBB58_306:
	v_mov_b32_e32 v44, 0
.LBB58_307:
	v_pk_add_f32 v[46:47], v[28:29], v[36:37]
	s_nop 0
	v_min3_f32 v45, v46, v47, v98
	v_pk_add_f32 v[46:47], v[30:31], v[38:39]
	s_nop 0
	v_min_f32_e32 v46, v46, v47
	v_min3_f32 v46, v44, v46, v45
	v_lshl_add_u64 v[44:45], v[66:67], 2, v[40:41]
	global_store_dword v[44:45], v46, off
	s_or_b64 exec, exec, s[26:27]
	s_and_b64 s[30:31], s[6:7], s[18:19]
	s_and_saveexec_b64 s[26:27], s[30:31]
	s_cbranch_execz .LBB58_295
.LBB58_308:
	s_and_b64 vcc, exec, s[0:1]
	s_cbranch_vccnz .LBB58_310
; %bb.309:
	v_lshl_add_u64 v[44:45], v[68:69], 2, v[42:43]
	flat_load_dword v44, v[44:45]
	s_waitcnt vmcnt(0) lgkmcnt(0)
	v_mul_f32_e32 v44, s33, v44
	s_branch .LBB58_311
.LBB58_310:
	v_mov_b32_e32 v44, 0
.LBB58_311:
	v_pk_add_f32 v[46:47], v[24:25], v[36:37]
	s_nop 0
	v_min3_f32 v45, v46, v47, v97
	v_pk_add_f32 v[46:47], v[26:27], v[38:39]
	s_nop 0
	v_min_f32_e32 v46, v46, v47
	v_min3_f32 v46, v44, v46, v45
	v_lshl_add_u64 v[44:45], v[68:69], 2, v[40:41]
	global_store_dword v[44:45], v46, off
	s_or_b64 exec, exec, s[26:27]
	s_and_b64 s[30:31], s[8:9], s[18:19]
	s_and_saveexec_b64 s[26:27], s[30:31]
	s_cbranch_execz .LBB58_296
.LBB58_312:
	s_and_b64 vcc, exec, s[0:1]
	s_cbranch_vccnz .LBB58_314
; %bb.313:
	v_lshl_add_u64 v[44:45], v[70:71], 2, v[42:43]
	flat_load_dword v44, v[44:45]
	s_waitcnt vmcnt(0) lgkmcnt(0)
	v_mul_f32_e32 v44, s33, v44
	s_branch .LBB58_315
.LBB58_314:
	v_mov_b32_e32 v44, 0
.LBB58_315:
	v_pk_add_f32 v[46:47], v[20:21], v[36:37]
	s_nop 0
	v_min3_f32 v45, v46, v47, v96
	v_pk_add_f32 v[46:47], v[22:23], v[38:39]
	s_nop 0
	v_min_f32_e32 v46, v46, v47
	v_min3_f32 v46, v44, v46, v45
	v_lshl_add_u64 v[44:45], v[70:71], 2, v[40:41]
	global_store_dword v[44:45], v46, off
	s_or_b64 exec, exec, s[26:27]
	s_and_b64 s[30:31], s[10:11], s[18:19]
	s_and_saveexec_b64 s[26:27], s[30:31]
	s_cbranch_execz .LBB58_297
.LBB58_316:
	s_and_b64 vcc, exec, s[0:1]
	s_cbranch_vccnz .LBB58_318
; %bb.317:
	v_lshl_add_u64 v[44:45], v[72:73], 2, v[42:43]
	flat_load_dword v44, v[44:45]
	s_waitcnt vmcnt(0) lgkmcnt(0)
	v_mul_f32_e32 v44, s33, v44
	s_branch .LBB58_319
.LBB58_318:
	v_mov_b32_e32 v44, 0
.LBB58_319:
	v_pk_add_f32 v[46:47], v[16:17], v[36:37]
	s_nop 0
	v_min3_f32 v45, v46, v47, v95
	v_pk_add_f32 v[46:47], v[18:19], v[38:39]
	s_nop 0
	v_min_f32_e32 v46, v46, v47
	v_min3_f32 v46, v44, v46, v45
	v_lshl_add_u64 v[44:45], v[72:73], 2, v[40:41]
	global_store_dword v[44:45], v46, off
	s_or_b64 exec, exec, s[26:27]
	s_and_b64 s[30:31], s[12:13], s[18:19]
	s_and_saveexec_b64 s[26:27], s[30:31]
	s_cbranch_execz .LBB58_298
.LBB58_320:
	s_and_b64 vcc, exec, s[0:1]
	s_cbranch_vccnz .LBB58_322
; %bb.321:
	v_lshl_add_u64 v[44:45], v[74:75], 2, v[42:43]
	flat_load_dword v44, v[44:45]
	s_waitcnt vmcnt(0) lgkmcnt(0)
	v_mul_f32_e32 v44, s33, v44
	s_branch .LBB58_323
.LBB58_322:
	v_mov_b32_e32 v44, 0
.LBB58_323:
	v_pk_add_f32 v[46:47], v[12:13], v[36:37]
	s_nop 0
	v_min3_f32 v45, v46, v47, v94
	v_pk_add_f32 v[46:47], v[14:15], v[38:39]
	s_nop 0
	v_min_f32_e32 v46, v46, v47
	v_min3_f32 v46, v44, v46, v45
	v_lshl_add_u64 v[44:45], v[74:75], 2, v[40:41]
	global_store_dword v[44:45], v46, off
	s_or_b64 exec, exec, s[26:27]
	s_and_b64 s[30:31], s[14:15], s[18:19]
	s_and_saveexec_b64 s[26:27], s[30:31]
	s_cbranch_execz .LBB58_299
.LBB58_324:
	s_and_b64 vcc, exec, s[0:1]
	s_cbranch_vccnz .LBB58_326
; %bb.325:
	v_lshl_add_u64 v[44:45], v[76:77], 2, v[42:43]
	flat_load_dword v44, v[44:45]
	s_waitcnt vmcnt(0) lgkmcnt(0)
	v_mul_f32_e32 v44, s33, v44
	s_branch .LBB58_327
.LBB58_326:
	v_mov_b32_e32 v44, 0
.LBB58_327:
	v_pk_add_f32 v[46:47], v[8:9], v[36:37]
	s_nop 0
	v_min3_f32 v45, v46, v47, v93
	v_pk_add_f32 v[46:47], v[10:11], v[38:39]
	s_nop 0
	v_min_f32_e32 v46, v46, v47
	v_min3_f32 v46, v44, v46, v45
	v_lshl_add_u64 v[44:45], v[76:77], 2, v[40:41]
	global_store_dword v[44:45], v46, off
	s_or_b64 exec, exec, s[26:27]
	s_and_b64 s[26:27], s[16:17], s[18:19]
	s_and_saveexec_b64 s[18:19], s[26:27]
	s_cbranch_execz .LBB58_332
.LBB58_328:
	s_and_b64 vcc, exec, s[0:1]
	s_cbranch_vccnz .LBB58_330
; %bb.329:
	v_lshl_add_u64 v[42:43], v[78:79], 2, v[42:43]
	flat_load_dword v42, v[42:43]
	s_waitcnt vmcnt(0) lgkmcnt(0)
	v_mul_f32_e32 v42, s33, v42
	s_branch .LBB58_331
.LBB58_330:
	v_mov_b32_e32 v42, 0
.LBB58_331:
	v_pk_add_f32 v[36:37], v[0:1], v[36:37]
	s_nop 0
	v_min3_f32 v43, v36, v37, v92
	v_pk_add_f32 v[36:37], v[2:3], v[38:39]
	s_nop 0
	v_min_f32_e32 v36, v36, v37
	v_min3_f32 v38, v42, v36, v43
	v_lshl_add_u64 v[36:37], v[78:79], 2, v[40:41]
	global_store_dword v[36:37], v38, off
.LBB58_332:
	s_or_b64 exec, exec, s[18:19]
	v_add_u32_e32 v40, 56, v123
	v_cmp_gt_i32_e64 s[18:19], s21, v40
	v_mad_i64_i32 v[36:37], s[20:21], v40, s29, 0
	v_lshl_add_u64 v[38:39], v[36:37], 2, s[24:25]
	v_mad_i64_i32 v[36:37], s[20:21], v40, s28, 0
	v_lshl_add_u64 v[36:37], v[36:37], 2, s[22:23]
	s_and_b64 s[20:21], s[2:3], s[18:19]
	s_and_saveexec_b64 s[2:3], s[20:21]
	s_cbranch_execnz .LBB58_341
; %bb.333:
	s_or_b64 exec, exec, s[2:3]
	s_and_b64 s[4:5], s[4:5], s[18:19]
	s_and_saveexec_b64 s[2:3], s[4:5]
	s_cbranch_execnz .LBB58_345
.LBB58_334:
	s_or_b64 exec, exec, s[2:3]
	s_and_b64 s[4:5], s[6:7], s[18:19]
	s_and_saveexec_b64 s[2:3], s[4:5]
	s_cbranch_execnz .LBB58_349
.LBB58_335:
	s_or_b64 exec, exec, s[2:3]
	s_and_b64 s[4:5], s[8:9], s[18:19]
	s_and_saveexec_b64 s[2:3], s[4:5]
	s_cbranch_execnz .LBB58_353
.LBB58_336:
	s_or_b64 exec, exec, s[2:3]
	s_and_b64 s[4:5], s[10:11], s[18:19]
	s_and_saveexec_b64 s[2:3], s[4:5]
	s_cbranch_execnz .LBB58_357
.LBB58_337:
	s_or_b64 exec, exec, s[2:3]
	s_and_b64 s[4:5], s[12:13], s[18:19]
	s_and_saveexec_b64 s[2:3], s[4:5]
	s_cbranch_execnz .LBB58_361
.LBB58_338:
	s_or_b64 exec, exec, s[2:3]
	s_and_b64 s[4:5], s[14:15], s[18:19]
	s_and_saveexec_b64 s[2:3], s[4:5]
	s_cbranch_execnz .LBB58_365
.LBB58_339:
	s_or_b64 exec, exec, s[2:3]
	s_and_b64 s[2:3], s[16:17], s[18:19]
	s_and_saveexec_b64 s[4:5], s[2:3]
	s_cbranch_execnz .LBB58_369
.LBB58_340:
	s_endpgm
.LBB58_341:
	s_and_b64 vcc, exec, s[0:1]
	s_cbranch_vccnz .LBB58_343
; %bb.342:
	v_lshl_add_u64 v[40:41], v[64:65], 2, v[38:39]
	flat_load_dword v40, v[40:41]
	s_waitcnt vmcnt(0) lgkmcnt(0)
	v_mul_f32_e32 v40, s33, v40
	s_branch .LBB58_344
.LBB58_343:
	v_mov_b32_e32 v40, 0
.LBB58_344:
	v_pk_add_f32 v[32:33], v[32:33], v[4:5]
	s_nop 0
	v_min3_f32 v41, v32, v33, v91
	v_pk_add_f32 v[32:33], v[34:35], v[6:7]
	s_nop 0
	v_min_f32_e32 v32, v32, v33
	v_min3_f32 v34, v40, v32, v41
	v_lshl_add_u64 v[32:33], v[64:65], 2, v[36:37]
	global_store_dword v[32:33], v34, off
	s_or_b64 exec, exec, s[2:3]
	s_and_b64 s[4:5], s[4:5], s[18:19]
	s_and_saveexec_b64 s[2:3], s[4:5]
	s_cbranch_execz .LBB58_334
.LBB58_345:
	s_and_b64 vcc, exec, s[0:1]
	s_cbranch_vccnz .LBB58_347
; %bb.346:
	v_lshl_add_u64 v[32:33], v[66:67], 2, v[38:39]
	flat_load_dword v32, v[32:33]
	s_waitcnt vmcnt(0) lgkmcnt(0)
	v_mul_f32_e32 v32, s33, v32
	s_branch .LBB58_348
.LBB58_347:
	v_mov_b32_e32 v32, 0
.LBB58_348:
	v_pk_add_f32 v[28:29], v[28:29], v[4:5]
	s_nop 0
	v_min3_f32 v33, v28, v29, v90
	v_pk_add_f32 v[28:29], v[30:31], v[6:7]
	s_nop 0
	v_min_f32_e32 v28, v28, v29
	v_min3_f32 v30, v32, v28, v33
	v_lshl_add_u64 v[28:29], v[66:67], 2, v[36:37]
	global_store_dword v[28:29], v30, off
	s_or_b64 exec, exec, s[2:3]
	s_and_b64 s[4:5], s[6:7], s[18:19]
	s_and_saveexec_b64 s[2:3], s[4:5]
	s_cbranch_execz .LBB58_335
.LBB58_349:
	s_and_b64 vcc, exec, s[0:1]
	s_cbranch_vccnz .LBB58_351
; %bb.350:
	v_lshl_add_u64 v[28:29], v[68:69], 2, v[38:39]
	flat_load_dword v28, v[28:29]
	s_waitcnt vmcnt(0) lgkmcnt(0)
	v_mul_f32_e32 v28, s33, v28
	s_branch .LBB58_352
.LBB58_351:
	v_mov_b32_e32 v28, 0
.LBB58_352:
	v_pk_add_f32 v[24:25], v[24:25], v[4:5]
	s_nop 0
	v_min3_f32 v29, v24, v25, v89
	v_pk_add_f32 v[24:25], v[26:27], v[6:7]
	s_nop 0
	v_min_f32_e32 v24, v24, v25
	v_min3_f32 v26, v28, v24, v29
	v_lshl_add_u64 v[24:25], v[68:69], 2, v[36:37]
	global_store_dword v[24:25], v26, off
	s_or_b64 exec, exec, s[2:3]
	s_and_b64 s[4:5], s[8:9], s[18:19]
	s_and_saveexec_b64 s[2:3], s[4:5]
	s_cbranch_execz .LBB58_336
.LBB58_353:
	s_and_b64 vcc, exec, s[0:1]
	s_cbranch_vccnz .LBB58_355
; %bb.354:
	v_lshl_add_u64 v[24:25], v[70:71], 2, v[38:39]
	flat_load_dword v24, v[24:25]
	s_waitcnt vmcnt(0) lgkmcnt(0)
	v_mul_f32_e32 v24, s33, v24
	s_branch .LBB58_356
.LBB58_355:
	v_mov_b32_e32 v24, 0
.LBB58_356:
	v_pk_add_f32 v[20:21], v[20:21], v[4:5]
	s_nop 0
	v_min3_f32 v25, v20, v21, v87
	v_pk_add_f32 v[20:21], v[22:23], v[6:7]
	s_nop 0
	v_min_f32_e32 v20, v20, v21
	v_min3_f32 v22, v24, v20, v25
	v_lshl_add_u64 v[20:21], v[70:71], 2, v[36:37]
	global_store_dword v[20:21], v22, off
	s_or_b64 exec, exec, s[2:3]
	s_and_b64 s[4:5], s[10:11], s[18:19]
	s_and_saveexec_b64 s[2:3], s[4:5]
	s_cbranch_execz .LBB58_337
.LBB58_357:
	s_and_b64 vcc, exec, s[0:1]
	s_cbranch_vccnz .LBB58_359
; %bb.358:
	v_lshl_add_u64 v[20:21], v[72:73], 2, v[38:39]
	flat_load_dword v20, v[20:21]
	s_waitcnt vmcnt(0) lgkmcnt(0)
	v_mul_f32_e32 v20, s33, v20
	s_branch .LBB58_360
.LBB58_359:
	v_mov_b32_e32 v20, 0
.LBB58_360:
	v_pk_add_f32 v[16:17], v[16:17], v[4:5]
	s_nop 0
	v_min3_f32 v21, v16, v17, v86
	v_pk_add_f32 v[16:17], v[18:19], v[6:7]
	s_nop 0
	v_min_f32_e32 v16, v16, v17
	v_min3_f32 v18, v20, v16, v21
	v_lshl_add_u64 v[16:17], v[72:73], 2, v[36:37]
	global_store_dword v[16:17], v18, off
	s_or_b64 exec, exec, s[2:3]
	s_and_b64 s[4:5], s[12:13], s[18:19]
	s_and_saveexec_b64 s[2:3], s[4:5]
	s_cbranch_execz .LBB58_338
.LBB58_361:
	s_and_b64 vcc, exec, s[0:1]
	s_cbranch_vccnz .LBB58_363
; %bb.362:
	v_lshl_add_u64 v[16:17], v[74:75], 2, v[38:39]
	flat_load_dword v16, v[16:17]
	s_waitcnt vmcnt(0) lgkmcnt(0)
	v_mul_f32_e32 v16, s33, v16
	s_branch .LBB58_364
.LBB58_363:
	v_mov_b32_e32 v16, 0
.LBB58_364:
	v_pk_add_f32 v[12:13], v[12:13], v[4:5]
	s_nop 0
	v_min3_f32 v17, v12, v13, v85
	v_pk_add_f32 v[12:13], v[14:15], v[6:7]
	s_nop 0
	v_min_f32_e32 v12, v12, v13
	v_min3_f32 v14, v16, v12, v17
	v_lshl_add_u64 v[12:13], v[74:75], 2, v[36:37]
	global_store_dword v[12:13], v14, off
	s_or_b64 exec, exec, s[2:3]
	s_and_b64 s[4:5], s[14:15], s[18:19]
	s_and_saveexec_b64 s[2:3], s[4:5]
	s_cbranch_execz .LBB58_339
.LBB58_365:
	s_and_b64 vcc, exec, s[0:1]
	s_cbranch_vccnz .LBB58_367
; %bb.366:
	v_lshl_add_u64 v[12:13], v[76:77], 2, v[38:39]
	flat_load_dword v12, v[12:13]
	s_waitcnt vmcnt(0) lgkmcnt(0)
	v_mul_f32_e32 v12, s33, v12
	s_branch .LBB58_368
.LBB58_367:
	v_mov_b32_e32 v12, 0
.LBB58_368:
	v_pk_add_f32 v[8:9], v[8:9], v[4:5]
	s_nop 0
	v_min3_f32 v13, v8, v9, v84
	v_pk_add_f32 v[8:9], v[10:11], v[6:7]
	s_nop 0
	v_min_f32_e32 v8, v8, v9
	v_min3_f32 v10, v12, v8, v13
	v_lshl_add_u64 v[8:9], v[76:77], 2, v[36:37]
	global_store_dword v[8:9], v10, off
	s_or_b64 exec, exec, s[2:3]
	s_and_b64 s[2:3], s[16:17], s[18:19]
	s_and_saveexec_b64 s[4:5], s[2:3]
	s_cbranch_execz .LBB58_340
.LBB58_369:
	s_and_b64 vcc, exec, s[0:1]
	s_cbranch_vccnz .LBB58_371
; %bb.370:
	v_lshl_add_u64 v[8:9], v[78:79], 2, v[38:39]
	flat_load_dword v8, v[8:9]
	s_waitcnt vmcnt(0) lgkmcnt(0)
	v_mul_f32_e32 v8, s33, v8
	s_branch .LBB58_372
.LBB58_371:
	v_mov_b32_e32 v8, 0
.LBB58_372:
	v_pk_add_f32 v[0:1], v[0:1], v[4:5]
	s_nop 0
	v_min3_f32 v4, v0, v1, v88
	v_pk_add_f32 v[0:1], v[2:3], v[6:7]
	s_nop 0
	v_min_f32_e32 v0, v0, v1
	v_min3_f32 v2, v8, v0, v4
	v_lshl_add_u64 v[0:1], v[78:79], 2, v[36:37]
	global_store_dword v[0:1], v2, off
	s_endpgm
	.section	.rodata,"a",@progbits
	.p2align	6, 0x0
	.amdhsa_kernel _ZN12_GLOBAL__N_120geam_min_plus_kernelIf15HIP_vector_typeIfLj2EEfLi32ELi8ELi256ELi64ELi4ELi64ELi4ELi4ELi64ELc78ELc78ELb1ELb1ELb1EfKffEEviiiT16_PT17_ilS6_ilS4_S6_ilPT18_ili26rocblas_geam_ex_operation_
		.amdhsa_group_segment_fixed_size 10240
		.amdhsa_private_segment_fixed_size 0
		.amdhsa_kernarg_size 128
		.amdhsa_user_sgpr_count 2
		.amdhsa_user_sgpr_dispatch_ptr 0
		.amdhsa_user_sgpr_queue_ptr 0
		.amdhsa_user_sgpr_kernarg_segment_ptr 1
		.amdhsa_user_sgpr_dispatch_id 0
		.amdhsa_user_sgpr_kernarg_preload_length 0
		.amdhsa_user_sgpr_kernarg_preload_offset 0
		.amdhsa_user_sgpr_private_segment_size 0
		.amdhsa_uses_dynamic_stack 0
		.amdhsa_enable_private_segment 0
		.amdhsa_system_sgpr_workgroup_id_x 1
		.amdhsa_system_sgpr_workgroup_id_y 0
		.amdhsa_system_sgpr_workgroup_id_z 1
		.amdhsa_system_sgpr_workgroup_info 0
		.amdhsa_system_vgpr_workitem_id 1
		.amdhsa_next_free_vgpr 176
		.amdhsa_next_free_sgpr 40
		.amdhsa_accum_offset 176
		.amdhsa_reserve_vcc 1
		.amdhsa_float_round_mode_32 0
		.amdhsa_float_round_mode_16_64 0
		.amdhsa_float_denorm_mode_32 3
		.amdhsa_float_denorm_mode_16_64 3
		.amdhsa_dx10_clamp 1
		.amdhsa_ieee_mode 1
		.amdhsa_fp16_overflow 0
		.amdhsa_tg_split 0
		.amdhsa_exception_fp_ieee_invalid_op 0
		.amdhsa_exception_fp_denorm_src 0
		.amdhsa_exception_fp_ieee_div_zero 0
		.amdhsa_exception_fp_ieee_overflow 0
		.amdhsa_exception_fp_ieee_underflow 0
		.amdhsa_exception_fp_ieee_inexact 0
		.amdhsa_exception_int_div_zero 0
	.end_amdhsa_kernel
	.section	.text._ZN12_GLOBAL__N_120geam_min_plus_kernelIf15HIP_vector_typeIfLj2EEfLi32ELi8ELi256ELi64ELi4ELi64ELi4ELi4ELi64ELc78ELc78ELb1ELb1ELb1EfKffEEviiiT16_PT17_ilS6_ilS4_S6_ilPT18_ili26rocblas_geam_ex_operation_,"axG",@progbits,_ZN12_GLOBAL__N_120geam_min_plus_kernelIf15HIP_vector_typeIfLj2EEfLi32ELi8ELi256ELi64ELi4ELi64ELi4ELi4ELi64ELc78ELc78ELb1ELb1ELb1EfKffEEviiiT16_PT17_ilS6_ilS4_S6_ilPT18_ili26rocblas_geam_ex_operation_,comdat
.Lfunc_end58:
	.size	_ZN12_GLOBAL__N_120geam_min_plus_kernelIf15HIP_vector_typeIfLj2EEfLi32ELi8ELi256ELi64ELi4ELi64ELi4ELi4ELi64ELc78ELc78ELb1ELb1ELb1EfKffEEviiiT16_PT17_ilS6_ilS4_S6_ilPT18_ili26rocblas_geam_ex_operation_, .Lfunc_end58-_ZN12_GLOBAL__N_120geam_min_plus_kernelIf15HIP_vector_typeIfLj2EEfLi32ELi8ELi256ELi64ELi4ELi64ELi4ELi4ELi64ELc78ELc78ELb1ELb1ELb1EfKffEEviiiT16_PT17_ilS6_ilS4_S6_ilPT18_ili26rocblas_geam_ex_operation_
                                        ; -- End function
	.section	.AMDGPU.csdata,"",@progbits
; Kernel info:
; codeLenInByte = 18540
; NumSgprs: 46
; NumVgprs: 176
; NumAgprs: 0
; TotalNumVgprs: 176
; ScratchSize: 0
; MemoryBound: 0
; FloatMode: 240
; IeeeMode: 1
; LDSByteSize: 10240 bytes/workgroup (compile time only)
; SGPRBlocks: 5
; VGPRBlocks: 21
; NumSGPRsForWavesPerEU: 46
; NumVGPRsForWavesPerEU: 176
; AccumOffset: 176
; Occupancy: 2
; WaveLimiterHint : 0
; COMPUTE_PGM_RSRC2:SCRATCH_EN: 0
; COMPUTE_PGM_RSRC2:USER_SGPR: 2
; COMPUTE_PGM_RSRC2:TRAP_HANDLER: 0
; COMPUTE_PGM_RSRC2:TGID_X_EN: 1
; COMPUTE_PGM_RSRC2:TGID_Y_EN: 0
; COMPUTE_PGM_RSRC2:TGID_Z_EN: 1
; COMPUTE_PGM_RSRC2:TIDIG_COMP_CNT: 1
; COMPUTE_PGM_RSRC3_GFX90A:ACCUM_OFFSET: 43
; COMPUTE_PGM_RSRC3_GFX90A:TG_SPLIT: 0
	.section	.text._ZN12_GLOBAL__N_120geam_min_plus_kernelIf15HIP_vector_typeIfLj2EEfLi32ELi8ELi256ELi64ELi4ELi64ELi4ELi4ELi64ELc78ELc78ELb0ELb1ELb1EfKffEEviiiT16_PT17_ilS6_ilS4_S6_ilPT18_ili26rocblas_geam_ex_operation_,"axG",@progbits,_ZN12_GLOBAL__N_120geam_min_plus_kernelIf15HIP_vector_typeIfLj2EEfLi32ELi8ELi256ELi64ELi4ELi64ELi4ELi4ELi64ELc78ELc78ELb0ELb1ELb1EfKffEEviiiT16_PT17_ilS6_ilS4_S6_ilPT18_ili26rocblas_geam_ex_operation_,comdat
	.globl	_ZN12_GLOBAL__N_120geam_min_plus_kernelIf15HIP_vector_typeIfLj2EEfLi32ELi8ELi256ELi64ELi4ELi64ELi4ELi4ELi64ELc78ELc78ELb0ELb1ELb1EfKffEEviiiT16_PT17_ilS6_ilS4_S6_ilPT18_ili26rocblas_geam_ex_operation_ ; -- Begin function _ZN12_GLOBAL__N_120geam_min_plus_kernelIf15HIP_vector_typeIfLj2EEfLi32ELi8ELi256ELi64ELi4ELi64ELi4ELi4ELi64ELc78ELc78ELb0ELb1ELb1EfKffEEviiiT16_PT17_ilS6_ilS4_S6_ilPT18_ili26rocblas_geam_ex_operation_
	.p2align	8
	.type	_ZN12_GLOBAL__N_120geam_min_plus_kernelIf15HIP_vector_typeIfLj2EEfLi32ELi8ELi256ELi64ELi4ELi64ELi4ELi4ELi64ELc78ELc78ELb0ELb1ELb1EfKffEEviiiT16_PT17_ilS6_ilS4_S6_ilPT18_ili26rocblas_geam_ex_operation_,@function
_ZN12_GLOBAL__N_120geam_min_plus_kernelIf15HIP_vector_typeIfLj2EEfLi32ELi8ELi256ELi64ELi4ELi64ELi4ELi4ELi64ELc78ELc78ELb0ELb1ELb1EfKffEEviiiT16_PT17_ilS6_ilS4_S6_ilPT18_ili26rocblas_geam_ex_operation_: ; @_ZN12_GLOBAL__N_120geam_min_plus_kernelIf15HIP_vector_typeIfLj2EEfLi32ELi8ELi256ELi64ELi4ELi64ELi4ELi4ELi64ELc78ELc78ELb0ELb1ELb1EfKffEEviiiT16_PT17_ilS6_ilS4_S6_ilPT18_ili26rocblas_geam_ex_operation_
; %bb.0:
	s_load_dwordx4 s[20:23], s[0:1], 0x0
	s_load_dwordx4 s[4:7], s[0:1], 0x20
	s_waitcnt lgkmcnt(0)
	v_cmp_eq_f32_e64 s[8:9], s23, 0
	s_and_b64 vcc, exec, s[8:9]
	s_cbranch_vccnz .LBB59_3
; %bb.1:
	s_load_dwordx2 s[10:11], s[0:1], 0x10
	s_mul_i32 s5, s3, s5
	s_mul_hi_u32 s12, s3, s4
	s_add_i32 s5, s12, s5
	s_mul_i32 s4, s3, s4
	s_lshl_b64 s[4:5], s[4:5], 2
	s_waitcnt lgkmcnt(0)
	s_add_u32 s30, s10, s4
	s_addc_u32 s31, s11, s5
	s_andn2_b64 vcc, exec, s[8:9]
	s_cbranch_vccnz .LBB59_4
.LBB59_2:
	s_mov_b32 s29, 0
	s_mov_b64 s[34:35], 0
	s_cbranch_execz .LBB59_5
	s_branch .LBB59_6
.LBB59_3:
	s_mov_b64 s[30:31], 0
	s_andn2_b64 vcc, exec, s[8:9]
	s_cbranch_vccz .LBB59_2
.LBB59_4:
                                        ; implicit-def: $sgpr34_sgpr35
                                        ; implicit-def: $sgpr28_sgpr29
.LBB59_5:
	s_load_dwordx2 s[4:5], s[0:1], 0x38
	s_mov_b32 s29, 0
	s_waitcnt lgkmcnt(0)
	s_mul_i32 s5, s3, s5
	s_mul_hi_u32 s8, s3, s4
	s_add_i32 s5, s8, s5
	s_mul_i32 s4, s3, s4
	s_lshl_b64 s[4:5], s[4:5], 2
	s_add_u32 s34, s6, s4
	s_addc_u32 s35, s7, s5
.LBB59_6:
	s_load_dword s28, s[0:1], 0x40
	s_load_dwordx4 s[16:19], s[0:1], 0x58
	s_waitcnt lgkmcnt(0)
	v_cmp_eq_f32_e64 s[4:5], s28, 0
	v_cmp_neq_f32_e64 s[26:27], s28, 0
	s_and_b64 vcc, exec, s[4:5]
	s_cbranch_vccnz .LBB59_8
; %bb.7:
	s_load_dwordx2 s[4:5], s[0:1], 0x48
	s_mul_i32 s6, s3, s17
	s_mul_hi_u32 s7, s3, s16
	s_add_i32 s6, s7, s6
	s_mul_i32 s7, s29, s16
	s_add_i32 s7, s6, s7
	s_mul_i32 s6, s3, s16
	s_lshl_b64 s[6:7], s[6:7], 2
	s_waitcnt lgkmcnt(0)
	s_add_u32 s24, s4, s6
	s_addc_u32 s25, s5, s7
	s_branch .LBB59_9
.LBB59_8:
	s_mov_b64 s[24:25], 0
.LBB59_9:
	s_add_i32 s4, s20, -1
	s_ashr_i32 s5, s4, 31
	s_lshr_b32 s5, s5, 24
	s_add_i32 s4, s4, s5
	s_ashr_i32 s4, s4, 8
	s_add_i32 s5, s4, 1
	v_cvt_f32_u32_e32 v1, s5
	v_and_b32_e32 v70, 0x3ff, v0
	v_bfe_u32 v71, v0, 10, 10
	s_not_b32 s4, s4
	v_rcp_iflag_f32_e32 v1, v1
	s_load_dword s36, s[0:1], 0x18
	v_lshl_add_u32 v7, v71, 5, v70
	v_and_b32_e32 v2, 63, v7
	v_mul_f32_e32 v0, 0x4f7ffffe, v1
	v_cvt_u32_f32_e32 v0, v0
	v_lshrrev_b32_e32 v72, 6, v7
	v_cmp_eq_f32_e64 s[16:17], s23, 0
	v_mov_b32_e32 v4, 0x7f7fffff
	v_readfirstlane_b32 s6, v0
	s_mul_i32 s4, s4, s6
	s_mul_hi_u32 s4, s6, s4
	s_add_i32 s6, s6, s4
	s_mul_hi_u32 s4, s2, s6
	s_mul_i32 s6, s4, s5
	s_sub_i32 s6, s2, s6
	s_add_i32 s7, s4, 1
	s_sub_i32 s8, s6, s5
	s_cmp_ge_u32 s6, s5
	s_cselect_b32 s4, s7, s4
	s_cselect_b32 s6, s8, s6
	s_add_i32 s7, s4, 1
	s_cmp_ge_u32 s6, s5
	s_cselect_b32 s10, s7, s4
	s_mul_i32 s4, s10, s5
	s_sub_i32 s2, s2, s4
	s_lshl_b32 s2, s2, 8
	s_add_i32 s37, s22, -1
	v_or_b32_e32 v64, s2, v2
	v_min_i32_e32 v0, s37, v72
	v_cmp_le_i32_e64 s[8:9], s22, v72
	s_waitcnt lgkmcnt(0)
	v_mad_i64_i32 v[0:1], s[4:5], s36, v0, 0
	v_cmp_le_i32_e32 vcc, s20, v64
	s_or_b64 s[4:5], s[8:9], vcc
	v_cndmask_b32_e64 v3, 0, v4, s[4:5]
	s_or_b64 s[4:5], s[16:17], s[4:5]
	v_lshl_add_u64 v[0:1], v[0:1], 2, s[30:31]
	s_xor_b64 s[6:7], s[4:5], -1
	v_ashrrev_i32_e32 v65, 31, v64
	s_and_saveexec_b64 s[4:5], s[6:7]
	s_cbranch_execz .LBB59_11
; %bb.10:
	v_lshl_add_u64 v[8:9], v[64:65], 2, v[0:1]
	flat_load_dword v3, v[8:9]
	s_waitcnt vmcnt(0) lgkmcnt(0)
	v_mul_f32_e32 v3, s23, v3
.LBB59_11:
	s_or_b64 exec, exec, s[4:5]
	v_or_b32_e32 v5, 64, v64
	v_cmp_le_i32_e64 s[12:13], s20, v5
	s_or_b64 s[4:5], s[8:9], s[12:13]
	v_cndmask_b32_e64 v4, 0, v4, s[4:5]
	s_or_b64 s[4:5], s[16:17], s[4:5]
	s_xor_b64 s[6:7], s[4:5], -1
	s_and_saveexec_b64 s[4:5], s[6:7]
	s_cbranch_execz .LBB59_13
; %bb.12:
	v_lshl_add_u64 v[4:5], v[64:65], 2, v[0:1]
	flat_load_dword v4, v[4:5] offset:256
	s_waitcnt vmcnt(0) lgkmcnt(0)
	v_mul_f32_e32 v4, s23, v4
.LBB59_13:
	s_or_b64 exec, exec, s[4:5]
	v_or_b32_e32 v5, 0x80, v64
	v_cmp_le_i32_e64 s[4:5], s20, v5
	v_mov_b32_e32 v6, 0x7f7fffff
	s_or_b64 s[6:7], s[8:9], s[4:5]
	v_cndmask_b32_e64 v5, 0, v6, s[6:7]
	s_or_b64 s[6:7], s[16:17], s[6:7]
	s_xor_b64 s[14:15], s[6:7], -1
	s_and_saveexec_b64 s[6:7], s[14:15]
	s_cbranch_execz .LBB59_15
; %bb.14:
	v_lshl_add_u64 v[8:9], v[64:65], 2, v[0:1]
	flat_load_dword v5, v[8:9] offset:512
	s_waitcnt vmcnt(0) lgkmcnt(0)
	v_mul_f32_e32 v5, s23, v5
.LBB59_15:
	s_or_b64 exec, exec, s[6:7]
	v_or_b32_e32 v8, 0xc0, v64
	v_cmp_le_i32_e64 s[6:7], s20, v8
	s_or_b64 s[8:9], s[8:9], s[6:7]
	v_cndmask_b32_e64 v6, 0, v6, s[8:9]
	s_or_b64 s[8:9], s[16:17], s[8:9]
	s_xor_b64 s[14:15], s[8:9], -1
	s_and_saveexec_b64 s[8:9], s[14:15]
	s_cbranch_execz .LBB59_17
; %bb.16:
	v_lshl_add_u64 v[0:1], v[64:65], 2, v[0:1]
	flat_load_dword v0, v[0:1] offset:768
	s_waitcnt vmcnt(0) lgkmcnt(0)
	v_mul_f32_e32 v6, s23, v0
.LBB59_17:
	s_or_b64 exec, exec, s[8:9]
	v_lshrrev_b32_e32 v7, 2, v7
	s_lshl_b32 s33, s10, 6
	s_load_dword s39, s[0:1], 0x30
	v_and_b32_e32 v75, 3, v70
	v_add_u32_e32 v57, s33, v7
	v_cmp_le_i32_e64 s[10:11], s22, v75
	v_cmp_le_i32_e64 s[8:9], s21, v57
	v_mov_b32_e32 v9, 0x7f7fffff
	s_or_b64 s[10:11], s[10:11], s[8:9]
	v_cndmask_b32_e64 v8, 0, v9, s[10:11]
	s_or_b64 s[10:11], s[16:17], s[10:11]
	s_xor_b64 s[14:15], s[10:11], -1
	s_and_saveexec_b64 s[10:11], s[14:15]
	s_cbranch_execz .LBB59_19
; %bb.18:
	v_min_u32_e32 v8, s37, v75
	s_waitcnt lgkmcnt(0)
	v_mad_i64_i32 v[0:1], s[14:15], v57, s39, 0
	v_lshl_add_u64 v[0:1], v[0:1], 2, s[34:35]
	v_lshlrev_b32_e32 v10, 2, v8
	v_mov_b32_e32 v11, 0
	v_lshl_add_u64 v[0:1], v[0:1], 0, v[10:11]
	flat_load_dword v0, v[0:1]
	s_waitcnt vmcnt(0) lgkmcnt(0)
	v_mul_f32_e32 v8, s23, v0
.LBB59_19:
	s_or_b64 exec, exec, s[10:11]
	v_add_u32_e32 v0, 4, v72
	v_cmp_le_i32_e64 s[10:11], s22, v0
	v_min_i32_e32 v0, s37, v0
	v_mad_i64_i32 v[0:1], s[14:15], s36, v0, 0
	s_or_b64 s[14:15], vcc, s[10:11]
	s_nop 0
	v_cndmask_b32_e64 v58, 0, v9, s[14:15]
	s_or_b64 s[14:15], s[16:17], s[14:15]
	v_lshl_add_u64 v[0:1], v[0:1], 2, s[30:31]
	s_xor_b64 s[40:41], s[14:15], -1
	s_and_saveexec_b64 s[14:15], s[40:41]
	s_cbranch_execz .LBB59_21
; %bb.20:
	v_lshl_add_u64 v[10:11], v[64:65], 2, v[0:1]
	flat_load_dword v9, v[10:11]
	s_waitcnt vmcnt(0) lgkmcnt(0)
	v_mul_f32_e32 v58, s23, v9
.LBB59_21:
	s_or_b64 exec, exec, s[14:15]
	v_mov_b32_e32 v9, 0x7f7fffff
	s_or_b64 s[14:15], s[12:13], s[10:11]
	v_cndmask_b32_e64 v59, 0, v9, s[14:15]
	s_or_b64 s[14:15], s[16:17], s[14:15]
	s_xor_b64 s[40:41], s[14:15], -1
	s_and_saveexec_b64 s[14:15], s[40:41]
	s_cbranch_execz .LBB59_23
; %bb.22:
	v_lshl_add_u64 v[10:11], v[64:65], 2, v[0:1]
	flat_load_dword v10, v[10:11] offset:256
	s_waitcnt vmcnt(0) lgkmcnt(0)
	v_mul_f32_e32 v59, s23, v10
.LBB59_23:
	s_or_b64 exec, exec, s[14:15]
	s_or_b64 s[14:15], s[4:5], s[10:11]
	v_cndmask_b32_e64 v60, 0, v9, s[14:15]
	s_or_b64 s[14:15], s[16:17], s[14:15]
	s_xor_b64 s[40:41], s[14:15], -1
	s_and_saveexec_b64 s[14:15], s[40:41]
	s_cbranch_execz .LBB59_25
; %bb.24:
	v_lshl_add_u64 v[10:11], v[64:65], 2, v[0:1]
	flat_load_dword v9, v[10:11] offset:512
	s_waitcnt vmcnt(0) lgkmcnt(0)
	v_mul_f32_e32 v60, s23, v9
.LBB59_25:
	s_or_b64 exec, exec, s[14:15]
	v_mov_b32_e32 v9, 0x7f7fffff
	s_or_b64 s[10:11], s[6:7], s[10:11]
	v_cndmask_b32_e64 v61, 0, v9, s[10:11]
	s_or_b64 s[10:11], s[16:17], s[10:11]
	s_xor_b64 s[14:15], s[10:11], -1
	s_and_saveexec_b64 s[10:11], s[14:15]
	s_cbranch_execz .LBB59_27
; %bb.26:
	v_lshl_add_u64 v[0:1], v[64:65], 2, v[0:1]
	flat_load_dword v0, v[0:1] offset:768
	s_waitcnt vmcnt(0) lgkmcnt(0)
	v_mul_f32_e32 v61, s23, v0
.LBB59_27:
	s_or_b64 exec, exec, s[10:11]
	v_or_b32_e32 v0, 4, v75
	v_cmp_le_i32_e64 s[10:11], s22, v0
	s_or_b64 s[10:11], s[10:11], s[8:9]
	s_mov_b32 s14, 0x7f7fffff
	v_cndmask_b32_e64 v62, 0, v9, s[10:11]
	s_or_b64 s[10:11], s[16:17], s[10:11]
	s_xor_b64 s[40:41], s[10:11], -1
	s_and_saveexec_b64 s[10:11], s[40:41]
	s_cbranch_execz .LBB59_29
; %bb.28:
	v_min_u32_e32 v9, s37, v0
	s_waitcnt lgkmcnt(0)
	v_mad_i64_i32 v[0:1], s[40:41], v57, s39, 0
	v_lshl_add_u64 v[0:1], v[0:1], 2, s[34:35]
	v_lshlrev_b32_e32 v10, 2, v9
	v_mov_b32_e32 v11, 0
	v_lshl_add_u64 v[0:1], v[0:1], 0, v[10:11]
	flat_load_dword v0, v[0:1]
	s_waitcnt vmcnt(0) lgkmcnt(0)
	v_mul_f32_e32 v62, s23, v0
.LBB59_29:
	s_or_b64 exec, exec, s[10:11]
	v_lshlrev_b32_e32 v0, 2, v72
	v_lshlrev_b32_e32 v56, 2, v75
	v_lshl_add_u32 v76, v2, 4, v0
	v_lshl_or_b32 v63, v7, 4, v56
	v_lshlrev_b32_e32 v73, 4, v70
	v_lshlrev_b32_e32 v74, 4, v71
	ds_write2st64_b32 v76, v3, v4 offset1:4
	ds_write2st64_b32 v76, v5, v6 offset0:8 offset1:12
	ds_write_b32 v63, v8 offset:8192
	s_waitcnt lgkmcnt(0)
	s_barrier
	ds_read_b128 v[12:15], v73
	ds_read_b128 v[20:23], v73 offset:512
	ds_read_b128 v[24:27], v73 offset:1024
	;; [unrolled: 1-line block ×13, first 2 shown]
	s_waitcnt lgkmcnt(5)
	v_pk_add_f32 v[66:67], v[12:13], v[52:53]
	s_cmp_lt_i32 s22, 9
	v_min3_f32 v68, v66, v67, s14
	v_pk_add_f32 v[66:67], v[20:21], v[52:53]
	s_nop 0
	v_min3_f32 v69, v66, v67, s14
	v_pk_add_f32 v[66:67], v[24:25], v[52:53]
	s_nop 0
	v_min3_f32 v77, v66, v67, s14
	v_pk_add_f32 v[66:67], v[28:29], v[52:53]
	s_nop 0
	v_min3_f32 v78, v66, v67, s14
	v_pk_add_f32 v[66:67], v[16:17], v[52:53]
	s_nop 0
	v_min3_f32 v79, v66, v67, s14
	v_pk_add_f32 v[66:67], v[8:9], v[52:53]
	s_nop 0
	v_min3_f32 v80, v66, v67, s14
	v_pk_add_f32 v[66:67], v[4:5], v[52:53]
	v_pk_add_f32 v[52:53], v[0:1], v[52:53]
	v_min3_f32 v66, v66, v67, s14
	v_min3_f32 v67, v52, v53, s14
	s_waitcnt lgkmcnt(4)
	v_pk_add_f32 v[52:53], v[12:13], v[48:49]
	s_nop 0
	v_min3_f32 v81, v52, v53, s14
	v_pk_add_f32 v[52:53], v[20:21], v[48:49]
	s_nop 0
	v_min3_f32 v82, v52, v53, s14
	v_pk_add_f32 v[52:53], v[24:25], v[48:49]
	s_nop 0
	v_min3_f32 v83, v52, v53, s14
	v_pk_add_f32 v[52:53], v[28:29], v[48:49]
	s_nop 0
	v_min3_f32 v84, v52, v53, s14
	v_pk_add_f32 v[52:53], v[16:17], v[48:49]
	s_nop 0
	v_min3_f32 v85, v52, v53, s14
	v_pk_add_f32 v[52:53], v[8:9], v[48:49]
	s_nop 0
	v_min3_f32 v86, v52, v53, s14
	v_pk_add_f32 v[52:53], v[4:5], v[48:49]
	v_pk_add_f32 v[48:49], v[0:1], v[48:49]
	v_min3_f32 v52, v52, v53, s14
	v_min3_f32 v53, v48, v49, s14
	s_waitcnt lgkmcnt(3)
	v_pk_add_f32 v[48:49], v[12:13], v[44:45]
	s_nop 0
	v_min3_f32 v87, v48, v49, s14
	v_pk_add_f32 v[48:49], v[20:21], v[44:45]
	s_nop 0
	v_min3_f32 v88, v48, v49, s14
	v_pk_add_f32 v[48:49], v[24:25], v[44:45]
	s_nop 0
	v_min3_f32 v89, v48, v49, s14
	v_pk_add_f32 v[48:49], v[28:29], v[44:45]
	s_nop 0
	v_min3_f32 v90, v48, v49, s14
	v_pk_add_f32 v[48:49], v[16:17], v[44:45]
	s_nop 0
	v_min3_f32 v91, v48, v49, s14
	v_pk_add_f32 v[48:49], v[8:9], v[44:45]
	s_nop 0
	v_min3_f32 v92, v48, v49, s14
	v_pk_add_f32 v[48:49], v[4:5], v[44:45]
	v_pk_add_f32 v[44:45], v[0:1], v[44:45]
	v_min3_f32 v93, v48, v49, s14
	v_min3_f32 v94, v44, v45, s14
	s_waitcnt lgkmcnt(2)
	v_pk_add_f32 v[44:45], v[12:13], v[40:41]
	s_nop 0
	v_min3_f32 v95, v44, v45, s14
	v_pk_add_f32 v[44:45], v[20:21], v[40:41]
	s_nop 0
	v_min3_f32 v96, v44, v45, s14
	v_pk_add_f32 v[44:45], v[24:25], v[40:41]
	s_nop 0
	v_min3_f32 v97, v44, v45, s14
	v_pk_add_f32 v[44:45], v[28:29], v[40:41]
	s_nop 0
	v_min3_f32 v98, v44, v45, s14
	v_pk_add_f32 v[44:45], v[16:17], v[40:41]
	s_nop 0
	v_min3_f32 v99, v44, v45, s14
	v_pk_add_f32 v[44:45], v[8:9], v[40:41]
	s_nop 0
	v_min3_f32 v100, v44, v45, s14
	v_pk_add_f32 v[44:45], v[4:5], v[40:41]
	v_pk_add_f32 v[40:41], v[0:1], v[40:41]
	v_min3_f32 v44, v44, v45, s14
	v_min3_f32 v45, v40, v41, s14
	s_waitcnt lgkmcnt(1)
	v_pk_add_f32 v[40:41], v[12:13], v[36:37]
	s_nop 0
	v_min3_f32 v101, v40, v41, s14
	v_pk_add_f32 v[40:41], v[20:21], v[36:37]
	s_nop 0
	v_min3_f32 v102, v40, v41, s14
	v_pk_add_f32 v[40:41], v[24:25], v[36:37]
	s_nop 0
	;; [unrolled: 3-line block ×5, first 2 shown]
	v_min3_f32 v106, v40, v41, s14
	v_pk_add_f32 v[40:41], v[4:5], v[36:37]
	v_pk_add_f32 v[36:37], v[0:1], v[36:37]
	v_min3_f32 v107, v40, v41, s14
	v_min3_f32 v108, v36, v37, s14
	s_waitcnt lgkmcnt(0)
	v_pk_add_f32 v[36:37], v[12:13], v[32:33]
	v_pk_add_f32 v[40:41], v[4:5], v[32:33]
	v_min3_f32 v126, v36, v37, s14
	v_pk_add_f32 v[36:37], v[20:21], v[32:33]
	v_min3_f32 v40, v40, v41, s14
	v_min3_f32 v146, v36, v37, s14
	v_pk_add_f32 v[36:37], v[24:25], v[32:33]
	s_nop 0
	v_min3_f32 v147, v36, v37, s14
	v_pk_add_f32 v[36:37], v[28:29], v[32:33]
	s_nop 0
	;; [unrolled: 3-line block ×10, first 2 shown]
	v_min3_f32 v66, v36, v37, s14
	v_pk_add_f32 v[36:37], v[8:9], v[32:33]
	v_pk_add_f32 v[32:33], v[0:1], v[32:33]
	v_min3_f32 v68, v36, v37, s14
	v_min3_f32 v41, v32, v33, s14
	v_pk_add_f32 v[32:33], v[14:15], v[50:51]
	v_pk_add_f32 v[36:37], v[2:3], v[54:55]
	v_min3_f32 v140, v32, v33, v81
	v_pk_add_f32 v[32:33], v[22:23], v[50:51]
	v_min3_f32 v141, v36, v37, v67
	v_min3_f32 v139, v32, v33, v82
	v_pk_add_f32 v[32:33], v[26:27], v[50:51]
	s_nop 0
	v_min3_f32 v138, v32, v33, v83
	v_pk_add_f32 v[32:33], v[30:31], v[50:51]
	s_nop 0
	;; [unrolled: 3-line block ×5, first 2 shown]
	v_min3_f32 v134, v32, v33, v52
	v_pk_add_f32 v[32:33], v[2:3], v[50:51]
	ds_read_b128 v[48:51], v74 offset:8960
	v_min3_f32 v133, v32, v33, v53
	ds_read_b128 v[52:55], v74 offset:9088
	v_pk_add_f32 v[32:33], v[14:15], v[46:47]
	ds_write2st64_b32 v76, v58, v59 offset0:16 offset1:20
	ds_write2st64_b32 v76, v60, v61 offset0:24 offset1:28
	ds_write_b32 v63, v62 offset:9216
	v_min3_f32 v132, v32, v33, v87
	v_pk_add_f32 v[32:33], v[22:23], v[46:47]
	s_waitcnt lgkmcnt(4)
	v_pk_add_f32 v[36:37], v[24:25], v[48:49]
	v_min3_f32 v131, v32, v33, v88
	v_pk_add_f32 v[32:33], v[26:27], v[46:47]
	s_waitcnt lgkmcnt(0)
	v_min3_f32 v130, v32, v33, v89
	v_pk_add_f32 v[32:33], v[30:31], v[46:47]
	s_barrier
	v_min3_f32 v129, v32, v33, v90
	v_pk_add_f32 v[32:33], v[18:19], v[46:47]
	s_nop 0
	v_min3_f32 v128, v32, v33, v91
	v_pk_add_f32 v[32:33], v[10:11], v[46:47]
	s_nop 0
	;; [unrolled: 3-line block ×3, first 2 shown]
	v_min3_f32 v123, v32, v33, v93
	v_pk_add_f32 v[32:33], v[12:13], v[48:49]
	v_pk_add_f32 v[12:13], v[12:13], v[52:53]
	v_min3_f32 v67, v32, v33, s14
	v_pk_add_f32 v[32:33], v[20:21], v[48:49]
	s_nop 0
	v_min3_f32 v69, v32, v33, s14
	v_pk_add_f32 v[32:33], v[2:3], v[46:47]
	v_min3_f32 v46, v36, v37, s14
	v_min3_f32 v127, v32, v33, v94
	v_pk_add_f32 v[32:33], v[14:15], v[42:43]
	v_pk_add_f32 v[36:37], v[28:29], v[48:49]
	v_min3_f32 v124, v32, v33, v95
	v_pk_add_f32 v[32:33], v[22:23], v[42:43]
	v_min3_f32 v47, v36, v37, s14
	v_min3_f32 v122, v32, v33, v96
	v_pk_add_f32 v[32:33], v[26:27], v[42:43]
	v_pk_add_f32 v[36:37], v[4:5], v[48:49]
	v_min3_f32 v121, v32, v33, v97
	v_pk_add_f32 v[32:33], v[30:31], v[42:43]
	v_pk_add_f32 v[4:5], v[4:5], v[52:53]
	v_min3_f32 v120, v32, v33, v98
	v_pk_add_f32 v[32:33], v[18:19], v[42:43]
	v_min3_f32 v4, v4, v5, s14
	v_min3_f32 v119, v32, v33, v99
	v_pk_add_f32 v[32:33], v[10:11], v[42:43]
	s_nop 0
	v_min3_f32 v118, v32, v33, v100
	v_pk_add_f32 v[32:33], v[6:7], v[42:43]
	s_nop 0
	;; [unrolled: 3-line block ×3, first 2 shown]
	v_min3_f32 v44, v32, v33, s14
	v_pk_add_f32 v[32:33], v[8:9], v[48:49]
	v_pk_add_f32 v[8:9], v[8:9], v[52:53]
	v_min3_f32 v80, v32, v33, s14
	v_pk_add_f32 v[32:33], v[2:3], v[42:43]
	v_min3_f32 v42, v36, v37, s14
	v_min3_f32 v116, v32, v33, v45
	v_pk_add_f32 v[32:33], v[14:15], v[38:39]
	v_pk_add_f32 v[36:37], v[0:1], v[48:49]
	v_min3_f32 v115, v32, v33, v101
	v_pk_add_f32 v[32:33], v[22:23], v[38:39]
	v_pk_add_f32 v[0:1], v[0:1], v[52:53]
	v_min3_f32 v114, v32, v33, v102
	v_pk_add_f32 v[32:33], v[26:27], v[38:39]
	v_min3_f32 v5, v0, v1, s14
	v_min3_f32 v113, v32, v33, v103
	v_pk_add_f32 v[32:33], v[30:31], v[38:39]
	v_pk_add_f32 v[0:1], v[14:15], v[54:55]
	v_min3_f32 v112, v32, v33, v104
	v_pk_add_f32 v[32:33], v[18:19], v[38:39]
	v_min3_f32 v36, v36, v37, s14
	v_min3_f32 v111, v32, v33, v105
	v_pk_add_f32 v[32:33], v[10:11], v[38:39]
	s_nop 0
	v_min3_f32 v110, v32, v33, v106
	v_pk_add_f32 v[32:33], v[6:7], v[38:39]
	s_nop 0
	;; [unrolled: 3-line block ×10, first 2 shown]
	v_min3_f32 v101, v32, v33, v40
	v_min3_f32 v32, v12, v13, s14
	v_pk_add_f32 v[12:13], v[20:21], v[52:53]
	v_pk_add_f32 v[20:21], v[24:25], v[52:53]
	v_min3_f32 v33, v12, v13, s14
	v_pk_add_f32 v[12:13], v[2:3], v[34:35]
	v_min3_f32 v91, v0, v1, v32
	v_min3_f32 v100, v12, v13, v41
	v_pk_add_f32 v[12:13], v[14:15], v[50:51]
	v_pk_add_f32 v[0:1], v[22:23], v[54:55]
	v_min3_f32 v99, v12, v13, v67
	v_pk_add_f32 v[12:13], v[22:23], v[50:51]
	;; [unrolled: 6-line block ×4, first 2 shown]
	v_min3_f32 v20, v20, v21, s14
	v_min3_f32 v94, v12, v13, v80
	v_pk_add_f32 v[12:13], v[6:7], v[50:51]
	v_min3_f32 v89, v0, v1, v24
	v_min3_f32 v93, v12, v13, v42
	v_pk_add_f32 v[12:13], v[16:17], v[52:53]
	v_pk_add_f32 v[0:1], v[30:31], v[54:55]
	v_min3_f32 v12, v12, v13, s14
	v_min3_f32 v87, v0, v1, v20
	v_pk_add_f32 v[0:1], v[18:19], v[54:55]
	v_min3_f32 v13, v8, v9, s14
	v_min3_f32 v86, v0, v1, v12
	v_pk_add_f32 v[0:1], v[10:11], v[54:55]
	v_pk_add_f32 v[8:9], v[2:3], v[50:51]
	v_min3_f32 v85, v0, v1, v13
	v_pk_add_f32 v[0:1], v[6:7], v[54:55]
	v_min3_f32 v92, v8, v9, v36
	v_min3_f32 v84, v0, v1, v4
	v_pk_add_f32 v[0:1], v[2:3], v[54:55]
	s_nop 0
	v_min3_f32 v88, v0, v1, v5
	s_cbranch_scc1 .LBB59_52
; %bb.30:
	v_mov_b32_e32 v0, 0x1000
	v_lshl_add_u32 v126, v70, 4, v0
	v_mov_b32_e32 v0, 0x2400
	v_lshl_add_u32 v146, v71, 4, v0
	v_mad_i64_i32 v[0:1], s[10:11], s39, v57, 0
	v_mov_b32_e32 v57, 0
	v_lshl_add_u64 v[0:1], v[0:1], 2, v[56:57]
	v_lshl_add_u64 v[0:1], v[0:1], 0, s[34:35]
	v_add_u32_e32 v80, 0x2000, v63
	v_add_u32_e32 v81, 0x2000, v74
	;; [unrolled: 1-line block ×4, first 2 shown]
	s_add_i32 s38, s22, -8
	v_lshl_add_u64 v[66:67], v[0:1], 0, 48
	s_mov_b32 s34, 0
	v_mov_b32_e32 v147, 0x7f7fffff
	s_branch .LBB59_32
.LBB59_31:                              ;   in Loop: Header=BB59_32 Depth=1
	s_or_b64 exec, exec, s[10:11]
	ds_read_b128 v[0:3], v73
	ds_read_b128 v[4:7], v73 offset:512
	ds_read_b128 v[8:11], v73 offset:1024
	;; [unrolled: 1-line block ×7, first 2 shown]
	ds_read_b128 v[116:119], v81
	ds_read_b128 v[120:123], v81 offset:128
	ds_read_b128 v[152:155], v81 offset:256
	;; [unrolled: 1-line block ×7, first 2 shown]
	s_waitcnt lgkmcnt(7)
	v_pk_add_f32 v[124:125], v[0:1], v[116:117]
	s_add_i32 s34, s34, 8
	v_min3_f32 v37, v124, v125, v37
	v_pk_add_f32 v[124:125], v[4:5], v[116:117]
	s_cmp_ge_i32 s34, s38
	v_min3_f32 v127, v124, v125, v40
	v_pk_add_f32 v[124:125], v[8:9], v[116:117]
	v_lshl_add_u64 v[66:67], v[66:67], 0, 32
	v_min3_f32 v124, v124, v125, v41
	v_pk_add_f32 v[40:41], v[12:13], v[116:117]
	ds_write2st64_b32 v82, v148, v149 offset1:4
	ds_write2st64_b32 v82, v150, v151 offset0:8 offset1:12
	ds_write_b32 v83, v36
	v_min3_f32 v44, v40, v41, v44
	v_pk_add_f32 v[40:41], v[16:17], v[116:117]
	s_waitcnt lgkmcnt(0)
	v_min3_f32 v45, v40, v41, v45
	v_pk_add_f32 v[40:41], v[20:21], v[116:117]
	s_barrier
	v_min3_f32 v48, v40, v41, v48
	v_pk_add_f32 v[40:41], v[24:25], v[116:117]
	s_nop 0
	v_min3_f32 v49, v40, v41, v49
	v_pk_add_f32 v[40:41], v[28:29], v[116:117]
	s_nop 0
	;; [unrolled: 3-line block ×42, first 2 shown]
	v_min3_f32 v42, v40, v41, v42
	v_pk_add_f32 v[40:41], v[0:1], v[168:169]
	v_pk_add_f32 v[0:1], v[0:1], v[32:33]
	v_min3_f32 v43, v40, v41, v43
	v_min3_f32 v39, v0, v1, v39
	v_pk_add_f32 v[0:1], v[4:5], v[32:33]
	v_pk_add_f32 v[40:41], v[4:5], v[168:169]
	v_min3_f32 v4, v0, v1, v109
	v_pk_add_f32 v[0:1], v[8:9], v[32:33]
	v_min3_f32 v153, v40, v41, v103
	v_min3_f32 v5, v0, v1, v110
	v_pk_add_f32 v[0:1], v[12:13], v[32:33]
	v_pk_add_f32 v[40:41], v[8:9], v[168:169]
	v_min3_f32 v8, v0, v1, v111
	;; [unrolled: 6-line block ×7, first 2 shown]
	v_pk_add_f32 v[0:1], v[26:27], v[118:119]
	v_min3_f32 v38, v40, v41, v38
	v_min3_f32 v78, v0, v1, v49
	v_pk_add_f32 v[0:1], v[30:31], v[118:119]
	s_nop 0
	v_min3_f32 v141, v0, v1, v52
	v_pk_add_f32 v[0:1], v[2:3], v[122:123]
	s_nop 0
	;; [unrolled: 3-line block ×57, first 2 shown]
	v_min3_f32 v88, v0, v1, v16
	s_cbranch_scc1 .LBB59_52
.LBB59_32:                              ; =>This Inner Loop Header: Depth=1
	v_add_u32_e32 v68, s34, v72
	v_add_u32_e32 v0, 8, v68
	v_cmp_le_i32_e64 s[10:11], s22, v0
	v_min_i32_e32 v0, s37, v0
	v_mad_i64_i32 v[0:1], s[14:15], v0, s36, 0
	s_or_b64 s[14:15], vcc, s[10:11]
	v_lshl_add_u64 v[0:1], v[0:1], 2, s[30:31]
	v_cndmask_b32_e64 v69, 0, v147, s[14:15]
	s_or_b64 s[14:15], s[16:17], s[14:15]
	s_xor_b64 s[40:41], s[14:15], -1
	v_lshl_add_u64 v[0:1], v[64:65], 2, v[0:1]
	s_and_saveexec_b64 s[14:15], s[40:41]
	s_cbranch_execz .LBB59_34
; %bb.33:                               ;   in Loop: Header=BB59_32 Depth=1
	flat_load_dword v2, v[0:1]
	s_waitcnt vmcnt(0) lgkmcnt(0)
	v_mul_f32_e32 v69, s23, v2
.LBB59_34:                              ;   in Loop: Header=BB59_32 Depth=1
	s_or_b64 exec, exec, s[14:15]
	s_or_b64 s[14:15], s[12:13], s[10:11]
	v_cndmask_b32_e64 v148, 0, v147, s[14:15]
	s_or_b64 s[14:15], s[16:17], s[14:15]
	s_xor_b64 s[40:41], s[14:15], -1
	s_and_saveexec_b64 s[14:15], s[40:41]
	s_cbranch_execz .LBB59_36
; %bb.35:                               ;   in Loop: Header=BB59_32 Depth=1
	flat_load_dword v2, v[0:1] offset:256
	s_waitcnt vmcnt(0) lgkmcnt(0)
	v_mul_f32_e32 v148, s23, v2
.LBB59_36:                              ;   in Loop: Header=BB59_32 Depth=1
	s_or_b64 exec, exec, s[14:15]
	s_or_b64 s[14:15], s[4:5], s[10:11]
	v_cndmask_b32_e64 v149, 0, v147, s[14:15]
	s_or_b64 s[14:15], s[16:17], s[14:15]
	s_xor_b64 s[40:41], s[14:15], -1
	s_and_saveexec_b64 s[14:15], s[40:41]
	s_cbranch_execz .LBB59_38
; %bb.37:                               ;   in Loop: Header=BB59_32 Depth=1
	flat_load_dword v2, v[0:1] offset:512
	s_waitcnt vmcnt(0) lgkmcnt(0)
	v_mul_f32_e32 v149, s23, v2
.LBB59_38:                              ;   in Loop: Header=BB59_32 Depth=1
	;; [unrolled: 12-line block ×3, first 2 shown]
	s_or_b64 exec, exec, s[10:11]
	v_add_u32_e32 v152, s34, v75
	v_add_u32_e32 v0, 8, v152
	v_cmp_le_i32_e64 s[10:11], s22, v0
	s_or_b64 s[10:11], s[10:11], s[8:9]
	s_nop 0
	v_cndmask_b32_e64 v151, 0, v147, s[10:11]
	s_or_b64 s[10:11], s[16:17], s[10:11]
	s_xor_b64 s[10:11], s[10:11], -1
	s_and_saveexec_b64 s[14:15], s[10:11]
	s_cbranch_execz .LBB59_42
; %bb.41:                               ;   in Loop: Header=BB59_32 Depth=1
	v_add_co_u32_e64 v0, s[10:11], -16, v66
	s_nop 1
	v_addc_co_u32_e64 v1, s[10:11], -1, v67, s[10:11]
	flat_load_dword v0, v[0:1]
	s_waitcnt vmcnt(0) lgkmcnt(0)
	v_mul_f32_e32 v151, s23, v0
.LBB59_42:                              ;   in Loop: Header=BB59_32 Depth=1
	s_or_b64 exec, exec, s[14:15]
	ds_read_b128 v[28:31], v126
	ds_read_b128 v[24:27], v126 offset:512
	ds_read_b128 v[20:23], v126 offset:1024
	;; [unrolled: 1-line block ×7, first 2 shown]
	ds_read_b128 v[60:63], v146
	ds_read_b128 v[56:59], v146 offset:128
	ds_read_b128 v[52:55], v146 offset:256
	;; [unrolled: 1-line block ×7, first 2 shown]
	v_add_u32_e32 v68, 12, v68
	v_cmp_le_i32_e64 s[10:11], s22, v68
	v_min_i32_e32 v68, s37, v68
	ds_write2st64_b32 v76, v69, v148 offset1:4
	ds_write2st64_b32 v76, v149, v150 offset0:8 offset1:12
	ds_write_b32 v80, v151
	v_mad_i64_i32 v[68:69], s[14:15], v68, s36, 0
	s_or_b64 s[14:15], vcc, s[10:11]
	v_lshl_add_u64 v[68:69], v[68:69], 2, s[30:31]
	v_cndmask_b32_e64 v148, 0, v147, s[14:15]
	s_or_b64 s[14:15], s[16:17], s[14:15]
	s_xor_b64 s[40:41], s[14:15], -1
	v_lshl_add_u64 v[68:69], v[64:65], 2, v[68:69]
	s_waitcnt lgkmcnt(0)
	s_barrier
	s_and_saveexec_b64 s[14:15], s[40:41]
	s_cbranch_execz .LBB59_44
; %bb.43:                               ;   in Loop: Header=BB59_32 Depth=1
	flat_load_dword v148, v[68:69]
	s_waitcnt vmcnt(0) lgkmcnt(0)
	v_mul_f32_e32 v148, s23, v148
.LBB59_44:                              ;   in Loop: Header=BB59_32 Depth=1
	s_or_b64 exec, exec, s[14:15]
	s_or_b64 s[14:15], s[12:13], s[10:11]
	v_cndmask_b32_e64 v149, 0, v147, s[14:15]
	s_or_b64 s[14:15], s[16:17], s[14:15]
	s_xor_b64 s[40:41], s[14:15], -1
	s_and_saveexec_b64 s[14:15], s[40:41]
	s_cbranch_execz .LBB59_46
; %bb.45:                               ;   in Loop: Header=BB59_32 Depth=1
	flat_load_dword v149, v[68:69] offset:256
	s_waitcnt vmcnt(0) lgkmcnt(0)
	v_mul_f32_e32 v149, s23, v149
.LBB59_46:                              ;   in Loop: Header=BB59_32 Depth=1
	s_or_b64 exec, exec, s[14:15]
	s_or_b64 s[14:15], s[4:5], s[10:11]
	v_cndmask_b32_e64 v150, 0, v147, s[14:15]
	s_or_b64 s[14:15], s[16:17], s[14:15]
	s_xor_b64 s[40:41], s[14:15], -1
	s_and_saveexec_b64 s[14:15], s[40:41]
	s_cbranch_execz .LBB59_48
; %bb.47:                               ;   in Loop: Header=BB59_32 Depth=1
	flat_load_dword v150, v[68:69] offset:512
	s_waitcnt vmcnt(0) lgkmcnt(0)
	v_mul_f32_e32 v150, s23, v150
.LBB59_48:                              ;   in Loop: Header=BB59_32 Depth=1
	;; [unrolled: 12-line block ×3, first 2 shown]
	s_or_b64 exec, exec, s[10:11]
	v_pk_add_f32 v[68:69], v[28:29], v[60:61]
	s_nop 0
	v_min3_f32 v145, v68, v69, v145
	v_pk_add_f32 v[68:69], v[24:25], v[60:61]
	s_nop 0
	v_min3_f32 v144, v68, v69, v144
	v_pk_add_f32 v[68:69], v[20:21], v[60:61]
	s_nop 0
	v_min3_f32 v143, v68, v69, v143
	v_pk_add_f32 v[68:69], v[16:17], v[60:61]
	s_nop 0
	v_min3_f32 v142, v68, v69, v142
	v_pk_add_f32 v[68:69], v[12:13], v[60:61]
	s_nop 0
	v_min3_f32 v79, v68, v69, v79
	v_pk_add_f32 v[68:69], v[8:9], v[60:61]
	s_nop 0
	v_min3_f32 v77, v68, v69, v77
	v_pk_add_f32 v[68:69], v[4:5], v[60:61]
	v_pk_add_f32 v[60:61], v[0:1], v[60:61]
	v_min3_f32 v68, v68, v69, v78
	v_min3_f32 v69, v60, v61, v141
	v_pk_add_f32 v[60:61], v[28:29], v[56:57]
	s_nop 0
	v_min3_f32 v78, v60, v61, v140
	v_pk_add_f32 v[60:61], v[24:25], v[56:57]
	s_nop 0
	v_min3_f32 v139, v60, v61, v139
	v_pk_add_f32 v[60:61], v[20:21], v[56:57]
	s_nop 0
	v_min3_f32 v138, v60, v61, v138
	v_pk_add_f32 v[60:61], v[16:17], v[56:57]
	s_nop 0
	v_min3_f32 v137, v60, v61, v137
	v_pk_add_f32 v[60:61], v[12:13], v[56:57]
	s_nop 0
	v_min3_f32 v136, v60, v61, v136
	v_pk_add_f32 v[60:61], v[8:9], v[56:57]
	s_nop 0
	v_min3_f32 v135, v60, v61, v135
	v_pk_add_f32 v[60:61], v[4:5], v[56:57]
	v_pk_add_f32 v[56:57], v[0:1], v[56:57]
	v_min3_f32 v134, v60, v61, v134
	v_min3_f32 v133, v56, v57, v133
	;; [unrolled: 22-line block ×6, first 2 shown]
	v_pk_add_f32 v[40:41], v[28:29], v[36:37]
	v_pk_add_f32 v[28:29], v[28:29], v[32:33]
	v_min3_f32 v153, v40, v41, v99
	v_pk_add_f32 v[40:41], v[24:25], v[36:37]
	v_pk_add_f32 v[24:25], v[24:25], v[32:33]
	v_min3_f32 v154, v40, v41, v98
	;; [unrolled: 3-line block ×6, first 2 shown]
	v_pk_add_f32 v[40:41], v[4:5], v[36:37]
	v_pk_add_f32 v[36:37], v[0:1], v[36:37]
	;; [unrolled: 1-line block ×4, first 2 shown]
	v_min3_f32 v4, v4, v5, v84
	v_min3_f32 v5, v0, v1, v88
	v_pk_add_f32 v[0:1], v[30:31], v[62:63]
	v_min3_f32 v36, v36, v37, v92
	v_min3_f32 v37, v0, v1, v145
	v_pk_add_f32 v[0:1], v[26:27], v[62:63]
	;; [unrolled: 3-line block ×9, first 2 shown]
	s_nop 0
	v_min3_f32 v53, v0, v1, v78
	v_pk_add_f32 v[0:1], v[26:27], v[58:59]
	s_nop 0
	v_min3_f32 v56, v0, v1, v139
	v_pk_add_f32 v[0:1], v[22:23], v[58:59]
	;; [unrolled: 3-line block ×55, first 2 shown]
	s_nop 0
	v_min3_f32 v115, v0, v1, v5
	v_add_u32_e32 v0, 12, v152
	v_cmp_le_i32_e64 s[10:11], s22, v0
	s_or_b64 s[10:11], s[10:11], s[8:9]
	s_nop 0
	v_cndmask_b32_e64 v36, 0, v147, s[10:11]
	s_or_b64 s[10:11], s[16:17], s[10:11]
	s_xor_b64 s[14:15], s[10:11], -1
	s_and_saveexec_b64 s[10:11], s[14:15]
	s_cbranch_execz .LBB59_31
; %bb.51:                               ;   in Loop: Header=BB59_32 Depth=1
	flat_load_dword v0, v[66:67]
	s_waitcnt vmcnt(0) lgkmcnt(0)
	v_mul_f32_e32 v36, s23, v0
	s_branch .LBB59_31
.LBB59_52:
	s_load_dwordx2 s[4:5], s[0:1], 0x70
	s_load_dword s31, s[0:1], 0x50
	s_load_dword s30, s[0:1], 0x68
	ds_read_b128 v[32:35], v73 offset:4096
	ds_read_b128 v[28:31], v73 offset:4608
	;; [unrolled: 1-line block ×16, first 2 shown]
	v_add_u32_e32 v126, s33, v71
	s_waitcnt lgkmcnt(0)
	s_mul_i32 s0, s3, s5
	s_mul_hi_u32 s1, s3, s4
	s_mul_i32 s5, s29, s4
	s_add_i32 s0, s1, s0
	s_add_i32 s1, s0, s5
	s_mul_i32 s0, s3, s4
	s_lshl_b64 s[0:1], s[0:1], 2
	s_add_u32 s22, s18, s0
	s_addc_u32 s23, s19, s1
	v_mad_i64_i32 v[66:67], s[0:1], v126, s31, 0
	v_add_u32_e32 v64, s2, v70
	v_lshl_add_u64 v[82:83], v[66:67], 2, s[24:25]
	v_mad_i64_i32 v[66:67], s[0:1], v126, s30, 0
	v_cmp_gt_i32_e64 s[18:19], s21, v126
	v_lshl_add_u64 v[80:81], v[66:67], 2, s[22:23]
	v_cmp_gt_i32_e64 s[2:3], s20, v64
	v_cndmask_b32_e64 v66, 0, 1, s[26:27]
	s_and_b64 s[6:7], s[2:3], s[18:19]
	v_ashrrev_i32_e32 v65, 31, v64
	v_cmp_ne_u32_e64 s[0:1], 1, v66
	s_and_saveexec_b64 s[4:5], s[6:7]
	s_cbranch_execz .LBB59_57
; %bb.53:
	s_and_b64 vcc, exec, s[0:1]
	s_cbranch_vccnz .LBB59_55
; %bb.54:
	v_lshl_add_u64 v[66:67], v[64:65], 2, v[82:83]
	flat_load_dword v66, v[66:67]
	s_waitcnt vmcnt(0) lgkmcnt(0)
	v_mul_f32_e32 v66, s28, v66
	s_branch .LBB59_56
.LBB59_55:
	v_mov_b32_e32 v66, 0
.LBB59_56:
	v_pk_add_f32 v[68:69], v[32:33], v[60:61]
	s_nop 0
	v_min3_f32 v67, v68, v69, v145
	v_pk_add_f32 v[68:69], v[34:35], v[62:63]
	s_nop 0
	v_min_f32_e32 v68, v68, v69
	v_min3_f32 v68, v66, v68, v67
	v_lshl_add_u64 v[66:67], v[64:65], 2, v[80:81]
	global_store_dword v[66:67], v68, off
.LBB59_57:
	s_or_b64 exec, exec, s[4:5]
	v_add_u32_e32 v66, 32, v64
	v_cmp_gt_i32_e64 s[4:5], s20, v66
	s_and_b64 s[8:9], s[4:5], s[18:19]
	v_ashrrev_i32_e32 v67, 31, v66
	s_and_saveexec_b64 s[6:7], s[8:9]
	s_cbranch_execz .LBB59_62
; %bb.58:
	s_and_b64 vcc, exec, s[0:1]
	s_cbranch_vccnz .LBB59_60
; %bb.59:
	v_lshl_add_u64 v[68:69], v[66:67], 2, v[82:83]
	flat_load_dword v68, v[68:69]
	s_waitcnt vmcnt(0) lgkmcnt(0)
	v_mul_f32_e32 v68, s28, v68
	s_branch .LBB59_61
.LBB59_60:
	v_mov_b32_e32 v68, 0
.LBB59_61:
	v_pk_add_f32 v[70:71], v[28:29], v[60:61]
	s_nop 0
	v_min3_f32 v69, v70, v71, v144
	v_pk_add_f32 v[70:71], v[30:31], v[62:63]
	s_nop 0
	v_min_f32_e32 v70, v70, v71
	v_min3_f32 v70, v68, v70, v69
	v_lshl_add_u64 v[68:69], v[66:67], 2, v[80:81]
	global_store_dword v[68:69], v70, off
.LBB59_62:
	s_or_b64 exec, exec, s[6:7]
	v_add_u32_e32 v68, 64, v64
	v_cmp_gt_i32_e64 s[6:7], s20, v68
	s_and_b64 s[10:11], s[6:7], s[18:19]
	v_ashrrev_i32_e32 v69, 31, v68
	;; [unrolled: 29-line block ×7, first 2 shown]
	s_and_saveexec_b64 s[18:19], s[26:27]
	s_cbranch_execz .LBB59_92
; %bb.88:
	s_and_b64 vcc, exec, s[0:1]
	s_cbranch_vccnz .LBB59_90
; %bb.89:
	v_lshl_add_u64 v[82:83], v[78:79], 2, v[82:83]
	flat_load_dword v82, v[82:83]
	s_waitcnt vmcnt(0) lgkmcnt(0)
	v_mul_f32_e32 v82, s28, v82
	s_branch .LBB59_91
.LBB59_90:
	v_mov_b32_e32 v82, 0
.LBB59_91:
	v_pk_add_f32 v[60:61], v[0:1], v[60:61]
	s_nop 0
	v_min3_f32 v83, v60, v61, v141
	v_pk_add_f32 v[60:61], v[2:3], v[62:63]
	s_nop 0
	v_min_f32_e32 v60, v60, v61
	v_min3_f32 v62, v82, v60, v83
	v_lshl_add_u64 v[60:61], v[78:79], 2, v[80:81]
	global_store_dword v[60:61], v62, off
.LBB59_92:
	s_or_b64 exec, exec, s[18:19]
	v_add_u32_e32 v80, 8, v126
	v_mad_i64_i32 v[60:61], s[26:27], v80, s31, 0
	v_cmp_gt_i32_e64 s[18:19], s21, v80
	v_lshl_add_u64 v[62:63], v[60:61], 2, s[24:25]
	v_mad_i64_i32 v[60:61], s[26:27], v80, s30, 0
	v_lshl_add_u64 v[60:61], v[60:61], 2, s[22:23]
	s_and_b64 s[34:35], s[2:3], s[18:19]
	s_and_saveexec_b64 s[26:27], s[34:35]
	s_cbranch_execnz .LBB59_100
; %bb.93:
	s_or_b64 exec, exec, s[26:27]
	s_and_b64 s[34:35], s[4:5], s[18:19]
	s_and_saveexec_b64 s[26:27], s[34:35]
	s_cbranch_execnz .LBB59_104
.LBB59_94:
	s_or_b64 exec, exec, s[26:27]
	s_and_b64 s[34:35], s[6:7], s[18:19]
	s_and_saveexec_b64 s[26:27], s[34:35]
	s_cbranch_execnz .LBB59_108
.LBB59_95:
	s_or_b64 exec, exec, s[26:27]
	s_and_b64 s[34:35], s[8:9], s[18:19]
	s_and_saveexec_b64 s[26:27], s[34:35]
	s_cbranch_execnz .LBB59_112
.LBB59_96:
	s_or_b64 exec, exec, s[26:27]
	s_and_b64 s[34:35], s[10:11], s[18:19]
	s_and_saveexec_b64 s[26:27], s[34:35]
	s_cbranch_execnz .LBB59_116
.LBB59_97:
	s_or_b64 exec, exec, s[26:27]
	s_and_b64 s[34:35], s[12:13], s[18:19]
	s_and_saveexec_b64 s[26:27], s[34:35]
	s_cbranch_execnz .LBB59_120
.LBB59_98:
	s_or_b64 exec, exec, s[26:27]
	s_and_b64 s[34:35], s[14:15], s[18:19]
	s_and_saveexec_b64 s[26:27], s[34:35]
	s_cbranch_execnz .LBB59_124
.LBB59_99:
	s_or_b64 exec, exec, s[26:27]
	s_and_b64 s[26:27], s[16:17], s[18:19]
	s_and_saveexec_b64 s[18:19], s[26:27]
	s_cbranch_execnz .LBB59_128
	s_branch .LBB59_132
.LBB59_100:
	s_and_b64 vcc, exec, s[0:1]
	s_cbranch_vccnz .LBB59_102
; %bb.101:
	v_lshl_add_u64 v[80:81], v[64:65], 2, v[62:63]
	flat_load_dword v80, v[80:81]
	s_waitcnt vmcnt(0) lgkmcnt(0)
	v_mul_f32_e32 v80, s28, v80
	s_branch .LBB59_103
.LBB59_102:
	v_mov_b32_e32 v80, 0
.LBB59_103:
	v_pk_add_f32 v[82:83], v[32:33], v[56:57]
	s_nop 0
	v_min3_f32 v81, v82, v83, v140
	v_pk_add_f32 v[82:83], v[34:35], v[58:59]
	s_nop 0
	v_min_f32_e32 v82, v82, v83
	v_min3_f32 v82, v80, v82, v81
	v_lshl_add_u64 v[80:81], v[64:65], 2, v[60:61]
	global_store_dword v[80:81], v82, off
	s_or_b64 exec, exec, s[26:27]
	s_and_b64 s[34:35], s[4:5], s[18:19]
	s_and_saveexec_b64 s[26:27], s[34:35]
	s_cbranch_execz .LBB59_94
.LBB59_104:
	s_and_b64 vcc, exec, s[0:1]
	s_cbranch_vccnz .LBB59_106
; %bb.105:
	v_lshl_add_u64 v[80:81], v[66:67], 2, v[62:63]
	flat_load_dword v80, v[80:81]
	s_waitcnt vmcnt(0) lgkmcnt(0)
	v_mul_f32_e32 v80, s28, v80
	s_branch .LBB59_107
.LBB59_106:
	v_mov_b32_e32 v80, 0
.LBB59_107:
	v_pk_add_f32 v[82:83], v[28:29], v[56:57]
	s_nop 0
	v_min3_f32 v81, v82, v83, v139
	v_pk_add_f32 v[82:83], v[30:31], v[58:59]
	s_nop 0
	v_min_f32_e32 v82, v82, v83
	v_min3_f32 v82, v80, v82, v81
	v_lshl_add_u64 v[80:81], v[66:67], 2, v[60:61]
	global_store_dword v[80:81], v82, off
	s_or_b64 exec, exec, s[26:27]
	s_and_b64 s[34:35], s[6:7], s[18:19]
	s_and_saveexec_b64 s[26:27], s[34:35]
	s_cbranch_execz .LBB59_95
.LBB59_108:
	s_and_b64 vcc, exec, s[0:1]
	s_cbranch_vccnz .LBB59_110
; %bb.109:
	v_lshl_add_u64 v[80:81], v[68:69], 2, v[62:63]
	flat_load_dword v80, v[80:81]
	s_waitcnt vmcnt(0) lgkmcnt(0)
	v_mul_f32_e32 v80, s28, v80
	s_branch .LBB59_111
.LBB59_110:
	v_mov_b32_e32 v80, 0
.LBB59_111:
	v_pk_add_f32 v[82:83], v[24:25], v[56:57]
	s_nop 0
	v_min3_f32 v81, v82, v83, v138
	v_pk_add_f32 v[82:83], v[26:27], v[58:59]
	s_nop 0
	v_min_f32_e32 v82, v82, v83
	v_min3_f32 v82, v80, v82, v81
	v_lshl_add_u64 v[80:81], v[68:69], 2, v[60:61]
	global_store_dword v[80:81], v82, off
	s_or_b64 exec, exec, s[26:27]
	s_and_b64 s[34:35], s[8:9], s[18:19]
	s_and_saveexec_b64 s[26:27], s[34:35]
	s_cbranch_execz .LBB59_96
.LBB59_112:
	s_and_b64 vcc, exec, s[0:1]
	s_cbranch_vccnz .LBB59_114
; %bb.113:
	v_lshl_add_u64 v[80:81], v[70:71], 2, v[62:63]
	flat_load_dword v80, v[80:81]
	s_waitcnt vmcnt(0) lgkmcnt(0)
	v_mul_f32_e32 v80, s28, v80
	s_branch .LBB59_115
.LBB59_114:
	v_mov_b32_e32 v80, 0
.LBB59_115:
	v_pk_add_f32 v[82:83], v[20:21], v[56:57]
	s_nop 0
	v_min3_f32 v81, v82, v83, v137
	v_pk_add_f32 v[82:83], v[22:23], v[58:59]
	s_nop 0
	v_min_f32_e32 v82, v82, v83
	v_min3_f32 v82, v80, v82, v81
	v_lshl_add_u64 v[80:81], v[70:71], 2, v[60:61]
	global_store_dword v[80:81], v82, off
	s_or_b64 exec, exec, s[26:27]
	s_and_b64 s[34:35], s[10:11], s[18:19]
	s_and_saveexec_b64 s[26:27], s[34:35]
	s_cbranch_execz .LBB59_97
.LBB59_116:
	s_and_b64 vcc, exec, s[0:1]
	s_cbranch_vccnz .LBB59_118
; %bb.117:
	v_lshl_add_u64 v[80:81], v[72:73], 2, v[62:63]
	flat_load_dword v80, v[80:81]
	s_waitcnt vmcnt(0) lgkmcnt(0)
	v_mul_f32_e32 v80, s28, v80
	s_branch .LBB59_119
.LBB59_118:
	v_mov_b32_e32 v80, 0
.LBB59_119:
	v_pk_add_f32 v[82:83], v[16:17], v[56:57]
	s_nop 0
	v_min3_f32 v81, v82, v83, v136
	v_pk_add_f32 v[82:83], v[18:19], v[58:59]
	s_nop 0
	v_min_f32_e32 v82, v82, v83
	v_min3_f32 v82, v80, v82, v81
	v_lshl_add_u64 v[80:81], v[72:73], 2, v[60:61]
	global_store_dword v[80:81], v82, off
	s_or_b64 exec, exec, s[26:27]
	s_and_b64 s[34:35], s[12:13], s[18:19]
	s_and_saveexec_b64 s[26:27], s[34:35]
	s_cbranch_execz .LBB59_98
.LBB59_120:
	s_and_b64 vcc, exec, s[0:1]
	s_cbranch_vccnz .LBB59_122
; %bb.121:
	v_lshl_add_u64 v[80:81], v[74:75], 2, v[62:63]
	flat_load_dword v80, v[80:81]
	s_waitcnt vmcnt(0) lgkmcnt(0)
	v_mul_f32_e32 v80, s28, v80
	s_branch .LBB59_123
.LBB59_122:
	v_mov_b32_e32 v80, 0
.LBB59_123:
	v_pk_add_f32 v[82:83], v[12:13], v[56:57]
	s_nop 0
	v_min3_f32 v81, v82, v83, v135
	v_pk_add_f32 v[82:83], v[14:15], v[58:59]
	s_nop 0
	v_min_f32_e32 v82, v82, v83
	v_min3_f32 v82, v80, v82, v81
	v_lshl_add_u64 v[80:81], v[74:75], 2, v[60:61]
	global_store_dword v[80:81], v82, off
	s_or_b64 exec, exec, s[26:27]
	s_and_b64 s[34:35], s[14:15], s[18:19]
	s_and_saveexec_b64 s[26:27], s[34:35]
	s_cbranch_execz .LBB59_99
.LBB59_124:
	s_and_b64 vcc, exec, s[0:1]
	s_cbranch_vccnz .LBB59_126
; %bb.125:
	v_lshl_add_u64 v[80:81], v[76:77], 2, v[62:63]
	flat_load_dword v80, v[80:81]
	s_waitcnt vmcnt(0) lgkmcnt(0)
	v_mul_f32_e32 v80, s28, v80
	s_branch .LBB59_127
.LBB59_126:
	v_mov_b32_e32 v80, 0
.LBB59_127:
	v_pk_add_f32 v[82:83], v[8:9], v[56:57]
	s_nop 0
	v_min3_f32 v81, v82, v83, v134
	v_pk_add_f32 v[82:83], v[10:11], v[58:59]
	s_nop 0
	v_min_f32_e32 v82, v82, v83
	v_min3_f32 v82, v80, v82, v81
	v_lshl_add_u64 v[80:81], v[76:77], 2, v[60:61]
	global_store_dword v[80:81], v82, off
	s_or_b64 exec, exec, s[26:27]
	s_and_b64 s[26:27], s[16:17], s[18:19]
	s_and_saveexec_b64 s[18:19], s[26:27]
	s_cbranch_execz .LBB59_132
.LBB59_128:
	s_and_b64 vcc, exec, s[0:1]
	s_cbranch_vccnz .LBB59_130
; %bb.129:
	v_lshl_add_u64 v[62:63], v[78:79], 2, v[62:63]
	flat_load_dword v62, v[62:63]
	s_waitcnt vmcnt(0) lgkmcnt(0)
	v_mul_f32_e32 v62, s28, v62
	s_branch .LBB59_131
.LBB59_130:
	v_mov_b32_e32 v62, 0
.LBB59_131:
	v_pk_add_f32 v[56:57], v[0:1], v[56:57]
	s_nop 0
	v_min3_f32 v63, v56, v57, v133
	v_pk_add_f32 v[56:57], v[2:3], v[58:59]
	s_nop 0
	v_min_f32_e32 v56, v56, v57
	v_min3_f32 v58, v62, v56, v63
	v_lshl_add_u64 v[56:57], v[78:79], 2, v[60:61]
	global_store_dword v[56:57], v58, off
.LBB59_132:
	s_or_b64 exec, exec, s[18:19]
	v_add_u32_e32 v60, 16, v126
	v_mad_i64_i32 v[56:57], s[26:27], v60, s31, 0
	v_cmp_gt_i32_e64 s[18:19], s21, v60
	v_lshl_add_u64 v[58:59], v[56:57], 2, s[24:25]
	v_mad_i64_i32 v[56:57], s[26:27], v60, s30, 0
	v_lshl_add_u64 v[56:57], v[56:57], 2, s[22:23]
	s_and_b64 s[34:35], s[2:3], s[18:19]
	s_and_saveexec_b64 s[26:27], s[34:35]
	s_cbranch_execnz .LBB59_140
; %bb.133:
	s_or_b64 exec, exec, s[26:27]
	s_and_b64 s[34:35], s[4:5], s[18:19]
	s_and_saveexec_b64 s[26:27], s[34:35]
	s_cbranch_execnz .LBB59_144
.LBB59_134:
	s_or_b64 exec, exec, s[26:27]
	s_and_b64 s[34:35], s[6:7], s[18:19]
	s_and_saveexec_b64 s[26:27], s[34:35]
	s_cbranch_execnz .LBB59_148
.LBB59_135:
	s_or_b64 exec, exec, s[26:27]
	s_and_b64 s[34:35], s[8:9], s[18:19]
	s_and_saveexec_b64 s[26:27], s[34:35]
	s_cbranch_execnz .LBB59_152
.LBB59_136:
	s_or_b64 exec, exec, s[26:27]
	s_and_b64 s[34:35], s[10:11], s[18:19]
	s_and_saveexec_b64 s[26:27], s[34:35]
	s_cbranch_execnz .LBB59_156
.LBB59_137:
	s_or_b64 exec, exec, s[26:27]
	s_and_b64 s[34:35], s[12:13], s[18:19]
	s_and_saveexec_b64 s[26:27], s[34:35]
	s_cbranch_execnz .LBB59_160
.LBB59_138:
	s_or_b64 exec, exec, s[26:27]
	s_and_b64 s[34:35], s[14:15], s[18:19]
	s_and_saveexec_b64 s[26:27], s[34:35]
	s_cbranch_execnz .LBB59_164
.LBB59_139:
	s_or_b64 exec, exec, s[26:27]
	s_and_b64 s[26:27], s[16:17], s[18:19]
	s_and_saveexec_b64 s[18:19], s[26:27]
	s_cbranch_execnz .LBB59_168
	s_branch .LBB59_172
.LBB59_140:
	s_and_b64 vcc, exec, s[0:1]
	s_cbranch_vccnz .LBB59_142
; %bb.141:
	v_lshl_add_u64 v[60:61], v[64:65], 2, v[58:59]
	flat_load_dword v60, v[60:61]
	s_waitcnt vmcnt(0) lgkmcnt(0)
	v_mul_f32_e32 v60, s28, v60
	s_branch .LBB59_143
.LBB59_142:
	v_mov_b32_e32 v60, 0
.LBB59_143:
	v_pk_add_f32 v[62:63], v[32:33], v[52:53]
	s_nop 0
	v_min3_f32 v61, v62, v63, v132
	v_pk_add_f32 v[62:63], v[34:35], v[54:55]
	s_nop 0
	v_min_f32_e32 v62, v62, v63
	v_min3_f32 v62, v60, v62, v61
	v_lshl_add_u64 v[60:61], v[64:65], 2, v[56:57]
	global_store_dword v[60:61], v62, off
	s_or_b64 exec, exec, s[26:27]
	s_and_b64 s[34:35], s[4:5], s[18:19]
	s_and_saveexec_b64 s[26:27], s[34:35]
	s_cbranch_execz .LBB59_134
.LBB59_144:
	s_and_b64 vcc, exec, s[0:1]
	s_cbranch_vccnz .LBB59_146
; %bb.145:
	v_lshl_add_u64 v[60:61], v[66:67], 2, v[58:59]
	flat_load_dword v60, v[60:61]
	s_waitcnt vmcnt(0) lgkmcnt(0)
	v_mul_f32_e32 v60, s28, v60
	s_branch .LBB59_147
.LBB59_146:
	v_mov_b32_e32 v60, 0
.LBB59_147:
	v_pk_add_f32 v[62:63], v[28:29], v[52:53]
	s_nop 0
	v_min3_f32 v61, v62, v63, v131
	v_pk_add_f32 v[62:63], v[30:31], v[54:55]
	s_nop 0
	v_min_f32_e32 v62, v62, v63
	v_min3_f32 v62, v60, v62, v61
	v_lshl_add_u64 v[60:61], v[66:67], 2, v[56:57]
	global_store_dword v[60:61], v62, off
	s_or_b64 exec, exec, s[26:27]
	s_and_b64 s[34:35], s[6:7], s[18:19]
	s_and_saveexec_b64 s[26:27], s[34:35]
	s_cbranch_execz .LBB59_135
.LBB59_148:
	s_and_b64 vcc, exec, s[0:1]
	s_cbranch_vccnz .LBB59_150
; %bb.149:
	v_lshl_add_u64 v[60:61], v[68:69], 2, v[58:59]
	flat_load_dword v60, v[60:61]
	s_waitcnt vmcnt(0) lgkmcnt(0)
	v_mul_f32_e32 v60, s28, v60
	s_branch .LBB59_151
.LBB59_150:
	v_mov_b32_e32 v60, 0
.LBB59_151:
	v_pk_add_f32 v[62:63], v[24:25], v[52:53]
	s_nop 0
	v_min3_f32 v61, v62, v63, v130
	v_pk_add_f32 v[62:63], v[26:27], v[54:55]
	s_nop 0
	v_min_f32_e32 v62, v62, v63
	v_min3_f32 v62, v60, v62, v61
	v_lshl_add_u64 v[60:61], v[68:69], 2, v[56:57]
	global_store_dword v[60:61], v62, off
	s_or_b64 exec, exec, s[26:27]
	s_and_b64 s[34:35], s[8:9], s[18:19]
	s_and_saveexec_b64 s[26:27], s[34:35]
	s_cbranch_execz .LBB59_136
.LBB59_152:
	s_and_b64 vcc, exec, s[0:1]
	s_cbranch_vccnz .LBB59_154
; %bb.153:
	v_lshl_add_u64 v[60:61], v[70:71], 2, v[58:59]
	flat_load_dword v60, v[60:61]
	s_waitcnt vmcnt(0) lgkmcnt(0)
	v_mul_f32_e32 v60, s28, v60
	s_branch .LBB59_155
.LBB59_154:
	v_mov_b32_e32 v60, 0
.LBB59_155:
	v_pk_add_f32 v[62:63], v[20:21], v[52:53]
	s_nop 0
	v_min3_f32 v61, v62, v63, v129
	v_pk_add_f32 v[62:63], v[22:23], v[54:55]
	s_nop 0
	v_min_f32_e32 v62, v62, v63
	v_min3_f32 v62, v60, v62, v61
	v_lshl_add_u64 v[60:61], v[70:71], 2, v[56:57]
	global_store_dword v[60:61], v62, off
	s_or_b64 exec, exec, s[26:27]
	s_and_b64 s[34:35], s[10:11], s[18:19]
	s_and_saveexec_b64 s[26:27], s[34:35]
	s_cbranch_execz .LBB59_137
.LBB59_156:
	s_and_b64 vcc, exec, s[0:1]
	s_cbranch_vccnz .LBB59_158
; %bb.157:
	v_lshl_add_u64 v[60:61], v[72:73], 2, v[58:59]
	flat_load_dword v60, v[60:61]
	s_waitcnt vmcnt(0) lgkmcnt(0)
	v_mul_f32_e32 v60, s28, v60
	s_branch .LBB59_159
.LBB59_158:
	v_mov_b32_e32 v60, 0
.LBB59_159:
	v_pk_add_f32 v[62:63], v[16:17], v[52:53]
	s_nop 0
	v_min3_f32 v61, v62, v63, v128
	v_pk_add_f32 v[62:63], v[18:19], v[54:55]
	s_nop 0
	v_min_f32_e32 v62, v62, v63
	v_min3_f32 v62, v60, v62, v61
	v_lshl_add_u64 v[60:61], v[72:73], 2, v[56:57]
	global_store_dword v[60:61], v62, off
	s_or_b64 exec, exec, s[26:27]
	s_and_b64 s[34:35], s[12:13], s[18:19]
	s_and_saveexec_b64 s[26:27], s[34:35]
	s_cbranch_execz .LBB59_138
.LBB59_160:
	s_and_b64 vcc, exec, s[0:1]
	s_cbranch_vccnz .LBB59_162
; %bb.161:
	v_lshl_add_u64 v[60:61], v[74:75], 2, v[58:59]
	flat_load_dword v60, v[60:61]
	s_waitcnt vmcnt(0) lgkmcnt(0)
	v_mul_f32_e32 v60, s28, v60
	s_branch .LBB59_163
.LBB59_162:
	v_mov_b32_e32 v60, 0
.LBB59_163:
	v_pk_add_f32 v[62:63], v[12:13], v[52:53]
	s_nop 0
	v_min3_f32 v61, v62, v63, v125
	v_pk_add_f32 v[62:63], v[14:15], v[54:55]
	s_nop 0
	v_min_f32_e32 v62, v62, v63
	v_min3_f32 v62, v60, v62, v61
	v_lshl_add_u64 v[60:61], v[74:75], 2, v[56:57]
	global_store_dword v[60:61], v62, off
	s_or_b64 exec, exec, s[26:27]
	s_and_b64 s[34:35], s[14:15], s[18:19]
	s_and_saveexec_b64 s[26:27], s[34:35]
	s_cbranch_execz .LBB59_139
.LBB59_164:
	s_and_b64 vcc, exec, s[0:1]
	s_cbranch_vccnz .LBB59_166
; %bb.165:
	v_lshl_add_u64 v[60:61], v[76:77], 2, v[58:59]
	flat_load_dword v60, v[60:61]
	s_waitcnt vmcnt(0) lgkmcnt(0)
	v_mul_f32_e32 v60, s28, v60
	s_branch .LBB59_167
.LBB59_166:
	v_mov_b32_e32 v60, 0
.LBB59_167:
	v_pk_add_f32 v[62:63], v[8:9], v[52:53]
	s_nop 0
	v_min3_f32 v61, v62, v63, v123
	v_pk_add_f32 v[62:63], v[10:11], v[54:55]
	s_nop 0
	v_min_f32_e32 v62, v62, v63
	v_min3_f32 v62, v60, v62, v61
	v_lshl_add_u64 v[60:61], v[76:77], 2, v[56:57]
	global_store_dword v[60:61], v62, off
	s_or_b64 exec, exec, s[26:27]
	s_and_b64 s[26:27], s[16:17], s[18:19]
	s_and_saveexec_b64 s[18:19], s[26:27]
	s_cbranch_execz .LBB59_172
.LBB59_168:
	s_and_b64 vcc, exec, s[0:1]
	s_cbranch_vccnz .LBB59_170
; %bb.169:
	v_lshl_add_u64 v[58:59], v[78:79], 2, v[58:59]
	flat_load_dword v58, v[58:59]
	s_waitcnt vmcnt(0) lgkmcnt(0)
	v_mul_f32_e32 v58, s28, v58
	s_branch .LBB59_171
.LBB59_170:
	v_mov_b32_e32 v58, 0
.LBB59_171:
	v_pk_add_f32 v[52:53], v[0:1], v[52:53]
	s_nop 0
	v_min3_f32 v59, v52, v53, v127
	v_pk_add_f32 v[52:53], v[2:3], v[54:55]
	s_nop 0
	v_min_f32_e32 v52, v52, v53
	v_min3_f32 v54, v58, v52, v59
	v_lshl_add_u64 v[52:53], v[78:79], 2, v[56:57]
	global_store_dword v[52:53], v54, off
.LBB59_172:
	s_or_b64 exec, exec, s[18:19]
	v_add_u32_e32 v56, 24, v126
	v_mad_i64_i32 v[52:53], s[26:27], v56, s31, 0
	v_cmp_gt_i32_e64 s[18:19], s21, v56
	v_lshl_add_u64 v[54:55], v[52:53], 2, s[24:25]
	v_mad_i64_i32 v[52:53], s[26:27], v56, s30, 0
	v_lshl_add_u64 v[52:53], v[52:53], 2, s[22:23]
	s_and_b64 s[34:35], s[2:3], s[18:19]
	s_and_saveexec_b64 s[26:27], s[34:35]
	s_cbranch_execnz .LBB59_180
; %bb.173:
	s_or_b64 exec, exec, s[26:27]
	s_and_b64 s[34:35], s[4:5], s[18:19]
	s_and_saveexec_b64 s[26:27], s[34:35]
	s_cbranch_execnz .LBB59_184
.LBB59_174:
	s_or_b64 exec, exec, s[26:27]
	s_and_b64 s[34:35], s[6:7], s[18:19]
	s_and_saveexec_b64 s[26:27], s[34:35]
	s_cbranch_execnz .LBB59_188
.LBB59_175:
	s_or_b64 exec, exec, s[26:27]
	s_and_b64 s[34:35], s[8:9], s[18:19]
	s_and_saveexec_b64 s[26:27], s[34:35]
	s_cbranch_execnz .LBB59_192
.LBB59_176:
	s_or_b64 exec, exec, s[26:27]
	s_and_b64 s[34:35], s[10:11], s[18:19]
	s_and_saveexec_b64 s[26:27], s[34:35]
	s_cbranch_execnz .LBB59_196
.LBB59_177:
	s_or_b64 exec, exec, s[26:27]
	s_and_b64 s[34:35], s[12:13], s[18:19]
	s_and_saveexec_b64 s[26:27], s[34:35]
	s_cbranch_execnz .LBB59_200
.LBB59_178:
	s_or_b64 exec, exec, s[26:27]
	s_and_b64 s[34:35], s[14:15], s[18:19]
	s_and_saveexec_b64 s[26:27], s[34:35]
	s_cbranch_execnz .LBB59_204
.LBB59_179:
	s_or_b64 exec, exec, s[26:27]
	s_and_b64 s[26:27], s[16:17], s[18:19]
	s_and_saveexec_b64 s[18:19], s[26:27]
	s_cbranch_execnz .LBB59_208
	s_branch .LBB59_212
.LBB59_180:
	s_and_b64 vcc, exec, s[0:1]
	s_cbranch_vccnz .LBB59_182
; %bb.181:
	v_lshl_add_u64 v[56:57], v[64:65], 2, v[54:55]
	flat_load_dword v56, v[56:57]
	s_waitcnt vmcnt(0) lgkmcnt(0)
	v_mul_f32_e32 v56, s28, v56
	s_branch .LBB59_183
.LBB59_182:
	v_mov_b32_e32 v56, 0
.LBB59_183:
	v_pk_add_f32 v[58:59], v[32:33], v[48:49]
	s_nop 0
	v_min3_f32 v57, v58, v59, v124
	v_pk_add_f32 v[58:59], v[34:35], v[50:51]
	s_nop 0
	v_min_f32_e32 v58, v58, v59
	v_min3_f32 v58, v56, v58, v57
	v_lshl_add_u64 v[56:57], v[64:65], 2, v[52:53]
	global_store_dword v[56:57], v58, off
	s_or_b64 exec, exec, s[26:27]
	s_and_b64 s[34:35], s[4:5], s[18:19]
	s_and_saveexec_b64 s[26:27], s[34:35]
	s_cbranch_execz .LBB59_174
.LBB59_184:
	s_and_b64 vcc, exec, s[0:1]
	s_cbranch_vccnz .LBB59_186
; %bb.185:
	v_lshl_add_u64 v[56:57], v[66:67], 2, v[54:55]
	flat_load_dword v56, v[56:57]
	s_waitcnt vmcnt(0) lgkmcnt(0)
	v_mul_f32_e32 v56, s28, v56
	s_branch .LBB59_187
.LBB59_186:
	v_mov_b32_e32 v56, 0
.LBB59_187:
	v_pk_add_f32 v[58:59], v[28:29], v[48:49]
	s_nop 0
	v_min3_f32 v57, v58, v59, v122
	v_pk_add_f32 v[58:59], v[30:31], v[50:51]
	s_nop 0
	v_min_f32_e32 v58, v58, v59
	v_min3_f32 v58, v56, v58, v57
	v_lshl_add_u64 v[56:57], v[66:67], 2, v[52:53]
	global_store_dword v[56:57], v58, off
	s_or_b64 exec, exec, s[26:27]
	s_and_b64 s[34:35], s[6:7], s[18:19]
	s_and_saveexec_b64 s[26:27], s[34:35]
	s_cbranch_execz .LBB59_175
.LBB59_188:
	s_and_b64 vcc, exec, s[0:1]
	s_cbranch_vccnz .LBB59_190
; %bb.189:
	v_lshl_add_u64 v[56:57], v[68:69], 2, v[54:55]
	flat_load_dword v56, v[56:57]
	s_waitcnt vmcnt(0) lgkmcnt(0)
	v_mul_f32_e32 v56, s28, v56
	s_branch .LBB59_191
.LBB59_190:
	v_mov_b32_e32 v56, 0
.LBB59_191:
	v_pk_add_f32 v[58:59], v[24:25], v[48:49]
	s_nop 0
	v_min3_f32 v57, v58, v59, v121
	v_pk_add_f32 v[58:59], v[26:27], v[50:51]
	s_nop 0
	v_min_f32_e32 v58, v58, v59
	v_min3_f32 v58, v56, v58, v57
	v_lshl_add_u64 v[56:57], v[68:69], 2, v[52:53]
	global_store_dword v[56:57], v58, off
	s_or_b64 exec, exec, s[26:27]
	s_and_b64 s[34:35], s[8:9], s[18:19]
	s_and_saveexec_b64 s[26:27], s[34:35]
	s_cbranch_execz .LBB59_176
.LBB59_192:
	s_and_b64 vcc, exec, s[0:1]
	s_cbranch_vccnz .LBB59_194
; %bb.193:
	v_lshl_add_u64 v[56:57], v[70:71], 2, v[54:55]
	flat_load_dword v56, v[56:57]
	s_waitcnt vmcnt(0) lgkmcnt(0)
	v_mul_f32_e32 v56, s28, v56
	s_branch .LBB59_195
.LBB59_194:
	v_mov_b32_e32 v56, 0
.LBB59_195:
	v_pk_add_f32 v[58:59], v[20:21], v[48:49]
	s_nop 0
	v_min3_f32 v57, v58, v59, v120
	v_pk_add_f32 v[58:59], v[22:23], v[50:51]
	s_nop 0
	v_min_f32_e32 v58, v58, v59
	v_min3_f32 v58, v56, v58, v57
	v_lshl_add_u64 v[56:57], v[70:71], 2, v[52:53]
	global_store_dword v[56:57], v58, off
	s_or_b64 exec, exec, s[26:27]
	s_and_b64 s[34:35], s[10:11], s[18:19]
	s_and_saveexec_b64 s[26:27], s[34:35]
	s_cbranch_execz .LBB59_177
.LBB59_196:
	s_and_b64 vcc, exec, s[0:1]
	s_cbranch_vccnz .LBB59_198
; %bb.197:
	v_lshl_add_u64 v[56:57], v[72:73], 2, v[54:55]
	flat_load_dword v56, v[56:57]
	s_waitcnt vmcnt(0) lgkmcnt(0)
	v_mul_f32_e32 v56, s28, v56
	s_branch .LBB59_199
.LBB59_198:
	v_mov_b32_e32 v56, 0
.LBB59_199:
	v_pk_add_f32 v[58:59], v[16:17], v[48:49]
	s_nop 0
	v_min3_f32 v57, v58, v59, v119
	v_pk_add_f32 v[58:59], v[18:19], v[50:51]
	s_nop 0
	v_min_f32_e32 v58, v58, v59
	v_min3_f32 v58, v56, v58, v57
	v_lshl_add_u64 v[56:57], v[72:73], 2, v[52:53]
	global_store_dword v[56:57], v58, off
	s_or_b64 exec, exec, s[26:27]
	s_and_b64 s[34:35], s[12:13], s[18:19]
	s_and_saveexec_b64 s[26:27], s[34:35]
	s_cbranch_execz .LBB59_178
.LBB59_200:
	s_and_b64 vcc, exec, s[0:1]
	s_cbranch_vccnz .LBB59_202
; %bb.201:
	v_lshl_add_u64 v[56:57], v[74:75], 2, v[54:55]
	flat_load_dword v56, v[56:57]
	s_waitcnt vmcnt(0) lgkmcnt(0)
	v_mul_f32_e32 v56, s28, v56
	s_branch .LBB59_203
.LBB59_202:
	v_mov_b32_e32 v56, 0
.LBB59_203:
	v_pk_add_f32 v[58:59], v[12:13], v[48:49]
	s_nop 0
	v_min3_f32 v57, v58, v59, v118
	v_pk_add_f32 v[58:59], v[14:15], v[50:51]
	s_nop 0
	v_min_f32_e32 v58, v58, v59
	v_min3_f32 v58, v56, v58, v57
	v_lshl_add_u64 v[56:57], v[74:75], 2, v[52:53]
	global_store_dword v[56:57], v58, off
	s_or_b64 exec, exec, s[26:27]
	s_and_b64 s[34:35], s[14:15], s[18:19]
	s_and_saveexec_b64 s[26:27], s[34:35]
	s_cbranch_execz .LBB59_179
.LBB59_204:
	s_and_b64 vcc, exec, s[0:1]
	s_cbranch_vccnz .LBB59_206
; %bb.205:
	v_lshl_add_u64 v[56:57], v[76:77], 2, v[54:55]
	flat_load_dword v56, v[56:57]
	s_waitcnt vmcnt(0) lgkmcnt(0)
	v_mul_f32_e32 v56, s28, v56
	s_branch .LBB59_207
.LBB59_206:
	v_mov_b32_e32 v56, 0
.LBB59_207:
	v_pk_add_f32 v[58:59], v[8:9], v[48:49]
	s_nop 0
	v_min3_f32 v57, v58, v59, v117
	v_pk_add_f32 v[58:59], v[10:11], v[50:51]
	s_nop 0
	v_min_f32_e32 v58, v58, v59
	v_min3_f32 v58, v56, v58, v57
	v_lshl_add_u64 v[56:57], v[76:77], 2, v[52:53]
	global_store_dword v[56:57], v58, off
	s_or_b64 exec, exec, s[26:27]
	s_and_b64 s[26:27], s[16:17], s[18:19]
	s_and_saveexec_b64 s[18:19], s[26:27]
	s_cbranch_execz .LBB59_212
.LBB59_208:
	s_and_b64 vcc, exec, s[0:1]
	s_cbranch_vccnz .LBB59_210
; %bb.209:
	v_lshl_add_u64 v[54:55], v[78:79], 2, v[54:55]
	flat_load_dword v54, v[54:55]
	s_waitcnt vmcnt(0) lgkmcnt(0)
	v_mul_f32_e32 v54, s28, v54
	s_branch .LBB59_211
.LBB59_210:
	v_mov_b32_e32 v54, 0
.LBB59_211:
	v_pk_add_f32 v[48:49], v[0:1], v[48:49]
	s_nop 0
	v_min3_f32 v55, v48, v49, v116
	v_pk_add_f32 v[48:49], v[2:3], v[50:51]
	s_nop 0
	v_min_f32_e32 v48, v48, v49
	v_min3_f32 v50, v54, v48, v55
	v_lshl_add_u64 v[48:49], v[78:79], 2, v[52:53]
	global_store_dword v[48:49], v50, off
.LBB59_212:
	s_or_b64 exec, exec, s[18:19]
	v_add_u32_e32 v52, 32, v126
	v_mad_i64_i32 v[48:49], s[26:27], v52, s31, 0
	v_cmp_gt_i32_e64 s[18:19], s21, v52
	v_lshl_add_u64 v[50:51], v[48:49], 2, s[24:25]
	v_mad_i64_i32 v[48:49], s[26:27], v52, s30, 0
	v_lshl_add_u64 v[48:49], v[48:49], 2, s[22:23]
	s_and_b64 s[34:35], s[2:3], s[18:19]
	s_and_saveexec_b64 s[26:27], s[34:35]
	s_cbranch_execnz .LBB59_220
; %bb.213:
	s_or_b64 exec, exec, s[26:27]
	s_and_b64 s[34:35], s[4:5], s[18:19]
	s_and_saveexec_b64 s[26:27], s[34:35]
	s_cbranch_execnz .LBB59_224
.LBB59_214:
	s_or_b64 exec, exec, s[26:27]
	s_and_b64 s[34:35], s[6:7], s[18:19]
	s_and_saveexec_b64 s[26:27], s[34:35]
	s_cbranch_execnz .LBB59_228
.LBB59_215:
	s_or_b64 exec, exec, s[26:27]
	s_and_b64 s[34:35], s[8:9], s[18:19]
	s_and_saveexec_b64 s[26:27], s[34:35]
	s_cbranch_execnz .LBB59_232
.LBB59_216:
	s_or_b64 exec, exec, s[26:27]
	s_and_b64 s[34:35], s[10:11], s[18:19]
	s_and_saveexec_b64 s[26:27], s[34:35]
	s_cbranch_execnz .LBB59_236
.LBB59_217:
	s_or_b64 exec, exec, s[26:27]
	s_and_b64 s[34:35], s[12:13], s[18:19]
	s_and_saveexec_b64 s[26:27], s[34:35]
	s_cbranch_execnz .LBB59_240
.LBB59_218:
	s_or_b64 exec, exec, s[26:27]
	s_and_b64 s[34:35], s[14:15], s[18:19]
	s_and_saveexec_b64 s[26:27], s[34:35]
	s_cbranch_execnz .LBB59_244
.LBB59_219:
	s_or_b64 exec, exec, s[26:27]
	s_and_b64 s[26:27], s[16:17], s[18:19]
	s_and_saveexec_b64 s[18:19], s[26:27]
	s_cbranch_execnz .LBB59_248
	s_branch .LBB59_252
.LBB59_220:
	s_and_b64 vcc, exec, s[0:1]
	s_cbranch_vccnz .LBB59_222
; %bb.221:
	v_lshl_add_u64 v[52:53], v[64:65], 2, v[50:51]
	flat_load_dword v52, v[52:53]
	s_waitcnt vmcnt(0) lgkmcnt(0)
	v_mul_f32_e32 v52, s28, v52
	s_branch .LBB59_223
.LBB59_222:
	v_mov_b32_e32 v52, 0
.LBB59_223:
	v_pk_add_f32 v[54:55], v[32:33], v[44:45]
	s_nop 0
	v_min3_f32 v53, v54, v55, v115
	v_pk_add_f32 v[54:55], v[34:35], v[46:47]
	s_nop 0
	v_min_f32_e32 v54, v54, v55
	v_min3_f32 v54, v52, v54, v53
	v_lshl_add_u64 v[52:53], v[64:65], 2, v[48:49]
	global_store_dword v[52:53], v54, off
	s_or_b64 exec, exec, s[26:27]
	s_and_b64 s[34:35], s[4:5], s[18:19]
	s_and_saveexec_b64 s[26:27], s[34:35]
	s_cbranch_execz .LBB59_214
.LBB59_224:
	s_and_b64 vcc, exec, s[0:1]
	s_cbranch_vccnz .LBB59_226
; %bb.225:
	v_lshl_add_u64 v[52:53], v[66:67], 2, v[50:51]
	flat_load_dword v52, v[52:53]
	s_waitcnt vmcnt(0) lgkmcnt(0)
	v_mul_f32_e32 v52, s28, v52
	s_branch .LBB59_227
.LBB59_226:
	v_mov_b32_e32 v52, 0
.LBB59_227:
	v_pk_add_f32 v[54:55], v[28:29], v[44:45]
	s_nop 0
	v_min3_f32 v53, v54, v55, v114
	v_pk_add_f32 v[54:55], v[30:31], v[46:47]
	s_nop 0
	v_min_f32_e32 v54, v54, v55
	v_min3_f32 v54, v52, v54, v53
	v_lshl_add_u64 v[52:53], v[66:67], 2, v[48:49]
	global_store_dword v[52:53], v54, off
	s_or_b64 exec, exec, s[26:27]
	s_and_b64 s[34:35], s[6:7], s[18:19]
	s_and_saveexec_b64 s[26:27], s[34:35]
	s_cbranch_execz .LBB59_215
.LBB59_228:
	s_and_b64 vcc, exec, s[0:1]
	s_cbranch_vccnz .LBB59_230
; %bb.229:
	v_lshl_add_u64 v[52:53], v[68:69], 2, v[50:51]
	flat_load_dword v52, v[52:53]
	s_waitcnt vmcnt(0) lgkmcnt(0)
	v_mul_f32_e32 v52, s28, v52
	s_branch .LBB59_231
.LBB59_230:
	v_mov_b32_e32 v52, 0
.LBB59_231:
	v_pk_add_f32 v[54:55], v[24:25], v[44:45]
	s_nop 0
	v_min3_f32 v53, v54, v55, v113
	v_pk_add_f32 v[54:55], v[26:27], v[46:47]
	s_nop 0
	v_min_f32_e32 v54, v54, v55
	v_min3_f32 v54, v52, v54, v53
	v_lshl_add_u64 v[52:53], v[68:69], 2, v[48:49]
	global_store_dword v[52:53], v54, off
	s_or_b64 exec, exec, s[26:27]
	s_and_b64 s[34:35], s[8:9], s[18:19]
	s_and_saveexec_b64 s[26:27], s[34:35]
	s_cbranch_execz .LBB59_216
.LBB59_232:
	s_and_b64 vcc, exec, s[0:1]
	s_cbranch_vccnz .LBB59_234
; %bb.233:
	v_lshl_add_u64 v[52:53], v[70:71], 2, v[50:51]
	flat_load_dword v52, v[52:53]
	s_waitcnt vmcnt(0) lgkmcnt(0)
	v_mul_f32_e32 v52, s28, v52
	s_branch .LBB59_235
.LBB59_234:
	v_mov_b32_e32 v52, 0
.LBB59_235:
	v_pk_add_f32 v[54:55], v[20:21], v[44:45]
	s_nop 0
	v_min3_f32 v53, v54, v55, v112
	v_pk_add_f32 v[54:55], v[22:23], v[46:47]
	s_nop 0
	v_min_f32_e32 v54, v54, v55
	v_min3_f32 v54, v52, v54, v53
	v_lshl_add_u64 v[52:53], v[70:71], 2, v[48:49]
	global_store_dword v[52:53], v54, off
	s_or_b64 exec, exec, s[26:27]
	s_and_b64 s[34:35], s[10:11], s[18:19]
	s_and_saveexec_b64 s[26:27], s[34:35]
	s_cbranch_execz .LBB59_217
.LBB59_236:
	s_and_b64 vcc, exec, s[0:1]
	s_cbranch_vccnz .LBB59_238
; %bb.237:
	v_lshl_add_u64 v[52:53], v[72:73], 2, v[50:51]
	flat_load_dword v52, v[52:53]
	s_waitcnt vmcnt(0) lgkmcnt(0)
	v_mul_f32_e32 v52, s28, v52
	s_branch .LBB59_239
.LBB59_238:
	v_mov_b32_e32 v52, 0
.LBB59_239:
	v_pk_add_f32 v[54:55], v[16:17], v[44:45]
	s_nop 0
	v_min3_f32 v53, v54, v55, v111
	v_pk_add_f32 v[54:55], v[18:19], v[46:47]
	s_nop 0
	v_min_f32_e32 v54, v54, v55
	v_min3_f32 v54, v52, v54, v53
	v_lshl_add_u64 v[52:53], v[72:73], 2, v[48:49]
	global_store_dword v[52:53], v54, off
	s_or_b64 exec, exec, s[26:27]
	s_and_b64 s[34:35], s[12:13], s[18:19]
	s_and_saveexec_b64 s[26:27], s[34:35]
	s_cbranch_execz .LBB59_218
.LBB59_240:
	s_and_b64 vcc, exec, s[0:1]
	s_cbranch_vccnz .LBB59_242
; %bb.241:
	v_lshl_add_u64 v[52:53], v[74:75], 2, v[50:51]
	flat_load_dword v52, v[52:53]
	s_waitcnt vmcnt(0) lgkmcnt(0)
	v_mul_f32_e32 v52, s28, v52
	s_branch .LBB59_243
.LBB59_242:
	v_mov_b32_e32 v52, 0
.LBB59_243:
	v_pk_add_f32 v[54:55], v[12:13], v[44:45]
	s_nop 0
	v_min3_f32 v53, v54, v55, v110
	v_pk_add_f32 v[54:55], v[14:15], v[46:47]
	s_nop 0
	v_min_f32_e32 v54, v54, v55
	v_min3_f32 v54, v52, v54, v53
	v_lshl_add_u64 v[52:53], v[74:75], 2, v[48:49]
	global_store_dword v[52:53], v54, off
	s_or_b64 exec, exec, s[26:27]
	s_and_b64 s[34:35], s[14:15], s[18:19]
	s_and_saveexec_b64 s[26:27], s[34:35]
	s_cbranch_execz .LBB59_219
.LBB59_244:
	s_and_b64 vcc, exec, s[0:1]
	s_cbranch_vccnz .LBB59_246
; %bb.245:
	v_lshl_add_u64 v[52:53], v[76:77], 2, v[50:51]
	flat_load_dword v52, v[52:53]
	s_waitcnt vmcnt(0) lgkmcnt(0)
	v_mul_f32_e32 v52, s28, v52
	s_branch .LBB59_247
.LBB59_246:
	v_mov_b32_e32 v52, 0
.LBB59_247:
	v_pk_add_f32 v[54:55], v[8:9], v[44:45]
	s_nop 0
	v_min3_f32 v53, v54, v55, v109
	v_pk_add_f32 v[54:55], v[10:11], v[46:47]
	s_nop 0
	v_min_f32_e32 v54, v54, v55
	v_min3_f32 v54, v52, v54, v53
	v_lshl_add_u64 v[52:53], v[76:77], 2, v[48:49]
	global_store_dword v[52:53], v54, off
	s_or_b64 exec, exec, s[26:27]
	s_and_b64 s[26:27], s[16:17], s[18:19]
	s_and_saveexec_b64 s[18:19], s[26:27]
	s_cbranch_execz .LBB59_252
.LBB59_248:
	s_and_b64 vcc, exec, s[0:1]
	s_cbranch_vccnz .LBB59_250
; %bb.249:
	v_lshl_add_u64 v[50:51], v[78:79], 2, v[50:51]
	flat_load_dword v50, v[50:51]
	s_waitcnt vmcnt(0) lgkmcnt(0)
	v_mul_f32_e32 v50, s28, v50
	s_branch .LBB59_251
.LBB59_250:
	v_mov_b32_e32 v50, 0
.LBB59_251:
	v_pk_add_f32 v[44:45], v[0:1], v[44:45]
	s_nop 0
	v_min3_f32 v51, v44, v45, v108
	v_pk_add_f32 v[44:45], v[2:3], v[46:47]
	s_nop 0
	v_min_f32_e32 v44, v44, v45
	v_min3_f32 v46, v50, v44, v51
	v_lshl_add_u64 v[44:45], v[78:79], 2, v[48:49]
	global_store_dword v[44:45], v46, off
.LBB59_252:
	s_or_b64 exec, exec, s[18:19]
	v_add_u32_e32 v48, 40, v126
	v_mad_i64_i32 v[44:45], s[26:27], v48, s31, 0
	v_cmp_gt_i32_e64 s[18:19], s21, v48
	v_lshl_add_u64 v[46:47], v[44:45], 2, s[24:25]
	v_mad_i64_i32 v[44:45], s[26:27], v48, s30, 0
	v_lshl_add_u64 v[44:45], v[44:45], 2, s[22:23]
	s_and_b64 s[34:35], s[2:3], s[18:19]
	s_and_saveexec_b64 s[26:27], s[34:35]
	s_cbranch_execnz .LBB59_260
; %bb.253:
	s_or_b64 exec, exec, s[26:27]
	s_and_b64 s[34:35], s[4:5], s[18:19]
	s_and_saveexec_b64 s[26:27], s[34:35]
	s_cbranch_execnz .LBB59_264
.LBB59_254:
	s_or_b64 exec, exec, s[26:27]
	s_and_b64 s[34:35], s[6:7], s[18:19]
	s_and_saveexec_b64 s[26:27], s[34:35]
	s_cbranch_execnz .LBB59_268
.LBB59_255:
	s_or_b64 exec, exec, s[26:27]
	s_and_b64 s[34:35], s[8:9], s[18:19]
	s_and_saveexec_b64 s[26:27], s[34:35]
	s_cbranch_execnz .LBB59_272
.LBB59_256:
	s_or_b64 exec, exec, s[26:27]
	s_and_b64 s[34:35], s[10:11], s[18:19]
	s_and_saveexec_b64 s[26:27], s[34:35]
	s_cbranch_execnz .LBB59_276
.LBB59_257:
	s_or_b64 exec, exec, s[26:27]
	s_and_b64 s[34:35], s[12:13], s[18:19]
	s_and_saveexec_b64 s[26:27], s[34:35]
	s_cbranch_execnz .LBB59_280
.LBB59_258:
	s_or_b64 exec, exec, s[26:27]
	s_and_b64 s[34:35], s[14:15], s[18:19]
	s_and_saveexec_b64 s[26:27], s[34:35]
	s_cbranch_execnz .LBB59_284
.LBB59_259:
	s_or_b64 exec, exec, s[26:27]
	s_and_b64 s[26:27], s[16:17], s[18:19]
	s_and_saveexec_b64 s[18:19], s[26:27]
	s_cbranch_execnz .LBB59_288
	s_branch .LBB59_292
.LBB59_260:
	s_and_b64 vcc, exec, s[0:1]
	s_cbranch_vccnz .LBB59_262
; %bb.261:
	v_lshl_add_u64 v[48:49], v[64:65], 2, v[46:47]
	flat_load_dword v48, v[48:49]
	s_waitcnt vmcnt(0) lgkmcnt(0)
	v_mul_f32_e32 v48, s28, v48
	s_branch .LBB59_263
.LBB59_262:
	v_mov_b32_e32 v48, 0
.LBB59_263:
	v_pk_add_f32 v[50:51], v[32:33], v[40:41]
	s_nop 0
	v_min3_f32 v49, v50, v51, v107
	v_pk_add_f32 v[50:51], v[34:35], v[42:43]
	s_nop 0
	v_min_f32_e32 v50, v50, v51
	v_min3_f32 v50, v48, v50, v49
	v_lshl_add_u64 v[48:49], v[64:65], 2, v[44:45]
	global_store_dword v[48:49], v50, off
	s_or_b64 exec, exec, s[26:27]
	s_and_b64 s[34:35], s[4:5], s[18:19]
	s_and_saveexec_b64 s[26:27], s[34:35]
	s_cbranch_execz .LBB59_254
.LBB59_264:
	s_and_b64 vcc, exec, s[0:1]
	s_cbranch_vccnz .LBB59_266
; %bb.265:
	v_lshl_add_u64 v[48:49], v[66:67], 2, v[46:47]
	flat_load_dword v48, v[48:49]
	s_waitcnt vmcnt(0) lgkmcnt(0)
	v_mul_f32_e32 v48, s28, v48
	s_branch .LBB59_267
.LBB59_266:
	v_mov_b32_e32 v48, 0
.LBB59_267:
	v_pk_add_f32 v[50:51], v[28:29], v[40:41]
	s_nop 0
	v_min3_f32 v49, v50, v51, v106
	v_pk_add_f32 v[50:51], v[30:31], v[42:43]
	s_nop 0
	v_min_f32_e32 v50, v50, v51
	v_min3_f32 v50, v48, v50, v49
	v_lshl_add_u64 v[48:49], v[66:67], 2, v[44:45]
	global_store_dword v[48:49], v50, off
	s_or_b64 exec, exec, s[26:27]
	s_and_b64 s[34:35], s[6:7], s[18:19]
	s_and_saveexec_b64 s[26:27], s[34:35]
	s_cbranch_execz .LBB59_255
.LBB59_268:
	s_and_b64 vcc, exec, s[0:1]
	s_cbranch_vccnz .LBB59_270
; %bb.269:
	v_lshl_add_u64 v[48:49], v[68:69], 2, v[46:47]
	flat_load_dword v48, v[48:49]
	s_waitcnt vmcnt(0) lgkmcnt(0)
	v_mul_f32_e32 v48, s28, v48
	s_branch .LBB59_271
.LBB59_270:
	v_mov_b32_e32 v48, 0
.LBB59_271:
	v_pk_add_f32 v[50:51], v[24:25], v[40:41]
	s_nop 0
	v_min3_f32 v49, v50, v51, v105
	v_pk_add_f32 v[50:51], v[26:27], v[42:43]
	s_nop 0
	v_min_f32_e32 v50, v50, v51
	v_min3_f32 v50, v48, v50, v49
	v_lshl_add_u64 v[48:49], v[68:69], 2, v[44:45]
	global_store_dword v[48:49], v50, off
	s_or_b64 exec, exec, s[26:27]
	s_and_b64 s[34:35], s[8:9], s[18:19]
	s_and_saveexec_b64 s[26:27], s[34:35]
	s_cbranch_execz .LBB59_256
.LBB59_272:
	s_and_b64 vcc, exec, s[0:1]
	s_cbranch_vccnz .LBB59_274
; %bb.273:
	v_lshl_add_u64 v[48:49], v[70:71], 2, v[46:47]
	flat_load_dword v48, v[48:49]
	s_waitcnt vmcnt(0) lgkmcnt(0)
	v_mul_f32_e32 v48, s28, v48
	s_branch .LBB59_275
.LBB59_274:
	v_mov_b32_e32 v48, 0
.LBB59_275:
	v_pk_add_f32 v[50:51], v[20:21], v[40:41]
	s_nop 0
	v_min3_f32 v49, v50, v51, v104
	v_pk_add_f32 v[50:51], v[22:23], v[42:43]
	s_nop 0
	v_min_f32_e32 v50, v50, v51
	v_min3_f32 v50, v48, v50, v49
	v_lshl_add_u64 v[48:49], v[70:71], 2, v[44:45]
	global_store_dword v[48:49], v50, off
	s_or_b64 exec, exec, s[26:27]
	s_and_b64 s[34:35], s[10:11], s[18:19]
	s_and_saveexec_b64 s[26:27], s[34:35]
	s_cbranch_execz .LBB59_257
.LBB59_276:
	s_and_b64 vcc, exec, s[0:1]
	s_cbranch_vccnz .LBB59_278
; %bb.277:
	v_lshl_add_u64 v[48:49], v[72:73], 2, v[46:47]
	flat_load_dword v48, v[48:49]
	s_waitcnt vmcnt(0) lgkmcnt(0)
	v_mul_f32_e32 v48, s28, v48
	s_branch .LBB59_279
.LBB59_278:
	v_mov_b32_e32 v48, 0
.LBB59_279:
	v_pk_add_f32 v[50:51], v[16:17], v[40:41]
	s_nop 0
	v_min3_f32 v49, v50, v51, v103
	v_pk_add_f32 v[50:51], v[18:19], v[42:43]
	s_nop 0
	v_min_f32_e32 v50, v50, v51
	v_min3_f32 v50, v48, v50, v49
	v_lshl_add_u64 v[48:49], v[72:73], 2, v[44:45]
	global_store_dword v[48:49], v50, off
	s_or_b64 exec, exec, s[26:27]
	s_and_b64 s[34:35], s[12:13], s[18:19]
	s_and_saveexec_b64 s[26:27], s[34:35]
	s_cbranch_execz .LBB59_258
.LBB59_280:
	s_and_b64 vcc, exec, s[0:1]
	s_cbranch_vccnz .LBB59_282
; %bb.281:
	v_lshl_add_u64 v[48:49], v[74:75], 2, v[46:47]
	flat_load_dword v48, v[48:49]
	s_waitcnt vmcnt(0) lgkmcnt(0)
	v_mul_f32_e32 v48, s28, v48
	s_branch .LBB59_283
.LBB59_282:
	v_mov_b32_e32 v48, 0
.LBB59_283:
	v_pk_add_f32 v[50:51], v[12:13], v[40:41]
	s_nop 0
	v_min3_f32 v49, v50, v51, v102
	v_pk_add_f32 v[50:51], v[14:15], v[42:43]
	s_nop 0
	v_min_f32_e32 v50, v50, v51
	v_min3_f32 v50, v48, v50, v49
	v_lshl_add_u64 v[48:49], v[74:75], 2, v[44:45]
	global_store_dword v[48:49], v50, off
	s_or_b64 exec, exec, s[26:27]
	s_and_b64 s[34:35], s[14:15], s[18:19]
	s_and_saveexec_b64 s[26:27], s[34:35]
	s_cbranch_execz .LBB59_259
.LBB59_284:
	s_and_b64 vcc, exec, s[0:1]
	s_cbranch_vccnz .LBB59_286
; %bb.285:
	v_lshl_add_u64 v[48:49], v[76:77], 2, v[46:47]
	flat_load_dword v48, v[48:49]
	s_waitcnt vmcnt(0) lgkmcnt(0)
	v_mul_f32_e32 v48, s28, v48
	s_branch .LBB59_287
.LBB59_286:
	v_mov_b32_e32 v48, 0
.LBB59_287:
	v_pk_add_f32 v[50:51], v[8:9], v[40:41]
	s_nop 0
	v_min3_f32 v49, v50, v51, v101
	v_pk_add_f32 v[50:51], v[10:11], v[42:43]
	s_nop 0
	v_min_f32_e32 v50, v50, v51
	v_min3_f32 v50, v48, v50, v49
	v_lshl_add_u64 v[48:49], v[76:77], 2, v[44:45]
	global_store_dword v[48:49], v50, off
	s_or_b64 exec, exec, s[26:27]
	s_and_b64 s[26:27], s[16:17], s[18:19]
	s_and_saveexec_b64 s[18:19], s[26:27]
	s_cbranch_execz .LBB59_292
.LBB59_288:
	s_and_b64 vcc, exec, s[0:1]
	s_cbranch_vccnz .LBB59_290
; %bb.289:
	v_lshl_add_u64 v[46:47], v[78:79], 2, v[46:47]
	flat_load_dword v46, v[46:47]
	s_waitcnt vmcnt(0) lgkmcnt(0)
	v_mul_f32_e32 v46, s28, v46
	s_branch .LBB59_291
.LBB59_290:
	v_mov_b32_e32 v46, 0
.LBB59_291:
	v_pk_add_f32 v[40:41], v[0:1], v[40:41]
	s_nop 0
	v_min3_f32 v47, v40, v41, v100
	v_pk_add_f32 v[40:41], v[2:3], v[42:43]
	s_nop 0
	v_min_f32_e32 v40, v40, v41
	v_min3_f32 v42, v46, v40, v47
	v_lshl_add_u64 v[40:41], v[78:79], 2, v[44:45]
	global_store_dword v[40:41], v42, off
.LBB59_292:
	s_or_b64 exec, exec, s[18:19]
	v_add_u32_e32 v44, 48, v126
	v_mad_i64_i32 v[40:41], s[26:27], v44, s31, 0
	v_cmp_gt_i32_e64 s[18:19], s21, v44
	v_lshl_add_u64 v[42:43], v[40:41], 2, s[24:25]
	v_mad_i64_i32 v[40:41], s[26:27], v44, s30, 0
	v_lshl_add_u64 v[40:41], v[40:41], 2, s[22:23]
	s_and_b64 s[34:35], s[2:3], s[18:19]
	s_and_saveexec_b64 s[26:27], s[34:35]
	s_cbranch_execnz .LBB59_300
; %bb.293:
	s_or_b64 exec, exec, s[26:27]
	s_and_b64 s[34:35], s[4:5], s[18:19]
	s_and_saveexec_b64 s[26:27], s[34:35]
	s_cbranch_execnz .LBB59_304
.LBB59_294:
	s_or_b64 exec, exec, s[26:27]
	s_and_b64 s[34:35], s[6:7], s[18:19]
	s_and_saveexec_b64 s[26:27], s[34:35]
	s_cbranch_execnz .LBB59_308
.LBB59_295:
	s_or_b64 exec, exec, s[26:27]
	s_and_b64 s[34:35], s[8:9], s[18:19]
	s_and_saveexec_b64 s[26:27], s[34:35]
	s_cbranch_execnz .LBB59_312
.LBB59_296:
	s_or_b64 exec, exec, s[26:27]
	s_and_b64 s[34:35], s[10:11], s[18:19]
	s_and_saveexec_b64 s[26:27], s[34:35]
	s_cbranch_execnz .LBB59_316
.LBB59_297:
	s_or_b64 exec, exec, s[26:27]
	s_and_b64 s[34:35], s[12:13], s[18:19]
	s_and_saveexec_b64 s[26:27], s[34:35]
	s_cbranch_execnz .LBB59_320
.LBB59_298:
	s_or_b64 exec, exec, s[26:27]
	s_and_b64 s[34:35], s[14:15], s[18:19]
	s_and_saveexec_b64 s[26:27], s[34:35]
	s_cbranch_execnz .LBB59_324
.LBB59_299:
	s_or_b64 exec, exec, s[26:27]
	s_and_b64 s[26:27], s[16:17], s[18:19]
	s_and_saveexec_b64 s[18:19], s[26:27]
	s_cbranch_execnz .LBB59_328
	s_branch .LBB59_332
.LBB59_300:
	s_and_b64 vcc, exec, s[0:1]
	s_cbranch_vccnz .LBB59_302
; %bb.301:
	v_lshl_add_u64 v[44:45], v[64:65], 2, v[42:43]
	flat_load_dword v44, v[44:45]
	s_waitcnt vmcnt(0) lgkmcnt(0)
	v_mul_f32_e32 v44, s28, v44
	s_branch .LBB59_303
.LBB59_302:
	v_mov_b32_e32 v44, 0
.LBB59_303:
	v_pk_add_f32 v[46:47], v[32:33], v[36:37]
	s_nop 0
	v_min3_f32 v45, v46, v47, v99
	v_pk_add_f32 v[46:47], v[34:35], v[38:39]
	s_nop 0
	v_min_f32_e32 v46, v46, v47
	v_min3_f32 v46, v44, v46, v45
	v_lshl_add_u64 v[44:45], v[64:65], 2, v[40:41]
	global_store_dword v[44:45], v46, off
	s_or_b64 exec, exec, s[26:27]
	s_and_b64 s[34:35], s[4:5], s[18:19]
	s_and_saveexec_b64 s[26:27], s[34:35]
	s_cbranch_execz .LBB59_294
.LBB59_304:
	s_and_b64 vcc, exec, s[0:1]
	s_cbranch_vccnz .LBB59_306
; %bb.305:
	v_lshl_add_u64 v[44:45], v[66:67], 2, v[42:43]
	flat_load_dword v44, v[44:45]
	s_waitcnt vmcnt(0) lgkmcnt(0)
	v_mul_f32_e32 v44, s28, v44
	s_branch .LBB59_307
.LBB59_306:
	v_mov_b32_e32 v44, 0
.LBB59_307:
	v_pk_add_f32 v[46:47], v[28:29], v[36:37]
	s_nop 0
	v_min3_f32 v45, v46, v47, v98
	v_pk_add_f32 v[46:47], v[30:31], v[38:39]
	s_nop 0
	v_min_f32_e32 v46, v46, v47
	v_min3_f32 v46, v44, v46, v45
	v_lshl_add_u64 v[44:45], v[66:67], 2, v[40:41]
	global_store_dword v[44:45], v46, off
	s_or_b64 exec, exec, s[26:27]
	s_and_b64 s[34:35], s[6:7], s[18:19]
	s_and_saveexec_b64 s[26:27], s[34:35]
	s_cbranch_execz .LBB59_295
.LBB59_308:
	s_and_b64 vcc, exec, s[0:1]
	s_cbranch_vccnz .LBB59_310
; %bb.309:
	v_lshl_add_u64 v[44:45], v[68:69], 2, v[42:43]
	flat_load_dword v44, v[44:45]
	s_waitcnt vmcnt(0) lgkmcnt(0)
	v_mul_f32_e32 v44, s28, v44
	s_branch .LBB59_311
.LBB59_310:
	v_mov_b32_e32 v44, 0
.LBB59_311:
	v_pk_add_f32 v[46:47], v[24:25], v[36:37]
	s_nop 0
	v_min3_f32 v45, v46, v47, v97
	v_pk_add_f32 v[46:47], v[26:27], v[38:39]
	s_nop 0
	v_min_f32_e32 v46, v46, v47
	v_min3_f32 v46, v44, v46, v45
	v_lshl_add_u64 v[44:45], v[68:69], 2, v[40:41]
	global_store_dword v[44:45], v46, off
	s_or_b64 exec, exec, s[26:27]
	s_and_b64 s[34:35], s[8:9], s[18:19]
	s_and_saveexec_b64 s[26:27], s[34:35]
	s_cbranch_execz .LBB59_296
.LBB59_312:
	s_and_b64 vcc, exec, s[0:1]
	s_cbranch_vccnz .LBB59_314
; %bb.313:
	v_lshl_add_u64 v[44:45], v[70:71], 2, v[42:43]
	flat_load_dword v44, v[44:45]
	s_waitcnt vmcnt(0) lgkmcnt(0)
	v_mul_f32_e32 v44, s28, v44
	s_branch .LBB59_315
.LBB59_314:
	v_mov_b32_e32 v44, 0
.LBB59_315:
	v_pk_add_f32 v[46:47], v[20:21], v[36:37]
	s_nop 0
	v_min3_f32 v45, v46, v47, v96
	v_pk_add_f32 v[46:47], v[22:23], v[38:39]
	s_nop 0
	v_min_f32_e32 v46, v46, v47
	v_min3_f32 v46, v44, v46, v45
	v_lshl_add_u64 v[44:45], v[70:71], 2, v[40:41]
	global_store_dword v[44:45], v46, off
	s_or_b64 exec, exec, s[26:27]
	s_and_b64 s[34:35], s[10:11], s[18:19]
	s_and_saveexec_b64 s[26:27], s[34:35]
	s_cbranch_execz .LBB59_297
.LBB59_316:
	s_and_b64 vcc, exec, s[0:1]
	s_cbranch_vccnz .LBB59_318
; %bb.317:
	v_lshl_add_u64 v[44:45], v[72:73], 2, v[42:43]
	flat_load_dword v44, v[44:45]
	s_waitcnt vmcnt(0) lgkmcnt(0)
	v_mul_f32_e32 v44, s28, v44
	s_branch .LBB59_319
.LBB59_318:
	v_mov_b32_e32 v44, 0
.LBB59_319:
	v_pk_add_f32 v[46:47], v[16:17], v[36:37]
	s_nop 0
	v_min3_f32 v45, v46, v47, v95
	v_pk_add_f32 v[46:47], v[18:19], v[38:39]
	s_nop 0
	v_min_f32_e32 v46, v46, v47
	v_min3_f32 v46, v44, v46, v45
	v_lshl_add_u64 v[44:45], v[72:73], 2, v[40:41]
	global_store_dword v[44:45], v46, off
	s_or_b64 exec, exec, s[26:27]
	s_and_b64 s[34:35], s[12:13], s[18:19]
	s_and_saveexec_b64 s[26:27], s[34:35]
	s_cbranch_execz .LBB59_298
.LBB59_320:
	s_and_b64 vcc, exec, s[0:1]
	s_cbranch_vccnz .LBB59_322
; %bb.321:
	v_lshl_add_u64 v[44:45], v[74:75], 2, v[42:43]
	flat_load_dword v44, v[44:45]
	s_waitcnt vmcnt(0) lgkmcnt(0)
	v_mul_f32_e32 v44, s28, v44
	s_branch .LBB59_323
.LBB59_322:
	v_mov_b32_e32 v44, 0
.LBB59_323:
	v_pk_add_f32 v[46:47], v[12:13], v[36:37]
	s_nop 0
	v_min3_f32 v45, v46, v47, v94
	v_pk_add_f32 v[46:47], v[14:15], v[38:39]
	s_nop 0
	v_min_f32_e32 v46, v46, v47
	v_min3_f32 v46, v44, v46, v45
	v_lshl_add_u64 v[44:45], v[74:75], 2, v[40:41]
	global_store_dword v[44:45], v46, off
	s_or_b64 exec, exec, s[26:27]
	s_and_b64 s[34:35], s[14:15], s[18:19]
	s_and_saveexec_b64 s[26:27], s[34:35]
	s_cbranch_execz .LBB59_299
.LBB59_324:
	s_and_b64 vcc, exec, s[0:1]
	s_cbranch_vccnz .LBB59_326
; %bb.325:
	v_lshl_add_u64 v[44:45], v[76:77], 2, v[42:43]
	flat_load_dword v44, v[44:45]
	s_waitcnt vmcnt(0) lgkmcnt(0)
	v_mul_f32_e32 v44, s28, v44
	s_branch .LBB59_327
.LBB59_326:
	v_mov_b32_e32 v44, 0
.LBB59_327:
	v_pk_add_f32 v[46:47], v[8:9], v[36:37]
	s_nop 0
	v_min3_f32 v45, v46, v47, v93
	v_pk_add_f32 v[46:47], v[10:11], v[38:39]
	s_nop 0
	v_min_f32_e32 v46, v46, v47
	v_min3_f32 v46, v44, v46, v45
	v_lshl_add_u64 v[44:45], v[76:77], 2, v[40:41]
	global_store_dword v[44:45], v46, off
	s_or_b64 exec, exec, s[26:27]
	s_and_b64 s[26:27], s[16:17], s[18:19]
	s_and_saveexec_b64 s[18:19], s[26:27]
	s_cbranch_execz .LBB59_332
.LBB59_328:
	s_and_b64 vcc, exec, s[0:1]
	s_cbranch_vccnz .LBB59_330
; %bb.329:
	v_lshl_add_u64 v[42:43], v[78:79], 2, v[42:43]
	flat_load_dword v42, v[42:43]
	s_waitcnt vmcnt(0) lgkmcnt(0)
	v_mul_f32_e32 v42, s28, v42
	s_branch .LBB59_331
.LBB59_330:
	v_mov_b32_e32 v42, 0
.LBB59_331:
	v_pk_add_f32 v[36:37], v[0:1], v[36:37]
	s_nop 0
	v_min3_f32 v43, v36, v37, v92
	v_pk_add_f32 v[36:37], v[2:3], v[38:39]
	s_nop 0
	v_min_f32_e32 v36, v36, v37
	v_min3_f32 v38, v42, v36, v43
	v_lshl_add_u64 v[36:37], v[78:79], 2, v[40:41]
	global_store_dword v[36:37], v38, off
.LBB59_332:
	s_or_b64 exec, exec, s[18:19]
	v_add_u32_e32 v40, 56, v126
	v_cmp_gt_i32_e64 s[18:19], s21, v40
	v_mad_i64_i32 v[36:37], s[20:21], v40, s31, 0
	v_lshl_add_u64 v[38:39], v[36:37], 2, s[24:25]
	v_mad_i64_i32 v[36:37], s[20:21], v40, s30, 0
	v_lshl_add_u64 v[36:37], v[36:37], 2, s[22:23]
	s_and_b64 s[20:21], s[2:3], s[18:19]
	s_and_saveexec_b64 s[2:3], s[20:21]
	s_cbranch_execnz .LBB59_341
; %bb.333:
	s_or_b64 exec, exec, s[2:3]
	s_and_b64 s[4:5], s[4:5], s[18:19]
	s_and_saveexec_b64 s[2:3], s[4:5]
	s_cbranch_execnz .LBB59_345
.LBB59_334:
	s_or_b64 exec, exec, s[2:3]
	s_and_b64 s[4:5], s[6:7], s[18:19]
	s_and_saveexec_b64 s[2:3], s[4:5]
	s_cbranch_execnz .LBB59_349
.LBB59_335:
	s_or_b64 exec, exec, s[2:3]
	s_and_b64 s[4:5], s[8:9], s[18:19]
	s_and_saveexec_b64 s[2:3], s[4:5]
	s_cbranch_execnz .LBB59_353
.LBB59_336:
	s_or_b64 exec, exec, s[2:3]
	s_and_b64 s[4:5], s[10:11], s[18:19]
	s_and_saveexec_b64 s[2:3], s[4:5]
	s_cbranch_execnz .LBB59_357
.LBB59_337:
	s_or_b64 exec, exec, s[2:3]
	s_and_b64 s[4:5], s[12:13], s[18:19]
	s_and_saveexec_b64 s[2:3], s[4:5]
	s_cbranch_execnz .LBB59_361
.LBB59_338:
	s_or_b64 exec, exec, s[2:3]
	s_and_b64 s[4:5], s[14:15], s[18:19]
	s_and_saveexec_b64 s[2:3], s[4:5]
	s_cbranch_execnz .LBB59_365
.LBB59_339:
	s_or_b64 exec, exec, s[2:3]
	s_and_b64 s[2:3], s[16:17], s[18:19]
	s_and_saveexec_b64 s[4:5], s[2:3]
	s_cbranch_execnz .LBB59_369
.LBB59_340:
	s_endpgm
.LBB59_341:
	s_and_b64 vcc, exec, s[0:1]
	s_cbranch_vccnz .LBB59_343
; %bb.342:
	v_lshl_add_u64 v[40:41], v[64:65], 2, v[38:39]
	flat_load_dword v40, v[40:41]
	s_waitcnt vmcnt(0) lgkmcnt(0)
	v_mul_f32_e32 v40, s28, v40
	s_branch .LBB59_344
.LBB59_343:
	v_mov_b32_e32 v40, 0
.LBB59_344:
	v_pk_add_f32 v[32:33], v[32:33], v[4:5]
	s_nop 0
	v_min3_f32 v41, v32, v33, v91
	v_pk_add_f32 v[32:33], v[34:35], v[6:7]
	s_nop 0
	v_min_f32_e32 v32, v32, v33
	v_min3_f32 v34, v40, v32, v41
	v_lshl_add_u64 v[32:33], v[64:65], 2, v[36:37]
	global_store_dword v[32:33], v34, off
	s_or_b64 exec, exec, s[2:3]
	s_and_b64 s[4:5], s[4:5], s[18:19]
	s_and_saveexec_b64 s[2:3], s[4:5]
	s_cbranch_execz .LBB59_334
.LBB59_345:
	s_and_b64 vcc, exec, s[0:1]
	s_cbranch_vccnz .LBB59_347
; %bb.346:
	v_lshl_add_u64 v[32:33], v[66:67], 2, v[38:39]
	flat_load_dword v32, v[32:33]
	s_waitcnt vmcnt(0) lgkmcnt(0)
	v_mul_f32_e32 v32, s28, v32
	s_branch .LBB59_348
.LBB59_347:
	v_mov_b32_e32 v32, 0
.LBB59_348:
	v_pk_add_f32 v[28:29], v[28:29], v[4:5]
	s_nop 0
	v_min3_f32 v33, v28, v29, v90
	v_pk_add_f32 v[28:29], v[30:31], v[6:7]
	s_nop 0
	v_min_f32_e32 v28, v28, v29
	v_min3_f32 v30, v32, v28, v33
	v_lshl_add_u64 v[28:29], v[66:67], 2, v[36:37]
	global_store_dword v[28:29], v30, off
	s_or_b64 exec, exec, s[2:3]
	s_and_b64 s[4:5], s[6:7], s[18:19]
	s_and_saveexec_b64 s[2:3], s[4:5]
	s_cbranch_execz .LBB59_335
.LBB59_349:
	s_and_b64 vcc, exec, s[0:1]
	s_cbranch_vccnz .LBB59_351
; %bb.350:
	v_lshl_add_u64 v[28:29], v[68:69], 2, v[38:39]
	flat_load_dword v28, v[28:29]
	s_waitcnt vmcnt(0) lgkmcnt(0)
	v_mul_f32_e32 v28, s28, v28
	s_branch .LBB59_352
.LBB59_351:
	v_mov_b32_e32 v28, 0
.LBB59_352:
	v_pk_add_f32 v[24:25], v[24:25], v[4:5]
	s_nop 0
	v_min3_f32 v29, v24, v25, v89
	v_pk_add_f32 v[24:25], v[26:27], v[6:7]
	s_nop 0
	v_min_f32_e32 v24, v24, v25
	v_min3_f32 v26, v28, v24, v29
	v_lshl_add_u64 v[24:25], v[68:69], 2, v[36:37]
	global_store_dword v[24:25], v26, off
	s_or_b64 exec, exec, s[2:3]
	s_and_b64 s[4:5], s[8:9], s[18:19]
	s_and_saveexec_b64 s[2:3], s[4:5]
	s_cbranch_execz .LBB59_336
.LBB59_353:
	s_and_b64 vcc, exec, s[0:1]
	s_cbranch_vccnz .LBB59_355
; %bb.354:
	v_lshl_add_u64 v[24:25], v[70:71], 2, v[38:39]
	flat_load_dword v24, v[24:25]
	s_waitcnt vmcnt(0) lgkmcnt(0)
	v_mul_f32_e32 v24, s28, v24
	s_branch .LBB59_356
.LBB59_355:
	v_mov_b32_e32 v24, 0
.LBB59_356:
	v_pk_add_f32 v[20:21], v[20:21], v[4:5]
	s_nop 0
	v_min3_f32 v25, v20, v21, v87
	v_pk_add_f32 v[20:21], v[22:23], v[6:7]
	s_nop 0
	v_min_f32_e32 v20, v20, v21
	v_min3_f32 v22, v24, v20, v25
	v_lshl_add_u64 v[20:21], v[70:71], 2, v[36:37]
	global_store_dword v[20:21], v22, off
	s_or_b64 exec, exec, s[2:3]
	s_and_b64 s[4:5], s[10:11], s[18:19]
	s_and_saveexec_b64 s[2:3], s[4:5]
	s_cbranch_execz .LBB59_337
.LBB59_357:
	s_and_b64 vcc, exec, s[0:1]
	s_cbranch_vccnz .LBB59_359
; %bb.358:
	v_lshl_add_u64 v[20:21], v[72:73], 2, v[38:39]
	flat_load_dword v20, v[20:21]
	s_waitcnt vmcnt(0) lgkmcnt(0)
	v_mul_f32_e32 v20, s28, v20
	s_branch .LBB59_360
.LBB59_359:
	v_mov_b32_e32 v20, 0
.LBB59_360:
	v_pk_add_f32 v[16:17], v[16:17], v[4:5]
	s_nop 0
	v_min3_f32 v21, v16, v17, v86
	v_pk_add_f32 v[16:17], v[18:19], v[6:7]
	s_nop 0
	v_min_f32_e32 v16, v16, v17
	v_min3_f32 v18, v20, v16, v21
	v_lshl_add_u64 v[16:17], v[72:73], 2, v[36:37]
	global_store_dword v[16:17], v18, off
	s_or_b64 exec, exec, s[2:3]
	s_and_b64 s[4:5], s[12:13], s[18:19]
	s_and_saveexec_b64 s[2:3], s[4:5]
	s_cbranch_execz .LBB59_338
.LBB59_361:
	s_and_b64 vcc, exec, s[0:1]
	s_cbranch_vccnz .LBB59_363
; %bb.362:
	v_lshl_add_u64 v[16:17], v[74:75], 2, v[38:39]
	flat_load_dword v16, v[16:17]
	s_waitcnt vmcnt(0) lgkmcnt(0)
	v_mul_f32_e32 v16, s28, v16
	s_branch .LBB59_364
.LBB59_363:
	v_mov_b32_e32 v16, 0
.LBB59_364:
	v_pk_add_f32 v[12:13], v[12:13], v[4:5]
	s_nop 0
	v_min3_f32 v17, v12, v13, v85
	v_pk_add_f32 v[12:13], v[14:15], v[6:7]
	s_nop 0
	v_min_f32_e32 v12, v12, v13
	v_min3_f32 v14, v16, v12, v17
	v_lshl_add_u64 v[12:13], v[74:75], 2, v[36:37]
	global_store_dword v[12:13], v14, off
	s_or_b64 exec, exec, s[2:3]
	s_and_b64 s[4:5], s[14:15], s[18:19]
	s_and_saveexec_b64 s[2:3], s[4:5]
	s_cbranch_execz .LBB59_339
.LBB59_365:
	s_and_b64 vcc, exec, s[0:1]
	s_cbranch_vccnz .LBB59_367
; %bb.366:
	v_lshl_add_u64 v[12:13], v[76:77], 2, v[38:39]
	flat_load_dword v12, v[12:13]
	s_waitcnt vmcnt(0) lgkmcnt(0)
	v_mul_f32_e32 v12, s28, v12
	s_branch .LBB59_368
.LBB59_367:
	v_mov_b32_e32 v12, 0
.LBB59_368:
	v_pk_add_f32 v[8:9], v[8:9], v[4:5]
	s_nop 0
	v_min3_f32 v13, v8, v9, v84
	v_pk_add_f32 v[8:9], v[10:11], v[6:7]
	s_nop 0
	v_min_f32_e32 v8, v8, v9
	v_min3_f32 v10, v12, v8, v13
	v_lshl_add_u64 v[8:9], v[76:77], 2, v[36:37]
	global_store_dword v[8:9], v10, off
	s_or_b64 exec, exec, s[2:3]
	s_and_b64 s[2:3], s[16:17], s[18:19]
	s_and_saveexec_b64 s[4:5], s[2:3]
	s_cbranch_execz .LBB59_340
.LBB59_369:
	s_and_b64 vcc, exec, s[0:1]
	s_cbranch_vccnz .LBB59_371
; %bb.370:
	v_lshl_add_u64 v[8:9], v[78:79], 2, v[38:39]
	flat_load_dword v8, v[8:9]
	s_waitcnt vmcnt(0) lgkmcnt(0)
	v_mul_f32_e32 v8, s28, v8
	s_branch .LBB59_372
.LBB59_371:
	v_mov_b32_e32 v8, 0
.LBB59_372:
	v_pk_add_f32 v[0:1], v[0:1], v[4:5]
	s_nop 0
	v_min3_f32 v4, v0, v1, v88
	v_pk_add_f32 v[0:1], v[2:3], v[6:7]
	s_nop 0
	v_min_f32_e32 v0, v0, v1
	v_min3_f32 v2, v8, v0, v4
	v_lshl_add_u64 v[0:1], v[78:79], 2, v[36:37]
	global_store_dword v[0:1], v2, off
	s_endpgm
	.section	.rodata,"a",@progbits
	.p2align	6, 0x0
	.amdhsa_kernel _ZN12_GLOBAL__N_120geam_min_plus_kernelIf15HIP_vector_typeIfLj2EEfLi32ELi8ELi256ELi64ELi4ELi64ELi4ELi4ELi64ELc78ELc78ELb0ELb1ELb1EfKffEEviiiT16_PT17_ilS6_ilS4_S6_ilPT18_ili26rocblas_geam_ex_operation_
		.amdhsa_group_segment_fixed_size 10240
		.amdhsa_private_segment_fixed_size 0
		.amdhsa_kernarg_size 128
		.amdhsa_user_sgpr_count 2
		.amdhsa_user_sgpr_dispatch_ptr 0
		.amdhsa_user_sgpr_queue_ptr 0
		.amdhsa_user_sgpr_kernarg_segment_ptr 1
		.amdhsa_user_sgpr_dispatch_id 0
		.amdhsa_user_sgpr_kernarg_preload_length 0
		.amdhsa_user_sgpr_kernarg_preload_offset 0
		.amdhsa_user_sgpr_private_segment_size 0
		.amdhsa_uses_dynamic_stack 0
		.amdhsa_enable_private_segment 0
		.amdhsa_system_sgpr_workgroup_id_x 1
		.amdhsa_system_sgpr_workgroup_id_y 0
		.amdhsa_system_sgpr_workgroup_id_z 1
		.amdhsa_system_sgpr_workgroup_info 0
		.amdhsa_system_vgpr_workitem_id 1
		.amdhsa_next_free_vgpr 172
		.amdhsa_next_free_sgpr 42
		.amdhsa_accum_offset 172
		.amdhsa_reserve_vcc 1
		.amdhsa_float_round_mode_32 0
		.amdhsa_float_round_mode_16_64 0
		.amdhsa_float_denorm_mode_32 3
		.amdhsa_float_denorm_mode_16_64 3
		.amdhsa_dx10_clamp 1
		.amdhsa_ieee_mode 1
		.amdhsa_fp16_overflow 0
		.amdhsa_tg_split 0
		.amdhsa_exception_fp_ieee_invalid_op 0
		.amdhsa_exception_fp_denorm_src 0
		.amdhsa_exception_fp_ieee_div_zero 0
		.amdhsa_exception_fp_ieee_overflow 0
		.amdhsa_exception_fp_ieee_underflow 0
		.amdhsa_exception_fp_ieee_inexact 0
		.amdhsa_exception_int_div_zero 0
	.end_amdhsa_kernel
	.section	.text._ZN12_GLOBAL__N_120geam_min_plus_kernelIf15HIP_vector_typeIfLj2EEfLi32ELi8ELi256ELi64ELi4ELi64ELi4ELi4ELi64ELc78ELc78ELb0ELb1ELb1EfKffEEviiiT16_PT17_ilS6_ilS4_S6_ilPT18_ili26rocblas_geam_ex_operation_,"axG",@progbits,_ZN12_GLOBAL__N_120geam_min_plus_kernelIf15HIP_vector_typeIfLj2EEfLi32ELi8ELi256ELi64ELi4ELi64ELi4ELi4ELi64ELc78ELc78ELb0ELb1ELb1EfKffEEviiiT16_PT17_ilS6_ilS4_S6_ilPT18_ili26rocblas_geam_ex_operation_,comdat
.Lfunc_end59:
	.size	_ZN12_GLOBAL__N_120geam_min_plus_kernelIf15HIP_vector_typeIfLj2EEfLi32ELi8ELi256ELi64ELi4ELi64ELi4ELi4ELi64ELc78ELc78ELb0ELb1ELb1EfKffEEviiiT16_PT17_ilS6_ilS4_S6_ilPT18_ili26rocblas_geam_ex_operation_, .Lfunc_end59-_ZN12_GLOBAL__N_120geam_min_plus_kernelIf15HIP_vector_typeIfLj2EEfLi32ELi8ELi256ELi64ELi4ELi64ELi4ELi4ELi64ELc78ELc78ELb0ELb1ELb1EfKffEEviiiT16_PT17_ilS6_ilS4_S6_ilPT18_ili26rocblas_geam_ex_operation_
                                        ; -- End function
	.section	.AMDGPU.csdata,"",@progbits
; Kernel info:
; codeLenInByte = 18724
; NumSgprs: 48
; NumVgprs: 172
; NumAgprs: 0
; TotalNumVgprs: 172
; ScratchSize: 0
; MemoryBound: 0
; FloatMode: 240
; IeeeMode: 1
; LDSByteSize: 10240 bytes/workgroup (compile time only)
; SGPRBlocks: 5
; VGPRBlocks: 21
; NumSGPRsForWavesPerEU: 48
; NumVGPRsForWavesPerEU: 172
; AccumOffset: 172
; Occupancy: 2
; WaveLimiterHint : 0
; COMPUTE_PGM_RSRC2:SCRATCH_EN: 0
; COMPUTE_PGM_RSRC2:USER_SGPR: 2
; COMPUTE_PGM_RSRC2:TRAP_HANDLER: 0
; COMPUTE_PGM_RSRC2:TGID_X_EN: 1
; COMPUTE_PGM_RSRC2:TGID_Y_EN: 0
; COMPUTE_PGM_RSRC2:TGID_Z_EN: 1
; COMPUTE_PGM_RSRC2:TIDIG_COMP_CNT: 1
; COMPUTE_PGM_RSRC3_GFX90A:ACCUM_OFFSET: 42
; COMPUTE_PGM_RSRC3_GFX90A:TG_SPLIT: 0
	.section	.text._ZN12_GLOBAL__N_120geam_min_plus_kernelIf15HIP_vector_typeIfLj2EEfLi32ELi8ELi128ELi128ELi4ELi4ELi64ELi4ELi64ELc84ELc78ELb0ELb0ELb1EPKfS3_fEEviiiT16_PT17_ilS7_ilS5_S7_ilPT18_ili26rocblas_geam_ex_operation_,"axG",@progbits,_ZN12_GLOBAL__N_120geam_min_plus_kernelIf15HIP_vector_typeIfLj2EEfLi32ELi8ELi128ELi128ELi4ELi4ELi64ELi4ELi64ELc84ELc78ELb0ELb0ELb1EPKfS3_fEEviiiT16_PT17_ilS7_ilS5_S7_ilPT18_ili26rocblas_geam_ex_operation_,comdat
	.globl	_ZN12_GLOBAL__N_120geam_min_plus_kernelIf15HIP_vector_typeIfLj2EEfLi32ELi8ELi128ELi128ELi4ELi4ELi64ELi4ELi64ELc84ELc78ELb0ELb0ELb1EPKfS3_fEEviiiT16_PT17_ilS7_ilS5_S7_ilPT18_ili26rocblas_geam_ex_operation_ ; -- Begin function _ZN12_GLOBAL__N_120geam_min_plus_kernelIf15HIP_vector_typeIfLj2EEfLi32ELi8ELi128ELi128ELi4ELi4ELi64ELi4ELi64ELc84ELc78ELb0ELb0ELb1EPKfS3_fEEviiiT16_PT17_ilS7_ilS5_S7_ilPT18_ili26rocblas_geam_ex_operation_
	.p2align	8
	.type	_ZN12_GLOBAL__N_120geam_min_plus_kernelIf15HIP_vector_typeIfLj2EEfLi32ELi8ELi128ELi128ELi4ELi4ELi64ELi4ELi64ELc84ELc78ELb0ELb0ELb1EPKfS3_fEEviiiT16_PT17_ilS7_ilS5_S7_ilPT18_ili26rocblas_geam_ex_operation_,@function
_ZN12_GLOBAL__N_120geam_min_plus_kernelIf15HIP_vector_typeIfLj2EEfLi32ELi8ELi128ELi128ELi4ELi4ELi64ELi4ELi64ELc84ELc78ELb0ELb0ELb1EPKfS3_fEEviiiT16_PT17_ilS7_ilS5_S7_ilPT18_ili26rocblas_geam_ex_operation_: ; @_ZN12_GLOBAL__N_120geam_min_plus_kernelIf15HIP_vector_typeIfLj2EEfLi32ELi8ELi128ELi128ELi4ELi4ELi64ELi4ELi64ELc84ELc78ELb0ELb0ELb1EPKfS3_fEEviiiT16_PT17_ilS7_ilS5_S7_ilPT18_ili26rocblas_geam_ex_operation_
; %bb.0:
	s_load_dwordx4 s[12:15], s[0:1], 0x10
	s_load_dwordx4 s[4:7], s[0:1], 0x28
	s_mov_b32 s16, s3
	s_mov_b32 s17, 0
	s_lshl_b64 s[18:19], s[16:17], 2
	s_waitcnt lgkmcnt(0)
	s_add_u32 s20, s12, s18
	s_load_dwordx4 s[8:11], s[0:1], 0x40
	s_addc_u32 s21, s13, s19
	s_load_dword s12, s[20:21], 0x0
	s_load_dwordx2 s[22:23], s[0:1], 0x50
	s_mov_b64 s[20:21], 0
	s_waitcnt lgkmcnt(0)
	s_add_u32 s10, s10, s18
	s_addc_u32 s11, s11, s19
	v_cmp_eq_f32_e64 s[18:19], s12, 0
	v_cmp_neq_f32_e64 s[24:25], s12, 0
	s_and_b64 vcc, exec, s[18:19]
	s_mov_b64 s[18:19], 0
	s_cbranch_vccnz .LBB60_2
; %bb.1:
	s_mul_i32 s3, s16, s5
	s_mul_hi_u32 s5, s16, s4
	s_add_i32 s5, s5, s3
	s_mul_i32 s4, s16, s4
	s_lshl_b64 s[4:5], s[4:5], 2
	s_add_u32 s18, s14, s4
	s_addc_u32 s19, s15, s5
.LBB60_2:
	s_load_dword s14, s[10:11], 0x0
	v_cndmask_b32_e64 v1, 0, 1, s[24:25]
	v_cmp_ne_u32_e64 s[4:5], 1, v1
	s_andn2_b64 vcc, exec, s[24:25]
	s_cbranch_vccnz .LBB60_4
; %bb.3:
	s_mul_i32 s3, s16, s9
	s_mul_hi_u32 s9, s16, s8
	s_add_i32 s9, s9, s3
	s_mul_i32 s8, s16, s8
	s_lshl_b64 s[8:9], s[8:9], 2
	s_add_u32 s20, s6, s8
	s_addc_u32 s21, s7, s9
.LBB60_4:
	s_load_dwordx4 s[8:11], s[0:1], 0x60
	s_waitcnt lgkmcnt(0)
	v_cmp_eq_f32_e64 s[6:7], s14, 0
	s_and_b64 s[6:7], exec, s[6:7]
	s_mov_b64 vcc, s[6:7]
	s_cbranch_vccnz .LBB60_6
; %bb.5:
	s_mul_i32 s3, s16, s9
	s_mul_hi_u32 s9, s16, s8
	s_add_i32 s9, s9, s3
	s_mul_i32 s8, s16, s8
	s_lshl_b64 s[8:9], s[8:9], 2
	s_add_u32 s8, s22, s8
	s_addc_u32 s9, s23, s9
	s_branch .LBB60_7
.LBB60_6:
	s_mov_b64 s[8:9], 0
.LBB60_7:
	s_load_dword s3, s[0:1], 0x0
	s_load_dword s17, s[0:1], 0x20
	v_and_b32_e32 v129, 0x3ff, v0
	v_bfe_u32 v130, v0, 10, 10
	v_lshl_add_u32 v0, v130, 5, v129
	s_waitcnt lgkmcnt(0)
	s_add_i32 s3, s3, -1
	s_ashr_i32 s13, s3, 31
	s_lshr_b32 s13, s13, 25
	s_add_i32 s3, s3, s13
	s_ashr_i32 s3, s3, 7
	s_add_i32 s13, s3, 1
	v_cvt_f32_u32_e32 v1, s13
	s_not_b32 s3, s3
	v_lshrrev_b32_e32 v4, 2, v0
	v_and_b32_e32 v2, 3, v129
	v_rcp_iflag_f32_e32 v1, v1
	v_lshlrev_b32_e32 v80, 2, v2
	v_mul_f32_e32 v1, 0x4f7ffffe, v1
	v_cvt_u32_f32_e32 v1, v1
	s_nop 0
	v_readfirstlane_b32 s15, v1
	s_mul_i32 s3, s3, s15
	s_mul_hi_u32 s3, s15, s3
	s_add_i32 s15, s15, s3
	s_mul_hi_u32 s3, s2, s15
	s_mul_i32 s15, s3, s13
	s_sub_i32 s15, s2, s15
	s_add_i32 s22, s3, 1
	s_sub_i32 s23, s15, s13
	s_cmp_ge_u32 s15, s13
	s_cselect_b32 s3, s22, s3
	s_cselect_b32 s15, s23, s15
	s_add_i32 s22, s3, 1
	s_cmp_ge_u32 s15, s13
	s_cselect_b32 s3, s22, s3
	s_mul_i32 s13, s3, s13
	s_sub_i32 s2, s2, s13
	s_lshl_b32 s2, s2, 7
	v_add_u32_e32 v88, s2, v4
	s_and_b64 vcc, exec, s[4:5]
	v_add_u32_e32 v86, 64, v88
	s_cbranch_vccnz .LBB60_9
; %bb.8:
	v_mov_b32_e32 v81, 0
	v_lshl_add_u64 v[0:1], s[18:19], 0, v[80:81]
	v_mad_i64_i32 v[2:3], s[22:23], v88, s17, 0
	v_lshl_add_u64 v[2:3], v[2:3], 2, v[0:1]
	v_mad_i64_i32 v[6:7], s[22:23], v86, s17, 0
	v_lshl_add_u64 v[0:1], v[6:7], 2, v[0:1]
	flat_load_dword v6, v[2:3]
	flat_load_dword v7, v[0:1]
	s_waitcnt vmcnt(0) lgkmcnt(0)
	v_pk_mul_f32 v[0:1], s[12:13], v[6:7] op_sel_hi:[0,1]
	s_branch .LBB60_10
.LBB60_9:
	v_mov_b32_e32 v0, 0
	v_mov_b32_e32 v1, 0
.LBB60_10:
	s_load_dword s22, s[0:1], 0x38
	s_lshl_b32 s3, s3, 7
	v_add_u32_e32 v87, s3, v4
	s_and_b64 vcc, exec, s[4:5]
	v_add_u32_e32 v89, 64, v87
	s_cbranch_vccnz .LBB60_14
; %bb.11:
	v_mov_b32_e32 v81, 0
	v_lshl_add_u64 v[2:3], s[20:21], 0, v[80:81]
	s_waitcnt lgkmcnt(0)
	v_mad_i64_i32 v[6:7], s[24:25], v87, s22, 0
	v_lshl_add_u64 v[6:7], v[6:7], 2, v[2:3]
	v_mad_i64_i32 v[8:9], s[24:25], v89, s22, 0
	v_lshl_add_u64 v[2:3], v[8:9], 2, v[2:3]
	flat_load_dword v8, v[6:7]
	flat_load_dword v9, v[2:3]
	s_waitcnt vmcnt(0) lgkmcnt(0)
	v_pk_mul_f32 v[2:3], s[12:13], v[8:9] op_sel_hi:[0,1]
	s_and_b64 vcc, exec, s[4:5]
	s_cbranch_vccnz .LBB60_15
.LBB60_12:
	v_mov_b32_e32 v81, 0
	v_lshl_add_u64 v[6:7], s[18:19], 0, v[80:81]
	v_mad_i64_i32 v[8:9], s[24:25], v88, s17, 0
	v_lshl_add_u64 v[8:9], v[8:9], 2, v[6:7]
	v_mad_i64_i32 v[10:11], s[24:25], v86, s17, 0
	v_lshl_add_u64 v[6:7], v[10:11], 2, v[6:7]
	flat_load_dword v10, v[8:9] offset:16
	flat_load_dword v11, v[6:7] offset:16
	s_waitcnt vmcnt(0) lgkmcnt(0)
	v_pk_mul_f32 v[82:83], s[12:13], v[10:11] op_sel_hi:[0,1]
	s_and_b64 vcc, exec, s[4:5]
	s_cbranch_vccnz .LBB60_16
.LBB60_13:
	v_mov_b32_e32 v81, 0
	v_lshl_add_u64 v[6:7], s[20:21], 0, v[80:81]
	s_waitcnt lgkmcnt(0)
	v_mad_i64_i32 v[8:9], s[24:25], v87, s22, 0
	v_lshl_add_u64 v[8:9], v[8:9], 2, v[6:7]
	v_mad_i64_i32 v[10:11], s[24:25], v89, s22, 0
	v_lshl_add_u64 v[6:7], v[10:11], 2, v[6:7]
	flat_load_dword v10, v[8:9] offset:16
	flat_load_dword v11, v[6:7] offset:16
	s_waitcnt vmcnt(0) lgkmcnt(0)
	v_pk_mul_f32 v[84:85], s[12:13], v[10:11] op_sel_hi:[0,1]
	s_branch .LBB60_17
.LBB60_14:
	v_mov_b32_e32 v2, 0
	v_mov_b32_e32 v3, 0
	s_and_b64 vcc, exec, s[4:5]
	s_cbranch_vccz .LBB60_12
.LBB60_15:
	v_mov_b32_e32 v82, 0
	v_mov_b32_e32 v83, 0
	s_and_b64 vcc, exec, s[4:5]
	s_cbranch_vccz .LBB60_13
.LBB60_16:
	v_mov_b32_e32 v84, 0
	v_mov_b32_e32 v85, 0
.LBB60_17:
	v_lshl_or_b32 v149, v4, 4, v80
	v_lshlrev_b32_e32 v136, 4, v129
	ds_write2st64_b32 v149, v0, v1 offset1:4
	ds_write2st64_b32 v149, v2, v3 offset0:16 offset1:20
	s_waitcnt lgkmcnt(0)
	s_barrier
	ds_read_b128 v[12:15], v136
	ds_read_b128 v[8:11], v136 offset:512
	ds_read_b128 v[4:7], v136 offset:1024
	;; [unrolled: 1-line block ×3, first 2 shown]
	v_lshlrev_b32_e32 v138, 4, v130
	ds_read_b128 v[76:79], v138 offset:4096
	ds_read_b128 v[72:75], v138 offset:4224
	;; [unrolled: 1-line block ×16, first 2 shown]
	s_waitcnt lgkmcnt(14)
	v_pk_add_f32 v[90:91], v[12:13], v[76:77]
	s_mov_b32 s13, 0x7f7fffff
	v_min3_f32 v81, v90, v91, s13
	v_pk_add_f32 v[90:91], v[8:9], v[76:77]
	s_load_dword s15, s[0:1], 0x8
	v_min3_f32 v92, v90, v91, s13
	v_pk_add_f32 v[90:91], v[4:5], v[76:77]
	v_pk_add_f32 v[76:77], v[0:1], v[76:77]
	v_min3_f32 v90, v90, v91, s13
	v_min3_f32 v91, v76, v77, s13
	v_pk_add_f32 v[76:77], v[12:13], v[72:73]
	s_waitcnt lgkmcnt(0)
	s_cmp_lt_i32 s15, 9
	v_min3_f32 v93, v76, v77, s13
	v_pk_add_f32 v[76:77], v[8:9], v[72:73]
	ds_write2st64_b32 v149, v82, v83 offset0:8 offset1:12
	ds_write2st64_b32 v149, v84, v85 offset0:24 offset1:28
	v_min3_f32 v94, v76, v77, s13
	v_pk_add_f32 v[76:77], v[4:5], v[72:73]
	v_pk_add_f32 v[72:73], v[0:1], v[72:73]
	v_min3_f32 v76, v76, v77, s13
	v_min3_f32 v77, v72, v73, s13
	v_pk_add_f32 v[72:73], v[12:13], v[68:69]
	s_waitcnt lgkmcnt(0)
	v_min3_f32 v95, v72, v73, s13
	v_pk_add_f32 v[72:73], v[8:9], v[68:69]
	s_barrier
	v_min3_f32 v96, v72, v73, s13
	v_pk_add_f32 v[72:73], v[4:5], v[68:69]
	v_pk_add_f32 v[68:69], v[0:1], v[68:69]
	v_min3_f32 v72, v72, v73, s13
	v_min3_f32 v73, v68, v69, s13
	v_pk_add_f32 v[68:69], v[12:13], v[64:65]
	s_nop 0
	v_min3_f32 v97, v68, v69, s13
	v_pk_add_f32 v[68:69], v[8:9], v[64:65]
	s_nop 0
	v_min3_f32 v98, v68, v69, s13
	v_pk_add_f32 v[68:69], v[4:5], v[64:65]
	v_pk_add_f32 v[64:65], v[0:1], v[64:65]
	v_min3_f32 v68, v68, v69, s13
	v_min3_f32 v69, v64, v65, s13
	v_pk_add_f32 v[64:65], v[12:13], v[60:61]
	s_nop 0
	v_min3_f32 v99, v64, v65, s13
	v_pk_add_f32 v[64:65], v[8:9], v[60:61]
	s_nop 0
	;; [unrolled: 10-line block ×11, first 2 shown]
	v_min3_f32 v172, v28, v29, s13
	v_pk_add_f32 v[28:29], v[4:5], v[24:25]
	v_pk_add_f32 v[24:25], v[0:1], v[24:25]
	v_min3_f32 v28, v28, v29, s13
	v_min3_f32 v29, v24, v25, s13
	v_pk_add_f32 v[24:25], v[12:13], v[20:21]
	v_pk_add_f32 v[12:13], v[12:13], v[16:17]
	v_min3_f32 v173, v24, v25, s13
	v_pk_add_f32 v[24:25], v[8:9], v[20:21]
	v_min3_f32 v12, v12, v13, s13
	v_min3_f32 v174, v24, v25, s13
	v_pk_add_f32 v[24:25], v[4:5], v[20:21]
	v_pk_add_f32 v[20:21], v[0:1], v[20:21]
	;; [unrolled: 1-line block ×4, first 2 shown]
	v_min3_f32 v4, v4, v5, s13
	v_min3_f32 v5, v0, v1, s13
	v_pk_add_f32 v[0:1], v[14:15], v[78:79]
	v_min3_f32 v24, v24, v25, s13
	v_min3_f32 v170, v0, v1, v81
	v_pk_add_f32 v[0:1], v[10:11], v[78:79]
	;; [unrolled: 3-line block ×3, first 2 shown]
	v_pk_add_f32 v[8:9], v[8:9], v[16:17]
	v_min3_f32 v169, v0, v1, v90
	v_pk_add_f32 v[0:1], v[2:3], v[78:79]
	v_min3_f32 v8, v8, v9, s13
	v_min3_f32 v166, v0, v1, v91
	v_pk_add_f32 v[0:1], v[14:15], v[74:75]
	s_nop 0
	v_min3_f32 v167, v0, v1, v93
	v_pk_add_f32 v[0:1], v[10:11], v[74:75]
	s_nop 0
	;; [unrolled: 3-line block ×60, first 2 shown]
	v_min3_f32 v106, v0, v1, v5
	s_cbranch_scc1 .LBB60_31
; %bb.18:
	v_mov_b32_e32 v0, 0x800
	v_lshl_add_u32 v175, v129, 4, v0
	v_mov_b32_e32 v0, 0x1800
	v_lshl_add_u32 v176, v130, 4, v0
	v_mad_i64_i32 v[0:1], s[24:25], s22, v89, 0
	v_lshl_add_u64 v[82:83], v[0:1], 2, s[20:21]
	v_mad_i64_i32 v[0:1], s[22:23], s22, v87, 0
	v_lshl_add_u64 v[84:85], v[0:1], 2, s[20:21]
	;; [unrolled: 2-line block ×3, first 2 shown]
	v_mad_i64_i32 v[0:1], s[20:21], s17, v88, 0
	v_add_u32_e32 v171, 0x1000, v149
	v_add_u32_e32 v172, 0x1000, v138
	;; [unrolled: 1-line block ×4, first 2 shown]
	s_add_i32 s15, s15, -8
	s_mov_b32 s13, s12
	v_mov_b32_e32 v81, 0
	v_lshl_add_u64 v[88:89], v[0:1], 2, s[18:19]
	s_mov_b32 s17, 0
	s_branch .LBB60_21
.LBB60_19:                              ;   in Loop: Header=BB60_21 Depth=1
	flat_load_dword v0, v[92:93] offset:48
	flat_load_dword v1, v[94:95] offset:48
	s_waitcnt vmcnt(0) lgkmcnt(0)
	v_pk_mul_f32 v[24:25], s[12:13], v[0:1]
.LBB60_20:                              ;   in Loop: Header=BB60_21 Depth=1
	ds_read_b128 v[0:3], v136
	ds_read_b128 v[4:7], v136 offset:512
	ds_read_b128 v[8:11], v136 offset:1024
	;; [unrolled: 1-line block ×3, first 2 shown]
	ds_read_b128 v[92:95], v172
	ds_read_b128 v[106:109], v172 offset:128
	ds_read_b128 v[110:113], v172 offset:256
	;; [unrolled: 1-line block ×15, first 2 shown]
	s_waitcnt lgkmcnt(14)
	v_pk_add_f32 v[126:127], v[0:1], v[92:93]
	s_add_i32 s17, s17, 8
	v_min3_f32 v128, v126, v127, v28
	v_pk_add_f32 v[126:127], v[4:5], v[92:93]
	v_lshl_add_u64 v[82:83], v[82:83], 0, 32
	v_min3_f32 v126, v126, v127, v29
	v_pk_add_f32 v[28:29], v[8:9], v[92:93]
	v_lshl_add_u64 v[84:85], v[84:85], 0, 32
	;; [unrolled: 3-line block ×3, first 2 shown]
	v_min3_f32 v33, v28, v29, v33
	v_pk_add_f32 v[28:29], v[0:1], v[106:107]
	s_cmp_ge_i32 s17, s15
	v_min3_f32 v36, v28, v29, v36
	v_pk_add_f32 v[28:29], v[4:5], v[106:107]
	v_lshl_add_u64 v[88:89], v[88:89], 0, 32
	v_min3_f32 v37, v28, v29, v37
	v_pk_add_f32 v[28:29], v[8:9], v[106:107]
	ds_write2st64_b32 v173, v90, v91 offset1:4
	ds_write2st64_b32 v174, v24, v25 offset1:4
	v_min3_f32 v40, v28, v29, v40
	v_pk_add_f32 v[28:29], v[12:13], v[106:107]
	s_waitcnt lgkmcnt(0)
	v_min3_f32 v41, v28, v29, v41
	v_pk_add_f32 v[28:29], v[0:1], v[110:111]
	s_barrier
	v_min3_f32 v44, v28, v29, v44
	v_pk_add_f32 v[28:29], v[4:5], v[110:111]
	s_nop 0
	v_min3_f32 v45, v28, v29, v45
	v_pk_add_f32 v[28:29], v[8:9], v[110:111]
	s_nop 0
	;; [unrolled: 3-line block ×47, first 2 shown]
	v_min3_f32 v97, v28, v29, v26
	v_pk_add_f32 v[28:29], v[0:1], v[20:21]
	v_pk_add_f32 v[0:1], v[0:1], v[16:17]
	v_min3_f32 v28, v28, v29, v27
	v_pk_add_f32 v[26:27], v[4:5], v[20:21]
	s_nop 0
	v_min3_f32 v29, v26, v27, v99
	v_pk_add_f32 v[26:27], v[8:9], v[20:21]
	v_pk_add_f32 v[20:21], v[12:13], v[20:21]
	v_min3_f32 v26, v26, v27, v100
	v_min3_f32 v20, v20, v21, v101
	;; [unrolled: 1-line block ×3, first 2 shown]
	v_pk_add_f32 v[0:1], v[4:5], v[16:17]
	s_nop 0
	v_min3_f32 v4, v0, v1, v103
	v_pk_add_f32 v[0:1], v[8:9], v[16:17]
	s_nop 0
	v_min3_f32 v5, v0, v1, v104
	;; [unrolled: 3-line block ×67, first 2 shown]
	s_cbranch_scc1 .LBB60_31
.LBB60_21:                              ; =>This Inner Loop Header: Depth=1
	s_and_b64 vcc, exec, s[4:5]
	v_lshl_add_u64 v[90:91], v[88:89], 0, v[80:81]
	v_lshl_add_u64 v[96:97], v[86:87], 0, v[80:81]
	s_cbranch_vccnz .LBB60_24
; %bb.22:                               ;   in Loop: Header=BB60_21 Depth=1
	flat_load_dword v0, v[90:91] offset:32
	flat_load_dword v1, v[96:97] offset:32
	s_waitcnt vmcnt(0) lgkmcnt(0)
	v_pk_mul_f32 v[98:99], s[12:13], v[0:1]
	s_and_b64 vcc, exec, s[4:5]
	v_lshl_add_u64 v[92:93], v[84:85], 0, v[80:81]
	v_lshl_add_u64 v[94:95], v[82:83], 0, v[80:81]
	s_cbranch_vccnz .LBB60_25
.LBB60_23:                              ;   in Loop: Header=BB60_21 Depth=1
	flat_load_dword v0, v[92:93] offset:32
	flat_load_dword v1, v[94:95] offset:32
	s_waitcnt vmcnt(0) lgkmcnt(0)
	v_pk_mul_f32 v[100:101], s[12:13], v[0:1]
	s_branch .LBB60_26
.LBB60_24:                              ;   in Loop: Header=BB60_21 Depth=1
	v_mov_b32_e32 v98, 0
	v_mov_b32_e32 v99, 0
	s_and_b64 vcc, exec, s[4:5]
	v_lshl_add_u64 v[92:93], v[84:85], 0, v[80:81]
	v_lshl_add_u64 v[94:95], v[82:83], 0, v[80:81]
	s_cbranch_vccz .LBB60_23
.LBB60_25:                              ;   in Loop: Header=BB60_21 Depth=1
	v_mov_b32_e32 v100, 0
	v_mov_b32_e32 v101, 0
.LBB60_26:                              ;   in Loop: Header=BB60_21 Depth=1
	ds_read_b128 v[12:15], v175
	ds_read_b128 v[8:11], v175 offset:512
	ds_read_b128 v[4:7], v175 offset:1024
	;; [unrolled: 1-line block ×3, first 2 shown]
	ds_read_b128 v[76:79], v176
	ds_read_b128 v[72:75], v176 offset:128
	ds_read_b128 v[68:71], v176 offset:256
	;; [unrolled: 1-line block ×15, first 2 shown]
	s_and_b64 vcc, exec, s[4:5]
	ds_write2st64_b32 v149, v98, v99 offset1:4
	ds_write2st64_b32 v171, v100, v101 offset1:4
	s_waitcnt lgkmcnt(0)
	s_barrier
	s_cbranch_vccnz .LBB60_28
; %bb.27:                               ;   in Loop: Header=BB60_21 Depth=1
	flat_load_dword v90, v[90:91] offset:48
	s_nop 0
	flat_load_dword v91, v[96:97] offset:48
	s_waitcnt vmcnt(0) lgkmcnt(0)
	v_pk_mul_f32 v[90:91], s[12:13], v[90:91]
	s_branch .LBB60_29
.LBB60_28:                              ;   in Loop: Header=BB60_21 Depth=1
	v_mov_b32_e32 v90, 0
	v_mov_b32_e32 v91, 0
.LBB60_29:                              ;   in Loop: Header=BB60_21 Depth=1
	v_pk_add_f32 v[96:97], v[12:13], v[76:77]
	s_and_b64 vcc, exec, s[4:5]
	v_min3_f32 v98, v96, v97, v170
	v_pk_add_f32 v[96:97], v[8:9], v[76:77]
	s_nop 0
	v_min3_f32 v99, v96, v97, v168
	v_pk_add_f32 v[96:97], v[4:5], v[76:77]
	v_pk_add_f32 v[76:77], v[0:1], v[76:77]
	v_min3_f32 v96, v96, v97, v169
	v_min3_f32 v97, v76, v77, v166
	v_pk_add_f32 v[76:77], v[12:13], v[72:73]
	s_nop 0
	v_min3_f32 v100, v76, v77, v167
	v_pk_add_f32 v[76:77], v[8:9], v[72:73]
	s_nop 0
	v_min3_f32 v101, v76, v77, v164
	v_pk_add_f32 v[76:77], v[4:5], v[72:73]
	v_pk_add_f32 v[72:73], v[0:1], v[72:73]
	v_min3_f32 v76, v76, v77, v165
	v_min3_f32 v77, v72, v73, v162
	v_pk_add_f32 v[72:73], v[12:13], v[68:69]
	s_nop 0
	;; [unrolled: 10-line block ×13, first 2 shown]
	v_min3_f32 v114, v28, v29, v114
	v_pk_add_f32 v[28:29], v[8:9], v[24:25]
	s_nop 0
	v_min3_f32 v111, v28, v29, v111
	v_pk_add_f32 v[28:29], v[4:5], v[24:25]
	v_pk_add_f32 v[24:25], v[0:1], v[24:25]
	v_min3_f32 v112, v28, v29, v112
	v_min3_f32 v109, v24, v25, v109
	v_pk_add_f32 v[24:25], v[12:13], v[20:21]
	v_pk_add_f32 v[12:13], v[12:13], v[16:17]
	v_min3_f32 v110, v24, v25, v110
	v_pk_add_f32 v[24:25], v[8:9], v[20:21]
	v_min3_f32 v12, v12, v13, v105
	v_min3_f32 v107, v24, v25, v107
	v_pk_add_f32 v[24:25], v[4:5], v[20:21]
	v_pk_add_f32 v[20:21], v[0:1], v[20:21]
	;; [unrolled: 1-line block ×4, first 2 shown]
	v_min3_f32 v4, v4, v5, v103
	v_min3_f32 v5, v0, v1, v106
	v_pk_add_f32 v[0:1], v[14:15], v[78:79]
	v_min3_f32 v24, v24, v25, v108
	v_min3_f32 v28, v0, v1, v98
	v_pk_add_f32 v[0:1], v[10:11], v[78:79]
	;; [unrolled: 3-line block ×3, first 2 shown]
	v_pk_add_f32 v[8:9], v[8:9], v[16:17]
	v_min3_f32 v32, v0, v1, v96
	v_pk_add_f32 v[0:1], v[2:3], v[78:79]
	v_min3_f32 v8, v8, v9, v102
	v_min3_f32 v33, v0, v1, v97
	v_pk_add_f32 v[0:1], v[14:15], v[74:75]
	s_nop 0
	v_min3_f32 v36, v0, v1, v100
	v_pk_add_f32 v[0:1], v[10:11], v[74:75]
	s_nop 0
	;; [unrolled: 3-line block ×60, first 2 shown]
	v_min3_f32 v105, v0, v1, v5
	s_cbranch_vccz .LBB60_19
; %bb.30:                               ;   in Loop: Header=BB60_21 Depth=1
	v_mov_b32_e32 v24, 0
	v_mov_b32_e32 v25, 0
	s_branch .LBB60_20
.LBB60_31:
	s_load_dwordx2 s[12:13], s[0:1], 0x78
	s_load_dword s4, s[0:1], 0x58
	s_load_dword s5, s[0:1], 0x70
	ds_read_b128 v[16:19], v136 offset:2048
	ds_read_b128 v[76:79], v138 offset:6144
	s_waitcnt lgkmcnt(0)
	s_mul_i32 s0, s16, s13
	s_mul_hi_u32 s1, s16, s12
	s_add_i32 s1, s1, s0
	s_mul_i32 s0, s16, s12
	s_lshl_b64 s[0:1], s[0:1], 2
	v_pk_add_f32 v[0:1], v[16:17], v[76:77]
	s_add_u32 s0, s10, s0
	v_min3_f32 v2, v0, v1, v170
	v_pk_add_f32 v[0:1], v[18:19], v[78:79]
	v_add_u32_e32 v82, s2, v129
	v_add_u32_e32 v96, s3, v130
	s_addc_u32 s1, s11, s1
	v_min3_f32 v2, v0, v1, v2
	v_add_u32_e32 v80, 32, v82
	v_mad_i64_i32 v[0:1], s[2:3], v96, s5, 0
	v_ashrrev_i32_e32 v83, 31, v82
	v_ashrrev_i32_e32 v81, 31, v80
	v_lshl_add_u64 v[92:93], v[0:1], 2, s[0:1]
	v_mad_i64_i32 v[0:1], s[2:3], v96, s4, 0
	v_max_f32_e32 v2, v2, v2
	s_mov_b64 vcc, s[6:7]
	s_cbranch_vccz .LBB60_33
; %bb.32:
	v_min_f32_e32 v3, 0, v2
	v_lshl_add_u64 v[4:5], v[82:83], 2, v[92:93]
	s_mov_b32 s10, 0
	global_store_dword v[4:5], v3, off
	s_mov_b64 s[2:3], 0
	s_branch .LBB60_34
.LBB60_33:
	s_mov_b64 s[2:3], -1
                                        ; implicit-def: $sgpr10
.LBB60_34:
	ds_read_b128 v[12:15], v136 offset:2560
	ds_read_b128 v[8:11], v136 offset:3072
	v_lshl_add_u64 v[94:95], v[0:1], 2, s[8:9]
	s_andn2_b64 vcc, exec, s[2:3]
	v_lshlrev_b64 v[86:87], 2, v[82:83]
	s_cbranch_vccnz .LBB60_36
; %bb.35:
	v_lshl_add_u64 v[0:1], v[94:95], 0, v[86:87]
	flat_load_dword v3, v[0:1]
	v_lshl_add_u64 v[0:1], v[92:93], 0, v[86:87]
	s_waitcnt vmcnt(0) lgkmcnt(0)
	v_mul_f32_e32 v3, s14, v3
	v_min_f32_e32 v2, v3, v2
	global_store_dword v[0:1], v2, off
	v_lshl_add_u64 v[0:1], v[80:81], 2, v[94:95]
	flat_load_dword v0, v[0:1]
	s_waitcnt vmcnt(0) lgkmcnt(0)
	v_mul_f32_e32 v90, s14, v0
	s_branch .LBB60_37
.LBB60_36:
	v_mov_b32_e32 v90, s10
.LBB60_37:
	ds_read_b128 v[0:3], v136 offset:3584
	ds_read_b128 v[72:75], v138 offset:6272
	;; [unrolled: 1-line block ×16, first 2 shown]
	s_waitcnt lgkmcnt(14)
	v_pk_add_f32 v[84:85], v[12:13], v[76:77]
	s_mov_b64 vcc, s[6:7]
	v_min3_f32 v91, v84, v85, v168
	v_pk_add_f32 v[84:85], v[8:9], v[76:77]
	s_nop 0
	v_min3_f32 v88, v84, v85, v169
	v_pk_add_f32 v[84:85], v[14:15], v[78:79]
	s_nop 0
	v_min_f32_e32 v97, v84, v85
	v_pk_add_f32 v[84:85], v[10:11], v[78:79]
	v_min3_f32 v97, v90, v97, v91
	v_min3_f32 v98, v84, v85, v88
	v_add_u32_e32 v88, 64, v82
	v_add_u32_e32 v84, 0x60, v82
	v_lshl_add_u64 v[90:91], v[80:81], 2, v[92:93]
	v_ashrrev_i32_e32 v89, 31, v88
	v_ashrrev_i32_e32 v85, 31, v84
	global_store_dword v[90:91], v97, off
	v_max_f32_e32 v97, v98, v98
	s_cbranch_vccz .LBB60_40
; %bb.38:
	v_min_f32_e32 v98, 0, v97
	v_lshl_add_u64 v[90:91], v[88:89], 2, v[92:93]
	s_mov_b32 s10, 0
	global_store_dword v[90:91], v98, off
	v_lshlrev_b64 v[90:91], 2, v[88:89]
	s_cbranch_execz .LBB60_41
; %bb.39:
	v_mov_b32_e32 v94, s10
	s_branch .LBB60_42
.LBB60_40:
                                        ; implicit-def: $sgpr10
	v_lshlrev_b64 v[90:91], 2, v[88:89]
.LBB60_41:
	v_lshl_add_u64 v[98:99], v[94:95], 0, v[90:91]
	flat_load_dword v100, v[98:99]
	v_lshl_add_u64 v[98:99], v[92:93], 0, v[90:91]
	v_lshl_add_u64 v[94:95], v[84:85], 2, v[94:95]
	s_waitcnt vmcnt(0) lgkmcnt(0)
	v_mul_f32_e32 v100, s14, v100
	v_min_f32_e32 v97, v100, v97
	global_store_dword v[98:99], v97, off
	flat_load_dword v94, v[94:95]
	s_waitcnt vmcnt(0) lgkmcnt(0)
	v_mul_f32_e32 v94, s14, v94
.LBB60_42:
	v_pk_add_f32 v[76:77], v[0:1], v[76:77]
	s_mov_b64 vcc, s[6:7]
	v_min3_f32 v95, v76, v77, v166
	v_pk_add_f32 v[76:77], v[16:17], v[72:73]
	s_nop 0
	v_min3_f32 v97, v76, v77, v167
	v_pk_add_f32 v[76:77], v[2:3], v[78:79]
	s_nop 0
	v_min_f32_e32 v78, v76, v77
	v_pk_add_f32 v[76:77], v[18:19], v[74:75]
	v_min3_f32 v78, v94, v78, v95
	v_min3_f32 v97, v76, v77, v97
	v_lshl_add_u64 v[76:77], v[84:85], 2, v[92:93]
	global_store_dword v[76:77], v78, off
	v_add_u32_e32 v78, 8, v96
	v_mad_i64_i32 v[76:77], s[2:3], v78, s5, 0
	v_lshl_add_u64 v[76:77], v[76:77], 2, s[0:1]
	v_mad_i64_i32 v[78:79], s[2:3], v78, s4, 0
	v_max_f32_e32 v92, v97, v97
	s_cbranch_vccz .LBB60_45
; %bb.43:
	v_min_f32_e32 v93, 0, v92
	v_lshl_add_u64 v[94:95], v[82:83], 2, v[76:77]
	s_mov_b32 s10, 0
	global_store_dword v[94:95], v93, off
	v_lshl_add_u64 v[78:79], v[78:79], 2, s[8:9]
	s_cbranch_execz .LBB60_46
; %bb.44:
	v_mov_b32_e32 v92, s10
	s_branch .LBB60_47
.LBB60_45:
                                        ; implicit-def: $sgpr10
	v_lshl_add_u64 v[78:79], v[78:79], 2, s[8:9]
.LBB60_46:
	v_lshl_add_u64 v[94:95], v[78:79], 0, v[86:87]
	flat_load_dword v93, v[94:95]
	v_lshl_add_u64 v[94:95], v[76:77], 0, v[86:87]
	s_waitcnt vmcnt(0) lgkmcnt(0)
	v_mul_f32_e32 v93, s14, v93
	v_min_f32_e32 v92, v93, v92
	global_store_dword v[94:95], v92, off
	v_lshl_add_u64 v[92:93], v[80:81], 2, v[78:79]
	flat_load_dword v92, v[92:93]
	s_waitcnt vmcnt(0) lgkmcnt(0)
	v_mul_f32_e32 v92, s14, v92
.LBB60_47:
	v_pk_add_f32 v[94:95], v[12:13], v[72:73]
	s_mov_b64 vcc, s[6:7]
	v_min3_f32 v93, v94, v95, v164
	v_pk_add_f32 v[94:95], v[8:9], v[72:73]
	s_nop 0
	v_min3_f32 v97, v94, v95, v165
	v_pk_add_f32 v[94:95], v[14:15], v[74:75]
	s_nop 0
	v_min_f32_e32 v98, v94, v95
	v_pk_add_f32 v[94:95], v[10:11], v[74:75]
	s_nop 0
	v_min3_f32 v94, v94, v95, v97
	v_min3_f32 v95, v92, v98, v93
	v_lshl_add_u64 v[92:93], v[80:81], 2, v[76:77]
	global_store_dword v[92:93], v95, off
	v_max_f32_e32 v92, v94, v94
	s_cbranch_vccz .LBB60_50
; %bb.48:
	v_min_f32_e32 v93, 0, v92
	v_lshl_add_u64 v[94:95], v[88:89], 2, v[76:77]
	s_mov_b32 s10, 0
	global_store_dword v[94:95], v93, off
	s_cbranch_execz .LBB60_51
; %bb.49:
	v_mov_b32_e32 v78, s10
	s_branch .LBB60_52
.LBB60_50:
                                        ; implicit-def: $sgpr10
.LBB60_51:
	v_lshl_add_u64 v[94:95], v[78:79], 0, v[90:91]
	flat_load_dword v93, v[94:95]
	v_lshl_add_u64 v[94:95], v[76:77], 0, v[90:91]
	v_lshl_add_u64 v[78:79], v[84:85], 2, v[78:79]
	s_waitcnt vmcnt(0) lgkmcnt(0)
	v_mul_f32_e32 v93, s14, v93
	v_min_f32_e32 v92, v93, v92
	global_store_dword v[94:95], v92, off
	flat_load_dword v78, v[78:79]
	s_waitcnt vmcnt(0) lgkmcnt(0)
	v_mul_f32_e32 v78, s14, v78
.LBB60_52:
	v_pk_add_f32 v[72:73], v[0:1], v[72:73]
	s_mov_b64 vcc, s[6:7]
	v_min3_f32 v79, v72, v73, v162
	s_waitcnt lgkmcnt(13)
	v_pk_add_f32 v[72:73], v[16:17], v[68:69]
	s_nop 0
	v_min3_f32 v92, v72, v73, v163
	v_pk_add_f32 v[72:73], v[2:3], v[74:75]
	s_nop 0
	v_min_f32_e32 v74, v72, v73
	v_pk_add_f32 v[72:73], v[18:19], v[70:71]
	v_min3_f32 v74, v78, v74, v79
	v_min3_f32 v92, v72, v73, v92
	v_lshl_add_u64 v[72:73], v[84:85], 2, v[76:77]
	global_store_dword v[72:73], v74, off
	v_add_u32_e32 v74, 16, v96
	v_mad_i64_i32 v[72:73], s[2:3], v74, s5, 0
	v_lshl_add_u64 v[72:73], v[72:73], 2, s[0:1]
	v_mad_i64_i32 v[74:75], s[2:3], v74, s4, 0
	v_max_f32_e32 v76, v92, v92
	s_cbranch_vccz .LBB60_55
; %bb.53:
	v_min_f32_e32 v77, 0, v76
	v_lshl_add_u64 v[78:79], v[82:83], 2, v[72:73]
	s_mov_b32 s10, 0
	global_store_dword v[78:79], v77, off
	v_lshl_add_u64 v[74:75], v[74:75], 2, s[8:9]
	s_cbranch_execz .LBB60_56
; %bb.54:
	v_mov_b32_e32 v76, s10
	s_branch .LBB60_57
.LBB60_55:
                                        ; implicit-def: $sgpr10
	v_lshl_add_u64 v[74:75], v[74:75], 2, s[8:9]
.LBB60_56:
	v_lshl_add_u64 v[78:79], v[74:75], 0, v[86:87]
	flat_load_dword v77, v[78:79]
	v_lshl_add_u64 v[78:79], v[72:73], 0, v[86:87]
	s_waitcnt vmcnt(0) lgkmcnt(0)
	v_mul_f32_e32 v77, s14, v77
	v_min_f32_e32 v76, v77, v76
	global_store_dword v[78:79], v76, off
	v_lshl_add_u64 v[76:77], v[80:81], 2, v[74:75]
	flat_load_dword v76, v[76:77]
	s_waitcnt vmcnt(0) lgkmcnt(0)
	v_mul_f32_e32 v76, s14, v76
.LBB60_57:
	v_pk_add_f32 v[78:79], v[12:13], v[68:69]
	s_mov_b64 vcc, s[6:7]
	v_min3_f32 v77, v78, v79, v160
	v_pk_add_f32 v[78:79], v[8:9], v[68:69]
	s_nop 0
	v_min3_f32 v92, v78, v79, v161
	v_pk_add_f32 v[78:79], v[14:15], v[70:71]
	s_nop 0
	v_min_f32_e32 v93, v78, v79
	v_pk_add_f32 v[78:79], v[10:11], v[70:71]
	s_nop 0
	v_min3_f32 v78, v78, v79, v92
	v_min3_f32 v79, v76, v93, v77
	v_lshl_add_u64 v[76:77], v[80:81], 2, v[72:73]
	global_store_dword v[76:77], v79, off
	v_max_f32_e32 v76, v78, v78
	s_cbranch_vccz .LBB60_60
; %bb.58:
	v_min_f32_e32 v77, 0, v76
	v_lshl_add_u64 v[78:79], v[88:89], 2, v[72:73]
	s_mov_b32 s10, 0
	global_store_dword v[78:79], v77, off
	s_cbranch_execz .LBB60_61
; %bb.59:
	v_mov_b32_e32 v74, s10
	s_branch .LBB60_62
.LBB60_60:
                                        ; implicit-def: $sgpr10
.LBB60_61:
	v_lshl_add_u64 v[78:79], v[74:75], 0, v[90:91]
	flat_load_dword v77, v[78:79]
	v_lshl_add_u64 v[78:79], v[72:73], 0, v[90:91]
	v_lshl_add_u64 v[74:75], v[84:85], 2, v[74:75]
	s_waitcnt vmcnt(0) lgkmcnt(0)
	v_mul_f32_e32 v77, s14, v77
	v_min_f32_e32 v76, v77, v76
	global_store_dword v[78:79], v76, off
	flat_load_dword v74, v[74:75]
	s_waitcnt vmcnt(0) lgkmcnt(0)
	v_mul_f32_e32 v74, s14, v74
.LBB60_62:
	v_pk_add_f32 v[68:69], v[0:1], v[68:69]
	s_mov_b64 vcc, s[6:7]
	v_min3_f32 v75, v68, v69, v158
	s_waitcnt lgkmcnt(12)
	v_pk_add_f32 v[68:69], v[16:17], v[64:65]
	s_nop 0
	v_min3_f32 v76, v68, v69, v159
	v_pk_add_f32 v[68:69], v[2:3], v[70:71]
	s_nop 0
	v_min_f32_e32 v70, v68, v69
	v_pk_add_f32 v[68:69], v[18:19], v[66:67]
	v_min3_f32 v70, v74, v70, v75
	v_min3_f32 v76, v68, v69, v76
	v_lshl_add_u64 v[68:69], v[84:85], 2, v[72:73]
	global_store_dword v[68:69], v70, off
	v_add_u32_e32 v70, 24, v96
	v_mad_i64_i32 v[68:69], s[2:3], v70, s5, 0
	v_lshl_add_u64 v[68:69], v[68:69], 2, s[0:1]
	v_mad_i64_i32 v[70:71], s[2:3], v70, s4, 0
	v_max_f32_e32 v72, v76, v76
	s_cbranch_vccz .LBB60_65
; %bb.63:
	v_min_f32_e32 v73, 0, v72
	v_lshl_add_u64 v[74:75], v[82:83], 2, v[68:69]
	s_mov_b32 s10, 0
	global_store_dword v[74:75], v73, off
	v_lshl_add_u64 v[70:71], v[70:71], 2, s[8:9]
	s_cbranch_execz .LBB60_66
; %bb.64:
	v_mov_b32_e32 v72, s10
	s_branch .LBB60_67
.LBB60_65:
                                        ; implicit-def: $sgpr10
	v_lshl_add_u64 v[70:71], v[70:71], 2, s[8:9]
.LBB60_66:
	v_lshl_add_u64 v[74:75], v[70:71], 0, v[86:87]
	flat_load_dword v73, v[74:75]
	v_lshl_add_u64 v[74:75], v[68:69], 0, v[86:87]
	s_waitcnt vmcnt(0) lgkmcnt(0)
	v_mul_f32_e32 v73, s14, v73
	v_min_f32_e32 v72, v73, v72
	global_store_dword v[74:75], v72, off
	v_lshl_add_u64 v[72:73], v[80:81], 2, v[70:71]
	flat_load_dword v72, v[72:73]
	s_waitcnt vmcnt(0) lgkmcnt(0)
	v_mul_f32_e32 v72, s14, v72
.LBB60_67:
	v_pk_add_f32 v[74:75], v[12:13], v[64:65]
	s_mov_b64 vcc, s[6:7]
	v_min3_f32 v73, v74, v75, v156
	v_pk_add_f32 v[74:75], v[8:9], v[64:65]
	s_nop 0
	v_min3_f32 v76, v74, v75, v157
	v_pk_add_f32 v[74:75], v[14:15], v[66:67]
	s_nop 0
	v_min_f32_e32 v77, v74, v75
	v_pk_add_f32 v[74:75], v[10:11], v[66:67]
	s_nop 0
	v_min3_f32 v74, v74, v75, v76
	v_min3_f32 v75, v72, v77, v73
	v_lshl_add_u64 v[72:73], v[80:81], 2, v[68:69]
	global_store_dword v[72:73], v75, off
	v_max_f32_e32 v72, v74, v74
	s_cbranch_vccz .LBB60_70
; %bb.68:
	v_min_f32_e32 v73, 0, v72
	v_lshl_add_u64 v[74:75], v[88:89], 2, v[68:69]
	s_mov_b32 s10, 0
	global_store_dword v[74:75], v73, off
	s_cbranch_execz .LBB60_71
; %bb.69:
	v_mov_b32_e32 v70, s10
	s_branch .LBB60_72
.LBB60_70:
                                        ; implicit-def: $sgpr10
.LBB60_71:
	v_lshl_add_u64 v[74:75], v[70:71], 0, v[90:91]
	flat_load_dword v73, v[74:75]
	v_lshl_add_u64 v[74:75], v[68:69], 0, v[90:91]
	v_lshl_add_u64 v[70:71], v[84:85], 2, v[70:71]
	s_waitcnt vmcnt(0) lgkmcnt(0)
	v_mul_f32_e32 v73, s14, v73
	v_min_f32_e32 v72, v73, v72
	global_store_dword v[74:75], v72, off
	flat_load_dword v70, v[70:71]
	s_waitcnt vmcnt(0) lgkmcnt(0)
	v_mul_f32_e32 v70, s14, v70
.LBB60_72:
	v_pk_add_f32 v[64:65], v[0:1], v[64:65]
	s_mov_b64 vcc, s[6:7]
	v_min3_f32 v71, v64, v65, v154
	s_waitcnt lgkmcnt(11)
	v_pk_add_f32 v[64:65], v[16:17], v[60:61]
	s_nop 0
	v_min3_f32 v72, v64, v65, v155
	v_pk_add_f32 v[64:65], v[2:3], v[66:67]
	s_nop 0
	v_min_f32_e32 v66, v64, v65
	v_pk_add_f32 v[64:65], v[18:19], v[62:63]
	v_min3_f32 v66, v70, v66, v71
	v_min3_f32 v72, v64, v65, v72
	v_lshl_add_u64 v[64:65], v[84:85], 2, v[68:69]
	global_store_dword v[64:65], v66, off
	v_add_u32_e32 v66, 32, v96
	v_mad_i64_i32 v[64:65], s[2:3], v66, s5, 0
	v_lshl_add_u64 v[64:65], v[64:65], 2, s[0:1]
	v_mad_i64_i32 v[66:67], s[2:3], v66, s4, 0
	v_max_f32_e32 v68, v72, v72
	s_cbranch_vccz .LBB60_75
; %bb.73:
	v_min_f32_e32 v69, 0, v68
	v_lshl_add_u64 v[70:71], v[82:83], 2, v[64:65]
	s_mov_b32 s10, 0
	global_store_dword v[70:71], v69, off
	v_lshl_add_u64 v[66:67], v[66:67], 2, s[8:9]
	s_cbranch_execz .LBB60_76
; %bb.74:
	v_mov_b32_e32 v68, s10
	s_branch .LBB60_77
.LBB60_75:
                                        ; implicit-def: $sgpr10
	v_lshl_add_u64 v[66:67], v[66:67], 2, s[8:9]
.LBB60_76:
	v_lshl_add_u64 v[70:71], v[66:67], 0, v[86:87]
	flat_load_dword v69, v[70:71]
	v_lshl_add_u64 v[70:71], v[64:65], 0, v[86:87]
	s_waitcnt vmcnt(0) lgkmcnt(0)
	v_mul_f32_e32 v69, s14, v69
	v_min_f32_e32 v68, v69, v68
	global_store_dword v[70:71], v68, off
	v_lshl_add_u64 v[68:69], v[80:81], 2, v[66:67]
	flat_load_dword v68, v[68:69]
	s_waitcnt vmcnt(0) lgkmcnt(0)
	v_mul_f32_e32 v68, s14, v68
.LBB60_77:
	v_pk_add_f32 v[70:71], v[12:13], v[60:61]
	s_mov_b64 vcc, s[6:7]
	v_min3_f32 v69, v70, v71, v152
	v_pk_add_f32 v[70:71], v[8:9], v[60:61]
	s_nop 0
	v_min3_f32 v72, v70, v71, v153
	v_pk_add_f32 v[70:71], v[14:15], v[62:63]
	s_nop 0
	v_min_f32_e32 v73, v70, v71
	v_pk_add_f32 v[70:71], v[10:11], v[62:63]
	s_nop 0
	v_min3_f32 v70, v70, v71, v72
	v_min3_f32 v71, v68, v73, v69
	v_lshl_add_u64 v[68:69], v[80:81], 2, v[64:65]
	global_store_dword v[68:69], v71, off
	v_max_f32_e32 v68, v70, v70
	s_cbranch_vccz .LBB60_80
; %bb.78:
	v_min_f32_e32 v69, 0, v68
	v_lshl_add_u64 v[70:71], v[88:89], 2, v[64:65]
	s_mov_b32 s10, 0
	global_store_dword v[70:71], v69, off
	s_cbranch_execz .LBB60_81
; %bb.79:
	v_mov_b32_e32 v66, s10
	s_branch .LBB60_82
.LBB60_80:
                                        ; implicit-def: $sgpr10
.LBB60_81:
	v_lshl_add_u64 v[70:71], v[66:67], 0, v[90:91]
	flat_load_dword v69, v[70:71]
	v_lshl_add_u64 v[70:71], v[64:65], 0, v[90:91]
	v_lshl_add_u64 v[66:67], v[84:85], 2, v[66:67]
	s_waitcnt vmcnt(0) lgkmcnt(0)
	v_mul_f32_e32 v69, s14, v69
	v_min_f32_e32 v68, v69, v68
	global_store_dword v[70:71], v68, off
	flat_load_dword v66, v[66:67]
	s_waitcnt vmcnt(0) lgkmcnt(0)
	v_mul_f32_e32 v66, s14, v66
.LBB60_82:
	v_pk_add_f32 v[60:61], v[0:1], v[60:61]
	s_mov_b64 vcc, s[6:7]
	v_min3_f32 v67, v60, v61, v150
	s_waitcnt lgkmcnt(10)
	v_pk_add_f32 v[60:61], v[16:17], v[56:57]
	s_nop 0
	v_min3_f32 v68, v60, v61, v151
	v_pk_add_f32 v[60:61], v[2:3], v[62:63]
	s_nop 0
	v_min_f32_e32 v62, v60, v61
	v_pk_add_f32 v[60:61], v[18:19], v[58:59]
	v_min3_f32 v62, v66, v62, v67
	v_min3_f32 v68, v60, v61, v68
	v_lshl_add_u64 v[60:61], v[84:85], 2, v[64:65]
	global_store_dword v[60:61], v62, off
	v_add_u32_e32 v62, 40, v96
	v_mad_i64_i32 v[60:61], s[2:3], v62, s5, 0
	v_lshl_add_u64 v[60:61], v[60:61], 2, s[0:1]
	v_mad_i64_i32 v[62:63], s[2:3], v62, s4, 0
	v_max_f32_e32 v64, v68, v68
	s_cbranch_vccz .LBB60_85
; %bb.83:
	v_min_f32_e32 v65, 0, v64
	v_lshl_add_u64 v[66:67], v[82:83], 2, v[60:61]
	s_mov_b32 s10, 0
	global_store_dword v[66:67], v65, off
	v_lshl_add_u64 v[62:63], v[62:63], 2, s[8:9]
	s_cbranch_execz .LBB60_86
; %bb.84:
	v_mov_b32_e32 v64, s10
	s_branch .LBB60_87
.LBB60_85:
                                        ; implicit-def: $sgpr10
	v_lshl_add_u64 v[62:63], v[62:63], 2, s[8:9]
.LBB60_86:
	v_lshl_add_u64 v[66:67], v[62:63], 0, v[86:87]
	flat_load_dword v65, v[66:67]
	v_lshl_add_u64 v[66:67], v[60:61], 0, v[86:87]
	s_waitcnt vmcnt(0) lgkmcnt(0)
	v_mul_f32_e32 v65, s14, v65
	v_min_f32_e32 v64, v65, v64
	global_store_dword v[66:67], v64, off
	v_lshl_add_u64 v[64:65], v[80:81], 2, v[62:63]
	flat_load_dword v64, v[64:65]
	s_waitcnt vmcnt(0) lgkmcnt(0)
	v_mul_f32_e32 v64, s14, v64
.LBB60_87:
	v_pk_add_f32 v[66:67], v[12:13], v[56:57]
	s_mov_b64 vcc, s[6:7]
	v_min3_f32 v65, v66, v67, v147
	v_pk_add_f32 v[66:67], v[8:9], v[56:57]
	s_nop 0
	v_min3_f32 v68, v66, v67, v148
	v_pk_add_f32 v[66:67], v[14:15], v[58:59]
	s_nop 0
	v_min_f32_e32 v69, v66, v67
	v_pk_add_f32 v[66:67], v[10:11], v[58:59]
	s_nop 0
	v_min3_f32 v66, v66, v67, v68
	v_min3_f32 v67, v64, v69, v65
	v_lshl_add_u64 v[64:65], v[80:81], 2, v[60:61]
	global_store_dword v[64:65], v67, off
	v_max_f32_e32 v64, v66, v66
	s_cbranch_vccz .LBB60_90
; %bb.88:
	v_min_f32_e32 v65, 0, v64
	v_lshl_add_u64 v[66:67], v[88:89], 2, v[60:61]
	s_mov_b32 s10, 0
	global_store_dword v[66:67], v65, off
	s_cbranch_execz .LBB60_91
; %bb.89:
	v_mov_b32_e32 v62, s10
	s_branch .LBB60_92
.LBB60_90:
                                        ; implicit-def: $sgpr10
.LBB60_91:
	v_lshl_add_u64 v[66:67], v[62:63], 0, v[90:91]
	flat_load_dword v65, v[66:67]
	v_lshl_add_u64 v[66:67], v[60:61], 0, v[90:91]
	v_lshl_add_u64 v[62:63], v[84:85], 2, v[62:63]
	s_waitcnt vmcnt(0) lgkmcnt(0)
	v_mul_f32_e32 v65, s14, v65
	v_min_f32_e32 v64, v65, v64
	global_store_dword v[66:67], v64, off
	flat_load_dword v62, v[62:63]
	s_waitcnt vmcnt(0) lgkmcnt(0)
	v_mul_f32_e32 v62, s14, v62
.LBB60_92:
	v_pk_add_f32 v[56:57], v[0:1], v[56:57]
	s_mov_b64 vcc, s[6:7]
	v_min3_f32 v63, v56, v57, v145
	s_waitcnt lgkmcnt(9)
	v_pk_add_f32 v[56:57], v[16:17], v[52:53]
	s_nop 0
	v_min3_f32 v64, v56, v57, v146
	v_pk_add_f32 v[56:57], v[2:3], v[58:59]
	s_nop 0
	v_min_f32_e32 v58, v56, v57
	v_pk_add_f32 v[56:57], v[18:19], v[54:55]
	v_min3_f32 v58, v62, v58, v63
	v_min3_f32 v64, v56, v57, v64
	v_lshl_add_u64 v[56:57], v[84:85], 2, v[60:61]
	global_store_dword v[56:57], v58, off
	v_add_u32_e32 v58, 48, v96
	v_mad_i64_i32 v[56:57], s[2:3], v58, s5, 0
	v_lshl_add_u64 v[56:57], v[56:57], 2, s[0:1]
	v_mad_i64_i32 v[58:59], s[2:3], v58, s4, 0
	v_max_f32_e32 v60, v64, v64
	s_cbranch_vccz .LBB60_95
; %bb.93:
	v_min_f32_e32 v61, 0, v60
	v_lshl_add_u64 v[62:63], v[82:83], 2, v[56:57]
	s_mov_b32 s10, 0
	global_store_dword v[62:63], v61, off
	v_lshl_add_u64 v[58:59], v[58:59], 2, s[8:9]
	s_cbranch_execz .LBB60_96
; %bb.94:
	v_mov_b32_e32 v60, s10
	s_branch .LBB60_97
.LBB60_95:
                                        ; implicit-def: $sgpr10
	v_lshl_add_u64 v[58:59], v[58:59], 2, s[8:9]
.LBB60_96:
	v_lshl_add_u64 v[62:63], v[58:59], 0, v[86:87]
	flat_load_dword v61, v[62:63]
	v_lshl_add_u64 v[62:63], v[56:57], 0, v[86:87]
	s_waitcnt vmcnt(0) lgkmcnt(0)
	v_mul_f32_e32 v61, s14, v61
	v_min_f32_e32 v60, v61, v60
	global_store_dword v[62:63], v60, off
	v_lshl_add_u64 v[60:61], v[80:81], 2, v[58:59]
	flat_load_dword v60, v[60:61]
	s_waitcnt vmcnt(0) lgkmcnt(0)
	v_mul_f32_e32 v60, s14, v60
.LBB60_97:
	v_pk_add_f32 v[62:63], v[12:13], v[52:53]
	s_mov_b64 vcc, s[6:7]
	v_min3_f32 v61, v62, v63, v143
	v_pk_add_f32 v[62:63], v[8:9], v[52:53]
	s_nop 0
	v_min3_f32 v64, v62, v63, v144
	v_pk_add_f32 v[62:63], v[14:15], v[54:55]
	s_nop 0
	v_min_f32_e32 v65, v62, v63
	v_pk_add_f32 v[62:63], v[10:11], v[54:55]
	s_nop 0
	v_min3_f32 v62, v62, v63, v64
	v_min3_f32 v63, v60, v65, v61
	v_lshl_add_u64 v[60:61], v[80:81], 2, v[56:57]
	global_store_dword v[60:61], v63, off
	v_max_f32_e32 v60, v62, v62
	s_cbranch_vccz .LBB60_100
; %bb.98:
	v_min_f32_e32 v61, 0, v60
	v_lshl_add_u64 v[62:63], v[88:89], 2, v[56:57]
	s_mov_b32 s10, 0
	global_store_dword v[62:63], v61, off
	s_cbranch_execz .LBB60_101
; %bb.99:
	v_mov_b32_e32 v58, s10
	s_branch .LBB60_102
.LBB60_100:
                                        ; implicit-def: $sgpr10
.LBB60_101:
	v_lshl_add_u64 v[62:63], v[58:59], 0, v[90:91]
	flat_load_dword v61, v[62:63]
	v_lshl_add_u64 v[62:63], v[56:57], 0, v[90:91]
	v_lshl_add_u64 v[58:59], v[84:85], 2, v[58:59]
	s_waitcnt vmcnt(0) lgkmcnt(0)
	v_mul_f32_e32 v61, s14, v61
	v_min_f32_e32 v60, v61, v60
	global_store_dword v[62:63], v60, off
	flat_load_dword v58, v[58:59]
	s_waitcnt vmcnt(0) lgkmcnt(0)
	v_mul_f32_e32 v58, s14, v58
.LBB60_102:
	v_pk_add_f32 v[52:53], v[0:1], v[52:53]
	s_mov_b64 vcc, s[6:7]
	v_min3_f32 v59, v52, v53, v141
	s_waitcnt lgkmcnt(8)
	v_pk_add_f32 v[52:53], v[16:17], v[48:49]
	s_nop 0
	v_min3_f32 v60, v52, v53, v142
	v_pk_add_f32 v[52:53], v[2:3], v[54:55]
	s_nop 0
	v_min_f32_e32 v54, v52, v53
	v_pk_add_f32 v[52:53], v[18:19], v[50:51]
	v_min3_f32 v54, v58, v54, v59
	v_min3_f32 v60, v52, v53, v60
	v_lshl_add_u64 v[52:53], v[84:85], 2, v[56:57]
	global_store_dword v[52:53], v54, off
	v_add_u32_e32 v54, 56, v96
	v_mad_i64_i32 v[52:53], s[2:3], v54, s5, 0
	v_lshl_add_u64 v[52:53], v[52:53], 2, s[0:1]
	v_mad_i64_i32 v[54:55], s[2:3], v54, s4, 0
	v_max_f32_e32 v56, v60, v60
	s_cbranch_vccz .LBB60_105
; %bb.103:
	v_min_f32_e32 v57, 0, v56
	v_lshl_add_u64 v[58:59], v[82:83], 2, v[52:53]
	s_mov_b32 s10, 0
	global_store_dword v[58:59], v57, off
	v_lshl_add_u64 v[54:55], v[54:55], 2, s[8:9]
	s_cbranch_execz .LBB60_106
; %bb.104:
	v_mov_b32_e32 v56, s10
	s_branch .LBB60_107
.LBB60_105:
                                        ; implicit-def: $sgpr10
	v_lshl_add_u64 v[54:55], v[54:55], 2, s[8:9]
.LBB60_106:
	v_lshl_add_u64 v[58:59], v[54:55], 0, v[86:87]
	flat_load_dword v57, v[58:59]
	v_lshl_add_u64 v[58:59], v[52:53], 0, v[86:87]
	s_waitcnt vmcnt(0) lgkmcnt(0)
	v_mul_f32_e32 v57, s14, v57
	v_min_f32_e32 v56, v57, v56
	global_store_dword v[58:59], v56, off
	v_lshl_add_u64 v[56:57], v[80:81], 2, v[54:55]
	flat_load_dword v56, v[56:57]
	s_waitcnt vmcnt(0) lgkmcnt(0)
	v_mul_f32_e32 v56, s14, v56
.LBB60_107:
	v_pk_add_f32 v[58:59], v[12:13], v[48:49]
	s_mov_b64 vcc, s[6:7]
	v_min3_f32 v57, v58, v59, v139
	v_pk_add_f32 v[58:59], v[8:9], v[48:49]
	s_nop 0
	v_min3_f32 v60, v58, v59, v140
	v_pk_add_f32 v[58:59], v[14:15], v[50:51]
	s_nop 0
	v_min_f32_e32 v61, v58, v59
	v_pk_add_f32 v[58:59], v[10:11], v[50:51]
	s_nop 0
	v_min3_f32 v58, v58, v59, v60
	v_min3_f32 v59, v56, v61, v57
	v_lshl_add_u64 v[56:57], v[80:81], 2, v[52:53]
	global_store_dword v[56:57], v59, off
	v_max_f32_e32 v56, v58, v58
	s_cbranch_vccz .LBB60_110
; %bb.108:
	v_min_f32_e32 v57, 0, v56
	v_lshl_add_u64 v[58:59], v[88:89], 2, v[52:53]
	s_mov_b32 s10, 0
	global_store_dword v[58:59], v57, off
	s_cbranch_execz .LBB60_111
; %bb.109:
	v_mov_b32_e32 v54, s10
	s_branch .LBB60_112
.LBB60_110:
                                        ; implicit-def: $sgpr10
.LBB60_111:
	v_lshl_add_u64 v[58:59], v[54:55], 0, v[90:91]
	flat_load_dword v57, v[58:59]
	v_lshl_add_u64 v[58:59], v[52:53], 0, v[90:91]
	v_lshl_add_u64 v[54:55], v[84:85], 2, v[54:55]
	s_waitcnt vmcnt(0) lgkmcnt(0)
	v_mul_f32_e32 v57, s14, v57
	v_min_f32_e32 v56, v57, v56
	global_store_dword v[58:59], v56, off
	flat_load_dword v54, v[54:55]
	s_waitcnt vmcnt(0) lgkmcnt(0)
	v_mul_f32_e32 v54, s14, v54
.LBB60_112:
	v_pk_add_f32 v[48:49], v[0:1], v[48:49]
	s_mov_b64 vcc, s[6:7]
	v_min3_f32 v55, v48, v49, v135
	s_waitcnt lgkmcnt(7)
	v_pk_add_f32 v[48:49], v[16:17], v[44:45]
	s_nop 0
	v_min3_f32 v56, v48, v49, v137
	v_pk_add_f32 v[48:49], v[2:3], v[50:51]
	s_nop 0
	v_min_f32_e32 v50, v48, v49
	v_pk_add_f32 v[48:49], v[18:19], v[46:47]
	v_min3_f32 v50, v54, v50, v55
	v_min3_f32 v56, v48, v49, v56
	v_lshl_add_u64 v[48:49], v[84:85], 2, v[52:53]
	global_store_dword v[48:49], v50, off
	v_add_u32_e32 v50, 64, v96
	v_mad_i64_i32 v[48:49], s[2:3], v50, s5, 0
	v_lshl_add_u64 v[48:49], v[48:49], 2, s[0:1]
	v_mad_i64_i32 v[50:51], s[2:3], v50, s4, 0
	v_max_f32_e32 v52, v56, v56
	s_cbranch_vccz .LBB60_115
; %bb.113:
	v_min_f32_e32 v53, 0, v52
	v_lshl_add_u64 v[54:55], v[82:83], 2, v[48:49]
	s_mov_b32 s10, 0
	global_store_dword v[54:55], v53, off
	v_lshl_add_u64 v[50:51], v[50:51], 2, s[8:9]
	s_cbranch_execz .LBB60_116
; %bb.114:
	v_mov_b32_e32 v52, s10
	s_branch .LBB60_117
.LBB60_115:
                                        ; implicit-def: $sgpr10
	v_lshl_add_u64 v[50:51], v[50:51], 2, s[8:9]
.LBB60_116:
	v_lshl_add_u64 v[54:55], v[50:51], 0, v[86:87]
	flat_load_dword v53, v[54:55]
	v_lshl_add_u64 v[54:55], v[48:49], 0, v[86:87]
	s_waitcnt vmcnt(0) lgkmcnt(0)
	v_mul_f32_e32 v53, s14, v53
	v_min_f32_e32 v52, v53, v52
	global_store_dword v[54:55], v52, off
	v_lshl_add_u64 v[52:53], v[80:81], 2, v[50:51]
	flat_load_dword v52, v[52:53]
	s_waitcnt vmcnt(0) lgkmcnt(0)
	v_mul_f32_e32 v52, s14, v52
.LBB60_117:
	v_pk_add_f32 v[54:55], v[12:13], v[44:45]
	s_mov_b64 vcc, s[6:7]
	v_min3_f32 v53, v54, v55, v133
	v_pk_add_f32 v[54:55], v[8:9], v[44:45]
	s_nop 0
	v_min3_f32 v56, v54, v55, v134
	v_pk_add_f32 v[54:55], v[14:15], v[46:47]
	s_nop 0
	v_min_f32_e32 v57, v54, v55
	v_pk_add_f32 v[54:55], v[10:11], v[46:47]
	s_nop 0
	v_min3_f32 v54, v54, v55, v56
	v_min3_f32 v55, v52, v57, v53
	v_lshl_add_u64 v[52:53], v[80:81], 2, v[48:49]
	global_store_dword v[52:53], v55, off
	v_max_f32_e32 v52, v54, v54
	s_cbranch_vccz .LBB60_120
; %bb.118:
	v_min_f32_e32 v53, 0, v52
	v_lshl_add_u64 v[54:55], v[88:89], 2, v[48:49]
	s_mov_b32 s10, 0
	global_store_dword v[54:55], v53, off
	s_cbranch_execz .LBB60_121
; %bb.119:
	v_mov_b32_e32 v50, s10
	s_branch .LBB60_122
.LBB60_120:
                                        ; implicit-def: $sgpr10
.LBB60_121:
	v_lshl_add_u64 v[54:55], v[50:51], 0, v[90:91]
	flat_load_dword v53, v[54:55]
	v_lshl_add_u64 v[54:55], v[48:49], 0, v[90:91]
	v_lshl_add_u64 v[50:51], v[84:85], 2, v[50:51]
	s_waitcnt vmcnt(0) lgkmcnt(0)
	v_mul_f32_e32 v53, s14, v53
	v_min_f32_e32 v52, v53, v52
	global_store_dword v[54:55], v52, off
	flat_load_dword v50, v[50:51]
	s_waitcnt vmcnt(0) lgkmcnt(0)
	v_mul_f32_e32 v50, s14, v50
.LBB60_122:
	v_pk_add_f32 v[44:45], v[0:1], v[44:45]
	s_mov_b64 vcc, s[6:7]
	v_min3_f32 v51, v44, v45, v131
	s_waitcnt lgkmcnt(6)
	v_pk_add_f32 v[44:45], v[16:17], v[40:41]
	s_nop 0
	v_min3_f32 v52, v44, v45, v132
	v_pk_add_f32 v[44:45], v[2:3], v[46:47]
	s_nop 0
	v_min_f32_e32 v46, v44, v45
	v_pk_add_f32 v[44:45], v[18:19], v[42:43]
	v_min3_f32 v46, v50, v46, v51
	v_min3_f32 v52, v44, v45, v52
	v_lshl_add_u64 v[44:45], v[84:85], 2, v[48:49]
	global_store_dword v[44:45], v46, off
	v_add_u32_e32 v46, 0x48, v96
	v_mad_i64_i32 v[44:45], s[2:3], v46, s5, 0
	v_lshl_add_u64 v[44:45], v[44:45], 2, s[0:1]
	v_mad_i64_i32 v[46:47], s[2:3], v46, s4, 0
	v_max_f32_e32 v48, v52, v52
	s_cbranch_vccz .LBB60_125
; %bb.123:
	v_min_f32_e32 v49, 0, v48
	v_lshl_add_u64 v[50:51], v[82:83], 2, v[44:45]
	s_mov_b32 s10, 0
	global_store_dword v[50:51], v49, off
	v_lshl_add_u64 v[46:47], v[46:47], 2, s[8:9]
	s_cbranch_execz .LBB60_126
; %bb.124:
	v_mov_b32_e32 v48, s10
	s_branch .LBB60_127
.LBB60_125:
                                        ; implicit-def: $sgpr10
	v_lshl_add_u64 v[46:47], v[46:47], 2, s[8:9]
.LBB60_126:
	v_lshl_add_u64 v[50:51], v[46:47], 0, v[86:87]
	flat_load_dword v49, v[50:51]
	v_lshl_add_u64 v[50:51], v[44:45], 0, v[86:87]
	s_waitcnt vmcnt(0) lgkmcnt(0)
	v_mul_f32_e32 v49, s14, v49
	v_min_f32_e32 v48, v49, v48
	global_store_dword v[50:51], v48, off
	v_lshl_add_u64 v[48:49], v[80:81], 2, v[46:47]
	flat_load_dword v48, v[48:49]
	s_waitcnt vmcnt(0) lgkmcnt(0)
	v_mul_f32_e32 v48, s14, v48
.LBB60_127:
	v_pk_add_f32 v[50:51], v[12:13], v[40:41]
	s_mov_b64 vcc, s[6:7]
	v_min3_f32 v49, v50, v51, v127
	v_pk_add_f32 v[50:51], v[8:9], v[40:41]
	s_nop 0
	v_min3_f32 v52, v50, v51, v128
	v_pk_add_f32 v[50:51], v[14:15], v[42:43]
	s_nop 0
	v_min_f32_e32 v53, v50, v51
	v_pk_add_f32 v[50:51], v[10:11], v[42:43]
	s_nop 0
	v_min3_f32 v50, v50, v51, v52
	v_min3_f32 v51, v48, v53, v49
	v_lshl_add_u64 v[48:49], v[80:81], 2, v[44:45]
	global_store_dword v[48:49], v51, off
	v_max_f32_e32 v48, v50, v50
	s_cbranch_vccz .LBB60_130
; %bb.128:
	v_min_f32_e32 v49, 0, v48
	v_lshl_add_u64 v[50:51], v[88:89], 2, v[44:45]
	s_mov_b32 s10, 0
	global_store_dword v[50:51], v49, off
	s_cbranch_execz .LBB60_131
; %bb.129:
	v_mov_b32_e32 v46, s10
	s_branch .LBB60_132
.LBB60_130:
                                        ; implicit-def: $sgpr10
.LBB60_131:
	v_lshl_add_u64 v[50:51], v[46:47], 0, v[90:91]
	flat_load_dword v49, v[50:51]
	v_lshl_add_u64 v[50:51], v[44:45], 0, v[90:91]
	v_lshl_add_u64 v[46:47], v[84:85], 2, v[46:47]
	s_waitcnt vmcnt(0) lgkmcnt(0)
	v_mul_f32_e32 v49, s14, v49
	v_min_f32_e32 v48, v49, v48
	global_store_dword v[50:51], v48, off
	flat_load_dword v46, v[46:47]
	s_waitcnt vmcnt(0) lgkmcnt(0)
	v_mul_f32_e32 v46, s14, v46
.LBB60_132:
	v_pk_add_f32 v[40:41], v[0:1], v[40:41]
	s_mov_b64 vcc, s[6:7]
	v_min3_f32 v47, v40, v41, v125
	s_waitcnt lgkmcnt(5)
	v_pk_add_f32 v[40:41], v[16:17], v[36:37]
	s_nop 0
	v_min3_f32 v48, v40, v41, v126
	v_pk_add_f32 v[40:41], v[2:3], v[42:43]
	s_nop 0
	v_min_f32_e32 v42, v40, v41
	v_pk_add_f32 v[40:41], v[18:19], v[38:39]
	v_min3_f32 v42, v46, v42, v47
	v_min3_f32 v48, v40, v41, v48
	v_lshl_add_u64 v[40:41], v[84:85], 2, v[44:45]
	global_store_dword v[40:41], v42, off
	v_add_u32_e32 v42, 0x50, v96
	v_mad_i64_i32 v[40:41], s[2:3], v42, s5, 0
	v_lshl_add_u64 v[40:41], v[40:41], 2, s[0:1]
	v_mad_i64_i32 v[42:43], s[2:3], v42, s4, 0
	v_max_f32_e32 v44, v48, v48
	s_cbranch_vccz .LBB60_135
; %bb.133:
	v_min_f32_e32 v45, 0, v44
	v_lshl_add_u64 v[46:47], v[82:83], 2, v[40:41]
	s_mov_b32 s10, 0
	global_store_dword v[46:47], v45, off
	v_lshl_add_u64 v[42:43], v[42:43], 2, s[8:9]
	s_cbranch_execz .LBB60_136
; %bb.134:
	v_mov_b32_e32 v44, s10
	s_branch .LBB60_137
.LBB60_135:
                                        ; implicit-def: $sgpr10
	v_lshl_add_u64 v[42:43], v[42:43], 2, s[8:9]
.LBB60_136:
	v_lshl_add_u64 v[46:47], v[42:43], 0, v[86:87]
	flat_load_dword v45, v[46:47]
	v_lshl_add_u64 v[46:47], v[40:41], 0, v[86:87]
	s_waitcnt vmcnt(0) lgkmcnt(0)
	v_mul_f32_e32 v45, s14, v45
	v_min_f32_e32 v44, v45, v44
	global_store_dword v[46:47], v44, off
	v_lshl_add_u64 v[44:45], v[80:81], 2, v[42:43]
	flat_load_dword v44, v[44:45]
	s_waitcnt vmcnt(0) lgkmcnt(0)
	v_mul_f32_e32 v44, s14, v44
.LBB60_137:
	v_pk_add_f32 v[46:47], v[12:13], v[36:37]
	s_mov_b64 vcc, s[6:7]
	v_min3_f32 v45, v46, v47, v123
	v_pk_add_f32 v[46:47], v[8:9], v[36:37]
	s_nop 0
	v_min3_f32 v48, v46, v47, v124
	v_pk_add_f32 v[46:47], v[14:15], v[38:39]
	s_nop 0
	v_min_f32_e32 v49, v46, v47
	v_pk_add_f32 v[46:47], v[10:11], v[38:39]
	s_nop 0
	v_min3_f32 v46, v46, v47, v48
	v_min3_f32 v47, v44, v49, v45
	v_lshl_add_u64 v[44:45], v[80:81], 2, v[40:41]
	global_store_dword v[44:45], v47, off
	v_max_f32_e32 v44, v46, v46
	s_cbranch_vccz .LBB60_140
; %bb.138:
	v_min_f32_e32 v45, 0, v44
	v_lshl_add_u64 v[46:47], v[88:89], 2, v[40:41]
	s_mov_b32 s10, 0
	global_store_dword v[46:47], v45, off
	s_cbranch_execz .LBB60_141
; %bb.139:
	v_mov_b32_e32 v42, s10
	s_branch .LBB60_142
.LBB60_140:
                                        ; implicit-def: $sgpr10
.LBB60_141:
	v_lshl_add_u64 v[46:47], v[42:43], 0, v[90:91]
	flat_load_dword v45, v[46:47]
	v_lshl_add_u64 v[46:47], v[40:41], 0, v[90:91]
	v_lshl_add_u64 v[42:43], v[84:85], 2, v[42:43]
	s_waitcnt vmcnt(0) lgkmcnt(0)
	v_mul_f32_e32 v45, s14, v45
	v_min_f32_e32 v44, v45, v44
	global_store_dword v[46:47], v44, off
	flat_load_dword v42, v[42:43]
	s_waitcnt vmcnt(0) lgkmcnt(0)
	v_mul_f32_e32 v42, s14, v42
.LBB60_142:
	v_pk_add_f32 v[36:37], v[0:1], v[36:37]
	s_mov_b64 vcc, s[6:7]
	v_min3_f32 v43, v36, v37, v121
	s_waitcnt lgkmcnt(4)
	v_pk_add_f32 v[36:37], v[16:17], v[32:33]
	s_nop 0
	v_min3_f32 v44, v36, v37, v122
	v_pk_add_f32 v[36:37], v[2:3], v[38:39]
	s_nop 0
	v_min_f32_e32 v38, v36, v37
	v_pk_add_f32 v[36:37], v[18:19], v[34:35]
	v_min3_f32 v38, v42, v38, v43
	v_min3_f32 v44, v36, v37, v44
	v_lshl_add_u64 v[36:37], v[84:85], 2, v[40:41]
	global_store_dword v[36:37], v38, off
	v_add_u32_e32 v38, 0x58, v96
	v_mad_i64_i32 v[36:37], s[2:3], v38, s5, 0
	v_lshl_add_u64 v[36:37], v[36:37], 2, s[0:1]
	v_mad_i64_i32 v[38:39], s[2:3], v38, s4, 0
	v_max_f32_e32 v40, v44, v44
	s_cbranch_vccz .LBB60_145
; %bb.143:
	v_min_f32_e32 v41, 0, v40
	v_lshl_add_u64 v[42:43], v[82:83], 2, v[36:37]
	s_mov_b32 s10, 0
	global_store_dword v[42:43], v41, off
	v_lshl_add_u64 v[38:39], v[38:39], 2, s[8:9]
	s_cbranch_execz .LBB60_146
; %bb.144:
	v_mov_b32_e32 v40, s10
	s_branch .LBB60_147
.LBB60_145:
                                        ; implicit-def: $sgpr10
	v_lshl_add_u64 v[38:39], v[38:39], 2, s[8:9]
.LBB60_146:
	v_lshl_add_u64 v[42:43], v[38:39], 0, v[86:87]
	flat_load_dword v41, v[42:43]
	v_lshl_add_u64 v[42:43], v[36:37], 0, v[86:87]
	s_waitcnt vmcnt(0) lgkmcnt(0)
	v_mul_f32_e32 v41, s14, v41
	v_min_f32_e32 v40, v41, v40
	global_store_dword v[42:43], v40, off
	v_lshl_add_u64 v[40:41], v[80:81], 2, v[38:39]
	flat_load_dword v40, v[40:41]
	s_waitcnt vmcnt(0) lgkmcnt(0)
	v_mul_f32_e32 v40, s14, v40
.LBB60_147:
	v_pk_add_f32 v[42:43], v[12:13], v[32:33]
	s_mov_b64 vcc, s[6:7]
	v_min3_f32 v41, v42, v43, v119
	v_pk_add_f32 v[42:43], v[8:9], v[32:33]
	s_nop 0
	v_min3_f32 v44, v42, v43, v120
	v_pk_add_f32 v[42:43], v[14:15], v[34:35]
	s_nop 0
	v_min_f32_e32 v45, v42, v43
	v_pk_add_f32 v[42:43], v[10:11], v[34:35]
	s_nop 0
	v_min3_f32 v42, v42, v43, v44
	v_min3_f32 v43, v40, v45, v41
	v_lshl_add_u64 v[40:41], v[80:81], 2, v[36:37]
	global_store_dword v[40:41], v43, off
	v_max_f32_e32 v40, v42, v42
	s_cbranch_vccz .LBB60_150
; %bb.148:
	v_min_f32_e32 v41, 0, v40
	v_lshl_add_u64 v[42:43], v[88:89], 2, v[36:37]
	s_mov_b32 s10, 0
	global_store_dword v[42:43], v41, off
	s_cbranch_execz .LBB60_151
; %bb.149:
	v_mov_b32_e32 v38, s10
	s_branch .LBB60_152
.LBB60_150:
                                        ; implicit-def: $sgpr10
.LBB60_151:
	v_lshl_add_u64 v[42:43], v[38:39], 0, v[90:91]
	flat_load_dword v41, v[42:43]
	v_lshl_add_u64 v[42:43], v[36:37], 0, v[90:91]
	v_lshl_add_u64 v[38:39], v[84:85], 2, v[38:39]
	s_waitcnt vmcnt(0) lgkmcnt(0)
	v_mul_f32_e32 v41, s14, v41
	v_min_f32_e32 v40, v41, v40
	global_store_dword v[42:43], v40, off
	flat_load_dword v38, v[38:39]
	s_waitcnt vmcnt(0) lgkmcnt(0)
	v_mul_f32_e32 v38, s14, v38
.LBB60_152:
	v_pk_add_f32 v[32:33], v[0:1], v[32:33]
	s_mov_b64 vcc, s[6:7]
	v_min3_f32 v39, v32, v33, v117
	s_waitcnt lgkmcnt(3)
	v_pk_add_f32 v[32:33], v[16:17], v[28:29]
	s_nop 0
	v_min3_f32 v40, v32, v33, v118
	v_pk_add_f32 v[32:33], v[2:3], v[34:35]
	s_nop 0
	v_min_f32_e32 v34, v32, v33
	v_pk_add_f32 v[32:33], v[18:19], v[30:31]
	v_min3_f32 v34, v38, v34, v39
	v_min3_f32 v40, v32, v33, v40
	v_lshl_add_u64 v[32:33], v[84:85], 2, v[36:37]
	global_store_dword v[32:33], v34, off
	v_add_u32_e32 v34, 0x60, v96
	v_mad_i64_i32 v[32:33], s[2:3], v34, s5, 0
	v_lshl_add_u64 v[32:33], v[32:33], 2, s[0:1]
	v_mad_i64_i32 v[34:35], s[2:3], v34, s4, 0
	v_max_f32_e32 v36, v40, v40
	s_cbranch_vccz .LBB60_155
; %bb.153:
	v_min_f32_e32 v37, 0, v36
	v_lshl_add_u64 v[38:39], v[82:83], 2, v[32:33]
	s_mov_b32 s10, 0
	global_store_dword v[38:39], v37, off
	v_lshl_add_u64 v[34:35], v[34:35], 2, s[8:9]
	s_cbranch_execz .LBB60_156
; %bb.154:
	v_mov_b32_e32 v36, s10
	s_branch .LBB60_157
.LBB60_155:
                                        ; implicit-def: $sgpr10
	v_lshl_add_u64 v[34:35], v[34:35], 2, s[8:9]
.LBB60_156:
	v_lshl_add_u64 v[38:39], v[34:35], 0, v[86:87]
	flat_load_dword v37, v[38:39]
	v_lshl_add_u64 v[38:39], v[32:33], 0, v[86:87]
	s_waitcnt vmcnt(0) lgkmcnt(0)
	v_mul_f32_e32 v37, s14, v37
	v_min_f32_e32 v36, v37, v36
	global_store_dword v[38:39], v36, off
	v_lshl_add_u64 v[36:37], v[80:81], 2, v[34:35]
	flat_load_dword v36, v[36:37]
	s_waitcnt vmcnt(0) lgkmcnt(0)
	v_mul_f32_e32 v36, s14, v36
.LBB60_157:
	v_pk_add_f32 v[38:39], v[12:13], v[28:29]
	s_mov_b64 vcc, s[6:7]
	v_min3_f32 v37, v38, v39, v115
	v_pk_add_f32 v[38:39], v[8:9], v[28:29]
	s_nop 0
	v_min3_f32 v40, v38, v39, v116
	v_pk_add_f32 v[38:39], v[14:15], v[30:31]
	s_nop 0
	v_min_f32_e32 v41, v38, v39
	v_pk_add_f32 v[38:39], v[10:11], v[30:31]
	s_nop 0
	v_min3_f32 v38, v38, v39, v40
	v_min3_f32 v39, v36, v41, v37
	v_lshl_add_u64 v[36:37], v[80:81], 2, v[32:33]
	global_store_dword v[36:37], v39, off
	v_max_f32_e32 v36, v38, v38
	s_cbranch_vccz .LBB60_160
; %bb.158:
	v_min_f32_e32 v37, 0, v36
	v_lshl_add_u64 v[38:39], v[88:89], 2, v[32:33]
	s_mov_b32 s10, 0
	global_store_dword v[38:39], v37, off
	s_cbranch_execz .LBB60_161
; %bb.159:
	v_mov_b32_e32 v34, s10
	s_branch .LBB60_162
.LBB60_160:
                                        ; implicit-def: $sgpr10
.LBB60_161:
	v_lshl_add_u64 v[38:39], v[34:35], 0, v[90:91]
	flat_load_dword v37, v[38:39]
	v_lshl_add_u64 v[38:39], v[32:33], 0, v[90:91]
	v_lshl_add_u64 v[34:35], v[84:85], 2, v[34:35]
	s_waitcnt vmcnt(0) lgkmcnt(0)
	v_mul_f32_e32 v37, s14, v37
	v_min_f32_e32 v36, v37, v36
	global_store_dword v[38:39], v36, off
	flat_load_dword v34, v[34:35]
	s_waitcnt vmcnt(0) lgkmcnt(0)
	v_mul_f32_e32 v34, s14, v34
.LBB60_162:
	v_pk_add_f32 v[28:29], v[0:1], v[28:29]
	s_mov_b64 vcc, s[6:7]
	v_min3_f32 v35, v28, v29, v113
	s_waitcnt lgkmcnt(2)
	v_pk_add_f32 v[28:29], v[16:17], v[24:25]
	s_nop 0
	v_min3_f32 v36, v28, v29, v114
	v_pk_add_f32 v[28:29], v[2:3], v[30:31]
	s_nop 0
	v_min_f32_e32 v30, v28, v29
	v_pk_add_f32 v[28:29], v[18:19], v[26:27]
	v_min3_f32 v30, v34, v30, v35
	v_min3_f32 v36, v28, v29, v36
	v_lshl_add_u64 v[28:29], v[84:85], 2, v[32:33]
	global_store_dword v[28:29], v30, off
	v_add_u32_e32 v30, 0x68, v96
	v_mad_i64_i32 v[28:29], s[2:3], v30, s5, 0
	v_lshl_add_u64 v[28:29], v[28:29], 2, s[0:1]
	v_mad_i64_i32 v[30:31], s[2:3], v30, s4, 0
	v_max_f32_e32 v32, v36, v36
	s_cbranch_vccz .LBB60_165
; %bb.163:
	v_min_f32_e32 v33, 0, v32
	v_lshl_add_u64 v[34:35], v[82:83], 2, v[28:29]
	s_mov_b32 s10, 0
	global_store_dword v[34:35], v33, off
	v_lshl_add_u64 v[30:31], v[30:31], 2, s[8:9]
	s_cbranch_execz .LBB60_166
; %bb.164:
	v_mov_b32_e32 v32, s10
	s_branch .LBB60_167
.LBB60_165:
                                        ; implicit-def: $sgpr10
	v_lshl_add_u64 v[30:31], v[30:31], 2, s[8:9]
.LBB60_166:
	v_lshl_add_u64 v[34:35], v[30:31], 0, v[86:87]
	flat_load_dword v33, v[34:35]
	v_lshl_add_u64 v[34:35], v[28:29], 0, v[86:87]
	s_waitcnt vmcnt(0) lgkmcnt(0)
	v_mul_f32_e32 v33, s14, v33
	v_min_f32_e32 v32, v33, v32
	global_store_dword v[34:35], v32, off
	v_lshl_add_u64 v[32:33], v[80:81], 2, v[30:31]
	flat_load_dword v32, v[32:33]
	s_waitcnt vmcnt(0) lgkmcnt(0)
	v_mul_f32_e32 v32, s14, v32
.LBB60_167:
	v_pk_add_f32 v[34:35], v[12:13], v[24:25]
	s_mov_b64 vcc, s[6:7]
	v_min3_f32 v33, v34, v35, v111
	v_pk_add_f32 v[34:35], v[8:9], v[24:25]
	s_nop 0
	v_min3_f32 v36, v34, v35, v112
	v_pk_add_f32 v[34:35], v[14:15], v[26:27]
	s_nop 0
	v_min_f32_e32 v37, v34, v35
	v_pk_add_f32 v[34:35], v[10:11], v[26:27]
	s_nop 0
	v_min3_f32 v34, v34, v35, v36
	v_min3_f32 v35, v32, v37, v33
	v_lshl_add_u64 v[32:33], v[80:81], 2, v[28:29]
	global_store_dword v[32:33], v35, off
	v_max_f32_e32 v32, v34, v34
	s_cbranch_vccz .LBB60_170
; %bb.168:
	v_min_f32_e32 v33, 0, v32
	v_lshl_add_u64 v[34:35], v[88:89], 2, v[28:29]
	s_mov_b32 s10, 0
	global_store_dword v[34:35], v33, off
	s_cbranch_execz .LBB60_171
; %bb.169:
	v_mov_b32_e32 v30, s10
	s_branch .LBB60_172
.LBB60_170:
                                        ; implicit-def: $sgpr10
.LBB60_171:
	v_lshl_add_u64 v[34:35], v[30:31], 0, v[90:91]
	flat_load_dword v33, v[34:35]
	v_lshl_add_u64 v[34:35], v[28:29], 0, v[90:91]
	v_lshl_add_u64 v[30:31], v[84:85], 2, v[30:31]
	s_waitcnt vmcnt(0) lgkmcnt(0)
	v_mul_f32_e32 v33, s14, v33
	v_min_f32_e32 v32, v33, v32
	global_store_dword v[34:35], v32, off
	flat_load_dword v30, v[30:31]
	s_waitcnt vmcnt(0) lgkmcnt(0)
	v_mul_f32_e32 v30, s14, v30
.LBB60_172:
	v_pk_add_f32 v[24:25], v[0:1], v[24:25]
	s_mov_b64 vcc, s[6:7]
	v_min3_f32 v31, v24, v25, v109
	s_waitcnt lgkmcnt(1)
	v_pk_add_f32 v[24:25], v[16:17], v[20:21]
	s_nop 0
	v_min3_f32 v32, v24, v25, v110
	v_pk_add_f32 v[24:25], v[2:3], v[26:27]
	s_nop 0
	v_min_f32_e32 v26, v24, v25
	v_pk_add_f32 v[24:25], v[18:19], v[22:23]
	v_min3_f32 v26, v30, v26, v31
	v_min3_f32 v32, v24, v25, v32
	v_lshl_add_u64 v[24:25], v[84:85], 2, v[28:29]
	global_store_dword v[24:25], v26, off
	v_add_u32_e32 v26, 0x70, v96
	v_mad_i64_i32 v[24:25], s[2:3], v26, s5, 0
	v_lshl_add_u64 v[24:25], v[24:25], 2, s[0:1]
	v_mad_i64_i32 v[26:27], s[2:3], v26, s4, 0
	v_max_f32_e32 v28, v32, v32
	s_cbranch_vccz .LBB60_175
; %bb.173:
	v_min_f32_e32 v29, 0, v28
	v_lshl_add_u64 v[30:31], v[82:83], 2, v[24:25]
	s_mov_b32 s10, 0
	global_store_dword v[30:31], v29, off
	v_lshl_add_u64 v[26:27], v[26:27], 2, s[8:9]
	s_cbranch_execz .LBB60_176
; %bb.174:
	v_mov_b32_e32 v28, s10
	s_branch .LBB60_177
.LBB60_175:
                                        ; implicit-def: $sgpr10
	v_lshl_add_u64 v[26:27], v[26:27], 2, s[8:9]
.LBB60_176:
	v_lshl_add_u64 v[30:31], v[26:27], 0, v[86:87]
	flat_load_dword v29, v[30:31]
	v_lshl_add_u64 v[30:31], v[24:25], 0, v[86:87]
	s_waitcnt vmcnt(0) lgkmcnt(0)
	v_mul_f32_e32 v29, s14, v29
	v_min_f32_e32 v28, v29, v28
	global_store_dword v[30:31], v28, off
	v_lshl_add_u64 v[28:29], v[80:81], 2, v[26:27]
	flat_load_dword v28, v[28:29]
	s_waitcnt vmcnt(0) lgkmcnt(0)
	v_mul_f32_e32 v28, s14, v28
.LBB60_177:
	v_pk_add_f32 v[30:31], v[12:13], v[20:21]
	s_mov_b64 vcc, s[6:7]
	v_min3_f32 v29, v30, v31, v107
	v_pk_add_f32 v[30:31], v[8:9], v[20:21]
	s_nop 0
	v_min3_f32 v32, v30, v31, v108
	v_pk_add_f32 v[30:31], v[14:15], v[22:23]
	s_nop 0
	v_min_f32_e32 v33, v30, v31
	v_pk_add_f32 v[30:31], v[10:11], v[22:23]
	s_nop 0
	v_min3_f32 v30, v30, v31, v32
	v_min3_f32 v31, v28, v33, v29
	v_lshl_add_u64 v[28:29], v[80:81], 2, v[24:25]
	global_store_dword v[28:29], v31, off
	v_max_f32_e32 v28, v30, v30
	s_cbranch_vccz .LBB60_180
; %bb.178:
	v_min_f32_e32 v29, 0, v28
	v_lshl_add_u64 v[30:31], v[88:89], 2, v[24:25]
	s_mov_b32 s10, 0
	global_store_dword v[30:31], v29, off
	s_cbranch_execz .LBB60_181
; %bb.179:
	v_mov_b32_e32 v26, s10
	s_branch .LBB60_182
.LBB60_180:
                                        ; implicit-def: $sgpr10
.LBB60_181:
	v_lshl_add_u64 v[30:31], v[26:27], 0, v[90:91]
	flat_load_dword v29, v[30:31]
	v_lshl_add_u64 v[30:31], v[24:25], 0, v[90:91]
	v_lshl_add_u64 v[26:27], v[84:85], 2, v[26:27]
	s_waitcnt vmcnt(0) lgkmcnt(0)
	v_mul_f32_e32 v29, s14, v29
	v_min_f32_e32 v28, v29, v28
	global_store_dword v[30:31], v28, off
	flat_load_dword v26, v[26:27]
	s_waitcnt vmcnt(0) lgkmcnt(0)
	v_mul_f32_e32 v26, s14, v26
.LBB60_182:
	v_pk_add_f32 v[20:21], v[0:1], v[20:21]
	s_waitcnt lgkmcnt(0)
	v_pk_add_f32 v[16:17], v[16:17], v[4:5]
	v_min3_f32 v20, v20, v21, v104
	v_min3_f32 v21, v16, v17, v105
	v_pk_add_f32 v[16:17], v[2:3], v[22:23]
	s_mov_b64 vcc, s[6:7]
	v_min_f32_e32 v22, v16, v17
	v_pk_add_f32 v[16:17], v[18:19], v[6:7]
	v_min3_f32 v18, v26, v22, v20
	v_min3_f32 v21, v16, v17, v21
	v_lshl_add_u64 v[16:17], v[84:85], 2, v[24:25]
	global_store_dword v[16:17], v18, off
	v_add_u32_e32 v18, 0x78, v96
	v_mad_i64_i32 v[16:17], s[2:3], v18, s5, 0
	v_lshl_add_u64 v[16:17], v[16:17], 2, s[0:1]
	v_mad_i64_i32 v[18:19], s[0:1], v18, s4, 0
	v_max_f32_e32 v20, v21, v21
	s_cbranch_vccz .LBB60_185
; %bb.183:
	v_min_f32_e32 v21, 0, v20
	v_lshl_add_u64 v[22:23], v[82:83], 2, v[16:17]
	s_mov_b32 s2, 0
	global_store_dword v[22:23], v21, off
	v_lshl_add_u64 v[18:19], v[18:19], 2, s[8:9]
	s_cbranch_execz .LBB60_186
; %bb.184:
	v_mov_b32_e32 v20, s2
	s_branch .LBB60_187
.LBB60_185:
                                        ; implicit-def: $sgpr2
	v_lshl_add_u64 v[18:19], v[18:19], 2, s[8:9]
.LBB60_186:
	v_lshl_add_u64 v[22:23], v[18:19], 0, v[86:87]
	flat_load_dword v21, v[22:23]
	v_lshl_add_u64 v[22:23], v[16:17], 0, v[86:87]
	s_waitcnt vmcnt(0) lgkmcnt(0)
	v_mul_f32_e32 v21, s14, v21
	v_min_f32_e32 v20, v21, v20
	global_store_dword v[22:23], v20, off
	v_lshl_add_u64 v[20:21], v[80:81], 2, v[18:19]
	flat_load_dword v20, v[20:21]
	s_waitcnt vmcnt(0) lgkmcnt(0)
	v_mul_f32_e32 v20, s14, v20
.LBB60_187:
	v_pk_add_f32 v[12:13], v[12:13], v[4:5]
	v_pk_add_f32 v[8:9], v[8:9], v[4:5]
	v_min3_f32 v12, v12, v13, v102
	v_min3_f32 v13, v8, v9, v103
	v_pk_add_f32 v[8:9], v[14:15], v[6:7]
	s_mov_b64 vcc, s[6:7]
	v_min_f32_e32 v14, v8, v9
	v_pk_add_f32 v[8:9], v[10:11], v[6:7]
	v_min3_f32 v11, v20, v14, v12
	v_min3_f32 v10, v8, v9, v13
	v_lshl_add_u64 v[8:9], v[80:81], 2, v[16:17]
	global_store_dword v[8:9], v11, off
	v_max_f32_e32 v8, v10, v10
	s_cbranch_vccz .LBB60_190
; %bb.188:
	v_min_f32_e32 v9, 0, v8
	v_lshl_add_u64 v[10:11], v[88:89], 2, v[16:17]
	s_mov_b32 s2, 0
	global_store_dword v[10:11], v9, off
	s_cbranch_execz .LBB60_191
; %bb.189:
	v_mov_b32_e32 v8, s2
	s_branch .LBB60_192
.LBB60_190:
                                        ; implicit-def: $sgpr2
.LBB60_191:
	v_lshl_add_u64 v[10:11], v[18:19], 0, v[90:91]
	flat_load_dword v9, v[10:11]
	v_lshl_add_u64 v[10:11], v[16:17], 0, v[90:91]
	s_waitcnt vmcnt(0) lgkmcnt(0)
	v_mul_f32_e32 v9, s14, v9
	v_min_f32_e32 v8, v9, v8
	global_store_dword v[10:11], v8, off
	v_lshl_add_u64 v[8:9], v[84:85], 2, v[18:19]
	flat_load_dword v8, v[8:9]
	s_waitcnt vmcnt(0) lgkmcnt(0)
	v_mul_f32_e32 v8, s14, v8
.LBB60_192:
	v_pk_add_f32 v[2:3], v[2:3], v[6:7]
	v_pk_add_f32 v[0:1], v[0:1], v[4:5]
	v_min_f32_e32 v2, v2, v3
	v_min3_f32 v0, v0, v1, v106
	v_min3_f32 v2, v8, v2, v0
	v_lshl_add_u64 v[0:1], v[84:85], 2, v[16:17]
	global_store_dword v[0:1], v2, off
	s_endpgm
	.section	.rodata,"a",@progbits
	.p2align	6, 0x0
	.amdhsa_kernel _ZN12_GLOBAL__N_120geam_min_plus_kernelIf15HIP_vector_typeIfLj2EEfLi32ELi8ELi128ELi128ELi4ELi4ELi64ELi4ELi64ELc84ELc78ELb0ELb0ELb1EPKfS3_fEEviiiT16_PT17_ilS7_ilS5_S7_ilPT18_ili26rocblas_geam_ex_operation_
		.amdhsa_group_segment_fixed_size 8192
		.amdhsa_private_segment_fixed_size 0
		.amdhsa_kernarg_size 136
		.amdhsa_user_sgpr_count 2
		.amdhsa_user_sgpr_dispatch_ptr 0
		.amdhsa_user_sgpr_queue_ptr 0
		.amdhsa_user_sgpr_kernarg_segment_ptr 1
		.amdhsa_user_sgpr_dispatch_id 0
		.amdhsa_user_sgpr_kernarg_preload_length 0
		.amdhsa_user_sgpr_kernarg_preload_offset 0
		.amdhsa_user_sgpr_private_segment_size 0
		.amdhsa_uses_dynamic_stack 0
		.amdhsa_enable_private_segment 0
		.amdhsa_system_sgpr_workgroup_id_x 1
		.amdhsa_system_sgpr_workgroup_id_y 0
		.amdhsa_system_sgpr_workgroup_id_z 1
		.amdhsa_system_sgpr_workgroup_info 0
		.amdhsa_system_vgpr_workitem_id 1
		.amdhsa_next_free_vgpr 206
		.amdhsa_next_free_sgpr 26
		.amdhsa_accum_offset 208
		.amdhsa_reserve_vcc 1
		.amdhsa_float_round_mode_32 0
		.amdhsa_float_round_mode_16_64 0
		.amdhsa_float_denorm_mode_32 3
		.amdhsa_float_denorm_mode_16_64 3
		.amdhsa_dx10_clamp 1
		.amdhsa_ieee_mode 1
		.amdhsa_fp16_overflow 0
		.amdhsa_tg_split 0
		.amdhsa_exception_fp_ieee_invalid_op 0
		.amdhsa_exception_fp_denorm_src 0
		.amdhsa_exception_fp_ieee_div_zero 0
		.amdhsa_exception_fp_ieee_overflow 0
		.amdhsa_exception_fp_ieee_underflow 0
		.amdhsa_exception_fp_ieee_inexact 0
		.amdhsa_exception_int_div_zero 0
	.end_amdhsa_kernel
	.section	.text._ZN12_GLOBAL__N_120geam_min_plus_kernelIf15HIP_vector_typeIfLj2EEfLi32ELi8ELi128ELi128ELi4ELi4ELi64ELi4ELi64ELc84ELc78ELb0ELb0ELb1EPKfS3_fEEviiiT16_PT17_ilS7_ilS5_S7_ilPT18_ili26rocblas_geam_ex_operation_,"axG",@progbits,_ZN12_GLOBAL__N_120geam_min_plus_kernelIf15HIP_vector_typeIfLj2EEfLi32ELi8ELi128ELi128ELi4ELi4ELi64ELi4ELi64ELc84ELc78ELb0ELb0ELb1EPKfS3_fEEviiiT16_PT17_ilS7_ilS5_S7_ilPT18_ili26rocblas_geam_ex_operation_,comdat
.Lfunc_end60:
	.size	_ZN12_GLOBAL__N_120geam_min_plus_kernelIf15HIP_vector_typeIfLj2EEfLi32ELi8ELi128ELi128ELi4ELi4ELi64ELi4ELi64ELc84ELc78ELb0ELb0ELb1EPKfS3_fEEviiiT16_PT17_ilS7_ilS5_S7_ilPT18_ili26rocblas_geam_ex_operation_, .Lfunc_end60-_ZN12_GLOBAL__N_120geam_min_plus_kernelIf15HIP_vector_typeIfLj2EEfLi32ELi8ELi128ELi128ELi4ELi4ELi64ELi4ELi64ELc84ELc78ELb0ELb0ELb1EPKfS3_fEEviiiT16_PT17_ilS7_ilS5_S7_ilPT18_ili26rocblas_geam_ex_operation_
                                        ; -- End function
	.section	.AMDGPU.csdata,"",@progbits
; Kernel info:
; codeLenInByte = 16972
; NumSgprs: 32
; NumVgprs: 206
; NumAgprs: 0
; TotalNumVgprs: 206
; ScratchSize: 0
; MemoryBound: 0
; FloatMode: 240
; IeeeMode: 1
; LDSByteSize: 8192 bytes/workgroup (compile time only)
; SGPRBlocks: 3
; VGPRBlocks: 25
; NumSGPRsForWavesPerEU: 32
; NumVGPRsForWavesPerEU: 206
; AccumOffset: 208
; Occupancy: 2
; WaveLimiterHint : 0
; COMPUTE_PGM_RSRC2:SCRATCH_EN: 0
; COMPUTE_PGM_RSRC2:USER_SGPR: 2
; COMPUTE_PGM_RSRC2:TRAP_HANDLER: 0
; COMPUTE_PGM_RSRC2:TGID_X_EN: 1
; COMPUTE_PGM_RSRC2:TGID_Y_EN: 0
; COMPUTE_PGM_RSRC2:TGID_Z_EN: 1
; COMPUTE_PGM_RSRC2:TIDIG_COMP_CNT: 1
; COMPUTE_PGM_RSRC3_GFX90A:ACCUM_OFFSET: 51
; COMPUTE_PGM_RSRC3_GFX90A:TG_SPLIT: 0
	.section	.text._ZN12_GLOBAL__N_120geam_min_plus_kernelIf15HIP_vector_typeIfLj2EEfLi32ELi8ELi128ELi128ELi4ELi4ELi64ELi4ELi64ELc84ELc78ELb1ELb0ELb1EfKffEEviiiT16_PT17_ilS6_ilS4_S6_ilPT18_ili26rocblas_geam_ex_operation_,"axG",@progbits,_ZN12_GLOBAL__N_120geam_min_plus_kernelIf15HIP_vector_typeIfLj2EEfLi32ELi8ELi128ELi128ELi4ELi4ELi64ELi4ELi64ELc84ELc78ELb1ELb0ELb1EfKffEEviiiT16_PT17_ilS6_ilS4_S6_ilPT18_ili26rocblas_geam_ex_operation_,comdat
	.globl	_ZN12_GLOBAL__N_120geam_min_plus_kernelIf15HIP_vector_typeIfLj2EEfLi32ELi8ELi128ELi128ELi4ELi4ELi64ELi4ELi64ELc84ELc78ELb1ELb0ELb1EfKffEEviiiT16_PT17_ilS6_ilS4_S6_ilPT18_ili26rocblas_geam_ex_operation_ ; -- Begin function _ZN12_GLOBAL__N_120geam_min_plus_kernelIf15HIP_vector_typeIfLj2EEfLi32ELi8ELi128ELi128ELi4ELi4ELi64ELi4ELi64ELc84ELc78ELb1ELb0ELb1EfKffEEviiiT16_PT17_ilS6_ilS4_S6_ilPT18_ili26rocblas_geam_ex_operation_
	.p2align	8
	.type	_ZN12_GLOBAL__N_120geam_min_plus_kernelIf15HIP_vector_typeIfLj2EEfLi32ELi8ELi128ELi128ELi4ELi4ELi64ELi4ELi64ELc84ELc78ELb1ELb0ELb1EfKffEEviiiT16_PT17_ilS6_ilS4_S6_ilPT18_ili26rocblas_geam_ex_operation_,@function
_ZN12_GLOBAL__N_120geam_min_plus_kernelIf15HIP_vector_typeIfLj2EEfLi32ELi8ELi128ELi128ELi4ELi4ELi64ELi4ELi64ELc84ELc78ELb1ELb0ELb1EfKffEEviiiT16_PT17_ilS6_ilS4_S6_ilPT18_ili26rocblas_geam_ex_operation_: ; @_ZN12_GLOBAL__N_120geam_min_plus_kernelIf15HIP_vector_typeIfLj2EEfLi32ELi8ELi128ELi128ELi4ELi4ELi64ELi4ELi64ELc84ELc78ELb1ELb0ELb1EfKffEEviiiT16_PT17_ilS6_ilS4_S6_ilPT18_ili26rocblas_geam_ex_operation_
; %bb.0:
	s_load_dwordx2 s[14:15], s[0:1], 0x8
	s_load_dwordx4 s[4:7], s[0:1], 0x20
	s_waitcnt lgkmcnt(0)
	v_cmp_eq_f32_e64 s[8:9], s15, 0
	s_and_b64 vcc, exec, s[8:9]
	s_cbranch_vccnz .LBB61_3
; %bb.1:
	s_load_dwordx2 s[10:11], s[0:1], 0x10
	s_mul_i32 s5, s3, s5
	s_mul_hi_u32 s12, s3, s4
	s_add_i32 s5, s12, s5
	s_mul_i32 s4, s3, s4
	s_lshl_b64 s[4:5], s[4:5], 2
	s_waitcnt lgkmcnt(0)
	s_add_u32 s16, s10, s4
	s_addc_u32 s17, s11, s5
	s_andn2_b64 vcc, exec, s[8:9]
	s_cbranch_vccnz .LBB61_4
.LBB61_2:
	s_mov_b32 s13, 0
	s_mov_b64 s[18:19], 0
	s_cbranch_execz .LBB61_5
	s_branch .LBB61_6
.LBB61_3:
	s_mov_b64 s[16:17], 0
	s_andn2_b64 vcc, exec, s[8:9]
	s_cbranch_vccz .LBB61_2
.LBB61_4:
                                        ; implicit-def: $sgpr18_sgpr19
                                        ; implicit-def: $sgpr12_sgpr13
.LBB61_5:
	s_load_dwordx2 s[4:5], s[0:1], 0x38
	s_mov_b32 s13, 0
	s_waitcnt lgkmcnt(0)
	s_mul_i32 s5, s3, s5
	s_mul_hi_u32 s8, s3, s4
	s_add_i32 s5, s8, s5
	s_mul_i32 s4, s3, s4
	s_lshl_b64 s[4:5], s[4:5], 2
	s_add_u32 s18, s6, s4
	s_addc_u32 s19, s7, s5
.LBB61_6:
	s_load_dword s12, s[0:1], 0x40
	s_load_dwordx4 s[8:11], s[0:1], 0x58
	s_waitcnt lgkmcnt(0)
	v_cmp_eq_f32_e64 s[4:5], s12, 0
	s_and_b64 s[4:5], exec, s[4:5]
	s_mov_b64 vcc, s[4:5]
	s_cbranch_vccnz .LBB61_8
; %bb.7:
	s_load_dwordx2 s[6:7], s[0:1], 0x48
	s_mul_i32 s9, s3, s9
	s_mul_hi_u32 s15, s3, s8
	s_add_i32 s9, s15, s9
	s_mul_i32 s15, s13, s8
	s_add_i32 s9, s9, s15
	s_mul_i32 s8, s3, s8
	s_lshl_b64 s[8:9], s[8:9], 2
	s_waitcnt lgkmcnt(0)
	s_add_u32 s6, s6, s8
	s_addc_u32 s7, s7, s9
	s_branch .LBB61_9
.LBB61_8:
	s_mov_b64 s[6:7], 0
.LBB61_9:
	s_load_dword s8, s[0:1], 0x0
	s_load_dword s9, s[0:1], 0x18
	;; [unrolled: 1-line block ×3, first 2 shown]
	v_and_b32_e32 v98, 0x3ff, v0
	v_bfe_u32 v99, v0, 10, 10
	s_waitcnt lgkmcnt(0)
	s_add_i32 s8, s8, -1
	s_ashr_i32 s20, s8, 31
	s_lshr_b32 s20, s20, 25
	s_add_i32 s8, s8, s20
	s_ashr_i32 s8, s8, 7
	s_add_i32 s20, s8, 1
	v_cvt_f32_u32_e32 v1, s20
	s_not_b32 s8, s8
	v_and_b32_e32 v2, 3, v98
	v_mov_b32_e32 v81, 0
	v_rcp_iflag_f32_e32 v0, v1
	v_lshl_add_u32 v1, v99, 5, v98
	v_lshrrev_b32_e32 v8, 2, v1
	v_lshlrev_b32_e32 v80, 2, v2
	v_mul_f32_e32 v0, 0x4f7ffffe, v0
	v_cvt_u32_f32_e32 v0, v0
	v_lshlrev_b32_e32 v101, 4, v98
	v_lshl_or_b32 v102, v8, 4, v80
	v_lshlrev_b32_e32 v100, 4, v99
	v_readfirstlane_b32 s21, v0
	s_mul_i32 s8, s8, s21
	s_mul_hi_u32 s8, s21, s8
	s_add_i32 s21, s21, s8
	s_mul_hi_u32 s8, s2, s21
	s_mul_i32 s21, s8, s20
	s_sub_i32 s21, s2, s21
	s_add_i32 s22, s8, 1
	s_sub_i32 s23, s21, s20
	s_cmp_ge_u32 s21, s20
	s_cselect_b32 s8, s22, s8
	s_cselect_b32 s21, s23, s21
	s_add_i32 s22, s8, 1
	s_cmp_ge_u32 s21, s20
	s_cselect_b32 s8, s22, s8
	s_mul_i32 s20, s8, s20
	s_sub_i32 s2, s2, s20
	s_lshl_b32 s8, s8, 7
	s_lshl_b32 s2, s2, 7
	v_add_u32_e32 v4, s2, v8
	v_add_u32_e32 v10, s8, v8
	v_mad_i64_i32 v[78:79], s[20:21], v4, s9, 0
	v_add_u32_e32 v4, 64, v4
	v_mad_i64_i32 v[84:85], s[20:21], v10, s15, 0
	v_add_u32_e32 v10, 64, v10
	v_lshl_add_u64 v[0:1], s[16:17], 0, v[80:81]
	v_mad_i64_i32 v[86:87], s[20:21], v4, s9, 0
	v_lshl_add_u64 v[4:5], s[18:19], 0, v[80:81]
	v_mad_i64_i32 v[82:83], s[20:21], v10, s15, 0
	v_lshl_add_u64 v[2:3], v[78:79], 2, v[0:1]
	v_lshl_add_u64 v[6:7], v[84:85], 2, v[4:5]
	;; [unrolled: 1-line block ×3, first 2 shown]
	flat_load_dword v9, v[2:3]
	v_lshl_add_u64 v[0:1], v[86:87], 2, v[0:1]
	flat_load_dword v11, v[6:7]
	flat_load_dword v10, v[4:5]
	;; [unrolled: 1-line block ×3, first 2 shown]
	s_mov_b32 s9, 0x7f7fffff
	flat_load_dword v88, v[4:5] offset:16
	flat_load_dword v89, v[6:7] offset:16
	;; [unrolled: 1-line block ×4, first 2 shown]
	s_cmp_lt_i32 s14, 9
	s_waitcnt vmcnt(0) lgkmcnt(0)
	ds_write2st64_b32 v102, v11, v10 offset0:16 offset1:20
	ds_write2st64_b32 v102, v9, v12 offset1:4
	s_waitcnt lgkmcnt(0)
	s_barrier
	ds_read_b128 v[12:15], v101
	ds_read_b128 v[8:11], v101 offset:512
	ds_read_b128 v[4:7], v101 offset:1024
	ds_read_b128 v[0:3], v101 offset:1536
	ds_read_b128 v[70:73], v100 offset:4096
	ds_read_b128 v[66:69], v100 offset:4224
	ds_read_b128 v[62:65], v100 offset:4352
	ds_read_b128 v[58:61], v100 offset:4480
	ds_read_b128 v[54:57], v100 offset:4608
	ds_read_b128 v[50:53], v100 offset:4736
	ds_read_b128 v[44:47], v100 offset:4864
	ds_read_b128 v[40:43], v100 offset:4992
	ds_read_b128 v[36:39], v100 offset:5120
	ds_read_b128 v[32:35], v100 offset:5248
	ds_read_b128 v[28:31], v100 offset:5376
	ds_read_b128 v[24:27], v100 offset:5504
	ds_read_b128 v[20:23], v100 offset:5632
	ds_read_b128 v[16:19], v100 offset:5760
	s_waitcnt lgkmcnt(13)
	v_pk_add_f32 v[48:49], v[12:13], v[70:71]
	s_waitcnt lgkmcnt(9)
	v_pk_add_f32 v[116:117], v[12:13], v[54:55]
	v_min3_f32 v103, v48, v49, s9
	v_pk_add_f32 v[48:49], v[0:1], v[54:55]
	v_pk_add_f32 v[118:119], v[8:9], v[54:55]
	;; [unrolled: 1-line block ×3, first 2 shown]
	v_min3_f32 v54, v48, v49, s9
	s_waitcnt lgkmcnt(8)
	v_pk_add_f32 v[48:49], v[12:13], v[50:51]
	v_pk_add_f32 v[74:75], v[8:9], v[70:71]
	;; [unrolled: 1-line block ×7, first 2 shown]
	v_min3_f32 v55, v48, v49, s9
	v_pk_add_f32 v[48:49], v[8:9], v[50:51]
	v_min3_f32 v70, v70, v71, s9
	v_min3_f32 v71, v92, v93, s9
	;; [unrolled: 1-line block ×5, first 2 shown]
	v_pk_add_f32 v[48:49], v[4:5], v[50:51]
	v_pk_add_f32 v[108:109], v[4:5], v[62:63]
	v_min3_f32 v107, v48, v49, s9
	v_pk_add_f32 v[48:49], v[0:1], v[50:51]
	v_min3_f32 v95, v108, v109, s9
	v_min3_f32 v108, v48, v49, s9
	s_waitcnt lgkmcnt(7)
	v_pk_add_f32 v[48:49], v[12:13], v[44:45]
	v_pk_add_f32 v[104:105], v[12:13], v[62:63]
	;; [unrolled: 1-line block ×4, first 2 shown]
	v_min3_f32 v109, v48, v49, s9
	v_pk_add_f32 v[48:49], v[8:9], v[44:45]
	v_pk_add_f32 v[96:97], v[4:5], v[66:67]
	;; [unrolled: 1-line block ×3, first 2 shown]
	v_min3_f32 v62, v62, v63, s9
	v_min3_f32 v63, v110, v111, s9
	;; [unrolled: 1-line block ×3, first 2 shown]
	v_pk_add_f32 v[48:49], v[4:5], v[44:45]
	v_pk_add_f32 v[44:45], v[0:1], v[44:45]
	v_min3_f32 v93, v96, v97, s9
	v_min3_f32 v96, v112, v113, s9
	;; [unrolled: 1-line block ×3, first 2 shown]
	s_waitcnt lgkmcnt(6)
	v_pk_add_f32 v[44:45], v[12:13], v[40:41]
	v_pk_add_f32 v[114:115], v[4:5], v[58:59]
	v_min3_f32 v113, v44, v45, s9
	v_pk_add_f32 v[44:45], v[8:9], v[40:41]
	v_min3_f32 v97, v114, v115, s9
	v_min3_f32 v114, v44, v45, s9
	v_pk_add_f32 v[44:45], v[4:5], v[40:41]
	v_pk_add_f32 v[40:41], v[0:1], v[40:41]
	v_min3_f32 v44, v44, v45, s9
	v_min3_f32 v45, v40, v41, s9
	s_waitcnt lgkmcnt(5)
	v_pk_add_f32 v[40:41], v[12:13], v[36:37]
	v_pk_add_f32 v[58:59], v[0:1], v[58:59]
	v_min3_f32 v115, v40, v41, s9
	v_pk_add_f32 v[40:41], v[8:9], v[36:37]
	v_min3_f32 v58, v58, v59, s9
	v_min3_f32 v59, v116, v117, s9
	;; [unrolled: 1-line block ×3, first 2 shown]
	v_pk_add_f32 v[40:41], v[4:5], v[36:37]
	v_pk_add_f32 v[36:37], v[0:1], v[36:37]
	v_min3_f32 v40, v40, v41, s9
	v_min3_f32 v41, v36, v37, s9
	s_waitcnt lgkmcnt(4)
	v_pk_add_f32 v[36:37], v[12:13], v[32:33]
	v_pk_add_f32 v[66:67], v[0:1], v[66:67]
	v_min3_f32 v117, v36, v37, s9
	v_pk_add_f32 v[36:37], v[8:9], v[32:33]
	v_min3_f32 v66, v66, v67, s9
	v_min3_f32 v67, v104, v105, s9
	;; [unrolled: 1-line block ×4, first 2 shown]
	v_pk_add_f32 v[36:37], v[4:5], v[32:33]
	v_pk_add_f32 v[32:33], v[0:1], v[32:33]
	v_min3_f32 v36, v36, v37, s9
	v_min3_f32 v37, v32, v33, s9
	s_waitcnt lgkmcnt(3)
	v_pk_add_f32 v[32:33], v[12:13], v[28:29]
	v_min3_f32 v105, v120, v121, s9
	v_min3_f32 v119, v32, v33, s9
	v_pk_add_f32 v[32:33], v[8:9], v[28:29]
	v_min3_f32 v111, v48, v49, s9
	v_min3_f32 v120, v32, v33, s9
	v_pk_add_f32 v[32:33], v[4:5], v[28:29]
	v_pk_add_f32 v[28:29], v[0:1], v[28:29]
	v_min3_f32 v32, v32, v33, s9
	v_min3_f32 v33, v28, v29, s9
	s_waitcnt lgkmcnt(2)
	v_pk_add_f32 v[28:29], v[12:13], v[24:25]
	ds_read_b128 v[48:51], v100 offset:5888
	v_min3_f32 v121, v28, v29, s9
	v_pk_add_f32 v[28:29], v[8:9], v[24:25]
	v_min3_f32 v122, v74, v75, s9
	v_min3_f32 v126, v28, v29, s9
	v_pk_add_f32 v[28:29], v[4:5], v[24:25]
	v_pk_add_f32 v[24:25], v[0:1], v[24:25]
	v_min3_f32 v28, v28, v29, s9
	v_min3_f32 v29, v24, v25, s9
	s_waitcnt lgkmcnt(2)
	v_pk_add_f32 v[24:25], v[12:13], v[20:21]
	v_min3_f32 v123, v76, v77, s9
	ds_read_b128 v[74:77], v100 offset:6016
	v_min3_f32 v127, v24, v25, s9
	v_pk_add_f32 v[24:25], v[8:9], v[20:21]
	ds_write2st64_b32 v102, v91, v90 offset0:8 offset1:12
	ds_write2st64_b32 v102, v89, v88 offset0:24 offset1:28
	v_min3_f32 v129, v24, v25, s9
	v_pk_add_f32 v[24:25], v[4:5], v[20:21]
	v_pk_add_f32 v[20:21], v[0:1], v[20:21]
	v_min3_f32 v24, v24, v25, s9
	v_min3_f32 v25, v20, v21, s9
	s_waitcnt lgkmcnt(4)
	v_pk_add_f32 v[20:21], v[12:13], v[16:17]
	s_waitcnt lgkmcnt(0)
	v_min3_f32 v130, v20, v21, s9
	v_pk_add_f32 v[20:21], v[8:9], v[16:17]
	s_barrier
	v_min3_f32 v131, v20, v21, s9
	v_pk_add_f32 v[20:21], v[4:5], v[16:17]
	v_pk_add_f32 v[16:17], v[0:1], v[16:17]
	v_min3_f32 v20, v20, v21, s9
	v_min3_f32 v21, v16, v17, s9
	v_pk_add_f32 v[16:17], v[12:13], v[48:49]
	v_pk_add_f32 v[12:13], v[12:13], v[74:75]
	v_min3_f32 v132, v16, v17, s9
	v_pk_add_f32 v[16:17], v[8:9], v[48:49]
	v_min3_f32 v12, v12, v13, s9
	v_min3_f32 v173, v16, v17, s9
	v_pk_add_f32 v[16:17], v[4:5], v[48:49]
	v_pk_add_f32 v[4:5], v[4:5], v[74:75]
	v_min3_f32 v174, v16, v17, s9
	v_pk_add_f32 v[16:17], v[0:1], v[48:49]
	v_pk_add_f32 v[0:1], v[0:1], v[74:75]
	v_min3_f32 v4, v4, v5, s9
	v_min3_f32 v5, v0, v1, s9
	v_pk_add_f32 v[0:1], v[14:15], v[64:65]
	v_min3_f32 v48, v16, v17, s9
	v_min3_f32 v165, v0, v1, v67
	v_pk_add_f32 v[0:1], v[10:11], v[64:65]
	v_pk_add_f32 v[16:17], v[14:15], v[72:73]
	v_min3_f32 v162, v0, v1, v94
	v_pk_add_f32 v[0:1], v[6:7], v[64:65]
	v_min3_f32 v172, v16, v17, v103
	v_min3_f32 v163, v0, v1, v95
	v_pk_add_f32 v[0:1], v[2:3], v[64:65]
	v_pk_add_f32 v[16:17], v[10:11], v[72:73]
	;; [unrolled: 6-line block ×4, first 2 shown]
	v_min3_f32 v156, v0, v1, v58
	v_pk_add_f32 v[0:1], v[14:15], v[56:57]
	v_pk_add_f32 v[8:9], v[8:9], v[74:75]
	v_min3_f32 v157, v0, v1, v59
	v_pk_add_f32 v[0:1], v[10:11], v[56:57]
	v_min3_f32 v168, v16, v17, v70
	v_min3_f32 v154, v0, v1, v104
	v_pk_add_f32 v[0:1], v[6:7], v[56:57]
	v_pk_add_f32 v[16:17], v[14:15], v[68:69]
	v_min3_f32 v155, v0, v1, v105
	v_pk_add_f32 v[0:1], v[2:3], v[56:57]
	v_min3_f32 v13, v8, v9, s9
	v_min3_f32 v152, v0, v1, v54
	v_pk_add_f32 v[0:1], v[14:15], v[52:53]
	v_min3_f32 v169, v16, v17, v71
	v_min3_f32 v153, v0, v1, v55
	v_pk_add_f32 v[0:1], v[10:11], v[52:53]
	v_pk_add_f32 v[16:17], v[10:11], v[68:69]
	v_min3_f32 v150, v0, v1, v106
	v_pk_add_f32 v[0:1], v[6:7], v[52:53]
	v_min3_f32 v166, v16, v17, v92
	v_min3_f32 v151, v0, v1, v107
	v_pk_add_f32 v[0:1], v[2:3], v[52:53]
	v_pk_add_f32 v[16:17], v[6:7], v[68:69]
	v_min3_f32 v148, v0, v1, v108
	v_pk_add_f32 v[0:1], v[14:15], v[46:47]
	v_pk_add_f32 v[8:9], v[2:3], v[68:69]
	v_min3_f32 v149, v0, v1, v109
	v_pk_add_f32 v[0:1], v[10:11], v[46:47]
	v_min3_f32 v167, v16, v17, v93
	v_min3_f32 v146, v0, v1, v110
	v_pk_add_f32 v[0:1], v[6:7], v[46:47]
	v_min3_f32 v164, v8, v9, v66
	v_min3_f32 v147, v0, v1, v111
	v_pk_add_f32 v[0:1], v[2:3], v[46:47]
	s_nop 0
	v_min3_f32 v144, v0, v1, v112
	v_pk_add_f32 v[0:1], v[14:15], v[42:43]
	s_nop 0
	;; [unrolled: 3-line block ×37, first 2 shown]
	v_min3_f32 v107, v0, v1, v5
	s_cbranch_scc1 .LBB61_12
; %bb.10:
	v_mov_b32_e32 v0, 0x800
	v_lshl_add_u32 v131, v98, 4, v0
	v_mov_b32_e32 v0, 0x1800
	v_add_u32_e32 v126, 0x1000, v102
	v_add_u32_e32 v127, 0x1000, v100
	;; [unrolled: 1-line block ×4, first 2 shown]
	s_add_i32 s9, s14, -8
	v_lshl_add_u32 v132, v99, 4, v0
	v_lshl_add_u64 v[82:83], v[82:83], 2, s[18:19]
	v_lshl_add_u64 v[84:85], v[84:85], 2, s[18:19]
	;; [unrolled: 1-line block ×4, first 2 shown]
	s_mov_b32 s14, 0
.LBB61_11:                              ; =>This Inner Loop Header: Depth=1
	v_lshl_add_u64 v[94:95], v[88:89], 0, v[80:81]
	v_lshl_add_u64 v[90:91], v[86:87], 0, v[80:81]
	;; [unrolled: 1-line block ×4, first 2 shown]
	flat_load_dword v173, v[94:95] offset:32
	flat_load_dword v174, v[90:91] offset:32
	;; [unrolled: 1-line block ×4, first 2 shown]
	ds_read_b128 v[12:15], v131
	ds_read_b128 v[8:11], v131 offset:512
	ds_read_b128 v[4:7], v131 offset:1024
	;; [unrolled: 1-line block ×3, first 2 shown]
	ds_read_b128 v[76:79], v132
	ds_read_b128 v[72:75], v132 offset:128
	ds_read_b128 v[68:71], v132 offset:256
	;; [unrolled: 1-line block ×15, first 2 shown]
	s_waitcnt lgkmcnt(0)
	v_pk_add_f32 v[178:179], v[12:13], v[76:77]
	s_add_i32 s14, s14, 8
	v_min3_f32 v172, v178, v179, v172
	v_pk_add_f32 v[178:179], v[8:9], v[76:77]
	v_lshl_add_u64 v[82:83], v[82:83], 0, 32
	v_min3_f32 v171, v178, v179, v171
	v_pk_add_f32 v[178:179], v[4:5], v[76:77]
	v_pk_add_f32 v[76:77], v[0:1], v[76:77]
	v_min3_f32 v170, v178, v179, v170
	v_min3_f32 v168, v76, v77, v168
	v_pk_add_f32 v[76:77], v[12:13], v[72:73]
	v_lshl_add_u64 v[84:85], v[84:85], 0, 32
	v_min3_f32 v169, v76, v77, v169
	v_pk_add_f32 v[76:77], v[8:9], v[72:73]
	v_lshl_add_u64 v[86:87], v[86:87], 0, 32
	v_min3_f32 v166, v76, v77, v166
	v_pk_add_f32 v[76:77], v[4:5], v[72:73]
	v_pk_add_f32 v[72:73], v[0:1], v[72:73]
	v_min3_f32 v167, v76, v77, v167
	v_min3_f32 v164, v72, v73, v164
	v_pk_add_f32 v[72:73], v[12:13], v[68:69]
	v_lshl_add_u64 v[88:89], v[88:89], 0, 32
	v_min3_f32 v165, v72, v73, v165
	v_pk_add_f32 v[72:73], v[8:9], v[68:69]
	s_cmp_ge_i32 s14, s9
	v_min3_f32 v162, v72, v73, v162
	v_pk_add_f32 v[72:73], v[4:5], v[68:69]
	v_pk_add_f32 v[68:69], v[0:1], v[68:69]
	v_min3_f32 v163, v72, v73, v163
	v_min3_f32 v160, v68, v69, v160
	v_pk_add_f32 v[68:69], v[12:13], v[64:65]
	s_waitcnt vmcnt(0)
	ds_write2st64_b32 v102, v173, v174 offset1:4
	ds_write2st64_b32 v126, v175, v176 offset1:4
	v_min3_f32 v161, v68, v69, v161
	v_pk_add_f32 v[68:69], v[8:9], v[64:65]
	s_waitcnt lgkmcnt(0)
	v_min3_f32 v158, v68, v69, v158
	v_pk_add_f32 v[68:69], v[4:5], v[64:65]
	v_pk_add_f32 v[64:65], v[0:1], v[64:65]
	v_min3_f32 v159, v68, v69, v159
	v_min3_f32 v156, v64, v65, v156
	v_pk_add_f32 v[64:65], v[12:13], v[60:61]
	s_barrier
	v_min3_f32 v157, v64, v65, v157
	v_pk_add_f32 v[64:65], v[8:9], v[60:61]
	s_nop 0
	v_min3_f32 v154, v64, v65, v154
	v_pk_add_f32 v[64:65], v[4:5], v[60:61]
	v_pk_add_f32 v[60:61], v[0:1], v[60:61]
	v_min3_f32 v155, v64, v65, v155
	v_min3_f32 v152, v60, v61, v152
	v_pk_add_f32 v[60:61], v[12:13], v[56:57]
	flat_load_dword v94, v[94:95] offset:48
	s_nop 0
	flat_load_dword v95, v[90:91] offset:48
	flat_load_dword v173, v[92:93] offset:48
	;; [unrolled: 1-line block ×3, first 2 shown]
	v_min3_f32 v153, v60, v61, v153
	v_pk_add_f32 v[60:61], v[8:9], v[56:57]
	s_nop 0
	v_min3_f32 v150, v60, v61, v150
	v_pk_add_f32 v[60:61], v[4:5], v[56:57]
	v_pk_add_f32 v[56:57], v[0:1], v[56:57]
	v_min3_f32 v151, v60, v61, v151
	v_min3_f32 v148, v56, v57, v148
	v_pk_add_f32 v[56:57], v[12:13], v[52:53]
	s_nop 0
	v_min3_f32 v149, v56, v57, v149
	v_pk_add_f32 v[56:57], v[8:9], v[52:53]
	s_nop 0
	v_min3_f32 v146, v56, v57, v146
	v_pk_add_f32 v[56:57], v[4:5], v[52:53]
	v_pk_add_f32 v[52:53], v[0:1], v[52:53]
	v_min3_f32 v147, v56, v57, v147
	v_min3_f32 v177, v52, v53, v144
	v_pk_add_f32 v[52:53], v[12:13], v[48:49]
	s_nop 0
	;; [unrolled: 10-line block ×8, first 2 shown]
	v_min3_f32 v36, v28, v29, v115
	v_pk_add_f32 v[28:29], v[8:9], v[24:25]
	s_nop 0
	v_min3_f32 v33, v28, v29, v112
	v_pk_add_f32 v[28:29], v[4:5], v[24:25]
	v_pk_add_f32 v[24:25], v[0:1], v[24:25]
	v_min3_f32 v32, v28, v29, v113
	v_min3_f32 v29, v24, v25, v110
	v_pk_add_f32 v[24:25], v[12:13], v[20:21]
	v_pk_add_f32 v[12:13], v[12:13], v[16:17]
	v_min3_f32 v28, v24, v25, v111
	v_pk_add_f32 v[24:25], v[8:9], v[20:21]
	v_pk_add_f32 v[110:111], v[4:5], v[20:21]
	;; [unrolled: 1-line block ×7, first 2 shown]
	v_min3_f32 v25, v24, v25, v108
	v_min3_f32 v108, v16, v17, v172
	v_pk_add_f32 v[16:17], v[10:11], v[78:79]
	v_min3_f32 v12, v12, v13, v106
	v_min3_f32 v106, v16, v17, v171
	v_pk_add_f32 v[16:17], v[6:7], v[78:79]
	;; [unrolled: 3-line block ×7, first 2 shown]
	s_nop 0
	v_min3_f32 v110, v16, v17, v164
	v_pk_add_f32 v[16:17], v[14:15], v[70:71]
	s_nop 0
	v_min3_f32 v111, v16, v17, v165
	v_pk_add_f32 v[16:17], v[10:11], v[70:71]
	s_nop 0
	v_min3_f32 v112, v16, v17, v162
	v_pk_add_f32 v[16:17], v[6:7], v[70:71]
	s_nop 0
	v_min3_f32 v113, v16, v17, v163
	v_pk_add_f32 v[16:17], v[2:3], v[70:71]
	s_nop 0
	v_min3_f32 v114, v16, v17, v160
	v_pk_add_f32 v[16:17], v[14:15], v[66:67]
	s_nop 0
	v_min3_f32 v115, v16, v17, v161
	v_pk_add_f32 v[16:17], v[10:11], v[66:67]
	s_nop 0
	v_min3_f32 v116, v16, v17, v158
	v_pk_add_f32 v[16:17], v[6:7], v[66:67]
	s_nop 0
	v_min3_f32 v117, v16, v17, v159
	v_pk_add_f32 v[16:17], v[2:3], v[66:67]
	s_nop 0
	v_min3_f32 v118, v16, v17, v156
	v_pk_add_f32 v[16:17], v[14:15], v[62:63]
	s_nop 0
	v_min3_f32 v119, v16, v17, v157
	v_pk_add_f32 v[16:17], v[10:11], v[62:63]
	s_nop 0
	v_min3_f32 v120, v16, v17, v154
	v_pk_add_f32 v[16:17], v[6:7], v[62:63]
	s_nop 0
	v_min3_f32 v121, v16, v17, v155
	v_pk_add_f32 v[16:17], v[2:3], v[62:63]
	s_nop 0
	v_min3_f32 v122, v16, v17, v152
	v_pk_add_f32 v[16:17], v[14:15], v[58:59]
	s_nop 0
	v_min3_f32 v123, v16, v17, v153
	v_pk_add_f32 v[16:17], v[10:11], v[58:59]
	s_nop 0
	v_min3_f32 v124, v16, v17, v150
	v_pk_add_f32 v[16:17], v[6:7], v[58:59]
	s_nop 0
	v_min3_f32 v125, v16, v17, v151
	v_pk_add_f32 v[16:17], v[2:3], v[58:59]
	s_nop 0
	v_min3_f32 v128, v16, v17, v148
	v_pk_add_f32 v[16:17], v[14:15], v[54:55]
	s_nop 0
	v_min3_f32 v133, v16, v17, v149
	v_pk_add_f32 v[16:17], v[10:11], v[54:55]
	s_nop 0
	v_min3_f32 v134, v16, v17, v146
	v_pk_add_f32 v[16:17], v[6:7], v[54:55]
	s_nop 0
	v_min3_f32 v135, v16, v17, v147
	v_pk_add_f32 v[16:17], v[2:3], v[54:55]
	s_nop 0
	v_min3_f32 v136, v16, v17, v177
	v_pk_add_f32 v[16:17], v[14:15], v[50:51]
	s_nop 0
	v_min3_f32 v137, v16, v17, v145
	v_pk_add_f32 v[16:17], v[10:11], v[50:51]
	s_nop 0
	v_min3_f32 v138, v16, v17, v144
	v_pk_add_f32 v[16:17], v[6:7], v[50:51]
	s_nop 0
	v_min3_f32 v139, v16, v17, v142
	v_pk_add_f32 v[16:17], v[2:3], v[50:51]
	s_nop 0
	v_min3_f32 v140, v16, v17, v77
	v_pk_add_f32 v[16:17], v[14:15], v[46:47]
	s_nop 0
	v_min3_f32 v144, v16, v17, v76
	v_pk_add_f32 v[16:17], v[10:11], v[46:47]
	s_nop 0
	v_min3_f32 v146, v16, v17, v73
	v_pk_add_f32 v[16:17], v[6:7], v[46:47]
	s_nop 0
	v_min3_f32 v147, v16, v17, v72
	v_pk_add_f32 v[16:17], v[2:3], v[46:47]
	s_nop 0
	v_min3_f32 v148, v16, v17, v69
	v_pk_add_f32 v[16:17], v[14:15], v[42:43]
	s_nop 0
	v_min3_f32 v150, v16, v17, v68
	v_pk_add_f32 v[16:17], v[10:11], v[42:43]
	s_nop 0
	v_min3_f32 v152, v16, v17, v65
	v_pk_add_f32 v[16:17], v[6:7], v[42:43]
	s_nop 0
	v_min3_f32 v154, v16, v17, v64
	v_pk_add_f32 v[16:17], v[2:3], v[42:43]
	s_nop 0
	v_min3_f32 v156, v16, v17, v61
	v_pk_add_f32 v[16:17], v[14:15], v[38:39]
	s_nop 0
	v_min3_f32 v157, v16, v17, v60
	v_pk_add_f32 v[16:17], v[10:11], v[38:39]
	s_nop 0
	v_min3_f32 v158, v16, v17, v57
	v_pk_add_f32 v[16:17], v[6:7], v[38:39]
	s_nop 0
	v_min3_f32 v159, v16, v17, v56
	v_pk_add_f32 v[16:17], v[2:3], v[38:39]
	s_nop 0
	v_min3_f32 v160, v16, v17, v53
	v_pk_add_f32 v[16:17], v[14:15], v[34:35]
	s_nop 0
	v_min3_f32 v161, v16, v17, v52
	v_pk_add_f32 v[16:17], v[10:11], v[34:35]
	s_nop 0
	v_min3_f32 v162, v16, v17, v49
	v_pk_add_f32 v[16:17], v[6:7], v[34:35]
	s_nop 0
	v_min3_f32 v163, v16, v17, v48
	v_pk_add_f32 v[16:17], v[2:3], v[34:35]
	s_nop 0
	v_min3_f32 v164, v16, v17, v45
	v_pk_add_f32 v[16:17], v[14:15], v[30:31]
	s_nop 0
	v_min3_f32 v165, v16, v17, v44
	v_pk_add_f32 v[16:17], v[10:11], v[30:31]
	s_nop 0
	v_min3_f32 v166, v16, v17, v41
	v_pk_add_f32 v[16:17], v[6:7], v[30:31]
	s_nop 0
	v_min3_f32 v167, v16, v17, v40
	v_pk_add_f32 v[16:17], v[2:3], v[30:31]
	s_nop 0
	v_min3_f32 v168, v16, v17, v37
	v_pk_add_f32 v[16:17], v[14:15], v[26:27]
	s_nop 0
	v_min3_f32 v169, v16, v17, v36
	v_pk_add_f32 v[16:17], v[10:11], v[26:27]
	s_nop 0
	v_min3_f32 v170, v16, v17, v33
	v_pk_add_f32 v[16:17], v[6:7], v[26:27]
	s_nop 0
	v_min3_f32 v171, v16, v17, v32
	v_pk_add_f32 v[16:17], v[2:3], v[26:27]
	s_nop 0
	v_min3_f32 v172, v16, v17, v29
	v_pk_add_f32 v[16:17], v[14:15], v[22:23]
	v_pk_add_f32 v[14:15], v[14:15], v[18:19]
	v_min3_f32 v177, v16, v17, v28
	v_pk_add_f32 v[16:17], v[10:11], v[22:23]
	v_pk_add_f32 v[10:11], v[10:11], v[18:19]
	v_min3_f32 v178, v16, v17, v25
	v_pk_add_f32 v[16:17], v[6:7], v[22:23]
	v_pk_add_f32 v[6:7], v[6:7], v[18:19]
	v_min3_f32 v179, v16, v17, v24
	v_pk_add_f32 v[16:17], v[2:3], v[22:23]
	v_pk_add_f32 v[2:3], v[2:3], v[18:19]
	v_min3_f32 v180, v16, v17, v20
	v_min3_f32 v181, v14, v15, v12
	;; [unrolled: 1-line block ×5, first 2 shown]
	ds_read_b128 v[12:15], v101
	ds_read_b128 v[8:11], v101 offset:512
	ds_read_b128 v[4:7], v101 offset:1024
	;; [unrolled: 1-line block ×3, first 2 shown]
	ds_read_b128 v[76:79], v127
	ds_read_b128 v[72:75], v127 offset:128
	ds_read_b128 v[68:71], v127 offset:256
	;; [unrolled: 1-line block ×15, first 2 shown]
	s_waitcnt lgkmcnt(0)
	v_pk_add_f32 v[90:91], v[12:13], v[76:77]
	s_waitcnt vmcnt(0)
	ds_write2st64_b32 v129, v94, v95 offset1:4
	ds_write2st64_b32 v130, v173, v174 offset1:4
	v_min3_f32 v175, v90, v91, v108
	v_pk_add_f32 v[90:91], v[8:9], v[76:77]
	s_waitcnt lgkmcnt(0)
	v_min3_f32 v176, v90, v91, v106
	v_pk_add_f32 v[90:91], v[4:5], v[76:77]
	v_pk_add_f32 v[76:77], v[0:1], v[76:77]
	v_min3_f32 v185, v90, v91, v104
	v_min3_f32 v186, v76, v77, v103
	v_pk_add_f32 v[76:77], v[12:13], v[72:73]
	s_barrier
	v_min3_f32 v155, v76, v77, v105
	v_pk_add_f32 v[76:77], v[8:9], v[72:73]
	s_nop 0
	v_min3_f32 v153, v76, v77, v107
	v_pk_add_f32 v[76:77], v[4:5], v[72:73]
	v_pk_add_f32 v[72:73], v[0:1], v[72:73]
	v_min3_f32 v151, v76, v77, v109
	v_min3_f32 v149, v72, v73, v110
	v_pk_add_f32 v[72:73], v[12:13], v[68:69]
	s_nop 0
	v_min3_f32 v145, v72, v73, v111
	v_pk_add_f32 v[72:73], v[8:9], v[68:69]
	s_nop 0
	v_min3_f32 v143, v72, v73, v112
	v_pk_add_f32 v[72:73], v[4:5], v[68:69]
	v_pk_add_f32 v[68:69], v[0:1], v[68:69]
	v_min3_f32 v142, v72, v73, v113
	v_min3_f32 v141, v68, v69, v114
	v_pk_add_f32 v[68:69], v[12:13], v[64:65]
	s_nop 0
	v_min3_f32 v115, v68, v69, v115
	v_pk_add_f32 v[68:69], v[8:9], v[64:65]
	s_nop 0
	v_min3_f32 v114, v68, v69, v116
	v_pk_add_f32 v[68:69], v[4:5], v[64:65]
	v_pk_add_f32 v[64:65], v[0:1], v[64:65]
	v_min3_f32 v113, v68, v69, v117
	v_min3_f32 v112, v64, v65, v118
	v_pk_add_f32 v[64:65], v[12:13], v[60:61]
	v_pk_add_f32 v[116:117], v[4:5], v[20:21]
	v_min3_f32 v111, v64, v65, v119
	v_pk_add_f32 v[64:65], v[8:9], v[60:61]
	s_nop 0
	v_min3_f32 v110, v64, v65, v120
	v_pk_add_f32 v[64:65], v[4:5], v[60:61]
	v_pk_add_f32 v[60:61], v[0:1], v[60:61]
	v_min3_f32 v109, v64, v65, v121
	v_min3_f32 v108, v60, v61, v122
	v_pk_add_f32 v[60:61], v[12:13], v[56:57]
	s_nop 0
	v_min3_f32 v107, v60, v61, v123
	v_pk_add_f32 v[60:61], v[8:9], v[56:57]
	s_nop 0
	v_min3_f32 v106, v60, v61, v124
	v_pk_add_f32 v[60:61], v[4:5], v[56:57]
	v_pk_add_f32 v[56:57], v[0:1], v[56:57]
	v_min3_f32 v105, v60, v61, v125
	v_min3_f32 v104, v56, v57, v128
	v_pk_add_f32 v[56:57], v[12:13], v[52:53]
	s_nop 0
	;; [unrolled: 10-line block ×9, first 2 shown]
	v_min3_f32 v36, v28, v29, v169
	v_pk_add_f32 v[28:29], v[8:9], v[24:25]
	s_nop 0
	v_min3_f32 v33, v28, v29, v170
	v_pk_add_f32 v[28:29], v[4:5], v[24:25]
	v_pk_add_f32 v[24:25], v[0:1], v[24:25]
	v_min3_f32 v32, v28, v29, v171
	v_min3_f32 v29, v24, v25, v172
	v_pk_add_f32 v[24:25], v[12:13], v[20:21]
	v_pk_add_f32 v[12:13], v[12:13], v[16:17]
	v_min3_f32 v28, v24, v25, v177
	v_pk_add_f32 v[24:25], v[8:9], v[20:21]
	v_pk_add_f32 v[20:21], v[0:1], v[20:21]
	;; [unrolled: 1-line block ×6, first 2 shown]
	v_min3_f32 v25, v24, v25, v178
	v_min3_f32 v172, v16, v17, v175
	v_pk_add_f32 v[16:17], v[10:11], v[78:79]
	v_min3_f32 v24, v116, v117, v179
	v_min3_f32 v171, v16, v17, v176
	v_pk_add_f32 v[16:17], v[6:7], v[78:79]
	;; [unrolled: 3-line block ×7, first 2 shown]
	s_nop 0
	v_min3_f32 v164, v16, v17, v149
	v_pk_add_f32 v[16:17], v[14:15], v[70:71]
	s_nop 0
	v_min3_f32 v165, v16, v17, v145
	v_pk_add_f32 v[16:17], v[10:11], v[70:71]
	;; [unrolled: 3-line block ×49, first 2 shown]
	v_pk_add_f32 v[14:15], v[14:15], v[18:19]
	v_min3_f32 v111, v16, v17, v28
	v_pk_add_f32 v[16:17], v[10:11], v[22:23]
	v_pk_add_f32 v[10:11], v[10:11], v[18:19]
	v_min3_f32 v108, v16, v17, v25
	v_pk_add_f32 v[16:17], v[6:7], v[22:23]
	;; [unrolled: 3-line block ×3, first 2 shown]
	v_pk_add_f32 v[2:3], v[2:3], v[18:19]
	v_min3_f32 v105, v16, v17, v20
	v_min3_f32 v106, v14, v15, v12
	;; [unrolled: 1-line block ×5, first 2 shown]
	s_cbranch_scc0 .LBB61_11
.LBB61_12:
	s_load_dwordx2 s[16:17], s[0:1], 0x70
	s_load_dword s9, s[0:1], 0x50
	s_load_dword s14, s[0:1], 0x68
	ds_read_b128 v[16:19], v101 offset:2048
	ds_read_b128 v[76:79], v100 offset:6144
	v_add_u32_e32 v82, s2, v98
	s_waitcnt lgkmcnt(0)
	s_mul_i32 s0, s3, s17
	s_mul_hi_u32 s1, s3, s16
	s_mul_i32 s13, s13, s16
	s_add_i32 s0, s1, s0
	s_add_i32 s1, s0, s13
	s_mul_i32 s0, s3, s16
	s_lshl_b64 s[0:1], s[0:1], 2
	v_pk_add_f32 v[0:1], v[16:17], v[76:77]
	s_add_u32 s0, s10, s0
	v_min3_f32 v2, v0, v1, v172
	v_pk_add_f32 v[0:1], v[18:19], v[78:79]
	v_add_u32_e32 v96, s8, v99
	s_addc_u32 s1, s11, s1
	v_min3_f32 v2, v0, v1, v2
	v_add_u32_e32 v80, 32, v82
	v_mad_i64_i32 v[0:1], s[2:3], v96, s14, 0
	v_ashrrev_i32_e32 v83, 31, v82
	v_ashrrev_i32_e32 v81, 31, v80
	v_lshl_add_u64 v[92:93], v[0:1], 2, s[0:1]
	v_mad_i64_i32 v[0:1], s[2:3], v96, s9, 0
	v_max_f32_e32 v2, v2, v2
	s_mov_b64 vcc, s[4:5]
	s_cbranch_vccz .LBB61_14
; %bb.13:
	v_min_f32_e32 v3, 0, v2
	v_lshl_add_u64 v[4:5], v[82:83], 2, v[92:93]
	s_mov_b32 s8, 0
	global_store_dword v[4:5], v3, off
	s_mov_b64 s[2:3], 0
	s_branch .LBB61_15
.LBB61_14:
	s_mov_b64 s[2:3], -1
                                        ; implicit-def: $sgpr8
.LBB61_15:
	ds_read_b128 v[12:15], v101 offset:2560
	ds_read_b128 v[8:11], v101 offset:3072
	v_lshl_add_u64 v[94:95], v[0:1], 2, s[6:7]
	s_andn2_b64 vcc, exec, s[2:3]
	v_lshlrev_b64 v[86:87], 2, v[82:83]
	s_cbranch_vccnz .LBB61_17
; %bb.16:
	v_lshl_add_u64 v[0:1], v[94:95], 0, v[86:87]
	flat_load_dword v3, v[0:1]
	v_lshl_add_u64 v[0:1], v[92:93], 0, v[86:87]
	s_waitcnt vmcnt(0) lgkmcnt(0)
	v_mul_f32_e32 v3, s12, v3
	v_min_f32_e32 v2, v3, v2
	global_store_dword v[0:1], v2, off
	v_lshl_add_u64 v[0:1], v[80:81], 2, v[94:95]
	flat_load_dword v0, v[0:1]
	s_waitcnt vmcnt(0) lgkmcnt(0)
	v_mul_f32_e32 v90, s12, v0
	s_branch .LBB61_18
.LBB61_17:
	v_mov_b32_e32 v90, s8
.LBB61_18:
	ds_read_b128 v[0:3], v101 offset:3584
	ds_read_b128 v[72:75], v100 offset:6272
	ds_read_b128 v[68:71], v100 offset:6400
	ds_read_b128 v[64:67], v100 offset:6528
	ds_read_b128 v[60:63], v100 offset:6656
	ds_read_b128 v[56:59], v100 offset:6784
	ds_read_b128 v[52:55], v100 offset:6912
	ds_read_b128 v[48:51], v100 offset:7040
	ds_read_b128 v[44:47], v100 offset:7168
	ds_read_b128 v[40:43], v100 offset:7296
	ds_read_b128 v[36:39], v100 offset:7424
	ds_read_b128 v[32:35], v100 offset:7552
	ds_read_b128 v[28:31], v100 offset:7680
	ds_read_b128 v[24:27], v100 offset:7808
	ds_read_b128 v[20:23], v100 offset:7936
	ds_read_b128 v[4:7], v100 offset:8064
	s_waitcnt lgkmcnt(14)
	v_pk_add_f32 v[84:85], v[12:13], v[76:77]
	s_mov_b64 vcc, s[4:5]
	v_min3_f32 v91, v84, v85, v171
	v_pk_add_f32 v[84:85], v[8:9], v[76:77]
	s_nop 0
	v_min3_f32 v88, v84, v85, v170
	v_pk_add_f32 v[84:85], v[14:15], v[78:79]
	s_nop 0
	v_min_f32_e32 v97, v84, v85
	v_pk_add_f32 v[84:85], v[10:11], v[78:79]
	v_min3_f32 v97, v90, v97, v91
	v_min3_f32 v98, v84, v85, v88
	v_add_u32_e32 v88, 64, v82
	v_add_u32_e32 v84, 0x60, v82
	v_lshl_add_u64 v[90:91], v[80:81], 2, v[92:93]
	v_ashrrev_i32_e32 v89, 31, v88
	v_ashrrev_i32_e32 v85, 31, v84
	global_store_dword v[90:91], v97, off
	v_max_f32_e32 v97, v98, v98
	s_cbranch_vccz .LBB61_21
; %bb.19:
	v_min_f32_e32 v98, 0, v97
	v_lshl_add_u64 v[90:91], v[88:89], 2, v[92:93]
	s_mov_b32 s8, 0
	global_store_dword v[90:91], v98, off
	v_lshlrev_b64 v[90:91], 2, v[88:89]
	s_cbranch_execz .LBB61_22
; %bb.20:
	v_mov_b32_e32 v94, s8
	s_branch .LBB61_23
.LBB61_21:
                                        ; implicit-def: $sgpr8
	v_lshlrev_b64 v[90:91], 2, v[88:89]
.LBB61_22:
	v_lshl_add_u64 v[98:99], v[94:95], 0, v[90:91]
	flat_load_dword v100, v[98:99]
	v_lshl_add_u64 v[98:99], v[92:93], 0, v[90:91]
	v_lshl_add_u64 v[94:95], v[84:85], 2, v[94:95]
	s_waitcnt vmcnt(0) lgkmcnt(0)
	v_mul_f32_e32 v100, s12, v100
	v_min_f32_e32 v97, v100, v97
	global_store_dword v[98:99], v97, off
	flat_load_dword v94, v[94:95]
	s_waitcnt vmcnt(0) lgkmcnt(0)
	v_mul_f32_e32 v94, s12, v94
.LBB61_23:
	v_pk_add_f32 v[76:77], v[0:1], v[76:77]
	s_mov_b64 vcc, s[4:5]
	v_min3_f32 v95, v76, v77, v168
	v_pk_add_f32 v[76:77], v[16:17], v[72:73]
	s_nop 0
	v_min3_f32 v97, v76, v77, v169
	v_pk_add_f32 v[76:77], v[2:3], v[78:79]
	s_nop 0
	v_min_f32_e32 v78, v76, v77
	v_pk_add_f32 v[76:77], v[18:19], v[74:75]
	v_min3_f32 v78, v94, v78, v95
	v_min3_f32 v97, v76, v77, v97
	v_lshl_add_u64 v[76:77], v[84:85], 2, v[92:93]
	global_store_dword v[76:77], v78, off
	v_add_u32_e32 v78, 8, v96
	v_mad_i64_i32 v[76:77], s[2:3], v78, s14, 0
	v_lshl_add_u64 v[76:77], v[76:77], 2, s[0:1]
	v_mad_i64_i32 v[78:79], s[2:3], v78, s9, 0
	v_max_f32_e32 v92, v97, v97
	s_cbranch_vccz .LBB61_26
; %bb.24:
	v_min_f32_e32 v93, 0, v92
	v_lshl_add_u64 v[94:95], v[82:83], 2, v[76:77]
	s_mov_b32 s8, 0
	global_store_dword v[94:95], v93, off
	v_lshl_add_u64 v[78:79], v[78:79], 2, s[6:7]
	s_cbranch_execz .LBB61_27
; %bb.25:
	v_mov_b32_e32 v92, s8
	s_branch .LBB61_28
.LBB61_26:
                                        ; implicit-def: $sgpr8
	v_lshl_add_u64 v[78:79], v[78:79], 2, s[6:7]
.LBB61_27:
	v_lshl_add_u64 v[94:95], v[78:79], 0, v[86:87]
	flat_load_dword v93, v[94:95]
	v_lshl_add_u64 v[94:95], v[76:77], 0, v[86:87]
	s_waitcnt vmcnt(0) lgkmcnt(0)
	v_mul_f32_e32 v93, s12, v93
	v_min_f32_e32 v92, v93, v92
	global_store_dword v[94:95], v92, off
	v_lshl_add_u64 v[92:93], v[80:81], 2, v[78:79]
	flat_load_dword v92, v[92:93]
	s_waitcnt vmcnt(0) lgkmcnt(0)
	v_mul_f32_e32 v92, s12, v92
.LBB61_28:
	v_pk_add_f32 v[94:95], v[12:13], v[72:73]
	s_mov_b64 vcc, s[4:5]
	v_min3_f32 v93, v94, v95, v166
	v_pk_add_f32 v[94:95], v[8:9], v[72:73]
	s_nop 0
	v_min3_f32 v97, v94, v95, v167
	v_pk_add_f32 v[94:95], v[14:15], v[74:75]
	s_nop 0
	v_min_f32_e32 v98, v94, v95
	v_pk_add_f32 v[94:95], v[10:11], v[74:75]
	s_nop 0
	v_min3_f32 v94, v94, v95, v97
	v_min3_f32 v95, v92, v98, v93
	v_lshl_add_u64 v[92:93], v[80:81], 2, v[76:77]
	global_store_dword v[92:93], v95, off
	v_max_f32_e32 v92, v94, v94
	s_cbranch_vccz .LBB61_31
; %bb.29:
	v_min_f32_e32 v93, 0, v92
	v_lshl_add_u64 v[94:95], v[88:89], 2, v[76:77]
	s_mov_b32 s8, 0
	global_store_dword v[94:95], v93, off
	s_cbranch_execz .LBB61_32
; %bb.30:
	v_mov_b32_e32 v78, s8
	s_branch .LBB61_33
.LBB61_31:
                                        ; implicit-def: $sgpr8
.LBB61_32:
	v_lshl_add_u64 v[94:95], v[78:79], 0, v[90:91]
	flat_load_dword v93, v[94:95]
	v_lshl_add_u64 v[94:95], v[76:77], 0, v[90:91]
	v_lshl_add_u64 v[78:79], v[84:85], 2, v[78:79]
	s_waitcnt vmcnt(0) lgkmcnt(0)
	v_mul_f32_e32 v93, s12, v93
	v_min_f32_e32 v92, v93, v92
	global_store_dword v[94:95], v92, off
	flat_load_dword v78, v[78:79]
	s_waitcnt vmcnt(0) lgkmcnt(0)
	v_mul_f32_e32 v78, s12, v78
.LBB61_33:
	v_pk_add_f32 v[72:73], v[0:1], v[72:73]
	s_mov_b64 vcc, s[4:5]
	v_min3_f32 v79, v72, v73, v164
	s_waitcnt lgkmcnt(13)
	v_pk_add_f32 v[72:73], v[16:17], v[68:69]
	s_nop 0
	v_min3_f32 v92, v72, v73, v165
	v_pk_add_f32 v[72:73], v[2:3], v[74:75]
	s_nop 0
	v_min_f32_e32 v74, v72, v73
	v_pk_add_f32 v[72:73], v[18:19], v[70:71]
	v_min3_f32 v74, v78, v74, v79
	v_min3_f32 v92, v72, v73, v92
	v_lshl_add_u64 v[72:73], v[84:85], 2, v[76:77]
	global_store_dword v[72:73], v74, off
	v_add_u32_e32 v74, 16, v96
	v_mad_i64_i32 v[72:73], s[2:3], v74, s14, 0
	v_lshl_add_u64 v[72:73], v[72:73], 2, s[0:1]
	v_mad_i64_i32 v[74:75], s[2:3], v74, s9, 0
	v_max_f32_e32 v76, v92, v92
	s_cbranch_vccz .LBB61_36
; %bb.34:
	v_min_f32_e32 v77, 0, v76
	v_lshl_add_u64 v[78:79], v[82:83], 2, v[72:73]
	s_mov_b32 s8, 0
	global_store_dword v[78:79], v77, off
	v_lshl_add_u64 v[74:75], v[74:75], 2, s[6:7]
	s_cbranch_execz .LBB61_37
; %bb.35:
	v_mov_b32_e32 v76, s8
	s_branch .LBB61_38
.LBB61_36:
                                        ; implicit-def: $sgpr8
	v_lshl_add_u64 v[74:75], v[74:75], 2, s[6:7]
.LBB61_37:
	v_lshl_add_u64 v[78:79], v[74:75], 0, v[86:87]
	flat_load_dword v77, v[78:79]
	v_lshl_add_u64 v[78:79], v[72:73], 0, v[86:87]
	s_waitcnt vmcnt(0) lgkmcnt(0)
	v_mul_f32_e32 v77, s12, v77
	v_min_f32_e32 v76, v77, v76
	global_store_dword v[78:79], v76, off
	v_lshl_add_u64 v[76:77], v[80:81], 2, v[74:75]
	flat_load_dword v76, v[76:77]
	s_waitcnt vmcnt(0) lgkmcnt(0)
	v_mul_f32_e32 v76, s12, v76
.LBB61_38:
	v_pk_add_f32 v[78:79], v[12:13], v[68:69]
	s_mov_b64 vcc, s[4:5]
	v_min3_f32 v77, v78, v79, v162
	v_pk_add_f32 v[78:79], v[8:9], v[68:69]
	s_nop 0
	v_min3_f32 v92, v78, v79, v163
	v_pk_add_f32 v[78:79], v[14:15], v[70:71]
	s_nop 0
	v_min_f32_e32 v93, v78, v79
	v_pk_add_f32 v[78:79], v[10:11], v[70:71]
	s_nop 0
	v_min3_f32 v78, v78, v79, v92
	v_min3_f32 v79, v76, v93, v77
	v_lshl_add_u64 v[76:77], v[80:81], 2, v[72:73]
	global_store_dword v[76:77], v79, off
	v_max_f32_e32 v76, v78, v78
	s_cbranch_vccz .LBB61_41
; %bb.39:
	v_min_f32_e32 v77, 0, v76
	v_lshl_add_u64 v[78:79], v[88:89], 2, v[72:73]
	s_mov_b32 s8, 0
	global_store_dword v[78:79], v77, off
	s_cbranch_execz .LBB61_42
; %bb.40:
	v_mov_b32_e32 v74, s8
	s_branch .LBB61_43
.LBB61_41:
                                        ; implicit-def: $sgpr8
.LBB61_42:
	v_lshl_add_u64 v[78:79], v[74:75], 0, v[90:91]
	flat_load_dword v77, v[78:79]
	v_lshl_add_u64 v[78:79], v[72:73], 0, v[90:91]
	v_lshl_add_u64 v[74:75], v[84:85], 2, v[74:75]
	s_waitcnt vmcnt(0) lgkmcnt(0)
	v_mul_f32_e32 v77, s12, v77
	v_min_f32_e32 v76, v77, v76
	global_store_dword v[78:79], v76, off
	flat_load_dword v74, v[74:75]
	s_waitcnt vmcnt(0) lgkmcnt(0)
	v_mul_f32_e32 v74, s12, v74
.LBB61_43:
	v_pk_add_f32 v[68:69], v[0:1], v[68:69]
	s_mov_b64 vcc, s[4:5]
	v_min3_f32 v75, v68, v69, v160
	s_waitcnt lgkmcnt(12)
	v_pk_add_f32 v[68:69], v[16:17], v[64:65]
	s_nop 0
	v_min3_f32 v76, v68, v69, v161
	v_pk_add_f32 v[68:69], v[2:3], v[70:71]
	s_nop 0
	v_min_f32_e32 v70, v68, v69
	v_pk_add_f32 v[68:69], v[18:19], v[66:67]
	v_min3_f32 v70, v74, v70, v75
	v_min3_f32 v76, v68, v69, v76
	v_lshl_add_u64 v[68:69], v[84:85], 2, v[72:73]
	global_store_dword v[68:69], v70, off
	v_add_u32_e32 v70, 24, v96
	v_mad_i64_i32 v[68:69], s[2:3], v70, s14, 0
	v_lshl_add_u64 v[68:69], v[68:69], 2, s[0:1]
	v_mad_i64_i32 v[70:71], s[2:3], v70, s9, 0
	v_max_f32_e32 v72, v76, v76
	s_cbranch_vccz .LBB61_46
; %bb.44:
	v_min_f32_e32 v73, 0, v72
	v_lshl_add_u64 v[74:75], v[82:83], 2, v[68:69]
	s_mov_b32 s8, 0
	global_store_dword v[74:75], v73, off
	v_lshl_add_u64 v[70:71], v[70:71], 2, s[6:7]
	s_cbranch_execz .LBB61_47
; %bb.45:
	v_mov_b32_e32 v72, s8
	s_branch .LBB61_48
.LBB61_46:
                                        ; implicit-def: $sgpr8
	v_lshl_add_u64 v[70:71], v[70:71], 2, s[6:7]
.LBB61_47:
	v_lshl_add_u64 v[74:75], v[70:71], 0, v[86:87]
	flat_load_dword v73, v[74:75]
	v_lshl_add_u64 v[74:75], v[68:69], 0, v[86:87]
	s_waitcnt vmcnt(0) lgkmcnt(0)
	v_mul_f32_e32 v73, s12, v73
	v_min_f32_e32 v72, v73, v72
	global_store_dword v[74:75], v72, off
	v_lshl_add_u64 v[72:73], v[80:81], 2, v[70:71]
	flat_load_dword v72, v[72:73]
	s_waitcnt vmcnt(0) lgkmcnt(0)
	v_mul_f32_e32 v72, s12, v72
.LBB61_48:
	v_pk_add_f32 v[74:75], v[12:13], v[64:65]
	s_mov_b64 vcc, s[4:5]
	v_min3_f32 v73, v74, v75, v158
	v_pk_add_f32 v[74:75], v[8:9], v[64:65]
	s_nop 0
	v_min3_f32 v76, v74, v75, v159
	v_pk_add_f32 v[74:75], v[14:15], v[66:67]
	s_nop 0
	v_min_f32_e32 v77, v74, v75
	v_pk_add_f32 v[74:75], v[10:11], v[66:67]
	s_nop 0
	v_min3_f32 v74, v74, v75, v76
	v_min3_f32 v75, v72, v77, v73
	v_lshl_add_u64 v[72:73], v[80:81], 2, v[68:69]
	global_store_dword v[72:73], v75, off
	v_max_f32_e32 v72, v74, v74
	s_cbranch_vccz .LBB61_51
; %bb.49:
	v_min_f32_e32 v73, 0, v72
	v_lshl_add_u64 v[74:75], v[88:89], 2, v[68:69]
	s_mov_b32 s8, 0
	global_store_dword v[74:75], v73, off
	s_cbranch_execz .LBB61_52
; %bb.50:
	v_mov_b32_e32 v70, s8
	s_branch .LBB61_53
.LBB61_51:
                                        ; implicit-def: $sgpr8
.LBB61_52:
	v_lshl_add_u64 v[74:75], v[70:71], 0, v[90:91]
	flat_load_dword v73, v[74:75]
	v_lshl_add_u64 v[74:75], v[68:69], 0, v[90:91]
	v_lshl_add_u64 v[70:71], v[84:85], 2, v[70:71]
	s_waitcnt vmcnt(0) lgkmcnt(0)
	v_mul_f32_e32 v73, s12, v73
	v_min_f32_e32 v72, v73, v72
	global_store_dword v[74:75], v72, off
	flat_load_dword v70, v[70:71]
	s_waitcnt vmcnt(0) lgkmcnt(0)
	v_mul_f32_e32 v70, s12, v70
.LBB61_53:
	v_pk_add_f32 v[64:65], v[0:1], v[64:65]
	s_mov_b64 vcc, s[4:5]
	v_min3_f32 v71, v64, v65, v156
	s_waitcnt lgkmcnt(11)
	v_pk_add_f32 v[64:65], v[16:17], v[60:61]
	s_nop 0
	v_min3_f32 v72, v64, v65, v157
	v_pk_add_f32 v[64:65], v[2:3], v[66:67]
	s_nop 0
	v_min_f32_e32 v66, v64, v65
	v_pk_add_f32 v[64:65], v[18:19], v[62:63]
	v_min3_f32 v66, v70, v66, v71
	v_min3_f32 v72, v64, v65, v72
	v_lshl_add_u64 v[64:65], v[84:85], 2, v[68:69]
	global_store_dword v[64:65], v66, off
	v_add_u32_e32 v66, 32, v96
	v_mad_i64_i32 v[64:65], s[2:3], v66, s14, 0
	v_lshl_add_u64 v[64:65], v[64:65], 2, s[0:1]
	v_mad_i64_i32 v[66:67], s[2:3], v66, s9, 0
	v_max_f32_e32 v68, v72, v72
	s_cbranch_vccz .LBB61_56
; %bb.54:
	v_min_f32_e32 v69, 0, v68
	v_lshl_add_u64 v[70:71], v[82:83], 2, v[64:65]
	s_mov_b32 s8, 0
	global_store_dword v[70:71], v69, off
	v_lshl_add_u64 v[66:67], v[66:67], 2, s[6:7]
	s_cbranch_execz .LBB61_57
; %bb.55:
	v_mov_b32_e32 v68, s8
	s_branch .LBB61_58
.LBB61_56:
                                        ; implicit-def: $sgpr8
	v_lshl_add_u64 v[66:67], v[66:67], 2, s[6:7]
.LBB61_57:
	v_lshl_add_u64 v[70:71], v[66:67], 0, v[86:87]
	flat_load_dword v69, v[70:71]
	v_lshl_add_u64 v[70:71], v[64:65], 0, v[86:87]
	s_waitcnt vmcnt(0) lgkmcnt(0)
	v_mul_f32_e32 v69, s12, v69
	v_min_f32_e32 v68, v69, v68
	global_store_dword v[70:71], v68, off
	v_lshl_add_u64 v[68:69], v[80:81], 2, v[66:67]
	flat_load_dword v68, v[68:69]
	s_waitcnt vmcnt(0) lgkmcnt(0)
	v_mul_f32_e32 v68, s12, v68
.LBB61_58:
	v_pk_add_f32 v[70:71], v[12:13], v[60:61]
	s_mov_b64 vcc, s[4:5]
	v_min3_f32 v69, v70, v71, v154
	v_pk_add_f32 v[70:71], v[8:9], v[60:61]
	s_nop 0
	v_min3_f32 v72, v70, v71, v155
	v_pk_add_f32 v[70:71], v[14:15], v[62:63]
	s_nop 0
	v_min_f32_e32 v73, v70, v71
	v_pk_add_f32 v[70:71], v[10:11], v[62:63]
	s_nop 0
	v_min3_f32 v70, v70, v71, v72
	v_min3_f32 v71, v68, v73, v69
	v_lshl_add_u64 v[68:69], v[80:81], 2, v[64:65]
	global_store_dword v[68:69], v71, off
	v_max_f32_e32 v68, v70, v70
	s_cbranch_vccz .LBB61_61
; %bb.59:
	v_min_f32_e32 v69, 0, v68
	v_lshl_add_u64 v[70:71], v[88:89], 2, v[64:65]
	s_mov_b32 s8, 0
	global_store_dword v[70:71], v69, off
	s_cbranch_execz .LBB61_62
; %bb.60:
	v_mov_b32_e32 v66, s8
	s_branch .LBB61_63
.LBB61_61:
                                        ; implicit-def: $sgpr8
.LBB61_62:
	v_lshl_add_u64 v[70:71], v[66:67], 0, v[90:91]
	flat_load_dword v69, v[70:71]
	v_lshl_add_u64 v[70:71], v[64:65], 0, v[90:91]
	v_lshl_add_u64 v[66:67], v[84:85], 2, v[66:67]
	s_waitcnt vmcnt(0) lgkmcnt(0)
	v_mul_f32_e32 v69, s12, v69
	v_min_f32_e32 v68, v69, v68
	global_store_dword v[70:71], v68, off
	flat_load_dword v66, v[66:67]
	s_waitcnt vmcnt(0) lgkmcnt(0)
	v_mul_f32_e32 v66, s12, v66
.LBB61_63:
	v_pk_add_f32 v[60:61], v[0:1], v[60:61]
	s_mov_b64 vcc, s[4:5]
	v_min3_f32 v67, v60, v61, v152
	s_waitcnt lgkmcnt(10)
	v_pk_add_f32 v[60:61], v[16:17], v[56:57]
	s_nop 0
	v_min3_f32 v68, v60, v61, v153
	v_pk_add_f32 v[60:61], v[2:3], v[62:63]
	s_nop 0
	v_min_f32_e32 v62, v60, v61
	v_pk_add_f32 v[60:61], v[18:19], v[58:59]
	v_min3_f32 v62, v66, v62, v67
	v_min3_f32 v68, v60, v61, v68
	v_lshl_add_u64 v[60:61], v[84:85], 2, v[64:65]
	global_store_dword v[60:61], v62, off
	v_add_u32_e32 v62, 40, v96
	v_mad_i64_i32 v[60:61], s[2:3], v62, s14, 0
	v_lshl_add_u64 v[60:61], v[60:61], 2, s[0:1]
	v_mad_i64_i32 v[62:63], s[2:3], v62, s9, 0
	v_max_f32_e32 v64, v68, v68
	s_cbranch_vccz .LBB61_66
; %bb.64:
	v_min_f32_e32 v65, 0, v64
	v_lshl_add_u64 v[66:67], v[82:83], 2, v[60:61]
	s_mov_b32 s8, 0
	global_store_dword v[66:67], v65, off
	v_lshl_add_u64 v[62:63], v[62:63], 2, s[6:7]
	s_cbranch_execz .LBB61_67
; %bb.65:
	v_mov_b32_e32 v64, s8
	s_branch .LBB61_68
.LBB61_66:
                                        ; implicit-def: $sgpr8
	v_lshl_add_u64 v[62:63], v[62:63], 2, s[6:7]
.LBB61_67:
	v_lshl_add_u64 v[66:67], v[62:63], 0, v[86:87]
	flat_load_dword v65, v[66:67]
	v_lshl_add_u64 v[66:67], v[60:61], 0, v[86:87]
	s_waitcnt vmcnt(0) lgkmcnt(0)
	v_mul_f32_e32 v65, s12, v65
	v_min_f32_e32 v64, v65, v64
	global_store_dword v[66:67], v64, off
	v_lshl_add_u64 v[64:65], v[80:81], 2, v[62:63]
	flat_load_dword v64, v[64:65]
	s_waitcnt vmcnt(0) lgkmcnt(0)
	v_mul_f32_e32 v64, s12, v64
.LBB61_68:
	v_pk_add_f32 v[66:67], v[12:13], v[56:57]
	s_mov_b64 vcc, s[4:5]
	v_min3_f32 v65, v66, v67, v150
	v_pk_add_f32 v[66:67], v[8:9], v[56:57]
	s_nop 0
	v_min3_f32 v68, v66, v67, v151
	v_pk_add_f32 v[66:67], v[14:15], v[58:59]
	s_nop 0
	v_min_f32_e32 v69, v66, v67
	v_pk_add_f32 v[66:67], v[10:11], v[58:59]
	s_nop 0
	v_min3_f32 v66, v66, v67, v68
	v_min3_f32 v67, v64, v69, v65
	v_lshl_add_u64 v[64:65], v[80:81], 2, v[60:61]
	global_store_dword v[64:65], v67, off
	v_max_f32_e32 v64, v66, v66
	s_cbranch_vccz .LBB61_71
; %bb.69:
	v_min_f32_e32 v65, 0, v64
	v_lshl_add_u64 v[66:67], v[88:89], 2, v[60:61]
	s_mov_b32 s8, 0
	global_store_dword v[66:67], v65, off
	s_cbranch_execz .LBB61_72
; %bb.70:
	v_mov_b32_e32 v62, s8
	s_branch .LBB61_73
.LBB61_71:
                                        ; implicit-def: $sgpr8
.LBB61_72:
	v_lshl_add_u64 v[66:67], v[62:63], 0, v[90:91]
	flat_load_dword v65, v[66:67]
	v_lshl_add_u64 v[66:67], v[60:61], 0, v[90:91]
	v_lshl_add_u64 v[62:63], v[84:85], 2, v[62:63]
	s_waitcnt vmcnt(0) lgkmcnt(0)
	v_mul_f32_e32 v65, s12, v65
	v_min_f32_e32 v64, v65, v64
	global_store_dword v[66:67], v64, off
	flat_load_dword v62, v[62:63]
	s_waitcnt vmcnt(0) lgkmcnt(0)
	v_mul_f32_e32 v62, s12, v62
.LBB61_73:
	v_pk_add_f32 v[56:57], v[0:1], v[56:57]
	s_mov_b64 vcc, s[4:5]
	v_min3_f32 v63, v56, v57, v148
	s_waitcnt lgkmcnt(9)
	v_pk_add_f32 v[56:57], v[16:17], v[52:53]
	s_nop 0
	v_min3_f32 v64, v56, v57, v149
	v_pk_add_f32 v[56:57], v[2:3], v[58:59]
	s_nop 0
	v_min_f32_e32 v58, v56, v57
	v_pk_add_f32 v[56:57], v[18:19], v[54:55]
	v_min3_f32 v58, v62, v58, v63
	v_min3_f32 v64, v56, v57, v64
	v_lshl_add_u64 v[56:57], v[84:85], 2, v[60:61]
	global_store_dword v[56:57], v58, off
	v_add_u32_e32 v58, 48, v96
	v_mad_i64_i32 v[56:57], s[2:3], v58, s14, 0
	v_lshl_add_u64 v[56:57], v[56:57], 2, s[0:1]
	v_mad_i64_i32 v[58:59], s[2:3], v58, s9, 0
	v_max_f32_e32 v60, v64, v64
	s_cbranch_vccz .LBB61_76
; %bb.74:
	v_min_f32_e32 v61, 0, v60
	v_lshl_add_u64 v[62:63], v[82:83], 2, v[56:57]
	s_mov_b32 s8, 0
	global_store_dword v[62:63], v61, off
	v_lshl_add_u64 v[58:59], v[58:59], 2, s[6:7]
	s_cbranch_execz .LBB61_77
; %bb.75:
	v_mov_b32_e32 v60, s8
	s_branch .LBB61_78
.LBB61_76:
                                        ; implicit-def: $sgpr8
	v_lshl_add_u64 v[58:59], v[58:59], 2, s[6:7]
.LBB61_77:
	v_lshl_add_u64 v[62:63], v[58:59], 0, v[86:87]
	flat_load_dword v61, v[62:63]
	v_lshl_add_u64 v[62:63], v[56:57], 0, v[86:87]
	s_waitcnt vmcnt(0) lgkmcnt(0)
	v_mul_f32_e32 v61, s12, v61
	v_min_f32_e32 v60, v61, v60
	global_store_dword v[62:63], v60, off
	v_lshl_add_u64 v[60:61], v[80:81], 2, v[58:59]
	flat_load_dword v60, v[60:61]
	s_waitcnt vmcnt(0) lgkmcnt(0)
	v_mul_f32_e32 v60, s12, v60
.LBB61_78:
	v_pk_add_f32 v[62:63], v[12:13], v[52:53]
	s_mov_b64 vcc, s[4:5]
	v_min3_f32 v61, v62, v63, v146
	v_pk_add_f32 v[62:63], v[8:9], v[52:53]
	s_nop 0
	v_min3_f32 v64, v62, v63, v147
	v_pk_add_f32 v[62:63], v[14:15], v[54:55]
	s_nop 0
	v_min_f32_e32 v65, v62, v63
	v_pk_add_f32 v[62:63], v[10:11], v[54:55]
	s_nop 0
	v_min3_f32 v62, v62, v63, v64
	v_min3_f32 v63, v60, v65, v61
	v_lshl_add_u64 v[60:61], v[80:81], 2, v[56:57]
	global_store_dword v[60:61], v63, off
	v_max_f32_e32 v60, v62, v62
	s_cbranch_vccz .LBB61_81
; %bb.79:
	v_min_f32_e32 v61, 0, v60
	v_lshl_add_u64 v[62:63], v[88:89], 2, v[56:57]
	s_mov_b32 s8, 0
	global_store_dword v[62:63], v61, off
	s_cbranch_execz .LBB61_82
; %bb.80:
	v_mov_b32_e32 v58, s8
	s_branch .LBB61_83
.LBB61_81:
                                        ; implicit-def: $sgpr8
.LBB61_82:
	v_lshl_add_u64 v[62:63], v[58:59], 0, v[90:91]
	flat_load_dword v61, v[62:63]
	v_lshl_add_u64 v[62:63], v[56:57], 0, v[90:91]
	v_lshl_add_u64 v[58:59], v[84:85], 2, v[58:59]
	s_waitcnt vmcnt(0) lgkmcnt(0)
	v_mul_f32_e32 v61, s12, v61
	v_min_f32_e32 v60, v61, v60
	global_store_dword v[62:63], v60, off
	flat_load_dword v58, v[58:59]
	s_waitcnt vmcnt(0) lgkmcnt(0)
	v_mul_f32_e32 v58, s12, v58
.LBB61_83:
	v_pk_add_f32 v[52:53], v[0:1], v[52:53]
	s_mov_b64 vcc, s[4:5]
	v_min3_f32 v59, v52, v53, v144
	s_waitcnt lgkmcnt(8)
	v_pk_add_f32 v[52:53], v[16:17], v[48:49]
	s_nop 0
	v_min3_f32 v60, v52, v53, v145
	v_pk_add_f32 v[52:53], v[2:3], v[54:55]
	s_nop 0
	v_min_f32_e32 v54, v52, v53
	v_pk_add_f32 v[52:53], v[18:19], v[50:51]
	v_min3_f32 v54, v58, v54, v59
	v_min3_f32 v60, v52, v53, v60
	v_lshl_add_u64 v[52:53], v[84:85], 2, v[56:57]
	global_store_dword v[52:53], v54, off
	v_add_u32_e32 v54, 56, v96
	v_mad_i64_i32 v[52:53], s[2:3], v54, s14, 0
	v_lshl_add_u64 v[52:53], v[52:53], 2, s[0:1]
	v_mad_i64_i32 v[54:55], s[2:3], v54, s9, 0
	v_max_f32_e32 v56, v60, v60
	s_cbranch_vccz .LBB61_86
; %bb.84:
	v_min_f32_e32 v57, 0, v56
	v_lshl_add_u64 v[58:59], v[82:83], 2, v[52:53]
	s_mov_b32 s8, 0
	global_store_dword v[58:59], v57, off
	v_lshl_add_u64 v[54:55], v[54:55], 2, s[6:7]
	s_cbranch_execz .LBB61_87
; %bb.85:
	v_mov_b32_e32 v56, s8
	s_branch .LBB61_88
.LBB61_86:
                                        ; implicit-def: $sgpr8
	v_lshl_add_u64 v[54:55], v[54:55], 2, s[6:7]
.LBB61_87:
	v_lshl_add_u64 v[58:59], v[54:55], 0, v[86:87]
	flat_load_dword v57, v[58:59]
	v_lshl_add_u64 v[58:59], v[52:53], 0, v[86:87]
	s_waitcnt vmcnt(0) lgkmcnt(0)
	v_mul_f32_e32 v57, s12, v57
	v_min_f32_e32 v56, v57, v56
	global_store_dword v[58:59], v56, off
	v_lshl_add_u64 v[56:57], v[80:81], 2, v[54:55]
	flat_load_dword v56, v[56:57]
	s_waitcnt vmcnt(0) lgkmcnt(0)
	v_mul_f32_e32 v56, s12, v56
.LBB61_88:
	v_pk_add_f32 v[58:59], v[12:13], v[48:49]
	s_mov_b64 vcc, s[4:5]
	v_min3_f32 v57, v58, v59, v142
	v_pk_add_f32 v[58:59], v[8:9], v[48:49]
	s_nop 0
	v_min3_f32 v60, v58, v59, v143
	v_pk_add_f32 v[58:59], v[14:15], v[50:51]
	s_nop 0
	v_min_f32_e32 v61, v58, v59
	v_pk_add_f32 v[58:59], v[10:11], v[50:51]
	s_nop 0
	v_min3_f32 v58, v58, v59, v60
	v_min3_f32 v59, v56, v61, v57
	v_lshl_add_u64 v[56:57], v[80:81], 2, v[52:53]
	global_store_dword v[56:57], v59, off
	v_max_f32_e32 v56, v58, v58
	s_cbranch_vccz .LBB61_91
; %bb.89:
	v_min_f32_e32 v57, 0, v56
	v_lshl_add_u64 v[58:59], v[88:89], 2, v[52:53]
	s_mov_b32 s8, 0
	global_store_dword v[58:59], v57, off
	s_cbranch_execz .LBB61_92
; %bb.90:
	v_mov_b32_e32 v54, s8
	s_branch .LBB61_93
.LBB61_91:
                                        ; implicit-def: $sgpr8
.LBB61_92:
	v_lshl_add_u64 v[58:59], v[54:55], 0, v[90:91]
	flat_load_dword v57, v[58:59]
	v_lshl_add_u64 v[58:59], v[52:53], 0, v[90:91]
	v_lshl_add_u64 v[54:55], v[84:85], 2, v[54:55]
	s_waitcnt vmcnt(0) lgkmcnt(0)
	v_mul_f32_e32 v57, s12, v57
	v_min_f32_e32 v56, v57, v56
	global_store_dword v[58:59], v56, off
	flat_load_dword v54, v[54:55]
	s_waitcnt vmcnt(0) lgkmcnt(0)
	v_mul_f32_e32 v54, s12, v54
.LBB61_93:
	v_pk_add_f32 v[48:49], v[0:1], v[48:49]
	s_mov_b64 vcc, s[4:5]
	v_min3_f32 v55, v48, v49, v140
	s_waitcnt lgkmcnt(7)
	v_pk_add_f32 v[48:49], v[16:17], v[44:45]
	s_nop 0
	v_min3_f32 v56, v48, v49, v141
	v_pk_add_f32 v[48:49], v[2:3], v[50:51]
	s_nop 0
	v_min_f32_e32 v50, v48, v49
	v_pk_add_f32 v[48:49], v[18:19], v[46:47]
	v_min3_f32 v50, v54, v50, v55
	v_min3_f32 v56, v48, v49, v56
	v_lshl_add_u64 v[48:49], v[84:85], 2, v[52:53]
	global_store_dword v[48:49], v50, off
	v_add_u32_e32 v50, 64, v96
	v_mad_i64_i32 v[48:49], s[2:3], v50, s14, 0
	v_lshl_add_u64 v[48:49], v[48:49], 2, s[0:1]
	v_mad_i64_i32 v[50:51], s[2:3], v50, s9, 0
	v_max_f32_e32 v52, v56, v56
	s_cbranch_vccz .LBB61_96
; %bb.94:
	v_min_f32_e32 v53, 0, v52
	v_lshl_add_u64 v[54:55], v[82:83], 2, v[48:49]
	s_mov_b32 s8, 0
	global_store_dword v[54:55], v53, off
	v_lshl_add_u64 v[50:51], v[50:51], 2, s[6:7]
	s_cbranch_execz .LBB61_97
; %bb.95:
	v_mov_b32_e32 v52, s8
	s_branch .LBB61_98
.LBB61_96:
                                        ; implicit-def: $sgpr8
	v_lshl_add_u64 v[50:51], v[50:51], 2, s[6:7]
.LBB61_97:
	v_lshl_add_u64 v[54:55], v[50:51], 0, v[86:87]
	flat_load_dword v53, v[54:55]
	v_lshl_add_u64 v[54:55], v[48:49], 0, v[86:87]
	s_waitcnt vmcnt(0) lgkmcnt(0)
	v_mul_f32_e32 v53, s12, v53
	v_min_f32_e32 v52, v53, v52
	global_store_dword v[54:55], v52, off
	v_lshl_add_u64 v[52:53], v[80:81], 2, v[50:51]
	flat_load_dword v52, v[52:53]
	s_waitcnt vmcnt(0) lgkmcnt(0)
	v_mul_f32_e32 v52, s12, v52
.LBB61_98:
	v_pk_add_f32 v[54:55], v[12:13], v[44:45]
	s_mov_b64 vcc, s[4:5]
	v_min3_f32 v53, v54, v55, v138
	v_pk_add_f32 v[54:55], v[8:9], v[44:45]
	s_nop 0
	v_min3_f32 v56, v54, v55, v139
	v_pk_add_f32 v[54:55], v[14:15], v[46:47]
	s_nop 0
	v_min_f32_e32 v57, v54, v55
	v_pk_add_f32 v[54:55], v[10:11], v[46:47]
	s_nop 0
	v_min3_f32 v54, v54, v55, v56
	v_min3_f32 v55, v52, v57, v53
	v_lshl_add_u64 v[52:53], v[80:81], 2, v[48:49]
	global_store_dword v[52:53], v55, off
	v_max_f32_e32 v52, v54, v54
	s_cbranch_vccz .LBB61_101
; %bb.99:
	v_min_f32_e32 v53, 0, v52
	v_lshl_add_u64 v[54:55], v[88:89], 2, v[48:49]
	s_mov_b32 s8, 0
	global_store_dword v[54:55], v53, off
	s_cbranch_execz .LBB61_102
; %bb.100:
	v_mov_b32_e32 v50, s8
	s_branch .LBB61_103
.LBB61_101:
                                        ; implicit-def: $sgpr8
.LBB61_102:
	v_lshl_add_u64 v[54:55], v[50:51], 0, v[90:91]
	flat_load_dword v53, v[54:55]
	v_lshl_add_u64 v[54:55], v[48:49], 0, v[90:91]
	v_lshl_add_u64 v[50:51], v[84:85], 2, v[50:51]
	s_waitcnt vmcnt(0) lgkmcnt(0)
	v_mul_f32_e32 v53, s12, v53
	v_min_f32_e32 v52, v53, v52
	global_store_dword v[54:55], v52, off
	flat_load_dword v50, v[50:51]
	s_waitcnt vmcnt(0) lgkmcnt(0)
	v_mul_f32_e32 v50, s12, v50
.LBB61_103:
	v_pk_add_f32 v[44:45], v[0:1], v[44:45]
	s_mov_b64 vcc, s[4:5]
	v_min3_f32 v51, v44, v45, v136
	s_waitcnt lgkmcnt(6)
	v_pk_add_f32 v[44:45], v[16:17], v[40:41]
	s_nop 0
	v_min3_f32 v52, v44, v45, v137
	v_pk_add_f32 v[44:45], v[2:3], v[46:47]
	s_nop 0
	v_min_f32_e32 v46, v44, v45
	v_pk_add_f32 v[44:45], v[18:19], v[42:43]
	v_min3_f32 v46, v50, v46, v51
	v_min3_f32 v52, v44, v45, v52
	v_lshl_add_u64 v[44:45], v[84:85], 2, v[48:49]
	global_store_dword v[44:45], v46, off
	v_add_u32_e32 v46, 0x48, v96
	v_mad_i64_i32 v[44:45], s[2:3], v46, s14, 0
	v_lshl_add_u64 v[44:45], v[44:45], 2, s[0:1]
	v_mad_i64_i32 v[46:47], s[2:3], v46, s9, 0
	v_max_f32_e32 v48, v52, v52
	s_cbranch_vccz .LBB61_106
; %bb.104:
	v_min_f32_e32 v49, 0, v48
	v_lshl_add_u64 v[50:51], v[82:83], 2, v[44:45]
	s_mov_b32 s8, 0
	global_store_dword v[50:51], v49, off
	v_lshl_add_u64 v[46:47], v[46:47], 2, s[6:7]
	s_cbranch_execz .LBB61_107
; %bb.105:
	v_mov_b32_e32 v48, s8
	s_branch .LBB61_108
.LBB61_106:
                                        ; implicit-def: $sgpr8
	v_lshl_add_u64 v[46:47], v[46:47], 2, s[6:7]
.LBB61_107:
	v_lshl_add_u64 v[50:51], v[46:47], 0, v[86:87]
	flat_load_dword v49, v[50:51]
	v_lshl_add_u64 v[50:51], v[44:45], 0, v[86:87]
	s_waitcnt vmcnt(0) lgkmcnt(0)
	v_mul_f32_e32 v49, s12, v49
	v_min_f32_e32 v48, v49, v48
	global_store_dword v[50:51], v48, off
	v_lshl_add_u64 v[48:49], v[80:81], 2, v[46:47]
	flat_load_dword v48, v[48:49]
	s_waitcnt vmcnt(0) lgkmcnt(0)
	v_mul_f32_e32 v48, s12, v48
.LBB61_108:
	v_pk_add_f32 v[50:51], v[12:13], v[40:41]
	s_mov_b64 vcc, s[4:5]
	v_min3_f32 v49, v50, v51, v134
	v_pk_add_f32 v[50:51], v[8:9], v[40:41]
	s_nop 0
	v_min3_f32 v52, v50, v51, v135
	v_pk_add_f32 v[50:51], v[14:15], v[42:43]
	s_nop 0
	v_min_f32_e32 v53, v50, v51
	v_pk_add_f32 v[50:51], v[10:11], v[42:43]
	s_nop 0
	v_min3_f32 v50, v50, v51, v52
	v_min3_f32 v51, v48, v53, v49
	v_lshl_add_u64 v[48:49], v[80:81], 2, v[44:45]
	global_store_dword v[48:49], v51, off
	v_max_f32_e32 v48, v50, v50
	s_cbranch_vccz .LBB61_111
; %bb.109:
	v_min_f32_e32 v49, 0, v48
	v_lshl_add_u64 v[50:51], v[88:89], 2, v[44:45]
	s_mov_b32 s8, 0
	global_store_dword v[50:51], v49, off
	s_cbranch_execz .LBB61_112
; %bb.110:
	v_mov_b32_e32 v46, s8
	s_branch .LBB61_113
.LBB61_111:
                                        ; implicit-def: $sgpr8
.LBB61_112:
	v_lshl_add_u64 v[50:51], v[46:47], 0, v[90:91]
	flat_load_dword v49, v[50:51]
	v_lshl_add_u64 v[50:51], v[44:45], 0, v[90:91]
	v_lshl_add_u64 v[46:47], v[84:85], 2, v[46:47]
	s_waitcnt vmcnt(0) lgkmcnt(0)
	v_mul_f32_e32 v49, s12, v49
	v_min_f32_e32 v48, v49, v48
	global_store_dword v[50:51], v48, off
	flat_load_dword v46, v[46:47]
	s_waitcnt vmcnt(0) lgkmcnt(0)
	v_mul_f32_e32 v46, s12, v46
.LBB61_113:
	v_pk_add_f32 v[40:41], v[0:1], v[40:41]
	s_mov_b64 vcc, s[4:5]
	v_min3_f32 v47, v40, v41, v128
	s_waitcnt lgkmcnt(5)
	v_pk_add_f32 v[40:41], v[16:17], v[36:37]
	s_nop 0
	v_min3_f32 v48, v40, v41, v133
	v_pk_add_f32 v[40:41], v[2:3], v[42:43]
	s_nop 0
	v_min_f32_e32 v42, v40, v41
	v_pk_add_f32 v[40:41], v[18:19], v[38:39]
	v_min3_f32 v42, v46, v42, v47
	v_min3_f32 v48, v40, v41, v48
	v_lshl_add_u64 v[40:41], v[84:85], 2, v[44:45]
	global_store_dword v[40:41], v42, off
	v_add_u32_e32 v42, 0x50, v96
	v_mad_i64_i32 v[40:41], s[2:3], v42, s14, 0
	v_lshl_add_u64 v[40:41], v[40:41], 2, s[0:1]
	v_mad_i64_i32 v[42:43], s[2:3], v42, s9, 0
	v_max_f32_e32 v44, v48, v48
	s_cbranch_vccz .LBB61_116
; %bb.114:
	v_min_f32_e32 v45, 0, v44
	v_lshl_add_u64 v[46:47], v[82:83], 2, v[40:41]
	s_mov_b32 s8, 0
	global_store_dword v[46:47], v45, off
	v_lshl_add_u64 v[42:43], v[42:43], 2, s[6:7]
	s_cbranch_execz .LBB61_117
; %bb.115:
	v_mov_b32_e32 v44, s8
	s_branch .LBB61_118
.LBB61_116:
                                        ; implicit-def: $sgpr8
	v_lshl_add_u64 v[42:43], v[42:43], 2, s[6:7]
.LBB61_117:
	v_lshl_add_u64 v[46:47], v[42:43], 0, v[86:87]
	flat_load_dword v45, v[46:47]
	v_lshl_add_u64 v[46:47], v[40:41], 0, v[86:87]
	s_waitcnt vmcnt(0) lgkmcnt(0)
	v_mul_f32_e32 v45, s12, v45
	v_min_f32_e32 v44, v45, v44
	global_store_dword v[46:47], v44, off
	v_lshl_add_u64 v[44:45], v[80:81], 2, v[42:43]
	flat_load_dword v44, v[44:45]
	s_waitcnt vmcnt(0) lgkmcnt(0)
	v_mul_f32_e32 v44, s12, v44
.LBB61_118:
	v_pk_add_f32 v[46:47], v[12:13], v[36:37]
	s_mov_b64 vcc, s[4:5]
	v_min3_f32 v45, v46, v47, v124
	v_pk_add_f32 v[46:47], v[8:9], v[36:37]
	s_nop 0
	v_min3_f32 v48, v46, v47, v125
	v_pk_add_f32 v[46:47], v[14:15], v[38:39]
	s_nop 0
	v_min_f32_e32 v49, v46, v47
	v_pk_add_f32 v[46:47], v[10:11], v[38:39]
	s_nop 0
	v_min3_f32 v46, v46, v47, v48
	v_min3_f32 v47, v44, v49, v45
	v_lshl_add_u64 v[44:45], v[80:81], 2, v[40:41]
	global_store_dword v[44:45], v47, off
	v_max_f32_e32 v44, v46, v46
	s_cbranch_vccz .LBB61_121
; %bb.119:
	v_min_f32_e32 v45, 0, v44
	v_lshl_add_u64 v[46:47], v[88:89], 2, v[40:41]
	s_mov_b32 s8, 0
	global_store_dword v[46:47], v45, off
	s_cbranch_execz .LBB61_122
; %bb.120:
	v_mov_b32_e32 v42, s8
	s_branch .LBB61_123
.LBB61_121:
                                        ; implicit-def: $sgpr8
.LBB61_122:
	v_lshl_add_u64 v[46:47], v[42:43], 0, v[90:91]
	flat_load_dword v45, v[46:47]
	v_lshl_add_u64 v[46:47], v[40:41], 0, v[90:91]
	v_lshl_add_u64 v[42:43], v[84:85], 2, v[42:43]
	s_waitcnt vmcnt(0) lgkmcnt(0)
	v_mul_f32_e32 v45, s12, v45
	v_min_f32_e32 v44, v45, v44
	global_store_dword v[46:47], v44, off
	flat_load_dword v42, v[42:43]
	s_waitcnt vmcnt(0) lgkmcnt(0)
	v_mul_f32_e32 v42, s12, v42
.LBB61_123:
	v_pk_add_f32 v[36:37], v[0:1], v[36:37]
	s_mov_b64 vcc, s[4:5]
	v_min3_f32 v43, v36, v37, v122
	s_waitcnt lgkmcnt(4)
	v_pk_add_f32 v[36:37], v[16:17], v[32:33]
	s_nop 0
	v_min3_f32 v44, v36, v37, v123
	v_pk_add_f32 v[36:37], v[2:3], v[38:39]
	s_nop 0
	v_min_f32_e32 v38, v36, v37
	v_pk_add_f32 v[36:37], v[18:19], v[34:35]
	v_min3_f32 v38, v42, v38, v43
	v_min3_f32 v44, v36, v37, v44
	v_lshl_add_u64 v[36:37], v[84:85], 2, v[40:41]
	global_store_dword v[36:37], v38, off
	v_add_u32_e32 v38, 0x58, v96
	v_mad_i64_i32 v[36:37], s[2:3], v38, s14, 0
	v_lshl_add_u64 v[36:37], v[36:37], 2, s[0:1]
	v_mad_i64_i32 v[38:39], s[2:3], v38, s9, 0
	v_max_f32_e32 v40, v44, v44
	s_cbranch_vccz .LBB61_126
; %bb.124:
	v_min_f32_e32 v41, 0, v40
	v_lshl_add_u64 v[42:43], v[82:83], 2, v[36:37]
	s_mov_b32 s8, 0
	global_store_dword v[42:43], v41, off
	v_lshl_add_u64 v[38:39], v[38:39], 2, s[6:7]
	s_cbranch_execz .LBB61_127
; %bb.125:
	v_mov_b32_e32 v40, s8
	s_branch .LBB61_128
.LBB61_126:
                                        ; implicit-def: $sgpr8
	v_lshl_add_u64 v[38:39], v[38:39], 2, s[6:7]
.LBB61_127:
	v_lshl_add_u64 v[42:43], v[38:39], 0, v[86:87]
	flat_load_dword v41, v[42:43]
	v_lshl_add_u64 v[42:43], v[36:37], 0, v[86:87]
	s_waitcnt vmcnt(0) lgkmcnt(0)
	v_mul_f32_e32 v41, s12, v41
	v_min_f32_e32 v40, v41, v40
	global_store_dword v[42:43], v40, off
	v_lshl_add_u64 v[40:41], v[80:81], 2, v[38:39]
	flat_load_dword v40, v[40:41]
	s_waitcnt vmcnt(0) lgkmcnt(0)
	v_mul_f32_e32 v40, s12, v40
.LBB61_128:
	v_pk_add_f32 v[42:43], v[12:13], v[32:33]
	s_mov_b64 vcc, s[4:5]
	v_min3_f32 v41, v42, v43, v120
	v_pk_add_f32 v[42:43], v[8:9], v[32:33]
	s_nop 0
	v_min3_f32 v44, v42, v43, v121
	v_pk_add_f32 v[42:43], v[14:15], v[34:35]
	s_nop 0
	v_min_f32_e32 v45, v42, v43
	v_pk_add_f32 v[42:43], v[10:11], v[34:35]
	s_nop 0
	v_min3_f32 v42, v42, v43, v44
	v_min3_f32 v43, v40, v45, v41
	v_lshl_add_u64 v[40:41], v[80:81], 2, v[36:37]
	global_store_dword v[40:41], v43, off
	v_max_f32_e32 v40, v42, v42
	s_cbranch_vccz .LBB61_131
; %bb.129:
	v_min_f32_e32 v41, 0, v40
	v_lshl_add_u64 v[42:43], v[88:89], 2, v[36:37]
	s_mov_b32 s8, 0
	global_store_dword v[42:43], v41, off
	s_cbranch_execz .LBB61_132
; %bb.130:
	v_mov_b32_e32 v38, s8
	s_branch .LBB61_133
.LBB61_131:
                                        ; implicit-def: $sgpr8
.LBB61_132:
	v_lshl_add_u64 v[42:43], v[38:39], 0, v[90:91]
	flat_load_dword v41, v[42:43]
	v_lshl_add_u64 v[42:43], v[36:37], 0, v[90:91]
	v_lshl_add_u64 v[38:39], v[84:85], 2, v[38:39]
	s_waitcnt vmcnt(0) lgkmcnt(0)
	v_mul_f32_e32 v41, s12, v41
	v_min_f32_e32 v40, v41, v40
	global_store_dword v[42:43], v40, off
	flat_load_dword v38, v[38:39]
	s_waitcnt vmcnt(0) lgkmcnt(0)
	v_mul_f32_e32 v38, s12, v38
.LBB61_133:
	v_pk_add_f32 v[32:33], v[0:1], v[32:33]
	s_mov_b64 vcc, s[4:5]
	v_min3_f32 v39, v32, v33, v118
	s_waitcnt lgkmcnt(3)
	v_pk_add_f32 v[32:33], v[16:17], v[28:29]
	s_nop 0
	v_min3_f32 v40, v32, v33, v119
	v_pk_add_f32 v[32:33], v[2:3], v[34:35]
	s_nop 0
	v_min_f32_e32 v34, v32, v33
	v_pk_add_f32 v[32:33], v[18:19], v[30:31]
	v_min3_f32 v34, v38, v34, v39
	v_min3_f32 v40, v32, v33, v40
	v_lshl_add_u64 v[32:33], v[84:85], 2, v[36:37]
	global_store_dword v[32:33], v34, off
	v_add_u32_e32 v34, 0x60, v96
	v_mad_i64_i32 v[32:33], s[2:3], v34, s14, 0
	v_lshl_add_u64 v[32:33], v[32:33], 2, s[0:1]
	v_mad_i64_i32 v[34:35], s[2:3], v34, s9, 0
	v_max_f32_e32 v36, v40, v40
	s_cbranch_vccz .LBB61_136
; %bb.134:
	v_min_f32_e32 v37, 0, v36
	v_lshl_add_u64 v[38:39], v[82:83], 2, v[32:33]
	s_mov_b32 s8, 0
	global_store_dword v[38:39], v37, off
	v_lshl_add_u64 v[34:35], v[34:35], 2, s[6:7]
	s_cbranch_execz .LBB61_137
; %bb.135:
	v_mov_b32_e32 v36, s8
	s_branch .LBB61_138
.LBB61_136:
                                        ; implicit-def: $sgpr8
	v_lshl_add_u64 v[34:35], v[34:35], 2, s[6:7]
.LBB61_137:
	v_lshl_add_u64 v[38:39], v[34:35], 0, v[86:87]
	flat_load_dword v37, v[38:39]
	v_lshl_add_u64 v[38:39], v[32:33], 0, v[86:87]
	s_waitcnt vmcnt(0) lgkmcnt(0)
	v_mul_f32_e32 v37, s12, v37
	v_min_f32_e32 v36, v37, v36
	global_store_dword v[38:39], v36, off
	v_lshl_add_u64 v[36:37], v[80:81], 2, v[34:35]
	flat_load_dword v36, v[36:37]
	s_waitcnt vmcnt(0) lgkmcnt(0)
	v_mul_f32_e32 v36, s12, v36
.LBB61_138:
	v_pk_add_f32 v[38:39], v[12:13], v[28:29]
	s_mov_b64 vcc, s[4:5]
	v_min3_f32 v37, v38, v39, v116
	v_pk_add_f32 v[38:39], v[8:9], v[28:29]
	s_nop 0
	v_min3_f32 v40, v38, v39, v117
	v_pk_add_f32 v[38:39], v[14:15], v[30:31]
	s_nop 0
	v_min_f32_e32 v41, v38, v39
	v_pk_add_f32 v[38:39], v[10:11], v[30:31]
	s_nop 0
	v_min3_f32 v38, v38, v39, v40
	v_min3_f32 v39, v36, v41, v37
	v_lshl_add_u64 v[36:37], v[80:81], 2, v[32:33]
	global_store_dword v[36:37], v39, off
	v_max_f32_e32 v36, v38, v38
	s_cbranch_vccz .LBB61_141
; %bb.139:
	v_min_f32_e32 v37, 0, v36
	v_lshl_add_u64 v[38:39], v[88:89], 2, v[32:33]
	s_mov_b32 s8, 0
	global_store_dword v[38:39], v37, off
	s_cbranch_execz .LBB61_142
; %bb.140:
	v_mov_b32_e32 v34, s8
	s_branch .LBB61_143
.LBB61_141:
                                        ; implicit-def: $sgpr8
.LBB61_142:
	v_lshl_add_u64 v[38:39], v[34:35], 0, v[90:91]
	flat_load_dword v37, v[38:39]
	v_lshl_add_u64 v[38:39], v[32:33], 0, v[90:91]
	v_lshl_add_u64 v[34:35], v[84:85], 2, v[34:35]
	s_waitcnt vmcnt(0) lgkmcnt(0)
	v_mul_f32_e32 v37, s12, v37
	v_min_f32_e32 v36, v37, v36
	global_store_dword v[38:39], v36, off
	flat_load_dword v34, v[34:35]
	s_waitcnt vmcnt(0) lgkmcnt(0)
	v_mul_f32_e32 v34, s12, v34
.LBB61_143:
	v_pk_add_f32 v[28:29], v[0:1], v[28:29]
	s_mov_b64 vcc, s[4:5]
	v_min3_f32 v35, v28, v29, v114
	s_waitcnt lgkmcnt(2)
	v_pk_add_f32 v[28:29], v[16:17], v[24:25]
	s_nop 0
	v_min3_f32 v36, v28, v29, v115
	v_pk_add_f32 v[28:29], v[2:3], v[30:31]
	s_nop 0
	v_min_f32_e32 v30, v28, v29
	v_pk_add_f32 v[28:29], v[18:19], v[26:27]
	v_min3_f32 v30, v34, v30, v35
	v_min3_f32 v36, v28, v29, v36
	v_lshl_add_u64 v[28:29], v[84:85], 2, v[32:33]
	global_store_dword v[28:29], v30, off
	v_add_u32_e32 v30, 0x68, v96
	v_mad_i64_i32 v[28:29], s[2:3], v30, s14, 0
	v_lshl_add_u64 v[28:29], v[28:29], 2, s[0:1]
	v_mad_i64_i32 v[30:31], s[2:3], v30, s9, 0
	v_max_f32_e32 v32, v36, v36
	s_cbranch_vccz .LBB61_146
; %bb.144:
	v_min_f32_e32 v33, 0, v32
	v_lshl_add_u64 v[34:35], v[82:83], 2, v[28:29]
	s_mov_b32 s8, 0
	global_store_dword v[34:35], v33, off
	v_lshl_add_u64 v[30:31], v[30:31], 2, s[6:7]
	s_cbranch_execz .LBB61_147
; %bb.145:
	v_mov_b32_e32 v32, s8
	s_branch .LBB61_148
.LBB61_146:
                                        ; implicit-def: $sgpr8
	v_lshl_add_u64 v[30:31], v[30:31], 2, s[6:7]
.LBB61_147:
	v_lshl_add_u64 v[34:35], v[30:31], 0, v[86:87]
	flat_load_dword v33, v[34:35]
	v_lshl_add_u64 v[34:35], v[28:29], 0, v[86:87]
	s_waitcnt vmcnt(0) lgkmcnt(0)
	v_mul_f32_e32 v33, s12, v33
	v_min_f32_e32 v32, v33, v32
	global_store_dword v[34:35], v32, off
	v_lshl_add_u64 v[32:33], v[80:81], 2, v[30:31]
	flat_load_dword v32, v[32:33]
	s_waitcnt vmcnt(0) lgkmcnt(0)
	v_mul_f32_e32 v32, s12, v32
.LBB61_148:
	v_pk_add_f32 v[34:35], v[12:13], v[24:25]
	s_mov_b64 vcc, s[4:5]
	v_min3_f32 v33, v34, v35, v112
	v_pk_add_f32 v[34:35], v[8:9], v[24:25]
	s_nop 0
	v_min3_f32 v36, v34, v35, v113
	v_pk_add_f32 v[34:35], v[14:15], v[26:27]
	s_nop 0
	v_min_f32_e32 v37, v34, v35
	v_pk_add_f32 v[34:35], v[10:11], v[26:27]
	s_nop 0
	v_min3_f32 v34, v34, v35, v36
	v_min3_f32 v35, v32, v37, v33
	v_lshl_add_u64 v[32:33], v[80:81], 2, v[28:29]
	global_store_dword v[32:33], v35, off
	v_max_f32_e32 v32, v34, v34
	s_cbranch_vccz .LBB61_151
; %bb.149:
	v_min_f32_e32 v33, 0, v32
	v_lshl_add_u64 v[34:35], v[88:89], 2, v[28:29]
	s_mov_b32 s8, 0
	global_store_dword v[34:35], v33, off
	s_cbranch_execz .LBB61_152
; %bb.150:
	v_mov_b32_e32 v30, s8
	s_branch .LBB61_153
.LBB61_151:
                                        ; implicit-def: $sgpr8
.LBB61_152:
	v_lshl_add_u64 v[34:35], v[30:31], 0, v[90:91]
	flat_load_dword v33, v[34:35]
	v_lshl_add_u64 v[34:35], v[28:29], 0, v[90:91]
	v_lshl_add_u64 v[30:31], v[84:85], 2, v[30:31]
	s_waitcnt vmcnt(0) lgkmcnt(0)
	v_mul_f32_e32 v33, s12, v33
	v_min_f32_e32 v32, v33, v32
	global_store_dword v[34:35], v32, off
	flat_load_dword v30, v[30:31]
	s_waitcnt vmcnt(0) lgkmcnt(0)
	v_mul_f32_e32 v30, s12, v30
.LBB61_153:
	v_pk_add_f32 v[24:25], v[0:1], v[24:25]
	s_mov_b64 vcc, s[4:5]
	v_min3_f32 v31, v24, v25, v110
	s_waitcnt lgkmcnt(1)
	v_pk_add_f32 v[24:25], v[16:17], v[20:21]
	s_nop 0
	v_min3_f32 v32, v24, v25, v111
	v_pk_add_f32 v[24:25], v[2:3], v[26:27]
	s_nop 0
	v_min_f32_e32 v26, v24, v25
	v_pk_add_f32 v[24:25], v[18:19], v[22:23]
	v_min3_f32 v26, v30, v26, v31
	v_min3_f32 v32, v24, v25, v32
	v_lshl_add_u64 v[24:25], v[84:85], 2, v[28:29]
	global_store_dword v[24:25], v26, off
	v_add_u32_e32 v26, 0x70, v96
	v_mad_i64_i32 v[24:25], s[2:3], v26, s14, 0
	v_lshl_add_u64 v[24:25], v[24:25], 2, s[0:1]
	v_mad_i64_i32 v[26:27], s[2:3], v26, s9, 0
	v_max_f32_e32 v28, v32, v32
	s_cbranch_vccz .LBB61_156
; %bb.154:
	v_min_f32_e32 v29, 0, v28
	v_lshl_add_u64 v[30:31], v[82:83], 2, v[24:25]
	s_mov_b32 s8, 0
	global_store_dword v[30:31], v29, off
	v_lshl_add_u64 v[26:27], v[26:27], 2, s[6:7]
	s_cbranch_execz .LBB61_157
; %bb.155:
	v_mov_b32_e32 v28, s8
	s_branch .LBB61_158
.LBB61_156:
                                        ; implicit-def: $sgpr8
	v_lshl_add_u64 v[26:27], v[26:27], 2, s[6:7]
.LBB61_157:
	v_lshl_add_u64 v[30:31], v[26:27], 0, v[86:87]
	flat_load_dword v29, v[30:31]
	v_lshl_add_u64 v[30:31], v[24:25], 0, v[86:87]
	s_waitcnt vmcnt(0) lgkmcnt(0)
	v_mul_f32_e32 v29, s12, v29
	v_min_f32_e32 v28, v29, v28
	global_store_dword v[30:31], v28, off
	v_lshl_add_u64 v[28:29], v[80:81], 2, v[26:27]
	flat_load_dword v28, v[28:29]
	s_waitcnt vmcnt(0) lgkmcnt(0)
	v_mul_f32_e32 v28, s12, v28
.LBB61_158:
	v_pk_add_f32 v[30:31], v[12:13], v[20:21]
	s_mov_b64 vcc, s[4:5]
	v_min3_f32 v29, v30, v31, v108
	v_pk_add_f32 v[30:31], v[8:9], v[20:21]
	s_nop 0
	v_min3_f32 v32, v30, v31, v109
	v_pk_add_f32 v[30:31], v[14:15], v[22:23]
	s_nop 0
	v_min_f32_e32 v33, v30, v31
	v_pk_add_f32 v[30:31], v[10:11], v[22:23]
	s_nop 0
	v_min3_f32 v30, v30, v31, v32
	v_min3_f32 v31, v28, v33, v29
	v_lshl_add_u64 v[28:29], v[80:81], 2, v[24:25]
	global_store_dword v[28:29], v31, off
	v_max_f32_e32 v28, v30, v30
	s_cbranch_vccz .LBB61_161
; %bb.159:
	v_min_f32_e32 v29, 0, v28
	v_lshl_add_u64 v[30:31], v[88:89], 2, v[24:25]
	s_mov_b32 s8, 0
	global_store_dword v[30:31], v29, off
	s_cbranch_execz .LBB61_162
; %bb.160:
	v_mov_b32_e32 v26, s8
	s_branch .LBB61_163
.LBB61_161:
                                        ; implicit-def: $sgpr8
.LBB61_162:
	v_lshl_add_u64 v[30:31], v[26:27], 0, v[90:91]
	flat_load_dword v29, v[30:31]
	v_lshl_add_u64 v[30:31], v[24:25], 0, v[90:91]
	v_lshl_add_u64 v[26:27], v[84:85], 2, v[26:27]
	s_waitcnt vmcnt(0) lgkmcnt(0)
	v_mul_f32_e32 v29, s12, v29
	v_min_f32_e32 v28, v29, v28
	global_store_dword v[30:31], v28, off
	flat_load_dword v26, v[26:27]
	s_waitcnt vmcnt(0) lgkmcnt(0)
	v_mul_f32_e32 v26, s12, v26
.LBB61_163:
	v_pk_add_f32 v[20:21], v[0:1], v[20:21]
	s_waitcnt lgkmcnt(0)
	v_pk_add_f32 v[16:17], v[16:17], v[4:5]
	v_min3_f32 v20, v20, v21, v105
	v_min3_f32 v21, v16, v17, v106
	v_pk_add_f32 v[16:17], v[2:3], v[22:23]
	s_mov_b64 vcc, s[4:5]
	v_min_f32_e32 v22, v16, v17
	v_pk_add_f32 v[16:17], v[18:19], v[6:7]
	v_min3_f32 v18, v26, v22, v20
	v_min3_f32 v21, v16, v17, v21
	v_lshl_add_u64 v[16:17], v[84:85], 2, v[24:25]
	global_store_dword v[16:17], v18, off
	v_add_u32_e32 v18, 0x78, v96
	v_mad_i64_i32 v[16:17], s[2:3], v18, s14, 0
	v_lshl_add_u64 v[16:17], v[16:17], 2, s[0:1]
	v_mad_i64_i32 v[18:19], s[0:1], v18, s9, 0
	v_max_f32_e32 v20, v21, v21
	s_cbranch_vccz .LBB61_166
; %bb.164:
	v_min_f32_e32 v21, 0, v20
	v_lshl_add_u64 v[22:23], v[82:83], 2, v[16:17]
	s_mov_b32 s2, 0
	global_store_dword v[22:23], v21, off
	v_lshl_add_u64 v[18:19], v[18:19], 2, s[6:7]
	s_cbranch_execz .LBB61_167
; %bb.165:
	v_mov_b32_e32 v20, s2
	s_branch .LBB61_168
.LBB61_166:
                                        ; implicit-def: $sgpr2
	v_lshl_add_u64 v[18:19], v[18:19], 2, s[6:7]
.LBB61_167:
	v_lshl_add_u64 v[22:23], v[18:19], 0, v[86:87]
	flat_load_dword v21, v[22:23]
	v_lshl_add_u64 v[22:23], v[16:17], 0, v[86:87]
	s_waitcnt vmcnt(0) lgkmcnt(0)
	v_mul_f32_e32 v21, s12, v21
	v_min_f32_e32 v20, v21, v20
	global_store_dword v[22:23], v20, off
	v_lshl_add_u64 v[20:21], v[80:81], 2, v[18:19]
	flat_load_dword v20, v[20:21]
	s_waitcnt vmcnt(0) lgkmcnt(0)
	v_mul_f32_e32 v20, s12, v20
.LBB61_168:
	v_pk_add_f32 v[12:13], v[12:13], v[4:5]
	v_pk_add_f32 v[8:9], v[8:9], v[4:5]
	v_min3_f32 v12, v12, v13, v103
	v_min3_f32 v13, v8, v9, v104
	v_pk_add_f32 v[8:9], v[14:15], v[6:7]
	s_mov_b64 vcc, s[4:5]
	v_min_f32_e32 v14, v8, v9
	v_pk_add_f32 v[8:9], v[10:11], v[6:7]
	v_min3_f32 v11, v20, v14, v12
	v_min3_f32 v10, v8, v9, v13
	v_lshl_add_u64 v[8:9], v[80:81], 2, v[16:17]
	global_store_dword v[8:9], v11, off
	v_max_f32_e32 v8, v10, v10
	s_cbranch_vccz .LBB61_171
; %bb.169:
	v_min_f32_e32 v9, 0, v8
	v_lshl_add_u64 v[10:11], v[88:89], 2, v[16:17]
	s_mov_b32 s2, 0
	global_store_dword v[10:11], v9, off
	s_cbranch_execz .LBB61_172
; %bb.170:
	v_mov_b32_e32 v8, s2
	s_branch .LBB61_173
.LBB61_171:
                                        ; implicit-def: $sgpr2
.LBB61_172:
	v_lshl_add_u64 v[10:11], v[18:19], 0, v[90:91]
	flat_load_dword v9, v[10:11]
	v_lshl_add_u64 v[10:11], v[16:17], 0, v[90:91]
	s_waitcnt vmcnt(0) lgkmcnt(0)
	v_mul_f32_e32 v9, s12, v9
	v_min_f32_e32 v8, v9, v8
	global_store_dword v[10:11], v8, off
	v_lshl_add_u64 v[8:9], v[84:85], 2, v[18:19]
	flat_load_dword v8, v[8:9]
	s_waitcnt vmcnt(0) lgkmcnt(0)
	v_mul_f32_e32 v8, s12, v8
.LBB61_173:
	v_pk_add_f32 v[2:3], v[2:3], v[6:7]
	v_pk_add_f32 v[0:1], v[0:1], v[4:5]
	v_min_f32_e32 v2, v2, v3
	v_min3_f32 v0, v0, v1, v107
	v_min3_f32 v2, v8, v2, v0
	v_lshl_add_u64 v[0:1], v[84:85], 2, v[16:17]
	global_store_dword v[0:1], v2, off
	s_endpgm
	.section	.rodata,"a",@progbits
	.p2align	6, 0x0
	.amdhsa_kernel _ZN12_GLOBAL__N_120geam_min_plus_kernelIf15HIP_vector_typeIfLj2EEfLi32ELi8ELi128ELi128ELi4ELi4ELi64ELi4ELi64ELc84ELc78ELb1ELb0ELb1EfKffEEviiiT16_PT17_ilS6_ilS4_S6_ilPT18_ili26rocblas_geam_ex_operation_
		.amdhsa_group_segment_fixed_size 8192
		.amdhsa_private_segment_fixed_size 0
		.amdhsa_kernarg_size 128
		.amdhsa_user_sgpr_count 2
		.amdhsa_user_sgpr_dispatch_ptr 0
		.amdhsa_user_sgpr_queue_ptr 0
		.amdhsa_user_sgpr_kernarg_segment_ptr 1
		.amdhsa_user_sgpr_dispatch_id 0
		.amdhsa_user_sgpr_kernarg_preload_length 0
		.amdhsa_user_sgpr_kernarg_preload_offset 0
		.amdhsa_user_sgpr_private_segment_size 0
		.amdhsa_uses_dynamic_stack 0
		.amdhsa_enable_private_segment 0
		.amdhsa_system_sgpr_workgroup_id_x 1
		.amdhsa_system_sgpr_workgroup_id_y 0
		.amdhsa_system_sgpr_workgroup_id_z 1
		.amdhsa_system_sgpr_workgroup_info 0
		.amdhsa_system_vgpr_workitem_id 1
		.amdhsa_next_free_vgpr 187
		.amdhsa_next_free_sgpr 24
		.amdhsa_accum_offset 188
		.amdhsa_reserve_vcc 1
		.amdhsa_float_round_mode_32 0
		.amdhsa_float_round_mode_16_64 0
		.amdhsa_float_denorm_mode_32 3
		.amdhsa_float_denorm_mode_16_64 3
		.amdhsa_dx10_clamp 1
		.amdhsa_ieee_mode 1
		.amdhsa_fp16_overflow 0
		.amdhsa_tg_split 0
		.amdhsa_exception_fp_ieee_invalid_op 0
		.amdhsa_exception_fp_denorm_src 0
		.amdhsa_exception_fp_ieee_div_zero 0
		.amdhsa_exception_fp_ieee_overflow 0
		.amdhsa_exception_fp_ieee_underflow 0
		.amdhsa_exception_fp_ieee_inexact 0
		.amdhsa_exception_int_div_zero 0
	.end_amdhsa_kernel
	.section	.text._ZN12_GLOBAL__N_120geam_min_plus_kernelIf15HIP_vector_typeIfLj2EEfLi32ELi8ELi128ELi128ELi4ELi4ELi64ELi4ELi64ELc84ELc78ELb1ELb0ELb1EfKffEEviiiT16_PT17_ilS6_ilS4_S6_ilPT18_ili26rocblas_geam_ex_operation_,"axG",@progbits,_ZN12_GLOBAL__N_120geam_min_plus_kernelIf15HIP_vector_typeIfLj2EEfLi32ELi8ELi128ELi128ELi4ELi4ELi64ELi4ELi64ELc84ELc78ELb1ELb0ELb1EfKffEEviiiT16_PT17_ilS6_ilS4_S6_ilPT18_ili26rocblas_geam_ex_operation_,comdat
.Lfunc_end61:
	.size	_ZN12_GLOBAL__N_120geam_min_plus_kernelIf15HIP_vector_typeIfLj2EEfLi32ELi8ELi128ELi128ELi4ELi4ELi64ELi4ELi64ELc84ELc78ELb1ELb0ELb1EfKffEEviiiT16_PT17_ilS6_ilS4_S6_ilPT18_ili26rocblas_geam_ex_operation_, .Lfunc_end61-_ZN12_GLOBAL__N_120geam_min_plus_kernelIf15HIP_vector_typeIfLj2EEfLi32ELi8ELi128ELi128ELi4ELi4ELi64ELi4ELi64ELc84ELc78ELb1ELb0ELb1EfKffEEviiiT16_PT17_ilS6_ilS4_S6_ilPT18_ili26rocblas_geam_ex_operation_
                                        ; -- End function
	.section	.AMDGPU.csdata,"",@progbits
; Kernel info:
; codeLenInByte = 16152
; NumSgprs: 30
; NumVgprs: 187
; NumAgprs: 0
; TotalNumVgprs: 187
; ScratchSize: 0
; MemoryBound: 0
; FloatMode: 240
; IeeeMode: 1
; LDSByteSize: 8192 bytes/workgroup (compile time only)
; SGPRBlocks: 3
; VGPRBlocks: 23
; NumSGPRsForWavesPerEU: 30
; NumVGPRsForWavesPerEU: 187
; AccumOffset: 188
; Occupancy: 2
; WaveLimiterHint : 0
; COMPUTE_PGM_RSRC2:SCRATCH_EN: 0
; COMPUTE_PGM_RSRC2:USER_SGPR: 2
; COMPUTE_PGM_RSRC2:TRAP_HANDLER: 0
; COMPUTE_PGM_RSRC2:TGID_X_EN: 1
; COMPUTE_PGM_RSRC2:TGID_Y_EN: 0
; COMPUTE_PGM_RSRC2:TGID_Z_EN: 1
; COMPUTE_PGM_RSRC2:TIDIG_COMP_CNT: 1
; COMPUTE_PGM_RSRC3_GFX90A:ACCUM_OFFSET: 46
; COMPUTE_PGM_RSRC3_GFX90A:TG_SPLIT: 0
	.section	.text._ZN12_GLOBAL__N_120geam_min_plus_kernelIf15HIP_vector_typeIfLj2EEfLi32ELi8ELi128ELi128ELi4ELi4ELi64ELi4ELi64ELc84ELc78ELb0ELb0ELb1EfKffEEviiiT16_PT17_ilS6_ilS4_S6_ilPT18_ili26rocblas_geam_ex_operation_,"axG",@progbits,_ZN12_GLOBAL__N_120geam_min_plus_kernelIf15HIP_vector_typeIfLj2EEfLi32ELi8ELi128ELi128ELi4ELi4ELi64ELi4ELi64ELc84ELc78ELb0ELb0ELb1EfKffEEviiiT16_PT17_ilS6_ilS4_S6_ilPT18_ili26rocblas_geam_ex_operation_,comdat
	.globl	_ZN12_GLOBAL__N_120geam_min_plus_kernelIf15HIP_vector_typeIfLj2EEfLi32ELi8ELi128ELi128ELi4ELi4ELi64ELi4ELi64ELc84ELc78ELb0ELb0ELb1EfKffEEviiiT16_PT17_ilS6_ilS4_S6_ilPT18_ili26rocblas_geam_ex_operation_ ; -- Begin function _ZN12_GLOBAL__N_120geam_min_plus_kernelIf15HIP_vector_typeIfLj2EEfLi32ELi8ELi128ELi128ELi4ELi4ELi64ELi4ELi64ELc84ELc78ELb0ELb0ELb1EfKffEEviiiT16_PT17_ilS6_ilS4_S6_ilPT18_ili26rocblas_geam_ex_operation_
	.p2align	8
	.type	_ZN12_GLOBAL__N_120geam_min_plus_kernelIf15HIP_vector_typeIfLj2EEfLi32ELi8ELi128ELi128ELi4ELi4ELi64ELi4ELi64ELc84ELc78ELb0ELb0ELb1EfKffEEviiiT16_PT17_ilS6_ilS4_S6_ilPT18_ili26rocblas_geam_ex_operation_,@function
_ZN12_GLOBAL__N_120geam_min_plus_kernelIf15HIP_vector_typeIfLj2EEfLi32ELi8ELi128ELi128ELi4ELi4ELi64ELi4ELi64ELc84ELc78ELb0ELb0ELb1EfKffEEviiiT16_PT17_ilS6_ilS4_S6_ilPT18_ili26rocblas_geam_ex_operation_: ; @_ZN12_GLOBAL__N_120geam_min_plus_kernelIf15HIP_vector_typeIfLj2EEfLi32ELi8ELi128ELi128ELi4ELi4ELi64ELi4ELi64ELc84ELc78ELb0ELb0ELb1EfKffEEviiiT16_PT17_ilS6_ilS4_S6_ilPT18_ili26rocblas_geam_ex_operation_
; %bb.0:
	s_load_dwordx2 s[14:15], s[0:1], 0x8
	s_load_dwordx4 s[4:7], s[0:1], 0x20
	s_waitcnt lgkmcnt(0)
	v_cmp_eq_f32_e64 s[8:9], s15, 0
	s_and_b64 vcc, exec, s[8:9]
	s_cbranch_vccnz .LBB62_3
; %bb.1:
	s_load_dwordx2 s[10:11], s[0:1], 0x10
	s_mul_i32 s5, s3, s5
	s_mul_hi_u32 s12, s3, s4
	s_add_i32 s5, s12, s5
	s_mul_i32 s4, s3, s4
	s_lshl_b64 s[4:5], s[4:5], 2
	s_waitcnt lgkmcnt(0)
	s_add_u32 s16, s10, s4
	s_addc_u32 s17, s11, s5
	s_andn2_b64 vcc, exec, s[8:9]
	s_cbranch_vccnz .LBB62_4
.LBB62_2:
	s_mov_b32 s13, 0
	s_mov_b64 s[18:19], 0
	s_cbranch_execz .LBB62_5
	s_branch .LBB62_6
.LBB62_3:
	s_mov_b64 s[16:17], 0
	s_andn2_b64 vcc, exec, s[8:9]
	s_cbranch_vccz .LBB62_2
.LBB62_4:
                                        ; implicit-def: $sgpr18_sgpr19
                                        ; implicit-def: $sgpr12_sgpr13
.LBB62_5:
	s_load_dwordx2 s[4:5], s[0:1], 0x38
	s_mov_b32 s13, 0
	s_waitcnt lgkmcnt(0)
	s_mul_i32 s5, s3, s5
	s_mul_hi_u32 s8, s3, s4
	s_add_i32 s5, s8, s5
	s_mul_i32 s4, s3, s4
	s_lshl_b64 s[4:5], s[4:5], 2
	s_add_u32 s18, s6, s4
	s_addc_u32 s19, s7, s5
.LBB62_6:
	s_load_dword s12, s[0:1], 0x40
	s_load_dwordx4 s[8:11], s[0:1], 0x58
	v_cmp_neq_f32_e64 s[20:21], s15, 0
	s_waitcnt lgkmcnt(0)
	v_cmp_eq_f32_e64 s[4:5], s12, 0
	s_and_b64 s[6:7], exec, s[4:5]
	s_mov_b64 vcc, s[6:7]
	s_cbranch_vccnz .LBB62_8
; %bb.7:
	s_load_dwordx2 s[4:5], s[0:1], 0x48
	s_mul_i32 s9, s3, s9
	s_mul_hi_u32 s22, s3, s8
	s_add_i32 s9, s22, s9
	s_mul_i32 s22, s13, s8
	s_add_i32 s9, s9, s22
	s_mul_i32 s8, s3, s8
	s_lshl_b64 s[8:9], s[8:9], 2
	s_waitcnt lgkmcnt(0)
	s_add_u32 s8, s4, s8
	s_addc_u32 s9, s5, s9
	s_branch .LBB62_9
.LBB62_8:
	s_mov_b64 s[8:9], 0
.LBB62_9:
	s_load_dword s4, s[0:1], 0x0
	s_load_dword s22, s[0:1], 0x18
	v_and_b32_e32 v129, 0x3ff, v0
	v_bfe_u32 v130, v0, 10, 10
	v_lshl_add_u32 v2, v130, 5, v129
	s_waitcnt lgkmcnt(0)
	s_add_i32 s4, s4, -1
	s_ashr_i32 s5, s4, 31
	s_lshr_b32 s5, s5, 25
	s_add_i32 s4, s4, s5
	s_ashr_i32 s23, s4, 7
	s_add_i32 s25, s23, 1
	v_cvt_f32_u32_e32 v1, s25
	s_not_b32 s23, s23
	v_lshrrev_b32_e32 v4, 2, v2
	v_and_b32_e32 v3, 3, v129
	v_rcp_iflag_f32_e32 v0, v1
	v_cndmask_b32_e64 v1, 0, 1, s[20:21]
	v_cmp_ne_u32_e64 s[4:5], 1, v1
	v_lshlrev_b32_e32 v80, 2, v3
	v_mul_f32_e32 v0, 0x4f7ffffe, v0
	v_cvt_u32_f32_e32 v0, v0
	s_nop 0
	v_readfirstlane_b32 s24, v0
	s_mul_i32 s23, s23, s24
	s_mul_hi_u32 s23, s24, s23
	s_add_i32 s24, s24, s23
	s_mul_hi_u32 s23, s2, s24
	s_mul_i32 s24, s23, s25
	s_sub_i32 s24, s2, s24
	s_add_i32 s26, s23, 1
	s_sub_i32 s27, s24, s25
	s_cmp_ge_u32 s24, s25
	s_cselect_b32 s23, s26, s23
	s_cselect_b32 s24, s27, s24
	s_add_i32 s26, s23, 1
	s_cmp_ge_u32 s24, s25
	s_cselect_b32 s24, s26, s23
	s_andn2_b64 vcc, exec, s[20:21]
	s_mul_i32 s20, s24, s25
	s_sub_i32 s2, s2, s20
	s_lshl_b32 s2, s2, 7
	v_add_u32_e32 v88, s2, v4
	v_add_u32_e32 v86, 64, v88
	s_cbranch_vccnz .LBB62_11
; %bb.10:
	v_mov_b32_e32 v81, 0
	v_lshl_add_u64 v[0:1], s[16:17], 0, v[80:81]
	v_mad_i64_i32 v[2:3], s[20:21], v88, s22, 0
	v_lshl_add_u64 v[2:3], v[2:3], 2, v[0:1]
	v_mad_i64_i32 v[6:7], s[20:21], v86, s22, 0
	v_lshl_add_u64 v[0:1], v[6:7], 2, v[0:1]
	flat_load_dword v6, v[2:3]
	flat_load_dword v7, v[0:1]
	s_mov_b32 s20, s15
	s_waitcnt vmcnt(0) lgkmcnt(0)
	v_pk_mul_f32 v[0:1], v[6:7], s[20:21] op_sel_hi:[1,0]
	s_branch .LBB62_12
.LBB62_11:
	v_mov_b32_e32 v0, 0
	v_mov_b32_e32 v1, 0
.LBB62_12:
	s_load_dword s23, s[0:1], 0x30
	s_lshl_b32 s20, s24, 7
	v_add_u32_e32 v87, s20, v4
	s_and_b64 vcc, exec, s[4:5]
	v_add_u32_e32 v89, 64, v87
	s_cbranch_vccnz .LBB62_16
; %bb.13:
	v_mov_b32_e32 v81, 0
	v_lshl_add_u64 v[2:3], s[18:19], 0, v[80:81]
	s_waitcnt lgkmcnt(0)
	v_mad_i64_i32 v[6:7], s[24:25], v87, s23, 0
	v_lshl_add_u64 v[6:7], v[6:7], 2, v[2:3]
	v_mad_i64_i32 v[8:9], s[24:25], v89, s23, 0
	v_lshl_add_u64 v[2:3], v[8:9], 2, v[2:3]
	flat_load_dword v8, v[6:7]
	flat_load_dword v9, v[2:3]
	s_mov_b32 s24, s15
	s_waitcnt vmcnt(0) lgkmcnt(0)
	v_pk_mul_f32 v[2:3], v[8:9], s[24:25] op_sel_hi:[1,0]
	s_and_b64 vcc, exec, s[4:5]
	s_cbranch_vccnz .LBB62_17
.LBB62_14:
	v_mov_b32_e32 v81, 0
	v_lshl_add_u64 v[6:7], s[16:17], 0, v[80:81]
	v_mad_i64_i32 v[8:9], s[24:25], v88, s22, 0
	v_lshl_add_u64 v[8:9], v[8:9], 2, v[6:7]
	v_mad_i64_i32 v[10:11], s[24:25], v86, s22, 0
	v_lshl_add_u64 v[6:7], v[10:11], 2, v[6:7]
	flat_load_dword v10, v[8:9] offset:16
	flat_load_dword v11, v[6:7] offset:16
	s_mov_b32 s24, s15
	s_waitcnt vmcnt(0) lgkmcnt(0)
	v_pk_mul_f32 v[82:83], v[10:11], s[24:25] op_sel_hi:[1,0]
	s_and_b64 vcc, exec, s[4:5]
	s_cbranch_vccnz .LBB62_18
.LBB62_15:
	v_mov_b32_e32 v81, 0
	v_lshl_add_u64 v[6:7], s[18:19], 0, v[80:81]
	s_waitcnt lgkmcnt(0)
	v_mad_i64_i32 v[8:9], s[24:25], v87, s23, 0
	v_lshl_add_u64 v[8:9], v[8:9], 2, v[6:7]
	v_mad_i64_i32 v[10:11], s[24:25], v89, s23, 0
	v_lshl_add_u64 v[6:7], v[10:11], 2, v[6:7]
	flat_load_dword v10, v[8:9] offset:16
	flat_load_dword v11, v[6:7] offset:16
	s_mov_b32 s24, s15
	s_waitcnt vmcnt(0) lgkmcnt(0)
	v_pk_mul_f32 v[84:85], v[10:11], s[24:25] op_sel_hi:[1,0]
	s_branch .LBB62_19
.LBB62_16:
	v_mov_b32_e32 v2, 0
	v_mov_b32_e32 v3, 0
	s_and_b64 vcc, exec, s[4:5]
	s_cbranch_vccz .LBB62_14
.LBB62_17:
	v_mov_b32_e32 v82, 0
	v_mov_b32_e32 v83, 0
	s_and_b64 vcc, exec, s[4:5]
	s_cbranch_vccz .LBB62_15
.LBB62_18:
	v_mov_b32_e32 v84, 0
	v_mov_b32_e32 v85, 0
.LBB62_19:
	v_lshl_or_b32 v149, v4, 4, v80
	v_lshlrev_b32_e32 v136, 4, v129
	ds_write2st64_b32 v149, v0, v1 offset1:4
	ds_write2st64_b32 v149, v2, v3 offset0:16 offset1:20
	s_waitcnt lgkmcnt(0)
	s_barrier
	ds_read_b128 v[12:15], v136
	ds_read_b128 v[8:11], v136 offset:512
	ds_read_b128 v[4:7], v136 offset:1024
	;; [unrolled: 1-line block ×3, first 2 shown]
	v_lshlrev_b32_e32 v138, 4, v130
	ds_read_b128 v[76:79], v138 offset:4096
	ds_read_b128 v[72:75], v138 offset:4224
	;; [unrolled: 1-line block ×16, first 2 shown]
	s_waitcnt lgkmcnt(14)
	v_pk_add_f32 v[90:91], v[12:13], v[76:77]
	s_mov_b32 s21, 0x7f7fffff
	v_min3_f32 v81, v90, v91, s21
	v_pk_add_f32 v[90:91], v[8:9], v[76:77]
	s_cmp_lt_i32 s14, 9
	v_min3_f32 v92, v90, v91, s21
	v_pk_add_f32 v[90:91], v[4:5], v[76:77]
	v_pk_add_f32 v[76:77], v[0:1], v[76:77]
	v_min3_f32 v90, v90, v91, s21
	v_min3_f32 v91, v76, v77, s21
	v_pk_add_f32 v[76:77], v[12:13], v[72:73]
	ds_write2st64_b32 v149, v82, v83 offset0:8 offset1:12
	ds_write2st64_b32 v149, v84, v85 offset0:24 offset1:28
	v_min3_f32 v93, v76, v77, s21
	v_pk_add_f32 v[76:77], v[8:9], v[72:73]
	s_waitcnt lgkmcnt(0)
	v_min3_f32 v94, v76, v77, s21
	v_pk_add_f32 v[76:77], v[4:5], v[72:73]
	v_pk_add_f32 v[72:73], v[0:1], v[72:73]
	v_min3_f32 v76, v76, v77, s21
	v_min3_f32 v77, v72, v73, s21
	v_pk_add_f32 v[72:73], v[12:13], v[68:69]
	s_barrier
	v_min3_f32 v95, v72, v73, s21
	v_pk_add_f32 v[72:73], v[8:9], v[68:69]
	s_nop 0
	v_min3_f32 v96, v72, v73, s21
	v_pk_add_f32 v[72:73], v[4:5], v[68:69]
	v_pk_add_f32 v[68:69], v[0:1], v[68:69]
	v_min3_f32 v72, v72, v73, s21
	v_min3_f32 v73, v68, v69, s21
	v_pk_add_f32 v[68:69], v[12:13], v[64:65]
	s_nop 0
	v_min3_f32 v97, v68, v69, s21
	v_pk_add_f32 v[68:69], v[8:9], v[64:65]
	s_nop 0
	v_min3_f32 v98, v68, v69, s21
	v_pk_add_f32 v[68:69], v[4:5], v[64:65]
	v_pk_add_f32 v[64:65], v[0:1], v[64:65]
	v_min3_f32 v68, v68, v69, s21
	v_min3_f32 v69, v64, v65, s21
	v_pk_add_f32 v[64:65], v[12:13], v[60:61]
	s_nop 0
	;; [unrolled: 10-line block ×11, first 2 shown]
	v_min3_f32 v171, v28, v29, s21
	v_pk_add_f32 v[28:29], v[8:9], v[24:25]
	s_nop 0
	v_min3_f32 v172, v28, v29, s21
	v_pk_add_f32 v[28:29], v[4:5], v[24:25]
	v_pk_add_f32 v[24:25], v[0:1], v[24:25]
	v_min3_f32 v28, v28, v29, s21
	v_min3_f32 v29, v24, v25, s21
	v_pk_add_f32 v[24:25], v[12:13], v[20:21]
	v_pk_add_f32 v[12:13], v[12:13], v[16:17]
	v_min3_f32 v173, v24, v25, s21
	v_pk_add_f32 v[24:25], v[8:9], v[20:21]
	v_min3_f32 v12, v12, v13, s21
	v_min3_f32 v174, v24, v25, s21
	v_pk_add_f32 v[24:25], v[4:5], v[20:21]
	v_pk_add_f32 v[20:21], v[0:1], v[20:21]
	;; [unrolled: 1-line block ×4, first 2 shown]
	v_min3_f32 v4, v4, v5, s21
	v_min3_f32 v5, v0, v1, s21
	v_pk_add_f32 v[0:1], v[14:15], v[78:79]
	v_min3_f32 v24, v24, v25, s21
	v_min3_f32 v170, v0, v1, v81
	v_pk_add_f32 v[0:1], v[10:11], v[78:79]
	;; [unrolled: 3-line block ×3, first 2 shown]
	v_pk_add_f32 v[8:9], v[8:9], v[16:17]
	v_min3_f32 v169, v0, v1, v90
	v_pk_add_f32 v[0:1], v[2:3], v[78:79]
	v_min3_f32 v8, v8, v9, s21
	v_min3_f32 v166, v0, v1, v91
	v_pk_add_f32 v[0:1], v[14:15], v[74:75]
	s_nop 0
	v_min3_f32 v167, v0, v1, v93
	v_pk_add_f32 v[0:1], v[10:11], v[74:75]
	s_nop 0
	v_min3_f32 v164, v0, v1, v94
	v_pk_add_f32 v[0:1], v[6:7], v[74:75]
	s_nop 0
	v_min3_f32 v165, v0, v1, v76
	v_pk_add_f32 v[0:1], v[2:3], v[74:75]
	s_nop 0
	v_min3_f32 v162, v0, v1, v77
	v_pk_add_f32 v[0:1], v[14:15], v[70:71]
	s_nop 0
	v_min3_f32 v163, v0, v1, v95
	v_pk_add_f32 v[0:1], v[10:11], v[70:71]
	s_nop 0
	v_min3_f32 v160, v0, v1, v96
	v_pk_add_f32 v[0:1], v[6:7], v[70:71]
	s_nop 0
	v_min3_f32 v161, v0, v1, v72
	v_pk_add_f32 v[0:1], v[2:3], v[70:71]
	s_nop 0
	v_min3_f32 v158, v0, v1, v73
	v_pk_add_f32 v[0:1], v[14:15], v[66:67]
	s_nop 0
	v_min3_f32 v159, v0, v1, v97
	v_pk_add_f32 v[0:1], v[10:11], v[66:67]
	s_nop 0
	v_min3_f32 v156, v0, v1, v98
	v_pk_add_f32 v[0:1], v[6:7], v[66:67]
	s_nop 0
	v_min3_f32 v157, v0, v1, v68
	v_pk_add_f32 v[0:1], v[2:3], v[66:67]
	s_nop 0
	v_min3_f32 v154, v0, v1, v69
	v_pk_add_f32 v[0:1], v[14:15], v[62:63]
	s_nop 0
	v_min3_f32 v155, v0, v1, v99
	v_pk_add_f32 v[0:1], v[10:11], v[62:63]
	s_nop 0
	v_min3_f32 v152, v0, v1, v100
	v_pk_add_f32 v[0:1], v[6:7], v[62:63]
	s_nop 0
	v_min3_f32 v153, v0, v1, v64
	v_pk_add_f32 v[0:1], v[2:3], v[62:63]
	s_nop 0
	v_min3_f32 v150, v0, v1, v65
	v_pk_add_f32 v[0:1], v[14:15], v[58:59]
	s_nop 0
	v_min3_f32 v151, v0, v1, v101
	v_pk_add_f32 v[0:1], v[10:11], v[58:59]
	s_nop 0
	v_min3_f32 v147, v0, v1, v102
	v_pk_add_f32 v[0:1], v[6:7], v[58:59]
	s_nop 0
	v_min3_f32 v148, v0, v1, v60
	v_pk_add_f32 v[0:1], v[2:3], v[58:59]
	s_nop 0
	v_min3_f32 v145, v0, v1, v61
	v_pk_add_f32 v[0:1], v[14:15], v[54:55]
	s_nop 0
	v_min3_f32 v146, v0, v1, v103
	v_pk_add_f32 v[0:1], v[10:11], v[54:55]
	s_nop 0
	v_min3_f32 v143, v0, v1, v104
	v_pk_add_f32 v[0:1], v[6:7], v[54:55]
	s_nop 0
	v_min3_f32 v144, v0, v1, v56
	v_pk_add_f32 v[0:1], v[2:3], v[54:55]
	s_nop 0
	v_min3_f32 v141, v0, v1, v57
	v_pk_add_f32 v[0:1], v[14:15], v[50:51]
	s_nop 0
	v_min3_f32 v142, v0, v1, v105
	v_pk_add_f32 v[0:1], v[10:11], v[50:51]
	s_nop 0
	v_min3_f32 v139, v0, v1, v106
	v_pk_add_f32 v[0:1], v[6:7], v[50:51]
	s_nop 0
	v_min3_f32 v140, v0, v1, v52
	v_pk_add_f32 v[0:1], v[2:3], v[50:51]
	s_nop 0
	v_min3_f32 v135, v0, v1, v53
	v_pk_add_f32 v[0:1], v[14:15], v[46:47]
	s_nop 0
	v_min3_f32 v137, v0, v1, v107
	v_pk_add_f32 v[0:1], v[10:11], v[46:47]
	s_nop 0
	v_min3_f32 v133, v0, v1, v108
	v_pk_add_f32 v[0:1], v[6:7], v[46:47]
	s_nop 0
	v_min3_f32 v134, v0, v1, v48
	v_pk_add_f32 v[0:1], v[2:3], v[46:47]
	s_nop 0
	v_min3_f32 v131, v0, v1, v49
	v_pk_add_f32 v[0:1], v[14:15], v[42:43]
	s_nop 0
	v_min3_f32 v132, v0, v1, v109
	v_pk_add_f32 v[0:1], v[10:11], v[42:43]
	s_nop 0
	v_min3_f32 v127, v0, v1, v110
	v_pk_add_f32 v[0:1], v[6:7], v[42:43]
	s_nop 0
	v_min3_f32 v128, v0, v1, v44
	v_pk_add_f32 v[0:1], v[2:3], v[42:43]
	s_nop 0
	v_min3_f32 v125, v0, v1, v45
	v_pk_add_f32 v[0:1], v[14:15], v[38:39]
	s_nop 0
	v_min3_f32 v126, v0, v1, v111
	v_pk_add_f32 v[0:1], v[10:11], v[38:39]
	s_nop 0
	v_min3_f32 v123, v0, v1, v112
	v_pk_add_f32 v[0:1], v[6:7], v[38:39]
	s_nop 0
	v_min3_f32 v124, v0, v1, v40
	v_pk_add_f32 v[0:1], v[2:3], v[38:39]
	s_nop 0
	v_min3_f32 v121, v0, v1, v41
	v_pk_add_f32 v[0:1], v[14:15], v[34:35]
	s_nop 0
	v_min3_f32 v122, v0, v1, v113
	v_pk_add_f32 v[0:1], v[10:11], v[34:35]
	s_nop 0
	v_min3_f32 v119, v0, v1, v114
	v_pk_add_f32 v[0:1], v[6:7], v[34:35]
	s_nop 0
	v_min3_f32 v120, v0, v1, v36
	v_pk_add_f32 v[0:1], v[2:3], v[34:35]
	s_nop 0
	v_min3_f32 v117, v0, v1, v37
	v_pk_add_f32 v[0:1], v[14:15], v[30:31]
	s_nop 0
	v_min3_f32 v118, v0, v1, v115
	v_pk_add_f32 v[0:1], v[10:11], v[30:31]
	s_nop 0
	v_min3_f32 v115, v0, v1, v116
	v_pk_add_f32 v[0:1], v[6:7], v[30:31]
	s_nop 0
	v_min3_f32 v116, v0, v1, v32
	v_pk_add_f32 v[0:1], v[2:3], v[30:31]
	s_nop 0
	v_min3_f32 v113, v0, v1, v33
	v_pk_add_f32 v[0:1], v[14:15], v[26:27]
	s_nop 0
	v_min3_f32 v114, v0, v1, v171
	v_pk_add_f32 v[0:1], v[10:11], v[26:27]
	s_nop 0
	v_min3_f32 v111, v0, v1, v172
	v_pk_add_f32 v[0:1], v[6:7], v[26:27]
	s_nop 0
	v_min3_f32 v112, v0, v1, v28
	v_pk_add_f32 v[0:1], v[2:3], v[26:27]
	s_nop 0
	v_min3_f32 v109, v0, v1, v29
	v_pk_add_f32 v[0:1], v[14:15], v[22:23]
	s_nop 0
	v_min3_f32 v110, v0, v1, v173
	v_pk_add_f32 v[0:1], v[10:11], v[22:23]
	s_nop 0
	v_min3_f32 v107, v0, v1, v174
	v_pk_add_f32 v[0:1], v[6:7], v[22:23]
	s_nop 0
	v_min3_f32 v108, v0, v1, v24
	v_pk_add_f32 v[0:1], v[2:3], v[22:23]
	s_nop 0
	v_min3_f32 v104, v0, v1, v20
	v_pk_add_f32 v[0:1], v[14:15], v[18:19]
	s_nop 0
	v_min3_f32 v105, v0, v1, v12
	v_pk_add_f32 v[0:1], v[10:11], v[18:19]
	s_nop 0
	v_min3_f32 v102, v0, v1, v8
	v_pk_add_f32 v[0:1], v[6:7], v[18:19]
	s_nop 0
	v_min3_f32 v103, v0, v1, v4
	v_pk_add_f32 v[0:1], v[2:3], v[18:19]
	s_nop 0
	v_min3_f32 v106, v0, v1, v5
	s_cbranch_scc1 .LBB62_33
; %bb.20:
	v_mov_b32_e32 v0, 0x800
	v_lshl_add_u32 v175, v129, 4, v0
	v_mov_b32_e32 v0, 0x1800
	v_lshl_add_u32 v176, v130, 4, v0
	v_mad_i64_i32 v[0:1], s[24:25], s23, v89, 0
	v_lshl_add_u64 v[82:83], v[0:1], 2, s[18:19]
	v_mad_i64_i32 v[0:1], s[24:25], s23, v87, 0
	v_lshl_add_u64 v[84:85], v[0:1], 2, s[18:19]
	;; [unrolled: 2-line block ×3, first 2 shown]
	v_mad_i64_i32 v[0:1], s[18:19], s22, v88, 0
	v_add_u32_e32 v171, 0x1000, v149
	v_add_u32_e32 v172, 0x1000, v138
	;; [unrolled: 1-line block ×4, first 2 shown]
	s_add_i32 s21, s14, -8
	s_mov_b32 s14, s15
	v_mov_b32_e32 v81, 0
	v_lshl_add_u64 v[88:89], v[0:1], 2, s[16:17]
	s_mov_b32 s16, 0
	s_branch .LBB62_23
.LBB62_21:                              ;   in Loop: Header=BB62_23 Depth=1
	flat_load_dword v0, v[92:93] offset:48
	flat_load_dword v1, v[94:95] offset:48
	s_waitcnt vmcnt(0) lgkmcnt(0)
	v_pk_mul_f32 v[24:25], v[0:1], s[14:15]
.LBB62_22:                              ;   in Loop: Header=BB62_23 Depth=1
	ds_read_b128 v[0:3], v136
	ds_read_b128 v[4:7], v136 offset:512
	ds_read_b128 v[8:11], v136 offset:1024
	;; [unrolled: 1-line block ×3, first 2 shown]
	ds_read_b128 v[92:95], v172
	ds_read_b128 v[106:109], v172 offset:128
	ds_read_b128 v[110:113], v172 offset:256
	;; [unrolled: 1-line block ×15, first 2 shown]
	s_waitcnt lgkmcnt(14)
	v_pk_add_f32 v[126:127], v[0:1], v[92:93]
	s_add_i32 s16, s16, 8
	v_min3_f32 v128, v126, v127, v28
	v_pk_add_f32 v[126:127], v[4:5], v[92:93]
	v_lshl_add_u64 v[82:83], v[82:83], 0, 32
	v_min3_f32 v126, v126, v127, v29
	v_pk_add_f32 v[28:29], v[8:9], v[92:93]
	v_lshl_add_u64 v[84:85], v[84:85], 0, 32
	v_min3_f32 v32, v28, v29, v32
	v_pk_add_f32 v[28:29], v[12:13], v[92:93]
	v_lshl_add_u64 v[86:87], v[86:87], 0, 32
	v_min3_f32 v33, v28, v29, v33
	v_pk_add_f32 v[28:29], v[0:1], v[106:107]
	s_cmp_ge_i32 s16, s21
	v_min3_f32 v36, v28, v29, v36
	v_pk_add_f32 v[28:29], v[4:5], v[106:107]
	v_lshl_add_u64 v[88:89], v[88:89], 0, 32
	v_min3_f32 v37, v28, v29, v37
	v_pk_add_f32 v[28:29], v[8:9], v[106:107]
	ds_write2st64_b32 v173, v90, v91 offset1:4
	ds_write2st64_b32 v174, v24, v25 offset1:4
	v_min3_f32 v40, v28, v29, v40
	v_pk_add_f32 v[28:29], v[12:13], v[106:107]
	s_waitcnt lgkmcnt(0)
	v_min3_f32 v41, v28, v29, v41
	v_pk_add_f32 v[28:29], v[0:1], v[110:111]
	s_barrier
	v_min3_f32 v44, v28, v29, v44
	v_pk_add_f32 v[28:29], v[4:5], v[110:111]
	s_nop 0
	v_min3_f32 v45, v28, v29, v45
	v_pk_add_f32 v[28:29], v[8:9], v[110:111]
	s_nop 0
	;; [unrolled: 3-line block ×47, first 2 shown]
	v_min3_f32 v97, v28, v29, v26
	v_pk_add_f32 v[28:29], v[0:1], v[20:21]
	v_pk_add_f32 v[0:1], v[0:1], v[16:17]
	v_min3_f32 v28, v28, v29, v27
	v_pk_add_f32 v[26:27], v[4:5], v[20:21]
	s_nop 0
	v_min3_f32 v29, v26, v27, v99
	v_pk_add_f32 v[26:27], v[8:9], v[20:21]
	v_pk_add_f32 v[20:21], v[12:13], v[20:21]
	v_min3_f32 v26, v26, v27, v100
	v_min3_f32 v20, v20, v21, v101
	;; [unrolled: 1-line block ×3, first 2 shown]
	v_pk_add_f32 v[0:1], v[4:5], v[16:17]
	s_nop 0
	v_min3_f32 v4, v0, v1, v103
	v_pk_add_f32 v[0:1], v[8:9], v[16:17]
	s_nop 0
	v_min3_f32 v5, v0, v1, v104
	;; [unrolled: 3-line block ×67, first 2 shown]
	s_cbranch_scc1 .LBB62_33
.LBB62_23:                              ; =>This Inner Loop Header: Depth=1
	s_and_b64 vcc, exec, s[4:5]
	v_lshl_add_u64 v[90:91], v[88:89], 0, v[80:81]
	v_lshl_add_u64 v[96:97], v[86:87], 0, v[80:81]
	s_cbranch_vccnz .LBB62_26
; %bb.24:                               ;   in Loop: Header=BB62_23 Depth=1
	flat_load_dword v0, v[90:91] offset:32
	flat_load_dword v1, v[96:97] offset:32
	s_waitcnt vmcnt(0) lgkmcnt(0)
	v_pk_mul_f32 v[98:99], v[0:1], s[14:15]
	s_and_b64 vcc, exec, s[4:5]
	v_lshl_add_u64 v[92:93], v[84:85], 0, v[80:81]
	v_lshl_add_u64 v[94:95], v[82:83], 0, v[80:81]
	s_cbranch_vccnz .LBB62_27
.LBB62_25:                              ;   in Loop: Header=BB62_23 Depth=1
	flat_load_dword v0, v[92:93] offset:32
	flat_load_dword v1, v[94:95] offset:32
	s_waitcnt vmcnt(0) lgkmcnt(0)
	v_pk_mul_f32 v[100:101], v[0:1], s[14:15]
	s_branch .LBB62_28
.LBB62_26:                              ;   in Loop: Header=BB62_23 Depth=1
	v_mov_b32_e32 v98, 0
	v_mov_b32_e32 v99, 0
	s_and_b64 vcc, exec, s[4:5]
	v_lshl_add_u64 v[92:93], v[84:85], 0, v[80:81]
	v_lshl_add_u64 v[94:95], v[82:83], 0, v[80:81]
	s_cbranch_vccz .LBB62_25
.LBB62_27:                              ;   in Loop: Header=BB62_23 Depth=1
	v_mov_b32_e32 v100, 0
	v_mov_b32_e32 v101, 0
.LBB62_28:                              ;   in Loop: Header=BB62_23 Depth=1
	ds_read_b128 v[12:15], v175
	ds_read_b128 v[8:11], v175 offset:512
	ds_read_b128 v[4:7], v175 offset:1024
	;; [unrolled: 1-line block ×3, first 2 shown]
	ds_read_b128 v[76:79], v176
	ds_read_b128 v[72:75], v176 offset:128
	ds_read_b128 v[68:71], v176 offset:256
	;; [unrolled: 1-line block ×15, first 2 shown]
	s_and_b64 vcc, exec, s[4:5]
	ds_write2st64_b32 v149, v98, v99 offset1:4
	ds_write2st64_b32 v171, v100, v101 offset1:4
	s_waitcnt lgkmcnt(0)
	s_barrier
	s_cbranch_vccnz .LBB62_30
; %bb.29:                               ;   in Loop: Header=BB62_23 Depth=1
	flat_load_dword v90, v[90:91] offset:48
	s_nop 0
	flat_load_dword v91, v[96:97] offset:48
	s_waitcnt vmcnt(0) lgkmcnt(0)
	v_pk_mul_f32 v[90:91], v[90:91], s[14:15]
	s_branch .LBB62_31
.LBB62_30:                              ;   in Loop: Header=BB62_23 Depth=1
	v_mov_b32_e32 v90, 0
	v_mov_b32_e32 v91, 0
.LBB62_31:                              ;   in Loop: Header=BB62_23 Depth=1
	v_pk_add_f32 v[96:97], v[12:13], v[76:77]
	s_and_b64 vcc, exec, s[4:5]
	v_min3_f32 v98, v96, v97, v170
	v_pk_add_f32 v[96:97], v[8:9], v[76:77]
	s_nop 0
	v_min3_f32 v99, v96, v97, v168
	v_pk_add_f32 v[96:97], v[4:5], v[76:77]
	v_pk_add_f32 v[76:77], v[0:1], v[76:77]
	v_min3_f32 v96, v96, v97, v169
	v_min3_f32 v97, v76, v77, v166
	v_pk_add_f32 v[76:77], v[12:13], v[72:73]
	s_nop 0
	v_min3_f32 v100, v76, v77, v167
	v_pk_add_f32 v[76:77], v[8:9], v[72:73]
	s_nop 0
	v_min3_f32 v101, v76, v77, v164
	v_pk_add_f32 v[76:77], v[4:5], v[72:73]
	v_pk_add_f32 v[72:73], v[0:1], v[72:73]
	v_min3_f32 v76, v76, v77, v165
	v_min3_f32 v77, v72, v73, v162
	v_pk_add_f32 v[72:73], v[12:13], v[68:69]
	s_nop 0
	;; [unrolled: 10-line block ×13, first 2 shown]
	v_min3_f32 v114, v28, v29, v114
	v_pk_add_f32 v[28:29], v[8:9], v[24:25]
	s_nop 0
	v_min3_f32 v111, v28, v29, v111
	v_pk_add_f32 v[28:29], v[4:5], v[24:25]
	v_pk_add_f32 v[24:25], v[0:1], v[24:25]
	v_min3_f32 v112, v28, v29, v112
	v_min3_f32 v109, v24, v25, v109
	v_pk_add_f32 v[24:25], v[12:13], v[20:21]
	v_pk_add_f32 v[12:13], v[12:13], v[16:17]
	v_min3_f32 v110, v24, v25, v110
	v_pk_add_f32 v[24:25], v[8:9], v[20:21]
	v_min3_f32 v12, v12, v13, v105
	v_min3_f32 v107, v24, v25, v107
	v_pk_add_f32 v[24:25], v[4:5], v[20:21]
	v_pk_add_f32 v[20:21], v[0:1], v[20:21]
	;; [unrolled: 1-line block ×4, first 2 shown]
	v_min3_f32 v4, v4, v5, v103
	v_min3_f32 v5, v0, v1, v106
	v_pk_add_f32 v[0:1], v[14:15], v[78:79]
	v_min3_f32 v24, v24, v25, v108
	v_min3_f32 v28, v0, v1, v98
	v_pk_add_f32 v[0:1], v[10:11], v[78:79]
	;; [unrolled: 3-line block ×3, first 2 shown]
	v_pk_add_f32 v[8:9], v[8:9], v[16:17]
	v_min3_f32 v32, v0, v1, v96
	v_pk_add_f32 v[0:1], v[2:3], v[78:79]
	v_min3_f32 v8, v8, v9, v102
	v_min3_f32 v33, v0, v1, v97
	v_pk_add_f32 v[0:1], v[14:15], v[74:75]
	s_nop 0
	v_min3_f32 v36, v0, v1, v100
	v_pk_add_f32 v[0:1], v[10:11], v[74:75]
	s_nop 0
	;; [unrolled: 3-line block ×60, first 2 shown]
	v_min3_f32 v105, v0, v1, v5
	s_cbranch_vccz .LBB62_21
; %bb.32:                               ;   in Loop: Header=BB62_23 Depth=1
	v_mov_b32_e32 v24, 0
	v_mov_b32_e32 v25, 0
	s_branch .LBB62_22
.LBB62_33:
	s_load_dwordx2 s[14:15], s[0:1], 0x70
	s_load_dword s4, s[0:1], 0x50
	s_load_dword s5, s[0:1], 0x68
	ds_read_b128 v[16:19], v136 offset:2048
	ds_read_b128 v[76:79], v138 offset:6144
	v_add_u32_e32 v82, s2, v129
	s_waitcnt lgkmcnt(0)
	s_mul_i32 s0, s3, s15
	s_mul_hi_u32 s1, s3, s14
	s_mul_i32 s13, s13, s14
	s_add_i32 s0, s1, s0
	s_add_i32 s1, s0, s13
	s_mul_i32 s0, s3, s14
	s_lshl_b64 s[0:1], s[0:1], 2
	v_pk_add_f32 v[0:1], v[16:17], v[76:77]
	s_add_u32 s0, s10, s0
	v_min3_f32 v2, v0, v1, v170
	v_pk_add_f32 v[0:1], v[18:19], v[78:79]
	v_add_u32_e32 v96, s20, v130
	s_addc_u32 s1, s11, s1
	v_min3_f32 v2, v0, v1, v2
	v_add_u32_e32 v80, 32, v82
	v_mad_i64_i32 v[0:1], s[2:3], v96, s5, 0
	v_ashrrev_i32_e32 v83, 31, v82
	v_ashrrev_i32_e32 v81, 31, v80
	v_lshl_add_u64 v[92:93], v[0:1], 2, s[0:1]
	v_mad_i64_i32 v[0:1], s[2:3], v96, s4, 0
	v_max_f32_e32 v2, v2, v2
	s_mov_b64 vcc, s[6:7]
	s_cbranch_vccz .LBB62_35
; %bb.34:
	v_min_f32_e32 v3, 0, v2
	v_lshl_add_u64 v[4:5], v[82:83], 2, v[92:93]
	s_mov_b32 s10, 0
	global_store_dword v[4:5], v3, off
	s_mov_b64 s[2:3], 0
	s_branch .LBB62_36
.LBB62_35:
	s_mov_b64 s[2:3], -1
                                        ; implicit-def: $sgpr10
.LBB62_36:
	ds_read_b128 v[12:15], v136 offset:2560
	ds_read_b128 v[8:11], v136 offset:3072
	v_lshl_add_u64 v[94:95], v[0:1], 2, s[8:9]
	s_andn2_b64 vcc, exec, s[2:3]
	v_lshlrev_b64 v[86:87], 2, v[82:83]
	s_cbranch_vccnz .LBB62_38
; %bb.37:
	v_lshl_add_u64 v[0:1], v[94:95], 0, v[86:87]
	flat_load_dword v3, v[0:1]
	v_lshl_add_u64 v[0:1], v[92:93], 0, v[86:87]
	s_waitcnt vmcnt(0) lgkmcnt(0)
	v_mul_f32_e32 v3, s12, v3
	v_min_f32_e32 v2, v3, v2
	global_store_dword v[0:1], v2, off
	v_lshl_add_u64 v[0:1], v[80:81], 2, v[94:95]
	flat_load_dword v0, v[0:1]
	s_waitcnt vmcnt(0) lgkmcnt(0)
	v_mul_f32_e32 v90, s12, v0
	s_branch .LBB62_39
.LBB62_38:
	v_mov_b32_e32 v90, s10
.LBB62_39:
	ds_read_b128 v[0:3], v136 offset:3584
	ds_read_b128 v[72:75], v138 offset:6272
	;; [unrolled: 1-line block ×16, first 2 shown]
	s_waitcnt lgkmcnt(14)
	v_pk_add_f32 v[84:85], v[12:13], v[76:77]
	s_mov_b64 vcc, s[6:7]
	v_min3_f32 v91, v84, v85, v168
	v_pk_add_f32 v[84:85], v[8:9], v[76:77]
	s_nop 0
	v_min3_f32 v88, v84, v85, v169
	v_pk_add_f32 v[84:85], v[14:15], v[78:79]
	s_nop 0
	v_min_f32_e32 v97, v84, v85
	v_pk_add_f32 v[84:85], v[10:11], v[78:79]
	v_min3_f32 v97, v90, v97, v91
	v_min3_f32 v98, v84, v85, v88
	v_add_u32_e32 v88, 64, v82
	v_add_u32_e32 v84, 0x60, v82
	v_lshl_add_u64 v[90:91], v[80:81], 2, v[92:93]
	v_ashrrev_i32_e32 v89, 31, v88
	v_ashrrev_i32_e32 v85, 31, v84
	global_store_dword v[90:91], v97, off
	v_max_f32_e32 v97, v98, v98
	s_cbranch_vccz .LBB62_42
; %bb.40:
	v_min_f32_e32 v98, 0, v97
	v_lshl_add_u64 v[90:91], v[88:89], 2, v[92:93]
	s_mov_b32 s10, 0
	global_store_dword v[90:91], v98, off
	v_lshlrev_b64 v[90:91], 2, v[88:89]
	s_cbranch_execz .LBB62_43
; %bb.41:
	v_mov_b32_e32 v94, s10
	s_branch .LBB62_44
.LBB62_42:
                                        ; implicit-def: $sgpr10
	v_lshlrev_b64 v[90:91], 2, v[88:89]
.LBB62_43:
	v_lshl_add_u64 v[98:99], v[94:95], 0, v[90:91]
	flat_load_dword v100, v[98:99]
	v_lshl_add_u64 v[98:99], v[92:93], 0, v[90:91]
	v_lshl_add_u64 v[94:95], v[84:85], 2, v[94:95]
	s_waitcnt vmcnt(0) lgkmcnt(0)
	v_mul_f32_e32 v100, s12, v100
	v_min_f32_e32 v97, v100, v97
	global_store_dword v[98:99], v97, off
	flat_load_dword v94, v[94:95]
	s_waitcnt vmcnt(0) lgkmcnt(0)
	v_mul_f32_e32 v94, s12, v94
.LBB62_44:
	v_pk_add_f32 v[76:77], v[0:1], v[76:77]
	s_mov_b64 vcc, s[6:7]
	v_min3_f32 v95, v76, v77, v166
	v_pk_add_f32 v[76:77], v[16:17], v[72:73]
	s_nop 0
	v_min3_f32 v97, v76, v77, v167
	v_pk_add_f32 v[76:77], v[2:3], v[78:79]
	s_nop 0
	v_min_f32_e32 v78, v76, v77
	v_pk_add_f32 v[76:77], v[18:19], v[74:75]
	v_min3_f32 v78, v94, v78, v95
	v_min3_f32 v97, v76, v77, v97
	v_lshl_add_u64 v[76:77], v[84:85], 2, v[92:93]
	global_store_dword v[76:77], v78, off
	v_add_u32_e32 v78, 8, v96
	v_mad_i64_i32 v[76:77], s[2:3], v78, s5, 0
	v_lshl_add_u64 v[76:77], v[76:77], 2, s[0:1]
	v_mad_i64_i32 v[78:79], s[2:3], v78, s4, 0
	v_max_f32_e32 v92, v97, v97
	s_cbranch_vccz .LBB62_47
; %bb.45:
	v_min_f32_e32 v93, 0, v92
	v_lshl_add_u64 v[94:95], v[82:83], 2, v[76:77]
	s_mov_b32 s10, 0
	global_store_dword v[94:95], v93, off
	v_lshl_add_u64 v[78:79], v[78:79], 2, s[8:9]
	s_cbranch_execz .LBB62_48
; %bb.46:
	v_mov_b32_e32 v92, s10
	s_branch .LBB62_49
.LBB62_47:
                                        ; implicit-def: $sgpr10
	v_lshl_add_u64 v[78:79], v[78:79], 2, s[8:9]
.LBB62_48:
	v_lshl_add_u64 v[94:95], v[78:79], 0, v[86:87]
	flat_load_dword v93, v[94:95]
	v_lshl_add_u64 v[94:95], v[76:77], 0, v[86:87]
	s_waitcnt vmcnt(0) lgkmcnt(0)
	v_mul_f32_e32 v93, s12, v93
	v_min_f32_e32 v92, v93, v92
	global_store_dword v[94:95], v92, off
	v_lshl_add_u64 v[92:93], v[80:81], 2, v[78:79]
	flat_load_dword v92, v[92:93]
	s_waitcnt vmcnt(0) lgkmcnt(0)
	v_mul_f32_e32 v92, s12, v92
.LBB62_49:
	v_pk_add_f32 v[94:95], v[12:13], v[72:73]
	s_mov_b64 vcc, s[6:7]
	v_min3_f32 v93, v94, v95, v164
	v_pk_add_f32 v[94:95], v[8:9], v[72:73]
	s_nop 0
	v_min3_f32 v97, v94, v95, v165
	v_pk_add_f32 v[94:95], v[14:15], v[74:75]
	s_nop 0
	v_min_f32_e32 v98, v94, v95
	v_pk_add_f32 v[94:95], v[10:11], v[74:75]
	s_nop 0
	v_min3_f32 v94, v94, v95, v97
	v_min3_f32 v95, v92, v98, v93
	v_lshl_add_u64 v[92:93], v[80:81], 2, v[76:77]
	global_store_dword v[92:93], v95, off
	v_max_f32_e32 v92, v94, v94
	s_cbranch_vccz .LBB62_52
; %bb.50:
	v_min_f32_e32 v93, 0, v92
	v_lshl_add_u64 v[94:95], v[88:89], 2, v[76:77]
	s_mov_b32 s10, 0
	global_store_dword v[94:95], v93, off
	s_cbranch_execz .LBB62_53
; %bb.51:
	v_mov_b32_e32 v78, s10
	s_branch .LBB62_54
.LBB62_52:
                                        ; implicit-def: $sgpr10
.LBB62_53:
	v_lshl_add_u64 v[94:95], v[78:79], 0, v[90:91]
	flat_load_dword v93, v[94:95]
	v_lshl_add_u64 v[94:95], v[76:77], 0, v[90:91]
	v_lshl_add_u64 v[78:79], v[84:85], 2, v[78:79]
	s_waitcnt vmcnt(0) lgkmcnt(0)
	v_mul_f32_e32 v93, s12, v93
	v_min_f32_e32 v92, v93, v92
	global_store_dword v[94:95], v92, off
	flat_load_dword v78, v[78:79]
	s_waitcnt vmcnt(0) lgkmcnt(0)
	v_mul_f32_e32 v78, s12, v78
.LBB62_54:
	v_pk_add_f32 v[72:73], v[0:1], v[72:73]
	s_mov_b64 vcc, s[6:7]
	v_min3_f32 v79, v72, v73, v162
	s_waitcnt lgkmcnt(13)
	v_pk_add_f32 v[72:73], v[16:17], v[68:69]
	s_nop 0
	v_min3_f32 v92, v72, v73, v163
	v_pk_add_f32 v[72:73], v[2:3], v[74:75]
	s_nop 0
	v_min_f32_e32 v74, v72, v73
	v_pk_add_f32 v[72:73], v[18:19], v[70:71]
	v_min3_f32 v74, v78, v74, v79
	v_min3_f32 v92, v72, v73, v92
	v_lshl_add_u64 v[72:73], v[84:85], 2, v[76:77]
	global_store_dword v[72:73], v74, off
	v_add_u32_e32 v74, 16, v96
	v_mad_i64_i32 v[72:73], s[2:3], v74, s5, 0
	v_lshl_add_u64 v[72:73], v[72:73], 2, s[0:1]
	v_mad_i64_i32 v[74:75], s[2:3], v74, s4, 0
	v_max_f32_e32 v76, v92, v92
	s_cbranch_vccz .LBB62_57
; %bb.55:
	v_min_f32_e32 v77, 0, v76
	v_lshl_add_u64 v[78:79], v[82:83], 2, v[72:73]
	s_mov_b32 s10, 0
	global_store_dword v[78:79], v77, off
	v_lshl_add_u64 v[74:75], v[74:75], 2, s[8:9]
	s_cbranch_execz .LBB62_58
; %bb.56:
	v_mov_b32_e32 v76, s10
	s_branch .LBB62_59
.LBB62_57:
                                        ; implicit-def: $sgpr10
	v_lshl_add_u64 v[74:75], v[74:75], 2, s[8:9]
.LBB62_58:
	v_lshl_add_u64 v[78:79], v[74:75], 0, v[86:87]
	flat_load_dword v77, v[78:79]
	v_lshl_add_u64 v[78:79], v[72:73], 0, v[86:87]
	s_waitcnt vmcnt(0) lgkmcnt(0)
	v_mul_f32_e32 v77, s12, v77
	v_min_f32_e32 v76, v77, v76
	global_store_dword v[78:79], v76, off
	v_lshl_add_u64 v[76:77], v[80:81], 2, v[74:75]
	flat_load_dword v76, v[76:77]
	s_waitcnt vmcnt(0) lgkmcnt(0)
	v_mul_f32_e32 v76, s12, v76
.LBB62_59:
	v_pk_add_f32 v[78:79], v[12:13], v[68:69]
	s_mov_b64 vcc, s[6:7]
	v_min3_f32 v77, v78, v79, v160
	v_pk_add_f32 v[78:79], v[8:9], v[68:69]
	s_nop 0
	v_min3_f32 v92, v78, v79, v161
	v_pk_add_f32 v[78:79], v[14:15], v[70:71]
	s_nop 0
	v_min_f32_e32 v93, v78, v79
	v_pk_add_f32 v[78:79], v[10:11], v[70:71]
	s_nop 0
	v_min3_f32 v78, v78, v79, v92
	v_min3_f32 v79, v76, v93, v77
	v_lshl_add_u64 v[76:77], v[80:81], 2, v[72:73]
	global_store_dword v[76:77], v79, off
	v_max_f32_e32 v76, v78, v78
	s_cbranch_vccz .LBB62_62
; %bb.60:
	v_min_f32_e32 v77, 0, v76
	v_lshl_add_u64 v[78:79], v[88:89], 2, v[72:73]
	s_mov_b32 s10, 0
	global_store_dword v[78:79], v77, off
	s_cbranch_execz .LBB62_63
; %bb.61:
	v_mov_b32_e32 v74, s10
	s_branch .LBB62_64
.LBB62_62:
                                        ; implicit-def: $sgpr10
.LBB62_63:
	v_lshl_add_u64 v[78:79], v[74:75], 0, v[90:91]
	flat_load_dword v77, v[78:79]
	v_lshl_add_u64 v[78:79], v[72:73], 0, v[90:91]
	v_lshl_add_u64 v[74:75], v[84:85], 2, v[74:75]
	s_waitcnt vmcnt(0) lgkmcnt(0)
	v_mul_f32_e32 v77, s12, v77
	v_min_f32_e32 v76, v77, v76
	global_store_dword v[78:79], v76, off
	flat_load_dword v74, v[74:75]
	s_waitcnt vmcnt(0) lgkmcnt(0)
	v_mul_f32_e32 v74, s12, v74
.LBB62_64:
	v_pk_add_f32 v[68:69], v[0:1], v[68:69]
	s_mov_b64 vcc, s[6:7]
	v_min3_f32 v75, v68, v69, v158
	s_waitcnt lgkmcnt(12)
	v_pk_add_f32 v[68:69], v[16:17], v[64:65]
	s_nop 0
	v_min3_f32 v76, v68, v69, v159
	v_pk_add_f32 v[68:69], v[2:3], v[70:71]
	s_nop 0
	v_min_f32_e32 v70, v68, v69
	v_pk_add_f32 v[68:69], v[18:19], v[66:67]
	v_min3_f32 v70, v74, v70, v75
	v_min3_f32 v76, v68, v69, v76
	v_lshl_add_u64 v[68:69], v[84:85], 2, v[72:73]
	global_store_dword v[68:69], v70, off
	v_add_u32_e32 v70, 24, v96
	v_mad_i64_i32 v[68:69], s[2:3], v70, s5, 0
	v_lshl_add_u64 v[68:69], v[68:69], 2, s[0:1]
	v_mad_i64_i32 v[70:71], s[2:3], v70, s4, 0
	v_max_f32_e32 v72, v76, v76
	s_cbranch_vccz .LBB62_67
; %bb.65:
	v_min_f32_e32 v73, 0, v72
	v_lshl_add_u64 v[74:75], v[82:83], 2, v[68:69]
	s_mov_b32 s10, 0
	global_store_dword v[74:75], v73, off
	v_lshl_add_u64 v[70:71], v[70:71], 2, s[8:9]
	s_cbranch_execz .LBB62_68
; %bb.66:
	v_mov_b32_e32 v72, s10
	s_branch .LBB62_69
.LBB62_67:
                                        ; implicit-def: $sgpr10
	v_lshl_add_u64 v[70:71], v[70:71], 2, s[8:9]
.LBB62_68:
	v_lshl_add_u64 v[74:75], v[70:71], 0, v[86:87]
	flat_load_dword v73, v[74:75]
	v_lshl_add_u64 v[74:75], v[68:69], 0, v[86:87]
	s_waitcnt vmcnt(0) lgkmcnt(0)
	v_mul_f32_e32 v73, s12, v73
	v_min_f32_e32 v72, v73, v72
	global_store_dword v[74:75], v72, off
	v_lshl_add_u64 v[72:73], v[80:81], 2, v[70:71]
	flat_load_dword v72, v[72:73]
	s_waitcnt vmcnt(0) lgkmcnt(0)
	v_mul_f32_e32 v72, s12, v72
.LBB62_69:
	v_pk_add_f32 v[74:75], v[12:13], v[64:65]
	s_mov_b64 vcc, s[6:7]
	v_min3_f32 v73, v74, v75, v156
	v_pk_add_f32 v[74:75], v[8:9], v[64:65]
	s_nop 0
	v_min3_f32 v76, v74, v75, v157
	v_pk_add_f32 v[74:75], v[14:15], v[66:67]
	s_nop 0
	v_min_f32_e32 v77, v74, v75
	v_pk_add_f32 v[74:75], v[10:11], v[66:67]
	s_nop 0
	v_min3_f32 v74, v74, v75, v76
	v_min3_f32 v75, v72, v77, v73
	v_lshl_add_u64 v[72:73], v[80:81], 2, v[68:69]
	global_store_dword v[72:73], v75, off
	v_max_f32_e32 v72, v74, v74
	s_cbranch_vccz .LBB62_72
; %bb.70:
	v_min_f32_e32 v73, 0, v72
	v_lshl_add_u64 v[74:75], v[88:89], 2, v[68:69]
	s_mov_b32 s10, 0
	global_store_dword v[74:75], v73, off
	s_cbranch_execz .LBB62_73
; %bb.71:
	v_mov_b32_e32 v70, s10
	s_branch .LBB62_74
.LBB62_72:
                                        ; implicit-def: $sgpr10
.LBB62_73:
	v_lshl_add_u64 v[74:75], v[70:71], 0, v[90:91]
	flat_load_dword v73, v[74:75]
	v_lshl_add_u64 v[74:75], v[68:69], 0, v[90:91]
	v_lshl_add_u64 v[70:71], v[84:85], 2, v[70:71]
	s_waitcnt vmcnt(0) lgkmcnt(0)
	v_mul_f32_e32 v73, s12, v73
	v_min_f32_e32 v72, v73, v72
	global_store_dword v[74:75], v72, off
	flat_load_dword v70, v[70:71]
	s_waitcnt vmcnt(0) lgkmcnt(0)
	v_mul_f32_e32 v70, s12, v70
.LBB62_74:
	v_pk_add_f32 v[64:65], v[0:1], v[64:65]
	s_mov_b64 vcc, s[6:7]
	v_min3_f32 v71, v64, v65, v154
	s_waitcnt lgkmcnt(11)
	v_pk_add_f32 v[64:65], v[16:17], v[60:61]
	s_nop 0
	v_min3_f32 v72, v64, v65, v155
	v_pk_add_f32 v[64:65], v[2:3], v[66:67]
	s_nop 0
	v_min_f32_e32 v66, v64, v65
	v_pk_add_f32 v[64:65], v[18:19], v[62:63]
	v_min3_f32 v66, v70, v66, v71
	v_min3_f32 v72, v64, v65, v72
	v_lshl_add_u64 v[64:65], v[84:85], 2, v[68:69]
	global_store_dword v[64:65], v66, off
	v_add_u32_e32 v66, 32, v96
	v_mad_i64_i32 v[64:65], s[2:3], v66, s5, 0
	v_lshl_add_u64 v[64:65], v[64:65], 2, s[0:1]
	v_mad_i64_i32 v[66:67], s[2:3], v66, s4, 0
	v_max_f32_e32 v68, v72, v72
	s_cbranch_vccz .LBB62_77
; %bb.75:
	v_min_f32_e32 v69, 0, v68
	v_lshl_add_u64 v[70:71], v[82:83], 2, v[64:65]
	s_mov_b32 s10, 0
	global_store_dword v[70:71], v69, off
	v_lshl_add_u64 v[66:67], v[66:67], 2, s[8:9]
	s_cbranch_execz .LBB62_78
; %bb.76:
	v_mov_b32_e32 v68, s10
	s_branch .LBB62_79
.LBB62_77:
                                        ; implicit-def: $sgpr10
	v_lshl_add_u64 v[66:67], v[66:67], 2, s[8:9]
.LBB62_78:
	v_lshl_add_u64 v[70:71], v[66:67], 0, v[86:87]
	flat_load_dword v69, v[70:71]
	v_lshl_add_u64 v[70:71], v[64:65], 0, v[86:87]
	s_waitcnt vmcnt(0) lgkmcnt(0)
	v_mul_f32_e32 v69, s12, v69
	v_min_f32_e32 v68, v69, v68
	global_store_dword v[70:71], v68, off
	v_lshl_add_u64 v[68:69], v[80:81], 2, v[66:67]
	flat_load_dword v68, v[68:69]
	s_waitcnt vmcnt(0) lgkmcnt(0)
	v_mul_f32_e32 v68, s12, v68
.LBB62_79:
	v_pk_add_f32 v[70:71], v[12:13], v[60:61]
	s_mov_b64 vcc, s[6:7]
	v_min3_f32 v69, v70, v71, v152
	v_pk_add_f32 v[70:71], v[8:9], v[60:61]
	s_nop 0
	v_min3_f32 v72, v70, v71, v153
	v_pk_add_f32 v[70:71], v[14:15], v[62:63]
	s_nop 0
	v_min_f32_e32 v73, v70, v71
	v_pk_add_f32 v[70:71], v[10:11], v[62:63]
	s_nop 0
	v_min3_f32 v70, v70, v71, v72
	v_min3_f32 v71, v68, v73, v69
	v_lshl_add_u64 v[68:69], v[80:81], 2, v[64:65]
	global_store_dword v[68:69], v71, off
	v_max_f32_e32 v68, v70, v70
	s_cbranch_vccz .LBB62_82
; %bb.80:
	v_min_f32_e32 v69, 0, v68
	v_lshl_add_u64 v[70:71], v[88:89], 2, v[64:65]
	s_mov_b32 s10, 0
	global_store_dword v[70:71], v69, off
	s_cbranch_execz .LBB62_83
; %bb.81:
	v_mov_b32_e32 v66, s10
	s_branch .LBB62_84
.LBB62_82:
                                        ; implicit-def: $sgpr10
.LBB62_83:
	v_lshl_add_u64 v[70:71], v[66:67], 0, v[90:91]
	flat_load_dword v69, v[70:71]
	v_lshl_add_u64 v[70:71], v[64:65], 0, v[90:91]
	v_lshl_add_u64 v[66:67], v[84:85], 2, v[66:67]
	s_waitcnt vmcnt(0) lgkmcnt(0)
	v_mul_f32_e32 v69, s12, v69
	v_min_f32_e32 v68, v69, v68
	global_store_dword v[70:71], v68, off
	flat_load_dword v66, v[66:67]
	s_waitcnt vmcnt(0) lgkmcnt(0)
	v_mul_f32_e32 v66, s12, v66
.LBB62_84:
	v_pk_add_f32 v[60:61], v[0:1], v[60:61]
	s_mov_b64 vcc, s[6:7]
	v_min3_f32 v67, v60, v61, v150
	s_waitcnt lgkmcnt(10)
	v_pk_add_f32 v[60:61], v[16:17], v[56:57]
	s_nop 0
	v_min3_f32 v68, v60, v61, v151
	v_pk_add_f32 v[60:61], v[2:3], v[62:63]
	s_nop 0
	v_min_f32_e32 v62, v60, v61
	v_pk_add_f32 v[60:61], v[18:19], v[58:59]
	v_min3_f32 v62, v66, v62, v67
	v_min3_f32 v68, v60, v61, v68
	v_lshl_add_u64 v[60:61], v[84:85], 2, v[64:65]
	global_store_dword v[60:61], v62, off
	v_add_u32_e32 v62, 40, v96
	v_mad_i64_i32 v[60:61], s[2:3], v62, s5, 0
	v_lshl_add_u64 v[60:61], v[60:61], 2, s[0:1]
	v_mad_i64_i32 v[62:63], s[2:3], v62, s4, 0
	v_max_f32_e32 v64, v68, v68
	s_cbranch_vccz .LBB62_87
; %bb.85:
	v_min_f32_e32 v65, 0, v64
	v_lshl_add_u64 v[66:67], v[82:83], 2, v[60:61]
	s_mov_b32 s10, 0
	global_store_dword v[66:67], v65, off
	v_lshl_add_u64 v[62:63], v[62:63], 2, s[8:9]
	s_cbranch_execz .LBB62_88
; %bb.86:
	v_mov_b32_e32 v64, s10
	s_branch .LBB62_89
.LBB62_87:
                                        ; implicit-def: $sgpr10
	v_lshl_add_u64 v[62:63], v[62:63], 2, s[8:9]
.LBB62_88:
	v_lshl_add_u64 v[66:67], v[62:63], 0, v[86:87]
	flat_load_dword v65, v[66:67]
	v_lshl_add_u64 v[66:67], v[60:61], 0, v[86:87]
	s_waitcnt vmcnt(0) lgkmcnt(0)
	v_mul_f32_e32 v65, s12, v65
	v_min_f32_e32 v64, v65, v64
	global_store_dword v[66:67], v64, off
	v_lshl_add_u64 v[64:65], v[80:81], 2, v[62:63]
	flat_load_dword v64, v[64:65]
	s_waitcnt vmcnt(0) lgkmcnt(0)
	v_mul_f32_e32 v64, s12, v64
.LBB62_89:
	v_pk_add_f32 v[66:67], v[12:13], v[56:57]
	s_mov_b64 vcc, s[6:7]
	v_min3_f32 v65, v66, v67, v147
	v_pk_add_f32 v[66:67], v[8:9], v[56:57]
	s_nop 0
	v_min3_f32 v68, v66, v67, v148
	v_pk_add_f32 v[66:67], v[14:15], v[58:59]
	s_nop 0
	v_min_f32_e32 v69, v66, v67
	v_pk_add_f32 v[66:67], v[10:11], v[58:59]
	s_nop 0
	v_min3_f32 v66, v66, v67, v68
	v_min3_f32 v67, v64, v69, v65
	v_lshl_add_u64 v[64:65], v[80:81], 2, v[60:61]
	global_store_dword v[64:65], v67, off
	v_max_f32_e32 v64, v66, v66
	s_cbranch_vccz .LBB62_92
; %bb.90:
	v_min_f32_e32 v65, 0, v64
	v_lshl_add_u64 v[66:67], v[88:89], 2, v[60:61]
	s_mov_b32 s10, 0
	global_store_dword v[66:67], v65, off
	s_cbranch_execz .LBB62_93
; %bb.91:
	v_mov_b32_e32 v62, s10
	s_branch .LBB62_94
.LBB62_92:
                                        ; implicit-def: $sgpr10
.LBB62_93:
	v_lshl_add_u64 v[66:67], v[62:63], 0, v[90:91]
	flat_load_dword v65, v[66:67]
	v_lshl_add_u64 v[66:67], v[60:61], 0, v[90:91]
	v_lshl_add_u64 v[62:63], v[84:85], 2, v[62:63]
	s_waitcnt vmcnt(0) lgkmcnt(0)
	v_mul_f32_e32 v65, s12, v65
	v_min_f32_e32 v64, v65, v64
	global_store_dword v[66:67], v64, off
	flat_load_dword v62, v[62:63]
	s_waitcnt vmcnt(0) lgkmcnt(0)
	v_mul_f32_e32 v62, s12, v62
.LBB62_94:
	v_pk_add_f32 v[56:57], v[0:1], v[56:57]
	s_mov_b64 vcc, s[6:7]
	v_min3_f32 v63, v56, v57, v145
	s_waitcnt lgkmcnt(9)
	v_pk_add_f32 v[56:57], v[16:17], v[52:53]
	s_nop 0
	v_min3_f32 v64, v56, v57, v146
	v_pk_add_f32 v[56:57], v[2:3], v[58:59]
	s_nop 0
	v_min_f32_e32 v58, v56, v57
	v_pk_add_f32 v[56:57], v[18:19], v[54:55]
	v_min3_f32 v58, v62, v58, v63
	v_min3_f32 v64, v56, v57, v64
	v_lshl_add_u64 v[56:57], v[84:85], 2, v[60:61]
	global_store_dword v[56:57], v58, off
	v_add_u32_e32 v58, 48, v96
	v_mad_i64_i32 v[56:57], s[2:3], v58, s5, 0
	v_lshl_add_u64 v[56:57], v[56:57], 2, s[0:1]
	v_mad_i64_i32 v[58:59], s[2:3], v58, s4, 0
	v_max_f32_e32 v60, v64, v64
	s_cbranch_vccz .LBB62_97
; %bb.95:
	v_min_f32_e32 v61, 0, v60
	v_lshl_add_u64 v[62:63], v[82:83], 2, v[56:57]
	s_mov_b32 s10, 0
	global_store_dword v[62:63], v61, off
	v_lshl_add_u64 v[58:59], v[58:59], 2, s[8:9]
	s_cbranch_execz .LBB62_98
; %bb.96:
	v_mov_b32_e32 v60, s10
	s_branch .LBB62_99
.LBB62_97:
                                        ; implicit-def: $sgpr10
	v_lshl_add_u64 v[58:59], v[58:59], 2, s[8:9]
.LBB62_98:
	v_lshl_add_u64 v[62:63], v[58:59], 0, v[86:87]
	flat_load_dword v61, v[62:63]
	v_lshl_add_u64 v[62:63], v[56:57], 0, v[86:87]
	s_waitcnt vmcnt(0) lgkmcnt(0)
	v_mul_f32_e32 v61, s12, v61
	v_min_f32_e32 v60, v61, v60
	global_store_dword v[62:63], v60, off
	v_lshl_add_u64 v[60:61], v[80:81], 2, v[58:59]
	flat_load_dword v60, v[60:61]
	s_waitcnt vmcnt(0) lgkmcnt(0)
	v_mul_f32_e32 v60, s12, v60
.LBB62_99:
	v_pk_add_f32 v[62:63], v[12:13], v[52:53]
	s_mov_b64 vcc, s[6:7]
	v_min3_f32 v61, v62, v63, v143
	v_pk_add_f32 v[62:63], v[8:9], v[52:53]
	s_nop 0
	v_min3_f32 v64, v62, v63, v144
	v_pk_add_f32 v[62:63], v[14:15], v[54:55]
	s_nop 0
	v_min_f32_e32 v65, v62, v63
	v_pk_add_f32 v[62:63], v[10:11], v[54:55]
	s_nop 0
	v_min3_f32 v62, v62, v63, v64
	v_min3_f32 v63, v60, v65, v61
	v_lshl_add_u64 v[60:61], v[80:81], 2, v[56:57]
	global_store_dword v[60:61], v63, off
	v_max_f32_e32 v60, v62, v62
	s_cbranch_vccz .LBB62_102
; %bb.100:
	v_min_f32_e32 v61, 0, v60
	v_lshl_add_u64 v[62:63], v[88:89], 2, v[56:57]
	s_mov_b32 s10, 0
	global_store_dword v[62:63], v61, off
	s_cbranch_execz .LBB62_103
; %bb.101:
	v_mov_b32_e32 v58, s10
	s_branch .LBB62_104
.LBB62_102:
                                        ; implicit-def: $sgpr10
.LBB62_103:
	v_lshl_add_u64 v[62:63], v[58:59], 0, v[90:91]
	flat_load_dword v61, v[62:63]
	v_lshl_add_u64 v[62:63], v[56:57], 0, v[90:91]
	v_lshl_add_u64 v[58:59], v[84:85], 2, v[58:59]
	s_waitcnt vmcnt(0) lgkmcnt(0)
	v_mul_f32_e32 v61, s12, v61
	v_min_f32_e32 v60, v61, v60
	global_store_dword v[62:63], v60, off
	flat_load_dword v58, v[58:59]
	s_waitcnt vmcnt(0) lgkmcnt(0)
	v_mul_f32_e32 v58, s12, v58
.LBB62_104:
	v_pk_add_f32 v[52:53], v[0:1], v[52:53]
	s_mov_b64 vcc, s[6:7]
	v_min3_f32 v59, v52, v53, v141
	s_waitcnt lgkmcnt(8)
	v_pk_add_f32 v[52:53], v[16:17], v[48:49]
	s_nop 0
	v_min3_f32 v60, v52, v53, v142
	v_pk_add_f32 v[52:53], v[2:3], v[54:55]
	s_nop 0
	v_min_f32_e32 v54, v52, v53
	v_pk_add_f32 v[52:53], v[18:19], v[50:51]
	v_min3_f32 v54, v58, v54, v59
	v_min3_f32 v60, v52, v53, v60
	v_lshl_add_u64 v[52:53], v[84:85], 2, v[56:57]
	global_store_dword v[52:53], v54, off
	v_add_u32_e32 v54, 56, v96
	v_mad_i64_i32 v[52:53], s[2:3], v54, s5, 0
	v_lshl_add_u64 v[52:53], v[52:53], 2, s[0:1]
	v_mad_i64_i32 v[54:55], s[2:3], v54, s4, 0
	v_max_f32_e32 v56, v60, v60
	s_cbranch_vccz .LBB62_107
; %bb.105:
	v_min_f32_e32 v57, 0, v56
	v_lshl_add_u64 v[58:59], v[82:83], 2, v[52:53]
	s_mov_b32 s10, 0
	global_store_dword v[58:59], v57, off
	v_lshl_add_u64 v[54:55], v[54:55], 2, s[8:9]
	s_cbranch_execz .LBB62_108
; %bb.106:
	v_mov_b32_e32 v56, s10
	s_branch .LBB62_109
.LBB62_107:
                                        ; implicit-def: $sgpr10
	v_lshl_add_u64 v[54:55], v[54:55], 2, s[8:9]
.LBB62_108:
	v_lshl_add_u64 v[58:59], v[54:55], 0, v[86:87]
	flat_load_dword v57, v[58:59]
	v_lshl_add_u64 v[58:59], v[52:53], 0, v[86:87]
	s_waitcnt vmcnt(0) lgkmcnt(0)
	v_mul_f32_e32 v57, s12, v57
	v_min_f32_e32 v56, v57, v56
	global_store_dword v[58:59], v56, off
	v_lshl_add_u64 v[56:57], v[80:81], 2, v[54:55]
	flat_load_dword v56, v[56:57]
	s_waitcnt vmcnt(0) lgkmcnt(0)
	v_mul_f32_e32 v56, s12, v56
.LBB62_109:
	v_pk_add_f32 v[58:59], v[12:13], v[48:49]
	s_mov_b64 vcc, s[6:7]
	v_min3_f32 v57, v58, v59, v139
	v_pk_add_f32 v[58:59], v[8:9], v[48:49]
	s_nop 0
	v_min3_f32 v60, v58, v59, v140
	v_pk_add_f32 v[58:59], v[14:15], v[50:51]
	s_nop 0
	v_min_f32_e32 v61, v58, v59
	v_pk_add_f32 v[58:59], v[10:11], v[50:51]
	s_nop 0
	v_min3_f32 v58, v58, v59, v60
	v_min3_f32 v59, v56, v61, v57
	v_lshl_add_u64 v[56:57], v[80:81], 2, v[52:53]
	global_store_dword v[56:57], v59, off
	v_max_f32_e32 v56, v58, v58
	s_cbranch_vccz .LBB62_112
; %bb.110:
	v_min_f32_e32 v57, 0, v56
	v_lshl_add_u64 v[58:59], v[88:89], 2, v[52:53]
	s_mov_b32 s10, 0
	global_store_dword v[58:59], v57, off
	s_cbranch_execz .LBB62_113
; %bb.111:
	v_mov_b32_e32 v54, s10
	s_branch .LBB62_114
.LBB62_112:
                                        ; implicit-def: $sgpr10
.LBB62_113:
	v_lshl_add_u64 v[58:59], v[54:55], 0, v[90:91]
	flat_load_dword v57, v[58:59]
	v_lshl_add_u64 v[58:59], v[52:53], 0, v[90:91]
	v_lshl_add_u64 v[54:55], v[84:85], 2, v[54:55]
	s_waitcnt vmcnt(0) lgkmcnt(0)
	v_mul_f32_e32 v57, s12, v57
	v_min_f32_e32 v56, v57, v56
	global_store_dword v[58:59], v56, off
	flat_load_dword v54, v[54:55]
	s_waitcnt vmcnt(0) lgkmcnt(0)
	v_mul_f32_e32 v54, s12, v54
.LBB62_114:
	v_pk_add_f32 v[48:49], v[0:1], v[48:49]
	s_mov_b64 vcc, s[6:7]
	v_min3_f32 v55, v48, v49, v135
	s_waitcnt lgkmcnt(7)
	v_pk_add_f32 v[48:49], v[16:17], v[44:45]
	s_nop 0
	v_min3_f32 v56, v48, v49, v137
	v_pk_add_f32 v[48:49], v[2:3], v[50:51]
	s_nop 0
	v_min_f32_e32 v50, v48, v49
	v_pk_add_f32 v[48:49], v[18:19], v[46:47]
	v_min3_f32 v50, v54, v50, v55
	v_min3_f32 v56, v48, v49, v56
	v_lshl_add_u64 v[48:49], v[84:85], 2, v[52:53]
	global_store_dword v[48:49], v50, off
	v_add_u32_e32 v50, 64, v96
	v_mad_i64_i32 v[48:49], s[2:3], v50, s5, 0
	v_lshl_add_u64 v[48:49], v[48:49], 2, s[0:1]
	v_mad_i64_i32 v[50:51], s[2:3], v50, s4, 0
	v_max_f32_e32 v52, v56, v56
	s_cbranch_vccz .LBB62_117
; %bb.115:
	v_min_f32_e32 v53, 0, v52
	v_lshl_add_u64 v[54:55], v[82:83], 2, v[48:49]
	s_mov_b32 s10, 0
	global_store_dword v[54:55], v53, off
	v_lshl_add_u64 v[50:51], v[50:51], 2, s[8:9]
	s_cbranch_execz .LBB62_118
; %bb.116:
	v_mov_b32_e32 v52, s10
	s_branch .LBB62_119
.LBB62_117:
                                        ; implicit-def: $sgpr10
	v_lshl_add_u64 v[50:51], v[50:51], 2, s[8:9]
.LBB62_118:
	v_lshl_add_u64 v[54:55], v[50:51], 0, v[86:87]
	flat_load_dword v53, v[54:55]
	v_lshl_add_u64 v[54:55], v[48:49], 0, v[86:87]
	s_waitcnt vmcnt(0) lgkmcnt(0)
	v_mul_f32_e32 v53, s12, v53
	v_min_f32_e32 v52, v53, v52
	global_store_dword v[54:55], v52, off
	v_lshl_add_u64 v[52:53], v[80:81], 2, v[50:51]
	flat_load_dword v52, v[52:53]
	s_waitcnt vmcnt(0) lgkmcnt(0)
	v_mul_f32_e32 v52, s12, v52
.LBB62_119:
	v_pk_add_f32 v[54:55], v[12:13], v[44:45]
	s_mov_b64 vcc, s[6:7]
	v_min3_f32 v53, v54, v55, v133
	v_pk_add_f32 v[54:55], v[8:9], v[44:45]
	s_nop 0
	v_min3_f32 v56, v54, v55, v134
	v_pk_add_f32 v[54:55], v[14:15], v[46:47]
	s_nop 0
	v_min_f32_e32 v57, v54, v55
	v_pk_add_f32 v[54:55], v[10:11], v[46:47]
	s_nop 0
	v_min3_f32 v54, v54, v55, v56
	v_min3_f32 v55, v52, v57, v53
	v_lshl_add_u64 v[52:53], v[80:81], 2, v[48:49]
	global_store_dword v[52:53], v55, off
	v_max_f32_e32 v52, v54, v54
	s_cbranch_vccz .LBB62_122
; %bb.120:
	v_min_f32_e32 v53, 0, v52
	v_lshl_add_u64 v[54:55], v[88:89], 2, v[48:49]
	s_mov_b32 s10, 0
	global_store_dword v[54:55], v53, off
	s_cbranch_execz .LBB62_123
; %bb.121:
	v_mov_b32_e32 v50, s10
	s_branch .LBB62_124
.LBB62_122:
                                        ; implicit-def: $sgpr10
.LBB62_123:
	v_lshl_add_u64 v[54:55], v[50:51], 0, v[90:91]
	flat_load_dword v53, v[54:55]
	v_lshl_add_u64 v[54:55], v[48:49], 0, v[90:91]
	v_lshl_add_u64 v[50:51], v[84:85], 2, v[50:51]
	s_waitcnt vmcnt(0) lgkmcnt(0)
	v_mul_f32_e32 v53, s12, v53
	v_min_f32_e32 v52, v53, v52
	global_store_dword v[54:55], v52, off
	flat_load_dword v50, v[50:51]
	s_waitcnt vmcnt(0) lgkmcnt(0)
	v_mul_f32_e32 v50, s12, v50
.LBB62_124:
	v_pk_add_f32 v[44:45], v[0:1], v[44:45]
	s_mov_b64 vcc, s[6:7]
	v_min3_f32 v51, v44, v45, v131
	s_waitcnt lgkmcnt(6)
	v_pk_add_f32 v[44:45], v[16:17], v[40:41]
	s_nop 0
	v_min3_f32 v52, v44, v45, v132
	v_pk_add_f32 v[44:45], v[2:3], v[46:47]
	s_nop 0
	v_min_f32_e32 v46, v44, v45
	v_pk_add_f32 v[44:45], v[18:19], v[42:43]
	v_min3_f32 v46, v50, v46, v51
	v_min3_f32 v52, v44, v45, v52
	v_lshl_add_u64 v[44:45], v[84:85], 2, v[48:49]
	global_store_dword v[44:45], v46, off
	v_add_u32_e32 v46, 0x48, v96
	v_mad_i64_i32 v[44:45], s[2:3], v46, s5, 0
	v_lshl_add_u64 v[44:45], v[44:45], 2, s[0:1]
	v_mad_i64_i32 v[46:47], s[2:3], v46, s4, 0
	v_max_f32_e32 v48, v52, v52
	s_cbranch_vccz .LBB62_127
; %bb.125:
	v_min_f32_e32 v49, 0, v48
	v_lshl_add_u64 v[50:51], v[82:83], 2, v[44:45]
	s_mov_b32 s10, 0
	global_store_dword v[50:51], v49, off
	v_lshl_add_u64 v[46:47], v[46:47], 2, s[8:9]
	s_cbranch_execz .LBB62_128
; %bb.126:
	v_mov_b32_e32 v48, s10
	s_branch .LBB62_129
.LBB62_127:
                                        ; implicit-def: $sgpr10
	v_lshl_add_u64 v[46:47], v[46:47], 2, s[8:9]
.LBB62_128:
	v_lshl_add_u64 v[50:51], v[46:47], 0, v[86:87]
	flat_load_dword v49, v[50:51]
	v_lshl_add_u64 v[50:51], v[44:45], 0, v[86:87]
	s_waitcnt vmcnt(0) lgkmcnt(0)
	v_mul_f32_e32 v49, s12, v49
	v_min_f32_e32 v48, v49, v48
	global_store_dword v[50:51], v48, off
	v_lshl_add_u64 v[48:49], v[80:81], 2, v[46:47]
	flat_load_dword v48, v[48:49]
	s_waitcnt vmcnt(0) lgkmcnt(0)
	v_mul_f32_e32 v48, s12, v48
.LBB62_129:
	v_pk_add_f32 v[50:51], v[12:13], v[40:41]
	s_mov_b64 vcc, s[6:7]
	v_min3_f32 v49, v50, v51, v127
	v_pk_add_f32 v[50:51], v[8:9], v[40:41]
	s_nop 0
	v_min3_f32 v52, v50, v51, v128
	v_pk_add_f32 v[50:51], v[14:15], v[42:43]
	s_nop 0
	v_min_f32_e32 v53, v50, v51
	v_pk_add_f32 v[50:51], v[10:11], v[42:43]
	s_nop 0
	v_min3_f32 v50, v50, v51, v52
	v_min3_f32 v51, v48, v53, v49
	v_lshl_add_u64 v[48:49], v[80:81], 2, v[44:45]
	global_store_dword v[48:49], v51, off
	v_max_f32_e32 v48, v50, v50
	s_cbranch_vccz .LBB62_132
; %bb.130:
	v_min_f32_e32 v49, 0, v48
	v_lshl_add_u64 v[50:51], v[88:89], 2, v[44:45]
	s_mov_b32 s10, 0
	global_store_dword v[50:51], v49, off
	s_cbranch_execz .LBB62_133
; %bb.131:
	v_mov_b32_e32 v46, s10
	s_branch .LBB62_134
.LBB62_132:
                                        ; implicit-def: $sgpr10
.LBB62_133:
	v_lshl_add_u64 v[50:51], v[46:47], 0, v[90:91]
	flat_load_dword v49, v[50:51]
	v_lshl_add_u64 v[50:51], v[44:45], 0, v[90:91]
	v_lshl_add_u64 v[46:47], v[84:85], 2, v[46:47]
	s_waitcnt vmcnt(0) lgkmcnt(0)
	v_mul_f32_e32 v49, s12, v49
	v_min_f32_e32 v48, v49, v48
	global_store_dword v[50:51], v48, off
	flat_load_dword v46, v[46:47]
	s_waitcnt vmcnt(0) lgkmcnt(0)
	v_mul_f32_e32 v46, s12, v46
.LBB62_134:
	v_pk_add_f32 v[40:41], v[0:1], v[40:41]
	s_mov_b64 vcc, s[6:7]
	v_min3_f32 v47, v40, v41, v125
	s_waitcnt lgkmcnt(5)
	v_pk_add_f32 v[40:41], v[16:17], v[36:37]
	s_nop 0
	v_min3_f32 v48, v40, v41, v126
	v_pk_add_f32 v[40:41], v[2:3], v[42:43]
	s_nop 0
	v_min_f32_e32 v42, v40, v41
	v_pk_add_f32 v[40:41], v[18:19], v[38:39]
	v_min3_f32 v42, v46, v42, v47
	v_min3_f32 v48, v40, v41, v48
	v_lshl_add_u64 v[40:41], v[84:85], 2, v[44:45]
	global_store_dword v[40:41], v42, off
	v_add_u32_e32 v42, 0x50, v96
	v_mad_i64_i32 v[40:41], s[2:3], v42, s5, 0
	v_lshl_add_u64 v[40:41], v[40:41], 2, s[0:1]
	v_mad_i64_i32 v[42:43], s[2:3], v42, s4, 0
	v_max_f32_e32 v44, v48, v48
	s_cbranch_vccz .LBB62_137
; %bb.135:
	v_min_f32_e32 v45, 0, v44
	v_lshl_add_u64 v[46:47], v[82:83], 2, v[40:41]
	s_mov_b32 s10, 0
	global_store_dword v[46:47], v45, off
	v_lshl_add_u64 v[42:43], v[42:43], 2, s[8:9]
	s_cbranch_execz .LBB62_138
; %bb.136:
	v_mov_b32_e32 v44, s10
	s_branch .LBB62_139
.LBB62_137:
                                        ; implicit-def: $sgpr10
	v_lshl_add_u64 v[42:43], v[42:43], 2, s[8:9]
.LBB62_138:
	v_lshl_add_u64 v[46:47], v[42:43], 0, v[86:87]
	flat_load_dword v45, v[46:47]
	v_lshl_add_u64 v[46:47], v[40:41], 0, v[86:87]
	s_waitcnt vmcnt(0) lgkmcnt(0)
	v_mul_f32_e32 v45, s12, v45
	v_min_f32_e32 v44, v45, v44
	global_store_dword v[46:47], v44, off
	v_lshl_add_u64 v[44:45], v[80:81], 2, v[42:43]
	flat_load_dword v44, v[44:45]
	s_waitcnt vmcnt(0) lgkmcnt(0)
	v_mul_f32_e32 v44, s12, v44
.LBB62_139:
	v_pk_add_f32 v[46:47], v[12:13], v[36:37]
	s_mov_b64 vcc, s[6:7]
	v_min3_f32 v45, v46, v47, v123
	v_pk_add_f32 v[46:47], v[8:9], v[36:37]
	s_nop 0
	v_min3_f32 v48, v46, v47, v124
	v_pk_add_f32 v[46:47], v[14:15], v[38:39]
	s_nop 0
	v_min_f32_e32 v49, v46, v47
	v_pk_add_f32 v[46:47], v[10:11], v[38:39]
	s_nop 0
	v_min3_f32 v46, v46, v47, v48
	v_min3_f32 v47, v44, v49, v45
	v_lshl_add_u64 v[44:45], v[80:81], 2, v[40:41]
	global_store_dword v[44:45], v47, off
	v_max_f32_e32 v44, v46, v46
	s_cbranch_vccz .LBB62_142
; %bb.140:
	v_min_f32_e32 v45, 0, v44
	v_lshl_add_u64 v[46:47], v[88:89], 2, v[40:41]
	s_mov_b32 s10, 0
	global_store_dword v[46:47], v45, off
	s_cbranch_execz .LBB62_143
; %bb.141:
	v_mov_b32_e32 v42, s10
	s_branch .LBB62_144
.LBB62_142:
                                        ; implicit-def: $sgpr10
.LBB62_143:
	v_lshl_add_u64 v[46:47], v[42:43], 0, v[90:91]
	flat_load_dword v45, v[46:47]
	v_lshl_add_u64 v[46:47], v[40:41], 0, v[90:91]
	v_lshl_add_u64 v[42:43], v[84:85], 2, v[42:43]
	s_waitcnt vmcnt(0) lgkmcnt(0)
	v_mul_f32_e32 v45, s12, v45
	v_min_f32_e32 v44, v45, v44
	global_store_dword v[46:47], v44, off
	flat_load_dword v42, v[42:43]
	s_waitcnt vmcnt(0) lgkmcnt(0)
	v_mul_f32_e32 v42, s12, v42
.LBB62_144:
	v_pk_add_f32 v[36:37], v[0:1], v[36:37]
	s_mov_b64 vcc, s[6:7]
	v_min3_f32 v43, v36, v37, v121
	s_waitcnt lgkmcnt(4)
	v_pk_add_f32 v[36:37], v[16:17], v[32:33]
	s_nop 0
	v_min3_f32 v44, v36, v37, v122
	v_pk_add_f32 v[36:37], v[2:3], v[38:39]
	s_nop 0
	v_min_f32_e32 v38, v36, v37
	v_pk_add_f32 v[36:37], v[18:19], v[34:35]
	v_min3_f32 v38, v42, v38, v43
	v_min3_f32 v44, v36, v37, v44
	v_lshl_add_u64 v[36:37], v[84:85], 2, v[40:41]
	global_store_dword v[36:37], v38, off
	v_add_u32_e32 v38, 0x58, v96
	v_mad_i64_i32 v[36:37], s[2:3], v38, s5, 0
	v_lshl_add_u64 v[36:37], v[36:37], 2, s[0:1]
	v_mad_i64_i32 v[38:39], s[2:3], v38, s4, 0
	v_max_f32_e32 v40, v44, v44
	s_cbranch_vccz .LBB62_147
; %bb.145:
	v_min_f32_e32 v41, 0, v40
	v_lshl_add_u64 v[42:43], v[82:83], 2, v[36:37]
	s_mov_b32 s10, 0
	global_store_dword v[42:43], v41, off
	v_lshl_add_u64 v[38:39], v[38:39], 2, s[8:9]
	s_cbranch_execz .LBB62_148
; %bb.146:
	v_mov_b32_e32 v40, s10
	s_branch .LBB62_149
.LBB62_147:
                                        ; implicit-def: $sgpr10
	v_lshl_add_u64 v[38:39], v[38:39], 2, s[8:9]
.LBB62_148:
	v_lshl_add_u64 v[42:43], v[38:39], 0, v[86:87]
	flat_load_dword v41, v[42:43]
	v_lshl_add_u64 v[42:43], v[36:37], 0, v[86:87]
	s_waitcnt vmcnt(0) lgkmcnt(0)
	v_mul_f32_e32 v41, s12, v41
	v_min_f32_e32 v40, v41, v40
	global_store_dword v[42:43], v40, off
	v_lshl_add_u64 v[40:41], v[80:81], 2, v[38:39]
	flat_load_dword v40, v[40:41]
	s_waitcnt vmcnt(0) lgkmcnt(0)
	v_mul_f32_e32 v40, s12, v40
.LBB62_149:
	v_pk_add_f32 v[42:43], v[12:13], v[32:33]
	s_mov_b64 vcc, s[6:7]
	v_min3_f32 v41, v42, v43, v119
	v_pk_add_f32 v[42:43], v[8:9], v[32:33]
	s_nop 0
	v_min3_f32 v44, v42, v43, v120
	v_pk_add_f32 v[42:43], v[14:15], v[34:35]
	s_nop 0
	v_min_f32_e32 v45, v42, v43
	v_pk_add_f32 v[42:43], v[10:11], v[34:35]
	s_nop 0
	v_min3_f32 v42, v42, v43, v44
	v_min3_f32 v43, v40, v45, v41
	v_lshl_add_u64 v[40:41], v[80:81], 2, v[36:37]
	global_store_dword v[40:41], v43, off
	v_max_f32_e32 v40, v42, v42
	s_cbranch_vccz .LBB62_152
; %bb.150:
	v_min_f32_e32 v41, 0, v40
	v_lshl_add_u64 v[42:43], v[88:89], 2, v[36:37]
	s_mov_b32 s10, 0
	global_store_dword v[42:43], v41, off
	s_cbranch_execz .LBB62_153
; %bb.151:
	v_mov_b32_e32 v38, s10
	s_branch .LBB62_154
.LBB62_152:
                                        ; implicit-def: $sgpr10
.LBB62_153:
	v_lshl_add_u64 v[42:43], v[38:39], 0, v[90:91]
	flat_load_dword v41, v[42:43]
	v_lshl_add_u64 v[42:43], v[36:37], 0, v[90:91]
	v_lshl_add_u64 v[38:39], v[84:85], 2, v[38:39]
	s_waitcnt vmcnt(0) lgkmcnt(0)
	v_mul_f32_e32 v41, s12, v41
	v_min_f32_e32 v40, v41, v40
	global_store_dword v[42:43], v40, off
	flat_load_dword v38, v[38:39]
	s_waitcnt vmcnt(0) lgkmcnt(0)
	v_mul_f32_e32 v38, s12, v38
.LBB62_154:
	v_pk_add_f32 v[32:33], v[0:1], v[32:33]
	s_mov_b64 vcc, s[6:7]
	v_min3_f32 v39, v32, v33, v117
	s_waitcnt lgkmcnt(3)
	v_pk_add_f32 v[32:33], v[16:17], v[28:29]
	s_nop 0
	v_min3_f32 v40, v32, v33, v118
	v_pk_add_f32 v[32:33], v[2:3], v[34:35]
	s_nop 0
	v_min_f32_e32 v34, v32, v33
	v_pk_add_f32 v[32:33], v[18:19], v[30:31]
	v_min3_f32 v34, v38, v34, v39
	v_min3_f32 v40, v32, v33, v40
	v_lshl_add_u64 v[32:33], v[84:85], 2, v[36:37]
	global_store_dword v[32:33], v34, off
	v_add_u32_e32 v34, 0x60, v96
	v_mad_i64_i32 v[32:33], s[2:3], v34, s5, 0
	v_lshl_add_u64 v[32:33], v[32:33], 2, s[0:1]
	v_mad_i64_i32 v[34:35], s[2:3], v34, s4, 0
	v_max_f32_e32 v36, v40, v40
	s_cbranch_vccz .LBB62_157
; %bb.155:
	v_min_f32_e32 v37, 0, v36
	v_lshl_add_u64 v[38:39], v[82:83], 2, v[32:33]
	s_mov_b32 s10, 0
	global_store_dword v[38:39], v37, off
	v_lshl_add_u64 v[34:35], v[34:35], 2, s[8:9]
	s_cbranch_execz .LBB62_158
; %bb.156:
	v_mov_b32_e32 v36, s10
	s_branch .LBB62_159
.LBB62_157:
                                        ; implicit-def: $sgpr10
	v_lshl_add_u64 v[34:35], v[34:35], 2, s[8:9]
.LBB62_158:
	v_lshl_add_u64 v[38:39], v[34:35], 0, v[86:87]
	flat_load_dword v37, v[38:39]
	v_lshl_add_u64 v[38:39], v[32:33], 0, v[86:87]
	s_waitcnt vmcnt(0) lgkmcnt(0)
	v_mul_f32_e32 v37, s12, v37
	v_min_f32_e32 v36, v37, v36
	global_store_dword v[38:39], v36, off
	v_lshl_add_u64 v[36:37], v[80:81], 2, v[34:35]
	flat_load_dword v36, v[36:37]
	s_waitcnt vmcnt(0) lgkmcnt(0)
	v_mul_f32_e32 v36, s12, v36
.LBB62_159:
	v_pk_add_f32 v[38:39], v[12:13], v[28:29]
	s_mov_b64 vcc, s[6:7]
	v_min3_f32 v37, v38, v39, v115
	v_pk_add_f32 v[38:39], v[8:9], v[28:29]
	s_nop 0
	v_min3_f32 v40, v38, v39, v116
	v_pk_add_f32 v[38:39], v[14:15], v[30:31]
	s_nop 0
	v_min_f32_e32 v41, v38, v39
	v_pk_add_f32 v[38:39], v[10:11], v[30:31]
	s_nop 0
	v_min3_f32 v38, v38, v39, v40
	v_min3_f32 v39, v36, v41, v37
	v_lshl_add_u64 v[36:37], v[80:81], 2, v[32:33]
	global_store_dword v[36:37], v39, off
	v_max_f32_e32 v36, v38, v38
	s_cbranch_vccz .LBB62_162
; %bb.160:
	v_min_f32_e32 v37, 0, v36
	v_lshl_add_u64 v[38:39], v[88:89], 2, v[32:33]
	s_mov_b32 s10, 0
	global_store_dword v[38:39], v37, off
	s_cbranch_execz .LBB62_163
; %bb.161:
	v_mov_b32_e32 v34, s10
	s_branch .LBB62_164
.LBB62_162:
                                        ; implicit-def: $sgpr10
.LBB62_163:
	v_lshl_add_u64 v[38:39], v[34:35], 0, v[90:91]
	flat_load_dword v37, v[38:39]
	v_lshl_add_u64 v[38:39], v[32:33], 0, v[90:91]
	v_lshl_add_u64 v[34:35], v[84:85], 2, v[34:35]
	s_waitcnt vmcnt(0) lgkmcnt(0)
	v_mul_f32_e32 v37, s12, v37
	v_min_f32_e32 v36, v37, v36
	global_store_dword v[38:39], v36, off
	flat_load_dword v34, v[34:35]
	s_waitcnt vmcnt(0) lgkmcnt(0)
	v_mul_f32_e32 v34, s12, v34
.LBB62_164:
	v_pk_add_f32 v[28:29], v[0:1], v[28:29]
	s_mov_b64 vcc, s[6:7]
	v_min3_f32 v35, v28, v29, v113
	s_waitcnt lgkmcnt(2)
	v_pk_add_f32 v[28:29], v[16:17], v[24:25]
	s_nop 0
	v_min3_f32 v36, v28, v29, v114
	v_pk_add_f32 v[28:29], v[2:3], v[30:31]
	s_nop 0
	v_min_f32_e32 v30, v28, v29
	v_pk_add_f32 v[28:29], v[18:19], v[26:27]
	v_min3_f32 v30, v34, v30, v35
	v_min3_f32 v36, v28, v29, v36
	v_lshl_add_u64 v[28:29], v[84:85], 2, v[32:33]
	global_store_dword v[28:29], v30, off
	v_add_u32_e32 v30, 0x68, v96
	v_mad_i64_i32 v[28:29], s[2:3], v30, s5, 0
	v_lshl_add_u64 v[28:29], v[28:29], 2, s[0:1]
	v_mad_i64_i32 v[30:31], s[2:3], v30, s4, 0
	v_max_f32_e32 v32, v36, v36
	s_cbranch_vccz .LBB62_167
; %bb.165:
	v_min_f32_e32 v33, 0, v32
	v_lshl_add_u64 v[34:35], v[82:83], 2, v[28:29]
	s_mov_b32 s10, 0
	global_store_dword v[34:35], v33, off
	v_lshl_add_u64 v[30:31], v[30:31], 2, s[8:9]
	s_cbranch_execz .LBB62_168
; %bb.166:
	v_mov_b32_e32 v32, s10
	s_branch .LBB62_169
.LBB62_167:
                                        ; implicit-def: $sgpr10
	v_lshl_add_u64 v[30:31], v[30:31], 2, s[8:9]
.LBB62_168:
	v_lshl_add_u64 v[34:35], v[30:31], 0, v[86:87]
	flat_load_dword v33, v[34:35]
	v_lshl_add_u64 v[34:35], v[28:29], 0, v[86:87]
	s_waitcnt vmcnt(0) lgkmcnt(0)
	v_mul_f32_e32 v33, s12, v33
	v_min_f32_e32 v32, v33, v32
	global_store_dword v[34:35], v32, off
	v_lshl_add_u64 v[32:33], v[80:81], 2, v[30:31]
	flat_load_dword v32, v[32:33]
	s_waitcnt vmcnt(0) lgkmcnt(0)
	v_mul_f32_e32 v32, s12, v32
.LBB62_169:
	v_pk_add_f32 v[34:35], v[12:13], v[24:25]
	s_mov_b64 vcc, s[6:7]
	v_min3_f32 v33, v34, v35, v111
	v_pk_add_f32 v[34:35], v[8:9], v[24:25]
	s_nop 0
	v_min3_f32 v36, v34, v35, v112
	v_pk_add_f32 v[34:35], v[14:15], v[26:27]
	s_nop 0
	v_min_f32_e32 v37, v34, v35
	v_pk_add_f32 v[34:35], v[10:11], v[26:27]
	s_nop 0
	v_min3_f32 v34, v34, v35, v36
	v_min3_f32 v35, v32, v37, v33
	v_lshl_add_u64 v[32:33], v[80:81], 2, v[28:29]
	global_store_dword v[32:33], v35, off
	v_max_f32_e32 v32, v34, v34
	s_cbranch_vccz .LBB62_172
; %bb.170:
	v_min_f32_e32 v33, 0, v32
	v_lshl_add_u64 v[34:35], v[88:89], 2, v[28:29]
	s_mov_b32 s10, 0
	global_store_dword v[34:35], v33, off
	s_cbranch_execz .LBB62_173
; %bb.171:
	v_mov_b32_e32 v30, s10
	s_branch .LBB62_174
.LBB62_172:
                                        ; implicit-def: $sgpr10
.LBB62_173:
	v_lshl_add_u64 v[34:35], v[30:31], 0, v[90:91]
	flat_load_dword v33, v[34:35]
	v_lshl_add_u64 v[34:35], v[28:29], 0, v[90:91]
	v_lshl_add_u64 v[30:31], v[84:85], 2, v[30:31]
	s_waitcnt vmcnt(0) lgkmcnt(0)
	v_mul_f32_e32 v33, s12, v33
	v_min_f32_e32 v32, v33, v32
	global_store_dword v[34:35], v32, off
	flat_load_dword v30, v[30:31]
	s_waitcnt vmcnt(0) lgkmcnt(0)
	v_mul_f32_e32 v30, s12, v30
.LBB62_174:
	v_pk_add_f32 v[24:25], v[0:1], v[24:25]
	s_mov_b64 vcc, s[6:7]
	v_min3_f32 v31, v24, v25, v109
	s_waitcnt lgkmcnt(1)
	v_pk_add_f32 v[24:25], v[16:17], v[20:21]
	s_nop 0
	v_min3_f32 v32, v24, v25, v110
	v_pk_add_f32 v[24:25], v[2:3], v[26:27]
	s_nop 0
	v_min_f32_e32 v26, v24, v25
	v_pk_add_f32 v[24:25], v[18:19], v[22:23]
	v_min3_f32 v26, v30, v26, v31
	v_min3_f32 v32, v24, v25, v32
	v_lshl_add_u64 v[24:25], v[84:85], 2, v[28:29]
	global_store_dword v[24:25], v26, off
	v_add_u32_e32 v26, 0x70, v96
	v_mad_i64_i32 v[24:25], s[2:3], v26, s5, 0
	v_lshl_add_u64 v[24:25], v[24:25], 2, s[0:1]
	v_mad_i64_i32 v[26:27], s[2:3], v26, s4, 0
	v_max_f32_e32 v28, v32, v32
	s_cbranch_vccz .LBB62_177
; %bb.175:
	v_min_f32_e32 v29, 0, v28
	v_lshl_add_u64 v[30:31], v[82:83], 2, v[24:25]
	s_mov_b32 s10, 0
	global_store_dword v[30:31], v29, off
	v_lshl_add_u64 v[26:27], v[26:27], 2, s[8:9]
	s_cbranch_execz .LBB62_178
; %bb.176:
	v_mov_b32_e32 v28, s10
	s_branch .LBB62_179
.LBB62_177:
                                        ; implicit-def: $sgpr10
	v_lshl_add_u64 v[26:27], v[26:27], 2, s[8:9]
.LBB62_178:
	v_lshl_add_u64 v[30:31], v[26:27], 0, v[86:87]
	flat_load_dword v29, v[30:31]
	v_lshl_add_u64 v[30:31], v[24:25], 0, v[86:87]
	s_waitcnt vmcnt(0) lgkmcnt(0)
	v_mul_f32_e32 v29, s12, v29
	v_min_f32_e32 v28, v29, v28
	global_store_dword v[30:31], v28, off
	v_lshl_add_u64 v[28:29], v[80:81], 2, v[26:27]
	flat_load_dword v28, v[28:29]
	s_waitcnt vmcnt(0) lgkmcnt(0)
	v_mul_f32_e32 v28, s12, v28
.LBB62_179:
	v_pk_add_f32 v[30:31], v[12:13], v[20:21]
	s_mov_b64 vcc, s[6:7]
	v_min3_f32 v29, v30, v31, v107
	v_pk_add_f32 v[30:31], v[8:9], v[20:21]
	s_nop 0
	v_min3_f32 v32, v30, v31, v108
	v_pk_add_f32 v[30:31], v[14:15], v[22:23]
	s_nop 0
	v_min_f32_e32 v33, v30, v31
	v_pk_add_f32 v[30:31], v[10:11], v[22:23]
	s_nop 0
	v_min3_f32 v30, v30, v31, v32
	v_min3_f32 v31, v28, v33, v29
	v_lshl_add_u64 v[28:29], v[80:81], 2, v[24:25]
	global_store_dword v[28:29], v31, off
	v_max_f32_e32 v28, v30, v30
	s_cbranch_vccz .LBB62_182
; %bb.180:
	v_min_f32_e32 v29, 0, v28
	v_lshl_add_u64 v[30:31], v[88:89], 2, v[24:25]
	s_mov_b32 s10, 0
	global_store_dword v[30:31], v29, off
	s_cbranch_execz .LBB62_183
; %bb.181:
	v_mov_b32_e32 v26, s10
	s_branch .LBB62_184
.LBB62_182:
                                        ; implicit-def: $sgpr10
.LBB62_183:
	v_lshl_add_u64 v[30:31], v[26:27], 0, v[90:91]
	flat_load_dword v29, v[30:31]
	v_lshl_add_u64 v[30:31], v[24:25], 0, v[90:91]
	v_lshl_add_u64 v[26:27], v[84:85], 2, v[26:27]
	s_waitcnt vmcnt(0) lgkmcnt(0)
	v_mul_f32_e32 v29, s12, v29
	v_min_f32_e32 v28, v29, v28
	global_store_dword v[30:31], v28, off
	flat_load_dword v26, v[26:27]
	s_waitcnt vmcnt(0) lgkmcnt(0)
	v_mul_f32_e32 v26, s12, v26
.LBB62_184:
	v_pk_add_f32 v[20:21], v[0:1], v[20:21]
	s_waitcnt lgkmcnt(0)
	v_pk_add_f32 v[16:17], v[16:17], v[4:5]
	v_min3_f32 v20, v20, v21, v104
	v_min3_f32 v21, v16, v17, v105
	v_pk_add_f32 v[16:17], v[2:3], v[22:23]
	s_mov_b64 vcc, s[6:7]
	v_min_f32_e32 v22, v16, v17
	v_pk_add_f32 v[16:17], v[18:19], v[6:7]
	v_min3_f32 v18, v26, v22, v20
	v_min3_f32 v21, v16, v17, v21
	v_lshl_add_u64 v[16:17], v[84:85], 2, v[24:25]
	global_store_dword v[16:17], v18, off
	v_add_u32_e32 v18, 0x78, v96
	v_mad_i64_i32 v[16:17], s[2:3], v18, s5, 0
	v_lshl_add_u64 v[16:17], v[16:17], 2, s[0:1]
	v_mad_i64_i32 v[18:19], s[0:1], v18, s4, 0
	v_max_f32_e32 v20, v21, v21
	s_cbranch_vccz .LBB62_187
; %bb.185:
	v_min_f32_e32 v21, 0, v20
	v_lshl_add_u64 v[22:23], v[82:83], 2, v[16:17]
	s_mov_b32 s2, 0
	global_store_dword v[22:23], v21, off
	v_lshl_add_u64 v[18:19], v[18:19], 2, s[8:9]
	s_cbranch_execz .LBB62_188
; %bb.186:
	v_mov_b32_e32 v20, s2
	s_branch .LBB62_189
.LBB62_187:
                                        ; implicit-def: $sgpr2
	v_lshl_add_u64 v[18:19], v[18:19], 2, s[8:9]
.LBB62_188:
	v_lshl_add_u64 v[22:23], v[18:19], 0, v[86:87]
	flat_load_dword v21, v[22:23]
	v_lshl_add_u64 v[22:23], v[16:17], 0, v[86:87]
	s_waitcnt vmcnt(0) lgkmcnt(0)
	v_mul_f32_e32 v21, s12, v21
	v_min_f32_e32 v20, v21, v20
	global_store_dword v[22:23], v20, off
	v_lshl_add_u64 v[20:21], v[80:81], 2, v[18:19]
	flat_load_dword v20, v[20:21]
	s_waitcnt vmcnt(0) lgkmcnt(0)
	v_mul_f32_e32 v20, s12, v20
.LBB62_189:
	v_pk_add_f32 v[12:13], v[12:13], v[4:5]
	v_pk_add_f32 v[8:9], v[8:9], v[4:5]
	v_min3_f32 v12, v12, v13, v102
	v_min3_f32 v13, v8, v9, v103
	v_pk_add_f32 v[8:9], v[14:15], v[6:7]
	s_mov_b64 vcc, s[6:7]
	v_min_f32_e32 v14, v8, v9
	v_pk_add_f32 v[8:9], v[10:11], v[6:7]
	v_min3_f32 v11, v20, v14, v12
	v_min3_f32 v10, v8, v9, v13
	v_lshl_add_u64 v[8:9], v[80:81], 2, v[16:17]
	global_store_dword v[8:9], v11, off
	v_max_f32_e32 v8, v10, v10
	s_cbranch_vccz .LBB62_192
; %bb.190:
	v_min_f32_e32 v9, 0, v8
	v_lshl_add_u64 v[10:11], v[88:89], 2, v[16:17]
	s_mov_b32 s2, 0
	global_store_dword v[10:11], v9, off
	s_cbranch_execz .LBB62_193
; %bb.191:
	v_mov_b32_e32 v8, s2
	s_branch .LBB62_194
.LBB62_192:
                                        ; implicit-def: $sgpr2
.LBB62_193:
	v_lshl_add_u64 v[10:11], v[18:19], 0, v[90:91]
	flat_load_dword v9, v[10:11]
	v_lshl_add_u64 v[10:11], v[16:17], 0, v[90:91]
	s_waitcnt vmcnt(0) lgkmcnt(0)
	v_mul_f32_e32 v9, s12, v9
	v_min_f32_e32 v8, v9, v8
	global_store_dword v[10:11], v8, off
	v_lshl_add_u64 v[8:9], v[84:85], 2, v[18:19]
	flat_load_dword v8, v[8:9]
	s_waitcnt vmcnt(0) lgkmcnt(0)
	v_mul_f32_e32 v8, s12, v8
.LBB62_194:
	v_pk_add_f32 v[2:3], v[2:3], v[6:7]
	v_pk_add_f32 v[0:1], v[0:1], v[4:5]
	v_min_f32_e32 v2, v2, v3
	v_min3_f32 v0, v0, v1, v106
	v_min3_f32 v2, v8, v2, v0
	v_lshl_add_u64 v[0:1], v[84:85], 2, v[16:17]
	global_store_dword v[0:1], v2, off
	s_endpgm
	.section	.rodata,"a",@progbits
	.p2align	6, 0x0
	.amdhsa_kernel _ZN12_GLOBAL__N_120geam_min_plus_kernelIf15HIP_vector_typeIfLj2EEfLi32ELi8ELi128ELi128ELi4ELi4ELi64ELi4ELi64ELc84ELc78ELb0ELb0ELb1EfKffEEviiiT16_PT17_ilS6_ilS4_S6_ilPT18_ili26rocblas_geam_ex_operation_
		.amdhsa_group_segment_fixed_size 8192
		.amdhsa_private_segment_fixed_size 0
		.amdhsa_kernarg_size 128
		.amdhsa_user_sgpr_count 2
		.amdhsa_user_sgpr_dispatch_ptr 0
		.amdhsa_user_sgpr_queue_ptr 0
		.amdhsa_user_sgpr_kernarg_segment_ptr 1
		.amdhsa_user_sgpr_dispatch_id 0
		.amdhsa_user_sgpr_kernarg_preload_length 0
		.amdhsa_user_sgpr_kernarg_preload_offset 0
		.amdhsa_user_sgpr_private_segment_size 0
		.amdhsa_uses_dynamic_stack 0
		.amdhsa_enable_private_segment 0
		.amdhsa_system_sgpr_workgroup_id_x 1
		.amdhsa_system_sgpr_workgroup_id_y 0
		.amdhsa_system_sgpr_workgroup_id_z 1
		.amdhsa_system_sgpr_workgroup_info 0
		.amdhsa_system_vgpr_workitem_id 1
		.amdhsa_next_free_vgpr 206
		.amdhsa_next_free_sgpr 28
		.amdhsa_accum_offset 208
		.amdhsa_reserve_vcc 1
		.amdhsa_float_round_mode_32 0
		.amdhsa_float_round_mode_16_64 0
		.amdhsa_float_denorm_mode_32 3
		.amdhsa_float_denorm_mode_16_64 3
		.amdhsa_dx10_clamp 1
		.amdhsa_ieee_mode 1
		.amdhsa_fp16_overflow 0
		.amdhsa_tg_split 0
		.amdhsa_exception_fp_ieee_invalid_op 0
		.amdhsa_exception_fp_denorm_src 0
		.amdhsa_exception_fp_ieee_div_zero 0
		.amdhsa_exception_fp_ieee_overflow 0
		.amdhsa_exception_fp_ieee_underflow 0
		.amdhsa_exception_fp_ieee_inexact 0
		.amdhsa_exception_int_div_zero 0
	.end_amdhsa_kernel
	.section	.text._ZN12_GLOBAL__N_120geam_min_plus_kernelIf15HIP_vector_typeIfLj2EEfLi32ELi8ELi128ELi128ELi4ELi4ELi64ELi4ELi64ELc84ELc78ELb0ELb0ELb1EfKffEEviiiT16_PT17_ilS6_ilS4_S6_ilPT18_ili26rocblas_geam_ex_operation_,"axG",@progbits,_ZN12_GLOBAL__N_120geam_min_plus_kernelIf15HIP_vector_typeIfLj2EEfLi32ELi8ELi128ELi128ELi4ELi4ELi64ELi4ELi64ELc84ELc78ELb0ELb0ELb1EfKffEEviiiT16_PT17_ilS6_ilS4_S6_ilPT18_ili26rocblas_geam_ex_operation_,comdat
.Lfunc_end62:
	.size	_ZN12_GLOBAL__N_120geam_min_plus_kernelIf15HIP_vector_typeIfLj2EEfLi32ELi8ELi128ELi128ELi4ELi4ELi64ELi4ELi64ELc84ELc78ELb0ELb0ELb1EfKffEEviiiT16_PT17_ilS6_ilS4_S6_ilPT18_ili26rocblas_geam_ex_operation_, .Lfunc_end62-_ZN12_GLOBAL__N_120geam_min_plus_kernelIf15HIP_vector_typeIfLj2EEfLi32ELi8ELi128ELi128ELi4ELi4ELi64ELi4ELi64ELc84ELc78ELb0ELb0ELb1EfKffEEviiiT16_PT17_ilS6_ilS4_S6_ilPT18_ili26rocblas_geam_ex_operation_
                                        ; -- End function
	.section	.AMDGPU.csdata,"",@progbits
; Kernel info:
; codeLenInByte = 17000
; NumSgprs: 34
; NumVgprs: 206
; NumAgprs: 0
; TotalNumVgprs: 206
; ScratchSize: 0
; MemoryBound: 0
; FloatMode: 240
; IeeeMode: 1
; LDSByteSize: 8192 bytes/workgroup (compile time only)
; SGPRBlocks: 4
; VGPRBlocks: 25
; NumSGPRsForWavesPerEU: 34
; NumVGPRsForWavesPerEU: 206
; AccumOffset: 208
; Occupancy: 2
; WaveLimiterHint : 0
; COMPUTE_PGM_RSRC2:SCRATCH_EN: 0
; COMPUTE_PGM_RSRC2:USER_SGPR: 2
; COMPUTE_PGM_RSRC2:TRAP_HANDLER: 0
; COMPUTE_PGM_RSRC2:TGID_X_EN: 1
; COMPUTE_PGM_RSRC2:TGID_Y_EN: 0
; COMPUTE_PGM_RSRC2:TGID_Z_EN: 1
; COMPUTE_PGM_RSRC2:TIDIG_COMP_CNT: 1
; COMPUTE_PGM_RSRC3_GFX90A:ACCUM_OFFSET: 51
; COMPUTE_PGM_RSRC3_GFX90A:TG_SPLIT: 0
	.section	.text._ZN12_GLOBAL__N_120geam_min_plus_kernelIf15HIP_vector_typeIfLj2EEfLi32ELi8ELi128ELi128ELi4ELi4ELi64ELi4ELi64ELc84ELc78ELb0ELb1ELb1EPKfS3_fEEviiiT16_PT17_ilS7_ilS5_S7_ilPT18_ili26rocblas_geam_ex_operation_,"axG",@progbits,_ZN12_GLOBAL__N_120geam_min_plus_kernelIf15HIP_vector_typeIfLj2EEfLi32ELi8ELi128ELi128ELi4ELi4ELi64ELi4ELi64ELc84ELc78ELb0ELb1ELb1EPKfS3_fEEviiiT16_PT17_ilS7_ilS5_S7_ilPT18_ili26rocblas_geam_ex_operation_,comdat
	.globl	_ZN12_GLOBAL__N_120geam_min_plus_kernelIf15HIP_vector_typeIfLj2EEfLi32ELi8ELi128ELi128ELi4ELi4ELi64ELi4ELi64ELc84ELc78ELb0ELb1ELb1EPKfS3_fEEviiiT16_PT17_ilS7_ilS5_S7_ilPT18_ili26rocblas_geam_ex_operation_ ; -- Begin function _ZN12_GLOBAL__N_120geam_min_plus_kernelIf15HIP_vector_typeIfLj2EEfLi32ELi8ELi128ELi128ELi4ELi4ELi64ELi4ELi64ELc84ELc78ELb0ELb1ELb1EPKfS3_fEEviiiT16_PT17_ilS7_ilS5_S7_ilPT18_ili26rocblas_geam_ex_operation_
	.p2align	8
	.type	_ZN12_GLOBAL__N_120geam_min_plus_kernelIf15HIP_vector_typeIfLj2EEfLi32ELi8ELi128ELi128ELi4ELi4ELi64ELi4ELi64ELc84ELc78ELb0ELb1ELb1EPKfS3_fEEviiiT16_PT17_ilS7_ilS5_S7_ilPT18_ili26rocblas_geam_ex_operation_,@function
_ZN12_GLOBAL__N_120geam_min_plus_kernelIf15HIP_vector_typeIfLj2EEfLi32ELi8ELi128ELi128ELi4ELi4ELi64ELi4ELi64ELc84ELc78ELb0ELb1ELb1EPKfS3_fEEviiiT16_PT17_ilS7_ilS5_S7_ilPT18_ili26rocblas_geam_ex_operation_: ; @_ZN12_GLOBAL__N_120geam_min_plus_kernelIf15HIP_vector_typeIfLj2EEfLi32ELi8ELi128ELi128ELi4ELi4ELi64ELi4ELi64ELc84ELc78ELb0ELb1ELb1EPKfS3_fEEviiiT16_PT17_ilS7_ilS5_S7_ilPT18_ili26rocblas_geam_ex_operation_
; %bb.0:
	s_load_dwordx4 s[12:15], s[0:1], 0x10
	s_load_dwordx4 s[4:7], s[0:1], 0x28
	s_mov_b32 s20, s3
	s_mov_b32 s21, 0
	s_lshl_b64 s[16:17], s[20:21], 2
	s_waitcnt lgkmcnt(0)
	s_add_u32 s18, s12, s16
	s_load_dwordx4 s[8:11], s[0:1], 0x40
	s_addc_u32 s19, s13, s17
	s_load_dword s33, s[18:19], 0x0
	s_load_dwordx2 s[12:13], s[0:1], 0x50
	s_mov_b64 s[24:25], 0
	s_mov_b64 s[26:27], 0
	s_waitcnt lgkmcnt(0)
	s_add_u32 s10, s10, s16
	v_cmp_eq_f32_e64 s[18:19], s33, 0
	s_addc_u32 s11, s11, s17
	v_cmp_neq_f32_e64 s[16:17], s33, 0
	s_and_b64 vcc, exec, s[18:19]
	s_cbranch_vccnz .LBB63_2
; %bb.1:
	s_mul_i32 s3, s20, s5
	s_mul_hi_u32 s5, s20, s4
	s_add_i32 s5, s5, s3
	s_mul_i32 s4, s20, s4
	s_lshl_b64 s[4:5], s[4:5], 2
	s_add_u32 s26, s14, s4
	s_addc_u32 s27, s15, s5
.LBB63_2:
	s_load_dword s21, s[10:11], 0x0
	s_andn2_b64 vcc, exec, s[16:17]
	s_cbranch_vccnz .LBB63_4
; %bb.3:
	s_mul_i32 s3, s20, s9
	s_mul_hi_u32 s4, s20, s8
	s_add_i32 s5, s4, s3
	s_mul_i32 s4, s20, s8
	s_lshl_b64 s[4:5], s[4:5], 2
	s_add_u32 s24, s6, s4
	s_addc_u32 s25, s7, s5
.LBB63_4:
	s_load_dwordx4 s[16:19], s[0:1], 0x60
	s_waitcnt lgkmcnt(0)
	v_cmp_eq_f32_e64 s[4:5], s21, 0
	v_cmp_neq_f32_e64 s[22:23], s21, 0
	s_and_b64 vcc, exec, s[4:5]
	s_cbranch_vccnz .LBB63_6
; %bb.5:
	s_mul_i32 s3, s20, s17
	s_mul_hi_u32 s4, s20, s16
	s_add_i32 s5, s4, s3
	s_mul_i32 s4, s20, s16
	s_lshl_b64 s[4:5], s[4:5], 2
	s_add_u32 s16, s12, s4
	s_addc_u32 s17, s13, s5
	s_branch .LBB63_7
.LBB63_6:
	s_mov_b64 s[16:17], 0
.LBB63_7:
	s_load_dwordx4 s[12:15], s[0:1], 0x0
	s_load_dword s35, s[0:1], 0x20
	v_and_b32_e32 v124, 0x3ff, v0
	v_bfe_u32 v125, v0, 10, 10
	v_and_b32_e32 v134, 3, v124
	s_waitcnt lgkmcnt(0)
	s_add_i32 s3, s12, -1
	s_ashr_i32 s4, s3, 31
	s_lshr_b32 s4, s4, 25
	s_add_i32 s3, s3, s4
	s_ashr_i32 s3, s3, 7
	s_add_i32 s4, s3, 1
	v_cvt_f32_u32_e32 v1, s4
	s_not_b32 s3, s3
	v_cmp_le_i32_e64 s[8:9], s14, v134
	v_cmp_eq_f32_e64 s[28:29], s33, 0
	v_rcp_iflag_f32_e32 v0, v1
	v_lshl_add_u32 v1, v125, 5, v124
	v_lshrrev_b32_e32 v4, 2, v1
	v_mov_b32_e32 v6, 0x7f7fffff
	v_mul_f32_e32 v0, 0x4f7ffffe, v0
	v_cvt_u32_f32_e32 v0, v0
	s_nop 0
	v_readfirstlane_b32 s5, v0
	s_mul_i32 s3, s3, s5
	s_mul_hi_u32 s3, s5, s3
	s_add_i32 s5, s5, s3
	s_mul_hi_u32 s3, s2, s5
	s_mul_i32 s5, s3, s4
	s_sub_i32 s5, s2, s5
	s_add_i32 s6, s3, 1
	s_sub_i32 s7, s5, s4
	s_cmp_ge_u32 s5, s4
	s_cselect_b32 s3, s6, s3
	s_cselect_b32 s5, s7, s5
	s_add_i32 s6, s3, 1
	s_cmp_ge_u32 s5, s4
	s_cselect_b32 s6, s6, s3
	s_mul_i32 s3, s6, s4
	s_sub_i32 s2, s2, s3
	s_lshl_b32 s30, s2, 7
	v_add_u32_e32 v80, s30, v4
	s_add_i32 s15, s14, -1
	v_cmp_le_i32_e32 vcc, s12, v80
	v_min_i32_e32 v0, s15, v134
	s_or_b64 s[2:3], s[8:9], vcc
	v_ashrrev_i32_e32 v1, 31, v0
	v_cndmask_b32_e64 v5, 0, v6, s[2:3]
	s_or_b64 s[2:3], s[28:29], s[2:3]
	v_lshl_add_u64 v[2:3], v[0:1], 2, s[26:27]
	s_xor_b64 s[4:5], s[2:3], -1
	s_and_saveexec_b64 s[2:3], s[4:5]
	s_cbranch_execz .LBB63_9
; %bb.8:
	v_mad_i64_i32 v[8:9], s[4:5], v80, s35, 0
	v_lshl_add_u64 v[8:9], v[8:9], 2, v[2:3]
	flat_load_dword v5, v[8:9]
	s_waitcnt vmcnt(0) lgkmcnt(0)
	v_mul_f32_e32 v5, s33, v5
.LBB63_9:
	s_or_b64 exec, exec, s[2:3]
	v_add_u32_e32 v82, 64, v80
	v_cmp_le_i32_e64 s[2:3], s12, v82
	s_or_b64 s[4:5], s[8:9], s[2:3]
	v_cndmask_b32_e64 v6, 0, v6, s[4:5]
	s_or_b64 s[4:5], s[28:29], s[4:5]
	s_xor_b64 s[10:11], s[4:5], -1
	s_and_saveexec_b64 s[4:5], s[10:11]
	s_cbranch_execz .LBB63_11
; %bb.10:
	v_mad_i64_i32 v[6:7], s[10:11], v82, s35, 0
	v_lshl_add_u64 v[2:3], v[6:7], 2, v[2:3]
	flat_load_dword v2, v[2:3]
	s_waitcnt vmcnt(0) lgkmcnt(0)
	v_mul_f32_e32 v6, s33, v2
.LBB63_11:
	s_or_b64 exec, exec, s[4:5]
	s_lshl_b32 s31, s6, 7
	s_load_dword s36, s[0:1], 0x38
	v_add_u32_e32 v84, s31, v4
	v_cmp_le_i32_e64 s[4:5], s13, v84
	v_mov_b32_e32 v2, 0x7f7fffff
	s_or_b64 s[6:7], s[8:9], s[4:5]
	v_cndmask_b32_e64 v7, 0, v2, s[6:7]
	s_or_b64 s[6:7], s[28:29], s[6:7]
	v_lshl_add_u64 v[0:1], v[0:1], 2, s[24:25]
	s_xor_b64 s[10:11], s[6:7], -1
	s_and_saveexec_b64 s[6:7], s[10:11]
	s_cbranch_execz .LBB63_13
; %bb.12:
	s_waitcnt lgkmcnt(0)
	v_mad_i64_i32 v[8:9], s[10:11], v84, s36, 0
	v_lshl_add_u64 v[8:9], v[8:9], 2, v[0:1]
	flat_load_dword v3, v[8:9]
	s_waitcnt vmcnt(0) lgkmcnt(0)
	v_mul_f32_e32 v7, s33, v3
.LBB63_13:
	s_or_b64 exec, exec, s[6:7]
	v_add_u32_e32 v86, 64, v84
	v_cmp_le_i32_e64 s[6:7], s13, v86
	s_or_b64 s[8:9], s[8:9], s[6:7]
	v_cndmask_b32_e64 v8, 0, v2, s[8:9]
	s_or_b64 s[8:9], s[28:29], s[8:9]
	s_xor_b64 s[10:11], s[8:9], -1
	s_and_saveexec_b64 s[8:9], s[10:11]
	s_cbranch_execz .LBB63_15
; %bb.14:
	s_waitcnt lgkmcnt(0)
	v_mad_i64_i32 v[2:3], s[10:11], v86, s36, 0
	v_lshl_add_u64 v[0:1], v[2:3], 2, v[0:1]
	flat_load_dword v0, v[0:1]
	s_waitcnt vmcnt(0) lgkmcnt(0)
	v_mul_f32_e32 v8, s33, v0
.LBB63_15:
	s_or_b64 exec, exec, s[8:9]
	v_or_b32_e32 v0, 4, v134
	v_cmp_le_i32_e64 s[8:9], s14, v0
	v_min_i32_e32 v0, s15, v0
	v_mov_b32_e32 v9, 0x7f7fffff
	s_or_b64 s[10:11], s[8:9], vcc
	v_ashrrev_i32_e32 v1, 31, v0
	v_cndmask_b32_e64 v81, 0, v9, s[10:11]
	s_or_b64 s[10:11], s[28:29], s[10:11]
	v_lshl_add_u64 v[2:3], v[0:1], 2, s[26:27]
	s_xor_b64 s[38:39], s[10:11], -1
	s_and_saveexec_b64 s[10:11], s[38:39]
	s_cbranch_execz .LBB63_17
; %bb.16:
	v_mad_i64_i32 v[10:11], s[38:39], v80, s35, 0
	v_lshl_add_u64 v[10:11], v[10:11], 2, v[2:3]
	flat_load_dword v10, v[10:11]
	s_waitcnt vmcnt(0) lgkmcnt(0)
	v_mul_f32_e32 v81, s33, v10
.LBB63_17:
	s_or_b64 exec, exec, s[10:11]
	s_or_b64 s[10:11], s[8:9], s[2:3]
	v_cndmask_b32_e64 v83, 0, v9, s[10:11]
	s_or_b64 s[10:11], s[28:29], s[10:11]
	s_xor_b64 s[38:39], s[10:11], -1
	s_and_saveexec_b64 s[10:11], s[38:39]
	s_cbranch_execz .LBB63_19
; %bb.18:
	v_mad_i64_i32 v[10:11], s[38:39], v82, s35, 0
	v_lshl_add_u64 v[2:3], v[10:11], 2, v[2:3]
	flat_load_dword v2, v[2:3]
	s_waitcnt vmcnt(0) lgkmcnt(0)
	v_mul_f32_e32 v83, s33, v2
.LBB63_19:
	s_or_b64 exec, exec, s[10:11]
	v_mov_b32_e32 v2, 0x7f7fffff
	s_or_b64 s[10:11], s[8:9], s[4:5]
	v_cndmask_b32_e64 v85, 0, v2, s[10:11]
	s_or_b64 s[10:11], s[28:29], s[10:11]
	v_lshl_add_u64 v[0:1], v[0:1], 2, s[24:25]
	s_xor_b64 s[38:39], s[10:11], -1
	s_and_saveexec_b64 s[10:11], s[38:39]
	s_cbranch_execz .LBB63_21
; %bb.20:
	s_waitcnt lgkmcnt(0)
	v_mad_i64_i32 v[10:11], s[38:39], v84, s36, 0
	v_lshl_add_u64 v[10:11], v[10:11], 2, v[0:1]
	flat_load_dword v3, v[10:11]
	s_waitcnt vmcnt(0) lgkmcnt(0)
	v_mul_f32_e32 v85, s33, v3
.LBB63_21:
	s_or_b64 exec, exec, s[10:11]
	s_or_b64 s[8:9], s[8:9], s[6:7]
	v_cndmask_b32_e64 v87, 0, v2, s[8:9]
	s_or_b64 s[8:9], s[28:29], s[8:9]
	s_xor_b64 s[38:39], s[8:9], -1
	s_mov_b32 s10, 0x7f7fffff
	s_and_saveexec_b64 s[8:9], s[38:39]
	s_cbranch_execz .LBB63_23
; %bb.22:
	s_waitcnt lgkmcnt(0)
	v_mad_i64_i32 v[2:3], s[38:39], v86, s36, 0
	v_lshl_add_u64 v[0:1], v[2:3], 2, v[0:1]
	flat_load_dword v0, v[0:1]
	s_waitcnt vmcnt(0) lgkmcnt(0)
	v_mul_f32_e32 v87, s33, v0
.LBB63_23:
	s_or_b64 exec, exec, s[8:9]
	v_lshlrev_b32_e32 v0, 2, v134
	v_lshl_or_b32 v144, v4, 4, v0
	v_lshlrev_b32_e32 v135, 4, v124
	ds_write2st64_b32 v144, v5, v6 offset1:4
	ds_write2st64_b32 v144, v7, v8 offset0:16 offset1:20
	s_waitcnt lgkmcnt(0)
	s_barrier
	ds_read_b128 v[12:15], v135
	ds_read_b128 v[8:11], v135 offset:512
	ds_read_b128 v[4:7], v135 offset:1024
	;; [unrolled: 1-line block ×3, first 2 shown]
	v_lshlrev_b32_e32 v136, 4, v125
	ds_read_b128 v[76:79], v136 offset:4096
	ds_read_b128 v[72:75], v136 offset:4224
	;; [unrolled: 1-line block ×16, first 2 shown]
	s_waitcnt lgkmcnt(14)
	v_pk_add_f32 v[88:89], v[12:13], v[76:77]
	s_cmp_lt_i32 s14, 9
	v_min3_f32 v90, v88, v89, s10
	v_pk_add_f32 v[88:89], v[8:9], v[76:77]
	ds_write2st64_b32 v144, v81, v83 offset0:8 offset1:12
	ds_write2st64_b32 v144, v85, v87 offset0:24 offset1:28
	v_min3_f32 v91, v88, v89, s10
	v_pk_add_f32 v[88:89], v[4:5], v[76:77]
	v_pk_add_f32 v[76:77], v[0:1], v[76:77]
	v_min3_f32 v88, v88, v89, s10
	v_min3_f32 v89, v76, v77, s10
	v_pk_add_f32 v[76:77], v[12:13], v[72:73]
	s_waitcnt lgkmcnt(0)
	v_min3_f32 v92, v76, v77, s10
	v_pk_add_f32 v[76:77], v[8:9], v[72:73]
	s_barrier
	v_min3_f32 v93, v76, v77, s10
	v_pk_add_f32 v[76:77], v[4:5], v[72:73]
	v_pk_add_f32 v[72:73], v[0:1], v[72:73]
	v_min3_f32 v76, v76, v77, s10
	v_min3_f32 v77, v72, v73, s10
	v_pk_add_f32 v[72:73], v[12:13], v[68:69]
	s_nop 0
	v_min3_f32 v94, v72, v73, s10
	v_pk_add_f32 v[72:73], v[8:9], v[68:69]
	s_nop 0
	v_min3_f32 v95, v72, v73, s10
	v_pk_add_f32 v[72:73], v[4:5], v[68:69]
	v_pk_add_f32 v[68:69], v[0:1], v[68:69]
	v_min3_f32 v72, v72, v73, s10
	v_min3_f32 v73, v68, v69, s10
	v_pk_add_f32 v[68:69], v[12:13], v[64:65]
	s_nop 0
	v_min3_f32 v96, v68, v69, s10
	v_pk_add_f32 v[68:69], v[8:9], v[64:65]
	s_nop 0
	v_min3_f32 v97, v68, v69, s10
	v_pk_add_f32 v[68:69], v[4:5], v[64:65]
	v_pk_add_f32 v[64:65], v[0:1], v[64:65]
	v_min3_f32 v68, v68, v69, s10
	v_min3_f32 v69, v64, v65, s10
	v_pk_add_f32 v[64:65], v[12:13], v[60:61]
	s_nop 0
	v_min3_f32 v98, v64, v65, s10
	v_pk_add_f32 v[64:65], v[8:9], v[60:61]
	s_nop 0
	v_min3_f32 v99, v64, v65, s10
	v_pk_add_f32 v[64:65], v[4:5], v[60:61]
	v_pk_add_f32 v[60:61], v[0:1], v[60:61]
	v_min3_f32 v64, v64, v65, s10
	v_min3_f32 v65, v60, v61, s10
	v_pk_add_f32 v[60:61], v[12:13], v[56:57]
	s_nop 0
	v_min3_f32 v100, v60, v61, s10
	v_pk_add_f32 v[60:61], v[8:9], v[56:57]
	s_nop 0
	v_min3_f32 v101, v60, v61, s10
	v_pk_add_f32 v[60:61], v[4:5], v[56:57]
	v_pk_add_f32 v[56:57], v[0:1], v[56:57]
	v_min3_f32 v60, v60, v61, s10
	v_min3_f32 v61, v56, v57, s10
	v_pk_add_f32 v[56:57], v[12:13], v[52:53]
	s_nop 0
	v_min3_f32 v102, v56, v57, s10
	v_pk_add_f32 v[56:57], v[8:9], v[52:53]
	s_nop 0
	v_min3_f32 v103, v56, v57, s10
	v_pk_add_f32 v[56:57], v[4:5], v[52:53]
	v_pk_add_f32 v[52:53], v[0:1], v[52:53]
	v_min3_f32 v56, v56, v57, s10
	v_min3_f32 v57, v52, v53, s10
	v_pk_add_f32 v[52:53], v[12:13], v[48:49]
	s_nop 0
	v_min3_f32 v104, v52, v53, s10
	v_pk_add_f32 v[52:53], v[8:9], v[48:49]
	s_nop 0
	v_min3_f32 v105, v52, v53, s10
	v_pk_add_f32 v[52:53], v[4:5], v[48:49]
	v_pk_add_f32 v[48:49], v[0:1], v[48:49]
	v_min3_f32 v52, v52, v53, s10
	v_min3_f32 v53, v48, v49, s10
	v_pk_add_f32 v[48:49], v[12:13], v[44:45]
	s_nop 0
	v_min3_f32 v106, v48, v49, s10
	v_pk_add_f32 v[48:49], v[8:9], v[44:45]
	s_nop 0
	v_min3_f32 v107, v48, v49, s10
	v_pk_add_f32 v[48:49], v[4:5], v[44:45]
	v_pk_add_f32 v[44:45], v[0:1], v[44:45]
	v_min3_f32 v48, v48, v49, s10
	v_min3_f32 v49, v44, v45, s10
	v_pk_add_f32 v[44:45], v[12:13], v[40:41]
	s_nop 0
	v_min3_f32 v108, v44, v45, s10
	v_pk_add_f32 v[44:45], v[8:9], v[40:41]
	s_nop 0
	v_min3_f32 v109, v44, v45, s10
	v_pk_add_f32 v[44:45], v[4:5], v[40:41]
	v_pk_add_f32 v[40:41], v[0:1], v[40:41]
	v_min3_f32 v44, v44, v45, s10
	v_min3_f32 v45, v40, v41, s10
	v_pk_add_f32 v[40:41], v[12:13], v[36:37]
	s_nop 0
	v_min3_f32 v110, v40, v41, s10
	v_pk_add_f32 v[40:41], v[8:9], v[36:37]
	s_nop 0
	v_min3_f32 v111, v40, v41, s10
	v_pk_add_f32 v[40:41], v[4:5], v[36:37]
	v_pk_add_f32 v[36:37], v[0:1], v[36:37]
	v_min3_f32 v40, v40, v41, s10
	v_min3_f32 v41, v36, v37, s10
	v_pk_add_f32 v[36:37], v[12:13], v[32:33]
	s_nop 0
	v_min3_f32 v162, v36, v37, s10
	v_pk_add_f32 v[36:37], v[8:9], v[32:33]
	s_nop 0
	v_min3_f32 v163, v36, v37, s10
	v_pk_add_f32 v[36:37], v[4:5], v[32:33]
	v_pk_add_f32 v[32:33], v[0:1], v[32:33]
	v_min3_f32 v36, v36, v37, s10
	v_min3_f32 v37, v32, v33, s10
	v_pk_add_f32 v[32:33], v[12:13], v[28:29]
	s_nop 0
	v_min3_f32 v164, v32, v33, s10
	v_pk_add_f32 v[32:33], v[8:9], v[28:29]
	s_nop 0
	v_min3_f32 v165, v32, v33, s10
	v_pk_add_f32 v[32:33], v[4:5], v[28:29]
	v_pk_add_f32 v[28:29], v[0:1], v[28:29]
	v_min3_f32 v32, v32, v33, s10
	v_min3_f32 v33, v28, v29, s10
	v_pk_add_f32 v[28:29], v[12:13], v[24:25]
	s_nop 0
	v_min3_f32 v166, v28, v29, s10
	v_pk_add_f32 v[28:29], v[8:9], v[24:25]
	s_nop 0
	v_min3_f32 v167, v28, v29, s10
	v_pk_add_f32 v[28:29], v[4:5], v[24:25]
	v_pk_add_f32 v[24:25], v[0:1], v[24:25]
	v_min3_f32 v28, v28, v29, s10
	v_min3_f32 v29, v24, v25, s10
	v_pk_add_f32 v[24:25], v[12:13], v[20:21]
	v_pk_add_f32 v[12:13], v[12:13], v[16:17]
	v_min3_f32 v168, v24, v25, s10
	v_pk_add_f32 v[24:25], v[8:9], v[20:21]
	v_min3_f32 v12, v12, v13, s10
	v_min3_f32 v169, v24, v25, s10
	v_pk_add_f32 v[24:25], v[4:5], v[20:21]
	v_pk_add_f32 v[20:21], v[0:1], v[20:21]
	;; [unrolled: 1-line block ×4, first 2 shown]
	v_min3_f32 v4, v4, v5, s10
	v_min3_f32 v5, v0, v1, s10
	v_pk_add_f32 v[0:1], v[14:15], v[78:79]
	v_min3_f32 v24, v24, v25, s10
	v_min3_f32 v161, v0, v1, v90
	v_pk_add_f32 v[0:1], v[10:11], v[78:79]
	;; [unrolled: 3-line block ×3, first 2 shown]
	v_pk_add_f32 v[8:9], v[8:9], v[16:17]
	v_min3_f32 v159, v0, v1, v88
	v_pk_add_f32 v[0:1], v[2:3], v[78:79]
	v_min3_f32 v8, v8, v9, s10
	v_min3_f32 v158, v0, v1, v89
	v_pk_add_f32 v[0:1], v[14:15], v[74:75]
	s_nop 0
	v_min3_f32 v157, v0, v1, v92
	v_pk_add_f32 v[0:1], v[10:11], v[74:75]
	s_nop 0
	;; [unrolled: 3-line block ×60, first 2 shown]
	v_min3_f32 v95, v0, v1, v5
	s_cbranch_scc1 .LBB63_42
; %bb.24:
	v_mov_b32_e32 v0, 0x800
	v_lshl_add_u32 v166, v124, 4, v0
	v_mov_b32_e32 v0, 0x1800
	v_add_u32_e32 v162, 0x1000, v144
	v_add_u32_e32 v163, 0x1000, v136
	;; [unrolled: 1-line block ×4, first 2 shown]
	s_add_i32 s34, s14, -8
	v_mad_i64_i32 v[80:81], s[8:9], v80, s35, 0
	v_mad_i64_i32 v[82:83], s[8:9], v82, s35, 0
	;; [unrolled: 1-line block ×4, first 2 shown]
	v_lshl_add_u32 v167, v125, 4, v0
	s_mov_b32 s35, 0
	v_mov_b32_e32 v168, 0x7f7fffff
	s_branch .LBB63_26
.LBB63_25:                              ;   in Loop: Header=BB63_26 Depth=1
	s_or_b64 exec, exec, s[8:9]
	ds_read_b128 v[0:3], v135
	ds_read_b128 v[4:7], v135 offset:512
	ds_read_b128 v[8:11], v135 offset:1024
	;; [unrolled: 1-line block ×3, first 2 shown]
	ds_read_b128 v[100:103], v163
	ds_read_b128 v[104:107], v163 offset:128
	ds_read_b128 v[108:111], v163 offset:256
	;; [unrolled: 1-line block ×15, first 2 shown]
	s_waitcnt lgkmcnt(14)
	v_pk_add_f32 v[88:89], v[0:1], v[100:101]
	s_add_i32 s35, s35, 8
	v_min3_f32 v25, v88, v89, v25
	v_pk_add_f32 v[88:89], v[4:5], v[100:101]
	s_cmp_ge_i32 s35, s34
	v_min3_f32 v130, v88, v89, v28
	v_pk_add_f32 v[88:89], v[8:9], v[100:101]
	ds_write2st64_b32 v164, v169, v170 offset1:4
	ds_write2st64_b32 v165, v90, v24 offset1:4
	v_min3_f32 v88, v88, v89, v29
	v_pk_add_f32 v[28:29], v[12:13], v[100:101]
	s_waitcnt lgkmcnt(0)
	v_min3_f32 v32, v28, v29, v32
	v_pk_add_f32 v[28:29], v[0:1], v[104:105]
	s_barrier
	v_min3_f32 v33, v28, v29, v33
	v_pk_add_f32 v[28:29], v[4:5], v[104:105]
	s_nop 0
	v_min3_f32 v36, v28, v29, v36
	v_pk_add_f32 v[28:29], v[8:9], v[104:105]
	s_nop 0
	;; [unrolled: 3-line block ×51, first 2 shown]
	v_min3_f32 v92, v28, v29, v26
	v_pk_add_f32 v[28:29], v[0:1], v[20:21]
	v_pk_add_f32 v[0:1], v[0:1], v[16:17]
	v_min3_f32 v28, v28, v29, v27
	v_pk_add_f32 v[26:27], v[4:5], v[20:21]
	s_nop 0
	v_min3_f32 v29, v26, v27, v93
	v_pk_add_f32 v[26:27], v[8:9], v[20:21]
	v_pk_add_f32 v[20:21], v[12:13], v[20:21]
	v_min3_f32 v26, v26, v27, v94
	v_min3_f32 v20, v20, v21, v95
	v_min3_f32 v21, v0, v1, v96
	v_pk_add_f32 v[0:1], v[4:5], v[16:17]
	s_nop 0
	v_min3_f32 v4, v0, v1, v97
	v_pk_add_f32 v[0:1], v[8:9], v[16:17]
	s_nop 0
	v_min3_f32 v5, v0, v1, v98
	;; [unrolled: 3-line block ×67, first 2 shown]
	s_cbranch_scc1 .LBB63_42
.LBB63_26:                              ; =>This Inner Loop Header: Depth=1
	v_add_u32_e32 v88, s35, v134
	v_add_u32_e32 v0, 8, v88
	v_cmp_le_i32_e64 s[8:9], s14, v0
	v_min_i32_e32 v0, s15, v0
	s_or_b64 s[10:11], vcc, s[8:9]
	v_ashrrev_i32_e32 v1, 31, v0
	v_cndmask_b32_e64 v89, 0, v168, s[10:11]
	s_or_b64 s[10:11], s[28:29], s[10:11]
	v_lshl_add_u64 v[2:3], v[0:1], 2, s[26:27]
	s_xor_b64 s[36:37], s[10:11], -1
	s_and_saveexec_b64 s[10:11], s[36:37]
	s_cbranch_execz .LBB63_28
; %bb.27:                               ;   in Loop: Header=BB63_26 Depth=1
	v_lshl_add_u64 v[4:5], v[80:81], 2, v[2:3]
	flat_load_dword v4, v[4:5]
	s_waitcnt vmcnt(0) lgkmcnt(0)
	v_mul_f32_e32 v89, s33, v4
.LBB63_28:                              ;   in Loop: Header=BB63_26 Depth=1
	s_or_b64 exec, exec, s[10:11]
	s_or_b64 s[10:11], s[2:3], s[8:9]
	v_cndmask_b32_e64 v90, 0, v168, s[10:11]
	s_or_b64 s[10:11], s[28:29], s[10:11]
	s_xor_b64 s[36:37], s[10:11], -1
	s_and_saveexec_b64 s[10:11], s[36:37]
	s_cbranch_execz .LBB63_30
; %bb.29:                               ;   in Loop: Header=BB63_26 Depth=1
	v_lshl_add_u64 v[2:3], v[82:83], 2, v[2:3]
	flat_load_dword v2, v[2:3]
	s_waitcnt vmcnt(0) lgkmcnt(0)
	v_mul_f32_e32 v90, s33, v2
.LBB63_30:                              ;   in Loop: Header=BB63_26 Depth=1
	s_or_b64 exec, exec, s[10:11]
	s_or_b64 s[10:11], s[4:5], s[8:9]
	v_cndmask_b32_e64 v91, 0, v168, s[10:11]
	s_or_b64 s[10:11], s[28:29], s[10:11]
	v_lshl_add_u64 v[0:1], v[0:1], 2, s[24:25]
	s_xor_b64 s[36:37], s[10:11], -1
	s_and_saveexec_b64 s[10:11], s[36:37]
	s_cbranch_execz .LBB63_32
; %bb.31:                               ;   in Loop: Header=BB63_26 Depth=1
	v_lshl_add_u64 v[2:3], v[84:85], 2, v[0:1]
	flat_load_dword v2, v[2:3]
	s_waitcnt vmcnt(0) lgkmcnt(0)
	v_mul_f32_e32 v91, s33, v2
.LBB63_32:                              ;   in Loop: Header=BB63_26 Depth=1
	s_or_b64 exec, exec, s[10:11]
	s_or_b64 s[8:9], s[6:7], s[8:9]
	v_cndmask_b32_e64 v169, 0, v168, s[8:9]
	s_or_b64 s[8:9], s[28:29], s[8:9]
	s_xor_b64 s[10:11], s[8:9], -1
	s_and_saveexec_b64 s[8:9], s[10:11]
	s_cbranch_execz .LBB63_34
; %bb.33:                               ;   in Loop: Header=BB63_26 Depth=1
	v_lshl_add_u64 v[0:1], v[86:87], 2, v[0:1]
	flat_load_dword v0, v[0:1]
	s_waitcnt vmcnt(0) lgkmcnt(0)
	v_mul_f32_e32 v169, s33, v0
.LBB63_34:                              ;   in Loop: Header=BB63_26 Depth=1
	s_or_b64 exec, exec, s[8:9]
	ds_read_b128 v[12:15], v166
	ds_read_b128 v[8:11], v166 offset:512
	ds_read_b128 v[4:7], v166 offset:1024
	;; [unrolled: 1-line block ×3, first 2 shown]
	ds_read_b128 v[76:79], v167
	ds_read_b128 v[72:75], v167 offset:128
	ds_read_b128 v[68:71], v167 offset:256
	;; [unrolled: 1-line block ×15, first 2 shown]
	v_add_u32_e32 v88, 12, v88
	v_cmp_le_i32_e64 s[8:9], s14, v88
	v_min_i32_e32 v88, s15, v88
	s_or_b64 s[10:11], vcc, s[8:9]
	ds_write2st64_b32 v144, v89, v90 offset1:4
	ds_write2st64_b32 v162, v91, v169 offset1:4
	v_ashrrev_i32_e32 v89, 31, v88
	v_cndmask_b32_e64 v169, 0, v168, s[10:11]
	s_or_b64 s[10:11], s[28:29], s[10:11]
	v_lshl_add_u64 v[90:91], v[88:89], 2, s[26:27]
	s_xor_b64 s[36:37], s[10:11], -1
	s_waitcnt lgkmcnt(0)
	s_barrier
	s_and_saveexec_b64 s[10:11], s[36:37]
	s_cbranch_execz .LBB63_36
; %bb.35:                               ;   in Loop: Header=BB63_26 Depth=1
	v_lshl_add_u64 v[170:171], v[80:81], 2, v[90:91]
	flat_load_dword v169, v[170:171]
	s_waitcnt vmcnt(0) lgkmcnt(0)
	v_mul_f32_e32 v169, s33, v169
.LBB63_36:                              ;   in Loop: Header=BB63_26 Depth=1
	s_or_b64 exec, exec, s[10:11]
	s_or_b64 s[10:11], s[2:3], s[8:9]
	v_cndmask_b32_e64 v170, 0, v168, s[10:11]
	s_or_b64 s[10:11], s[28:29], s[10:11]
	s_xor_b64 s[36:37], s[10:11], -1
	s_and_saveexec_b64 s[10:11], s[36:37]
	s_cbranch_execz .LBB63_38
; %bb.37:                               ;   in Loop: Header=BB63_26 Depth=1
	v_lshl_add_u64 v[90:91], v[82:83], 2, v[90:91]
	flat_load_dword v90, v[90:91]
	s_waitcnt vmcnt(0) lgkmcnt(0)
	v_mul_f32_e32 v170, s33, v90
.LBB63_38:                              ;   in Loop: Header=BB63_26 Depth=1
	s_or_b64 exec, exec, s[10:11]
	s_or_b64 s[10:11], s[4:5], s[8:9]
	v_cndmask_b32_e64 v90, 0, v168, s[10:11]
	s_or_b64 s[10:11], s[28:29], s[10:11]
	v_lshl_add_u64 v[88:89], v[88:89], 2, s[24:25]
	s_xor_b64 s[36:37], s[10:11], -1
	s_and_saveexec_b64 s[10:11], s[36:37]
	s_cbranch_execz .LBB63_40
; %bb.39:                               ;   in Loop: Header=BB63_26 Depth=1
	v_lshl_add_u64 v[90:91], v[84:85], 2, v[88:89]
	flat_load_dword v90, v[90:91]
	s_waitcnt vmcnt(0) lgkmcnt(0)
	v_mul_f32_e32 v90, s33, v90
.LBB63_40:                              ;   in Loop: Header=BB63_26 Depth=1
	s_or_b64 exec, exec, s[10:11]
	v_pk_add_f32 v[172:173], v[12:13], v[76:77]
	s_or_b64 s[8:9], s[6:7], s[8:9]
	v_min3_f32 v91, v172, v173, v161
	v_pk_add_f32 v[172:173], v[8:9], v[76:77]
	s_nop 0
	v_min3_f32 v171, v172, v173, v160
	v_pk_add_f32 v[160:161], v[4:5], v[76:77]
	v_pk_add_f32 v[76:77], v[0:1], v[76:77]
	v_min3_f32 v159, v160, v161, v159
	v_min3_f32 v158, v76, v77, v158
	v_pk_add_f32 v[76:77], v[12:13], v[72:73]
	s_nop 0
	v_min3_f32 v157, v76, v77, v157
	v_pk_add_f32 v[76:77], v[8:9], v[72:73]
	s_nop 0
	v_min3_f32 v156, v76, v77, v156
	v_pk_add_f32 v[76:77], v[4:5], v[72:73]
	v_pk_add_f32 v[72:73], v[0:1], v[72:73]
	v_min3_f32 v76, v76, v77, v155
	v_min3_f32 v77, v72, v73, v154
	v_pk_add_f32 v[72:73], v[12:13], v[68:69]
	s_nop 0
	;; [unrolled: 10-line block ×13, first 2 shown]
	v_min3_f32 v103, v28, v29, v103
	v_pk_add_f32 v[28:29], v[8:9], v[24:25]
	s_nop 0
	v_min3_f32 v102, v28, v29, v102
	v_pk_add_f32 v[28:29], v[4:5], v[24:25]
	v_pk_add_f32 v[24:25], v[0:1], v[24:25]
	v_min3_f32 v101, v28, v29, v101
	v_min3_f32 v100, v24, v25, v100
	v_pk_add_f32 v[24:25], v[12:13], v[20:21]
	v_pk_add_f32 v[12:13], v[12:13], v[16:17]
	v_min3_f32 v99, v24, v25, v99
	v_pk_add_f32 v[24:25], v[8:9], v[20:21]
	v_pk_add_f32 v[8:9], v[8:9], v[16:17]
	v_min3_f32 v98, v24, v25, v98
	v_pk_add_f32 v[24:25], v[4:5], v[20:21]
	v_pk_add_f32 v[20:21], v[0:1], v[20:21]
	v_pk_add_f32 v[4:5], v[4:5], v[16:17]
	v_pk_add_f32 v[0:1], v[0:1], v[16:17]
	v_min3_f32 v4, v4, v5, v92
	v_min3_f32 v5, v0, v1, v95
	v_pk_add_f32 v[0:1], v[14:15], v[78:79]
	v_min3_f32 v24, v24, v25, v97
	v_min3_f32 v25, v0, v1, v91
	;; [unrolled: 3-line block ×5, first 2 shown]
	v_pk_add_f32 v[0:1], v[14:15], v[74:75]
	s_nop 0
	v_min3_f32 v33, v0, v1, v157
	v_pk_add_f32 v[0:1], v[10:11], v[74:75]
	s_nop 0
	v_min3_f32 v36, v0, v1, v156
	;; [unrolled: 3-line block ×55, first 2 shown]
	v_pk_add_f32 v[0:1], v[2:3], v[22:23]
	v_cndmask_b32_e64 v24, 0, v168, s[8:9]
	v_min3_f32 v95, v0, v1, v20
	v_pk_add_f32 v[0:1], v[14:15], v[18:19]
	s_or_b64 s[8:9], s[28:29], s[8:9]
	v_min3_f32 v96, v0, v1, v12
	v_pk_add_f32 v[0:1], v[10:11], v[18:19]
	s_xor_b64 s[10:11], s[8:9], -1
	v_min3_f32 v97, v0, v1, v8
	v_pk_add_f32 v[0:1], v[6:7], v[18:19]
	s_nop 0
	v_min3_f32 v98, v0, v1, v4
	v_pk_add_f32 v[0:1], v[2:3], v[18:19]
	s_nop 0
	v_min3_f32 v99, v0, v1, v5
	s_and_saveexec_b64 s[8:9], s[10:11]
	s_cbranch_execz .LBB63_25
; %bb.41:                               ;   in Loop: Header=BB63_26 Depth=1
	v_lshl_add_u64 v[0:1], v[86:87], 2, v[88:89]
	flat_load_dword v0, v[0:1]
	s_waitcnt vmcnt(0) lgkmcnt(0)
	v_mul_f32_e32 v24, s33, v0
	s_branch .LBB63_25
.LBB63_42:
	s_load_dwordx2 s[2:3], s[0:1], 0x78
	s_load_dword s25, s[0:1], 0x58
	s_load_dword s24, s[0:1], 0x70
	ds_read_b128 v[16:19], v135 offset:2048
	ds_read_b128 v[12:15], v135 offset:2560
	;; [unrolled: 1-line block ×20, first 2 shown]
	v_add_u32_e32 v80, s30, v124
	s_waitcnt lgkmcnt(0)
	s_mul_i32 s1, s20, s3
	s_mul_hi_u32 s3, s20, s2
	s_mul_i32 s0, s20, s2
	s_add_i32 s1, s3, s1
	s_lshl_b64 s[0:1], s[0:1], 2
	s_add_u32 s14, s18, s0
	v_add_u32_e32 v124, s31, v125
	s_addc_u32 s15, s19, s1
	v_mad_i64_i32 v[82:83], s[0:1], v124, s25, 0
	v_lshl_add_u64 v[90:91], v[82:83], 2, s[16:17]
	v_mad_i64_i32 v[82:83], s[0:1], v124, s24, 0
	v_cmp_gt_i32_e64 s[2:3], s12, v80
	v_cmp_gt_i32_e64 s[10:11], s13, v124
	v_lshl_add_u64 v[88:89], v[82:83], 2, s[14:15]
	v_cndmask_b32_e64 v82, 0, 1, s[22:23]
	v_ashrrev_i32_e32 v81, 31, v80
	s_and_b64 s[6:7], s[2:3], s[10:11]
	v_cmp_ne_u32_e64 s[0:1], 1, v82
	s_and_saveexec_b64 s[4:5], s[6:7]
	s_cbranch_execz .LBB63_47
; %bb.43:
	s_and_b64 vcc, exec, s[0:1]
	s_cbranch_vccnz .LBB63_45
; %bb.44:
	v_lshl_add_u64 v[82:83], v[80:81], 2, v[90:91]
	flat_load_dword v82, v[82:83]
	s_waitcnt vmcnt(0) lgkmcnt(0)
	v_mul_f32_e32 v82, s21, v82
	s_branch .LBB63_46
.LBB63_45:
	v_mov_b32_e32 v82, 0
.LBB63_46:
	v_pk_add_f32 v[84:85], v[16:17], v[76:77]
	s_nop 0
	v_min3_f32 v83, v84, v85, v161
	v_pk_add_f32 v[84:85], v[18:19], v[78:79]
	s_nop 0
	v_min_f32_e32 v84, v84, v85
	v_min3_f32 v84, v82, v84, v83
	v_lshl_add_u64 v[82:83], v[80:81], 2, v[88:89]
	global_store_dword v[82:83], v84, off
.LBB63_47:
	s_or_b64 exec, exec, s[4:5]
	v_add_u32_e32 v82, 32, v80
	v_cmp_gt_i32_e64 s[4:5], s12, v82
	v_ashrrev_i32_e32 v83, 31, v82
	s_and_b64 s[8:9], s[4:5], s[10:11]
	s_and_saveexec_b64 s[6:7], s[8:9]
	s_cbranch_execz .LBB63_52
; %bb.48:
	s_and_b64 vcc, exec, s[0:1]
	s_cbranch_vccnz .LBB63_50
; %bb.49:
	v_lshl_add_u64 v[84:85], v[82:83], 2, v[90:91]
	flat_load_dword v84, v[84:85]
	s_waitcnt vmcnt(0) lgkmcnt(0)
	v_mul_f32_e32 v84, s21, v84
	s_branch .LBB63_51
.LBB63_50:
	v_mov_b32_e32 v84, 0
.LBB63_51:
	v_pk_add_f32 v[86:87], v[12:13], v[76:77]
	s_nop 0
	v_min3_f32 v85, v86, v87, v160
	v_pk_add_f32 v[86:87], v[14:15], v[78:79]
	s_nop 0
	v_min_f32_e32 v86, v86, v87
	v_min3_f32 v86, v84, v86, v85
	v_lshl_add_u64 v[84:85], v[82:83], 2, v[88:89]
	global_store_dword v[84:85], v86, off
.LBB63_52:
	s_or_b64 exec, exec, s[6:7]
	v_add_u32_e32 v84, 64, v80
	v_cmp_gt_i32_e64 s[6:7], s12, v84
	v_ashrrev_i32_e32 v85, 31, v84
	s_and_b64 s[18:19], s[6:7], s[10:11]
	;; [unrolled: 29-line block ×3, first 2 shown]
	s_and_saveexec_b64 s[10:11], s[18:19]
	s_cbranch_execz .LBB63_62
; %bb.58:
	s_and_b64 vcc, exec, s[0:1]
	s_cbranch_vccnz .LBB63_60
; %bb.59:
	v_lshl_add_u64 v[90:91], v[86:87], 2, v[90:91]
	flat_load_dword v90, v[90:91]
	s_waitcnt vmcnt(0) lgkmcnt(0)
	v_mul_f32_e32 v90, s21, v90
	s_branch .LBB63_61
.LBB63_60:
	v_mov_b32_e32 v90, 0
.LBB63_61:
	v_pk_add_f32 v[76:77], v[0:1], v[76:77]
	s_nop 0
	v_min3_f32 v91, v76, v77, v158
	v_pk_add_f32 v[76:77], v[2:3], v[78:79]
	s_nop 0
	v_min_f32_e32 v76, v76, v77
	v_min3_f32 v78, v90, v76, v91
	v_lshl_add_u64 v[76:77], v[86:87], 2, v[88:89]
	global_store_dword v[76:77], v78, off
.LBB63_62:
	s_or_b64 exec, exec, s[10:11]
	v_add_u32_e32 v88, 8, v124
	v_mad_i64_i32 v[76:77], s[18:19], v88, s25, 0
	v_cmp_gt_i32_e64 s[10:11], s13, v88
	v_lshl_add_u64 v[78:79], v[76:77], 2, s[16:17]
	v_mad_i64_i32 v[76:77], s[18:19], v88, s24, 0
	v_lshl_add_u64 v[76:77], v[76:77], 2, s[14:15]
	s_and_b64 s[22:23], s[2:3], s[10:11]
	s_and_saveexec_b64 s[18:19], s[22:23]
	s_cbranch_execnz .LBB63_66
; %bb.63:
	s_or_b64 exec, exec, s[18:19]
	s_and_b64 s[22:23], s[4:5], s[10:11]
	s_and_saveexec_b64 s[18:19], s[22:23]
	s_cbranch_execnz .LBB63_70
.LBB63_64:
	s_or_b64 exec, exec, s[18:19]
	s_and_b64 s[22:23], s[6:7], s[10:11]
	s_and_saveexec_b64 s[18:19], s[22:23]
	s_cbranch_execnz .LBB63_74
.LBB63_65:
	s_or_b64 exec, exec, s[18:19]
	s_and_b64 s[18:19], s[8:9], s[10:11]
	s_and_saveexec_b64 s[10:11], s[18:19]
	s_cbranch_execnz .LBB63_78
	s_branch .LBB63_82
.LBB63_66:
	s_and_b64 vcc, exec, s[0:1]
	s_cbranch_vccnz .LBB63_68
; %bb.67:
	v_lshl_add_u64 v[88:89], v[80:81], 2, v[78:79]
	flat_load_dword v88, v[88:89]
	s_waitcnt vmcnt(0) lgkmcnt(0)
	v_mul_f32_e32 v88, s21, v88
	s_branch .LBB63_69
.LBB63_68:
	v_mov_b32_e32 v88, 0
.LBB63_69:
	v_pk_add_f32 v[90:91], v[16:17], v[72:73]
	s_nop 0
	v_min3_f32 v89, v90, v91, v157
	v_pk_add_f32 v[90:91], v[18:19], v[74:75]
	s_nop 0
	v_min_f32_e32 v90, v90, v91
	v_min3_f32 v90, v88, v90, v89
	v_lshl_add_u64 v[88:89], v[80:81], 2, v[76:77]
	global_store_dword v[88:89], v90, off
	s_or_b64 exec, exec, s[18:19]
	s_and_b64 s[22:23], s[4:5], s[10:11]
	s_and_saveexec_b64 s[18:19], s[22:23]
	s_cbranch_execz .LBB63_64
.LBB63_70:
	s_and_b64 vcc, exec, s[0:1]
	s_cbranch_vccnz .LBB63_72
; %bb.71:
	v_lshl_add_u64 v[88:89], v[82:83], 2, v[78:79]
	flat_load_dword v88, v[88:89]
	s_waitcnt vmcnt(0) lgkmcnt(0)
	v_mul_f32_e32 v88, s21, v88
	s_branch .LBB63_73
.LBB63_72:
	v_mov_b32_e32 v88, 0
.LBB63_73:
	v_pk_add_f32 v[90:91], v[12:13], v[72:73]
	s_nop 0
	v_min3_f32 v89, v90, v91, v156
	v_pk_add_f32 v[90:91], v[14:15], v[74:75]
	s_nop 0
	v_min_f32_e32 v90, v90, v91
	v_min3_f32 v90, v88, v90, v89
	v_lshl_add_u64 v[88:89], v[82:83], 2, v[76:77]
	global_store_dword v[88:89], v90, off
	s_or_b64 exec, exec, s[18:19]
	s_and_b64 s[22:23], s[6:7], s[10:11]
	s_and_saveexec_b64 s[18:19], s[22:23]
	s_cbranch_execz .LBB63_65
.LBB63_74:
	s_and_b64 vcc, exec, s[0:1]
	s_cbranch_vccnz .LBB63_76
; %bb.75:
	v_lshl_add_u64 v[88:89], v[84:85], 2, v[78:79]
	flat_load_dword v88, v[88:89]
	s_waitcnt vmcnt(0) lgkmcnt(0)
	v_mul_f32_e32 v88, s21, v88
	s_branch .LBB63_77
.LBB63_76:
	v_mov_b32_e32 v88, 0
.LBB63_77:
	v_pk_add_f32 v[90:91], v[8:9], v[72:73]
	s_nop 0
	v_min3_f32 v89, v90, v91, v155
	v_pk_add_f32 v[90:91], v[10:11], v[74:75]
	s_nop 0
	v_min_f32_e32 v90, v90, v91
	v_min3_f32 v90, v88, v90, v89
	v_lshl_add_u64 v[88:89], v[84:85], 2, v[76:77]
	global_store_dword v[88:89], v90, off
	s_or_b64 exec, exec, s[18:19]
	s_and_b64 s[18:19], s[8:9], s[10:11]
	s_and_saveexec_b64 s[10:11], s[18:19]
	s_cbranch_execz .LBB63_82
.LBB63_78:
	s_and_b64 vcc, exec, s[0:1]
	s_cbranch_vccnz .LBB63_80
; %bb.79:
	v_lshl_add_u64 v[78:79], v[86:87], 2, v[78:79]
	flat_load_dword v78, v[78:79]
	s_waitcnt vmcnt(0) lgkmcnt(0)
	v_mul_f32_e32 v78, s21, v78
	s_branch .LBB63_81
.LBB63_80:
	v_mov_b32_e32 v78, 0
.LBB63_81:
	v_pk_add_f32 v[72:73], v[0:1], v[72:73]
	s_nop 0
	v_min3_f32 v79, v72, v73, v154
	v_pk_add_f32 v[72:73], v[2:3], v[74:75]
	s_nop 0
	v_min_f32_e32 v72, v72, v73
	v_min3_f32 v74, v78, v72, v79
	v_lshl_add_u64 v[72:73], v[86:87], 2, v[76:77]
	global_store_dword v[72:73], v74, off
.LBB63_82:
	s_or_b64 exec, exec, s[10:11]
	v_add_u32_e32 v76, 16, v124
	v_mad_i64_i32 v[72:73], s[18:19], v76, s25, 0
	v_cmp_gt_i32_e64 s[10:11], s13, v76
	v_lshl_add_u64 v[74:75], v[72:73], 2, s[16:17]
	v_mad_i64_i32 v[72:73], s[18:19], v76, s24, 0
	v_lshl_add_u64 v[72:73], v[72:73], 2, s[14:15]
	s_and_b64 s[22:23], s[2:3], s[10:11]
	s_and_saveexec_b64 s[18:19], s[22:23]
	s_cbranch_execnz .LBB63_86
; %bb.83:
	s_or_b64 exec, exec, s[18:19]
	s_and_b64 s[22:23], s[4:5], s[10:11]
	s_and_saveexec_b64 s[18:19], s[22:23]
	s_cbranch_execnz .LBB63_90
.LBB63_84:
	s_or_b64 exec, exec, s[18:19]
	s_and_b64 s[22:23], s[6:7], s[10:11]
	s_and_saveexec_b64 s[18:19], s[22:23]
	s_cbranch_execnz .LBB63_94
.LBB63_85:
	s_or_b64 exec, exec, s[18:19]
	s_and_b64 s[18:19], s[8:9], s[10:11]
	s_and_saveexec_b64 s[10:11], s[18:19]
	s_cbranch_execnz .LBB63_98
	s_branch .LBB63_102
.LBB63_86:
	s_and_b64 vcc, exec, s[0:1]
	s_cbranch_vccnz .LBB63_88
; %bb.87:
	v_lshl_add_u64 v[76:77], v[80:81], 2, v[74:75]
	flat_load_dword v76, v[76:77]
	s_waitcnt vmcnt(0) lgkmcnt(0)
	v_mul_f32_e32 v76, s21, v76
	s_branch .LBB63_89
.LBB63_88:
	v_mov_b32_e32 v76, 0
.LBB63_89:
	v_pk_add_f32 v[78:79], v[16:17], v[68:69]
	s_nop 0
	v_min3_f32 v77, v78, v79, v153
	v_pk_add_f32 v[78:79], v[18:19], v[70:71]
	s_nop 0
	v_min_f32_e32 v78, v78, v79
	v_min3_f32 v78, v76, v78, v77
	v_lshl_add_u64 v[76:77], v[80:81], 2, v[72:73]
	global_store_dword v[76:77], v78, off
	s_or_b64 exec, exec, s[18:19]
	s_and_b64 s[22:23], s[4:5], s[10:11]
	s_and_saveexec_b64 s[18:19], s[22:23]
	s_cbranch_execz .LBB63_84
.LBB63_90:
	s_and_b64 vcc, exec, s[0:1]
	s_cbranch_vccnz .LBB63_92
; %bb.91:
	v_lshl_add_u64 v[76:77], v[82:83], 2, v[74:75]
	flat_load_dword v76, v[76:77]
	s_waitcnt vmcnt(0) lgkmcnt(0)
	v_mul_f32_e32 v76, s21, v76
	s_branch .LBB63_93
.LBB63_92:
	v_mov_b32_e32 v76, 0
.LBB63_93:
	v_pk_add_f32 v[78:79], v[12:13], v[68:69]
	s_nop 0
	v_min3_f32 v77, v78, v79, v152
	v_pk_add_f32 v[78:79], v[14:15], v[70:71]
	s_nop 0
	v_min_f32_e32 v78, v78, v79
	v_min3_f32 v78, v76, v78, v77
	v_lshl_add_u64 v[76:77], v[82:83], 2, v[72:73]
	global_store_dword v[76:77], v78, off
	s_or_b64 exec, exec, s[18:19]
	s_and_b64 s[22:23], s[6:7], s[10:11]
	s_and_saveexec_b64 s[18:19], s[22:23]
	s_cbranch_execz .LBB63_85
.LBB63_94:
	s_and_b64 vcc, exec, s[0:1]
	s_cbranch_vccnz .LBB63_96
; %bb.95:
	v_lshl_add_u64 v[76:77], v[84:85], 2, v[74:75]
	flat_load_dword v76, v[76:77]
	s_waitcnt vmcnt(0) lgkmcnt(0)
	v_mul_f32_e32 v76, s21, v76
	s_branch .LBB63_97
.LBB63_96:
	v_mov_b32_e32 v76, 0
.LBB63_97:
	v_pk_add_f32 v[78:79], v[8:9], v[68:69]
	s_nop 0
	v_min3_f32 v77, v78, v79, v151
	v_pk_add_f32 v[78:79], v[10:11], v[70:71]
	s_nop 0
	v_min_f32_e32 v78, v78, v79
	v_min3_f32 v78, v76, v78, v77
	v_lshl_add_u64 v[76:77], v[84:85], 2, v[72:73]
	global_store_dword v[76:77], v78, off
	s_or_b64 exec, exec, s[18:19]
	s_and_b64 s[18:19], s[8:9], s[10:11]
	s_and_saveexec_b64 s[10:11], s[18:19]
	s_cbranch_execz .LBB63_102
.LBB63_98:
	s_and_b64 vcc, exec, s[0:1]
	s_cbranch_vccnz .LBB63_100
; %bb.99:
	v_lshl_add_u64 v[74:75], v[86:87], 2, v[74:75]
	flat_load_dword v74, v[74:75]
	s_waitcnt vmcnt(0) lgkmcnt(0)
	v_mul_f32_e32 v74, s21, v74
	s_branch .LBB63_101
.LBB63_100:
	v_mov_b32_e32 v74, 0
.LBB63_101:
	v_pk_add_f32 v[68:69], v[0:1], v[68:69]
	s_nop 0
	v_min3_f32 v75, v68, v69, v150
	v_pk_add_f32 v[68:69], v[2:3], v[70:71]
	s_nop 0
	v_min_f32_e32 v68, v68, v69
	v_min3_f32 v70, v74, v68, v75
	v_lshl_add_u64 v[68:69], v[86:87], 2, v[72:73]
	global_store_dword v[68:69], v70, off
.LBB63_102:
	s_or_b64 exec, exec, s[10:11]
	v_add_u32_e32 v72, 24, v124
	v_mad_i64_i32 v[68:69], s[18:19], v72, s25, 0
	v_cmp_gt_i32_e64 s[10:11], s13, v72
	v_lshl_add_u64 v[70:71], v[68:69], 2, s[16:17]
	v_mad_i64_i32 v[68:69], s[18:19], v72, s24, 0
	v_lshl_add_u64 v[68:69], v[68:69], 2, s[14:15]
	s_and_b64 s[22:23], s[2:3], s[10:11]
	s_and_saveexec_b64 s[18:19], s[22:23]
	s_cbranch_execnz .LBB63_106
; %bb.103:
	s_or_b64 exec, exec, s[18:19]
	s_and_b64 s[22:23], s[4:5], s[10:11]
	s_and_saveexec_b64 s[18:19], s[22:23]
	s_cbranch_execnz .LBB63_110
.LBB63_104:
	s_or_b64 exec, exec, s[18:19]
	s_and_b64 s[22:23], s[6:7], s[10:11]
	s_and_saveexec_b64 s[18:19], s[22:23]
	s_cbranch_execnz .LBB63_114
.LBB63_105:
	s_or_b64 exec, exec, s[18:19]
	s_and_b64 s[18:19], s[8:9], s[10:11]
	s_and_saveexec_b64 s[10:11], s[18:19]
	s_cbranch_execnz .LBB63_118
	s_branch .LBB63_122
.LBB63_106:
	s_and_b64 vcc, exec, s[0:1]
	s_cbranch_vccnz .LBB63_108
; %bb.107:
	v_lshl_add_u64 v[72:73], v[80:81], 2, v[70:71]
	flat_load_dword v72, v[72:73]
	s_waitcnt vmcnt(0) lgkmcnt(0)
	v_mul_f32_e32 v72, s21, v72
	s_branch .LBB63_109
.LBB63_108:
	v_mov_b32_e32 v72, 0
.LBB63_109:
	v_pk_add_f32 v[74:75], v[16:17], v[64:65]
	s_nop 0
	v_min3_f32 v73, v74, v75, v149
	v_pk_add_f32 v[74:75], v[18:19], v[66:67]
	s_nop 0
	v_min_f32_e32 v74, v74, v75
	v_min3_f32 v74, v72, v74, v73
	v_lshl_add_u64 v[72:73], v[80:81], 2, v[68:69]
	global_store_dword v[72:73], v74, off
	s_or_b64 exec, exec, s[18:19]
	s_and_b64 s[22:23], s[4:5], s[10:11]
	s_and_saveexec_b64 s[18:19], s[22:23]
	s_cbranch_execz .LBB63_104
.LBB63_110:
	s_and_b64 vcc, exec, s[0:1]
	s_cbranch_vccnz .LBB63_112
; %bb.111:
	v_lshl_add_u64 v[72:73], v[82:83], 2, v[70:71]
	flat_load_dword v72, v[72:73]
	s_waitcnt vmcnt(0) lgkmcnt(0)
	v_mul_f32_e32 v72, s21, v72
	s_branch .LBB63_113
.LBB63_112:
	v_mov_b32_e32 v72, 0
.LBB63_113:
	v_pk_add_f32 v[74:75], v[12:13], v[64:65]
	s_nop 0
	v_min3_f32 v73, v74, v75, v148
	v_pk_add_f32 v[74:75], v[14:15], v[66:67]
	s_nop 0
	v_min_f32_e32 v74, v74, v75
	v_min3_f32 v74, v72, v74, v73
	v_lshl_add_u64 v[72:73], v[82:83], 2, v[68:69]
	global_store_dword v[72:73], v74, off
	s_or_b64 exec, exec, s[18:19]
	s_and_b64 s[22:23], s[6:7], s[10:11]
	s_and_saveexec_b64 s[18:19], s[22:23]
	s_cbranch_execz .LBB63_105
.LBB63_114:
	s_and_b64 vcc, exec, s[0:1]
	s_cbranch_vccnz .LBB63_116
; %bb.115:
	v_lshl_add_u64 v[72:73], v[84:85], 2, v[70:71]
	flat_load_dword v72, v[72:73]
	s_waitcnt vmcnt(0) lgkmcnt(0)
	v_mul_f32_e32 v72, s21, v72
	s_branch .LBB63_117
.LBB63_116:
	v_mov_b32_e32 v72, 0
.LBB63_117:
	v_pk_add_f32 v[74:75], v[8:9], v[64:65]
	s_nop 0
	v_min3_f32 v73, v74, v75, v147
	v_pk_add_f32 v[74:75], v[10:11], v[66:67]
	s_nop 0
	v_min_f32_e32 v74, v74, v75
	v_min3_f32 v74, v72, v74, v73
	v_lshl_add_u64 v[72:73], v[84:85], 2, v[68:69]
	global_store_dword v[72:73], v74, off
	s_or_b64 exec, exec, s[18:19]
	s_and_b64 s[18:19], s[8:9], s[10:11]
	s_and_saveexec_b64 s[10:11], s[18:19]
	s_cbranch_execz .LBB63_122
.LBB63_118:
	s_and_b64 vcc, exec, s[0:1]
	s_cbranch_vccnz .LBB63_120
; %bb.119:
	v_lshl_add_u64 v[70:71], v[86:87], 2, v[70:71]
	flat_load_dword v70, v[70:71]
	s_waitcnt vmcnt(0) lgkmcnt(0)
	v_mul_f32_e32 v70, s21, v70
	s_branch .LBB63_121
.LBB63_120:
	v_mov_b32_e32 v70, 0
.LBB63_121:
	v_pk_add_f32 v[64:65], v[0:1], v[64:65]
	s_nop 0
	v_min3_f32 v71, v64, v65, v146
	v_pk_add_f32 v[64:65], v[2:3], v[66:67]
	s_nop 0
	v_min_f32_e32 v64, v64, v65
	v_min3_f32 v66, v70, v64, v71
	v_lshl_add_u64 v[64:65], v[86:87], 2, v[68:69]
	global_store_dword v[64:65], v66, off
.LBB63_122:
	s_or_b64 exec, exec, s[10:11]
	v_add_u32_e32 v68, 32, v124
	v_mad_i64_i32 v[64:65], s[18:19], v68, s25, 0
	v_cmp_gt_i32_e64 s[10:11], s13, v68
	v_lshl_add_u64 v[66:67], v[64:65], 2, s[16:17]
	v_mad_i64_i32 v[64:65], s[18:19], v68, s24, 0
	v_lshl_add_u64 v[64:65], v[64:65], 2, s[14:15]
	s_and_b64 s[22:23], s[2:3], s[10:11]
	s_and_saveexec_b64 s[18:19], s[22:23]
	s_cbranch_execnz .LBB63_126
; %bb.123:
	s_or_b64 exec, exec, s[18:19]
	s_and_b64 s[22:23], s[4:5], s[10:11]
	s_and_saveexec_b64 s[18:19], s[22:23]
	s_cbranch_execnz .LBB63_130
.LBB63_124:
	s_or_b64 exec, exec, s[18:19]
	s_and_b64 s[22:23], s[6:7], s[10:11]
	s_and_saveexec_b64 s[18:19], s[22:23]
	s_cbranch_execnz .LBB63_134
.LBB63_125:
	s_or_b64 exec, exec, s[18:19]
	s_and_b64 s[18:19], s[8:9], s[10:11]
	s_and_saveexec_b64 s[10:11], s[18:19]
	s_cbranch_execnz .LBB63_138
	s_branch .LBB63_142
.LBB63_126:
	s_and_b64 vcc, exec, s[0:1]
	s_cbranch_vccnz .LBB63_128
; %bb.127:
	v_lshl_add_u64 v[68:69], v[80:81], 2, v[66:67]
	flat_load_dword v68, v[68:69]
	s_waitcnt vmcnt(0) lgkmcnt(0)
	v_mul_f32_e32 v68, s21, v68
	s_branch .LBB63_129
.LBB63_128:
	v_mov_b32_e32 v68, 0
.LBB63_129:
	v_pk_add_f32 v[70:71], v[16:17], v[60:61]
	s_nop 0
	v_min3_f32 v69, v70, v71, v145
	v_pk_add_f32 v[70:71], v[18:19], v[62:63]
	s_nop 0
	v_min_f32_e32 v70, v70, v71
	v_min3_f32 v70, v68, v70, v69
	v_lshl_add_u64 v[68:69], v[80:81], 2, v[64:65]
	global_store_dword v[68:69], v70, off
	s_or_b64 exec, exec, s[18:19]
	s_and_b64 s[22:23], s[4:5], s[10:11]
	s_and_saveexec_b64 s[18:19], s[22:23]
	s_cbranch_execz .LBB63_124
.LBB63_130:
	s_and_b64 vcc, exec, s[0:1]
	s_cbranch_vccnz .LBB63_132
; %bb.131:
	v_lshl_add_u64 v[68:69], v[82:83], 2, v[66:67]
	flat_load_dword v68, v[68:69]
	s_waitcnt vmcnt(0) lgkmcnt(0)
	v_mul_f32_e32 v68, s21, v68
	s_branch .LBB63_133
.LBB63_132:
	v_mov_b32_e32 v68, 0
.LBB63_133:
	v_pk_add_f32 v[70:71], v[12:13], v[60:61]
	s_nop 0
	v_min3_f32 v69, v70, v71, v143
	v_pk_add_f32 v[70:71], v[14:15], v[62:63]
	s_nop 0
	v_min_f32_e32 v70, v70, v71
	v_min3_f32 v70, v68, v70, v69
	v_lshl_add_u64 v[68:69], v[82:83], 2, v[64:65]
	global_store_dword v[68:69], v70, off
	s_or_b64 exec, exec, s[18:19]
	s_and_b64 s[22:23], s[6:7], s[10:11]
	s_and_saveexec_b64 s[18:19], s[22:23]
	s_cbranch_execz .LBB63_125
.LBB63_134:
	s_and_b64 vcc, exec, s[0:1]
	s_cbranch_vccnz .LBB63_136
; %bb.135:
	v_lshl_add_u64 v[68:69], v[84:85], 2, v[66:67]
	flat_load_dword v68, v[68:69]
	s_waitcnt vmcnt(0) lgkmcnt(0)
	v_mul_f32_e32 v68, s21, v68
	s_branch .LBB63_137
.LBB63_136:
	v_mov_b32_e32 v68, 0
.LBB63_137:
	v_pk_add_f32 v[70:71], v[8:9], v[60:61]
	s_nop 0
	v_min3_f32 v69, v70, v71, v142
	v_pk_add_f32 v[70:71], v[10:11], v[62:63]
	s_nop 0
	v_min_f32_e32 v70, v70, v71
	v_min3_f32 v70, v68, v70, v69
	v_lshl_add_u64 v[68:69], v[84:85], 2, v[64:65]
	global_store_dword v[68:69], v70, off
	s_or_b64 exec, exec, s[18:19]
	s_and_b64 s[18:19], s[8:9], s[10:11]
	s_and_saveexec_b64 s[10:11], s[18:19]
	s_cbranch_execz .LBB63_142
.LBB63_138:
	s_and_b64 vcc, exec, s[0:1]
	s_cbranch_vccnz .LBB63_140
; %bb.139:
	v_lshl_add_u64 v[66:67], v[86:87], 2, v[66:67]
	flat_load_dword v66, v[66:67]
	s_waitcnt vmcnt(0) lgkmcnt(0)
	v_mul_f32_e32 v66, s21, v66
	s_branch .LBB63_141
.LBB63_140:
	v_mov_b32_e32 v66, 0
.LBB63_141:
	v_pk_add_f32 v[60:61], v[0:1], v[60:61]
	s_nop 0
	v_min3_f32 v67, v60, v61, v141
	v_pk_add_f32 v[60:61], v[2:3], v[62:63]
	s_nop 0
	v_min_f32_e32 v60, v60, v61
	v_min3_f32 v62, v66, v60, v67
	v_lshl_add_u64 v[60:61], v[86:87], 2, v[64:65]
	global_store_dword v[60:61], v62, off
.LBB63_142:
	s_or_b64 exec, exec, s[10:11]
	v_add_u32_e32 v64, 40, v124
	v_mad_i64_i32 v[60:61], s[18:19], v64, s25, 0
	v_cmp_gt_i32_e64 s[10:11], s13, v64
	v_lshl_add_u64 v[62:63], v[60:61], 2, s[16:17]
	v_mad_i64_i32 v[60:61], s[18:19], v64, s24, 0
	v_lshl_add_u64 v[60:61], v[60:61], 2, s[14:15]
	s_and_b64 s[22:23], s[2:3], s[10:11]
	s_and_saveexec_b64 s[18:19], s[22:23]
	s_cbranch_execnz .LBB63_146
; %bb.143:
	s_or_b64 exec, exec, s[18:19]
	s_and_b64 s[22:23], s[4:5], s[10:11]
	s_and_saveexec_b64 s[18:19], s[22:23]
	s_cbranch_execnz .LBB63_150
.LBB63_144:
	s_or_b64 exec, exec, s[18:19]
	s_and_b64 s[22:23], s[6:7], s[10:11]
	s_and_saveexec_b64 s[18:19], s[22:23]
	s_cbranch_execnz .LBB63_154
.LBB63_145:
	s_or_b64 exec, exec, s[18:19]
	s_and_b64 s[18:19], s[8:9], s[10:11]
	s_and_saveexec_b64 s[10:11], s[18:19]
	s_cbranch_execnz .LBB63_158
	s_branch .LBB63_162
.LBB63_146:
	s_and_b64 vcc, exec, s[0:1]
	s_cbranch_vccnz .LBB63_148
; %bb.147:
	v_lshl_add_u64 v[64:65], v[80:81], 2, v[62:63]
	flat_load_dword v64, v[64:65]
	s_waitcnt vmcnt(0) lgkmcnt(0)
	v_mul_f32_e32 v64, s21, v64
	s_branch .LBB63_149
.LBB63_148:
	v_mov_b32_e32 v64, 0
.LBB63_149:
	v_pk_add_f32 v[66:67], v[16:17], v[56:57]
	s_nop 0
	v_min3_f32 v65, v66, v67, v140
	v_pk_add_f32 v[66:67], v[18:19], v[58:59]
	s_nop 0
	v_min_f32_e32 v66, v66, v67
	v_min3_f32 v66, v64, v66, v65
	v_lshl_add_u64 v[64:65], v[80:81], 2, v[60:61]
	global_store_dword v[64:65], v66, off
	s_or_b64 exec, exec, s[18:19]
	s_and_b64 s[22:23], s[4:5], s[10:11]
	s_and_saveexec_b64 s[18:19], s[22:23]
	s_cbranch_execz .LBB63_144
.LBB63_150:
	s_and_b64 vcc, exec, s[0:1]
	s_cbranch_vccnz .LBB63_152
; %bb.151:
	v_lshl_add_u64 v[64:65], v[82:83], 2, v[62:63]
	flat_load_dword v64, v[64:65]
	s_waitcnt vmcnt(0) lgkmcnt(0)
	v_mul_f32_e32 v64, s21, v64
	s_branch .LBB63_153
.LBB63_152:
	v_mov_b32_e32 v64, 0
.LBB63_153:
	v_pk_add_f32 v[66:67], v[12:13], v[56:57]
	s_nop 0
	v_min3_f32 v65, v66, v67, v139
	v_pk_add_f32 v[66:67], v[14:15], v[58:59]
	s_nop 0
	v_min_f32_e32 v66, v66, v67
	v_min3_f32 v66, v64, v66, v65
	v_lshl_add_u64 v[64:65], v[82:83], 2, v[60:61]
	global_store_dword v[64:65], v66, off
	s_or_b64 exec, exec, s[18:19]
	s_and_b64 s[22:23], s[6:7], s[10:11]
	s_and_saveexec_b64 s[18:19], s[22:23]
	s_cbranch_execz .LBB63_145
.LBB63_154:
	s_and_b64 vcc, exec, s[0:1]
	s_cbranch_vccnz .LBB63_156
; %bb.155:
	v_lshl_add_u64 v[64:65], v[84:85], 2, v[62:63]
	flat_load_dword v64, v[64:65]
	s_waitcnt vmcnt(0) lgkmcnt(0)
	v_mul_f32_e32 v64, s21, v64
	s_branch .LBB63_157
.LBB63_156:
	v_mov_b32_e32 v64, 0
.LBB63_157:
	v_pk_add_f32 v[66:67], v[8:9], v[56:57]
	s_nop 0
	v_min3_f32 v65, v66, v67, v138
	v_pk_add_f32 v[66:67], v[10:11], v[58:59]
	s_nop 0
	v_min_f32_e32 v66, v66, v67
	v_min3_f32 v66, v64, v66, v65
	v_lshl_add_u64 v[64:65], v[84:85], 2, v[60:61]
	global_store_dword v[64:65], v66, off
	s_or_b64 exec, exec, s[18:19]
	s_and_b64 s[18:19], s[8:9], s[10:11]
	s_and_saveexec_b64 s[10:11], s[18:19]
	s_cbranch_execz .LBB63_162
.LBB63_158:
	s_and_b64 vcc, exec, s[0:1]
	s_cbranch_vccnz .LBB63_160
; %bb.159:
	v_lshl_add_u64 v[62:63], v[86:87], 2, v[62:63]
	flat_load_dword v62, v[62:63]
	s_waitcnt vmcnt(0) lgkmcnt(0)
	v_mul_f32_e32 v62, s21, v62
	s_branch .LBB63_161
.LBB63_160:
	v_mov_b32_e32 v62, 0
.LBB63_161:
	v_pk_add_f32 v[56:57], v[0:1], v[56:57]
	s_nop 0
	v_min3_f32 v63, v56, v57, v137
	v_pk_add_f32 v[56:57], v[2:3], v[58:59]
	s_nop 0
	v_min_f32_e32 v56, v56, v57
	v_min3_f32 v58, v62, v56, v63
	v_lshl_add_u64 v[56:57], v[86:87], 2, v[60:61]
	global_store_dword v[56:57], v58, off
.LBB63_162:
	s_or_b64 exec, exec, s[10:11]
	v_add_u32_e32 v60, 48, v124
	v_mad_i64_i32 v[56:57], s[18:19], v60, s25, 0
	v_cmp_gt_i32_e64 s[10:11], s13, v60
	v_lshl_add_u64 v[58:59], v[56:57], 2, s[16:17]
	v_mad_i64_i32 v[56:57], s[18:19], v60, s24, 0
	v_lshl_add_u64 v[56:57], v[56:57], 2, s[14:15]
	s_and_b64 s[22:23], s[2:3], s[10:11]
	s_and_saveexec_b64 s[18:19], s[22:23]
	s_cbranch_execnz .LBB63_166
; %bb.163:
	s_or_b64 exec, exec, s[18:19]
	s_and_b64 s[22:23], s[4:5], s[10:11]
	s_and_saveexec_b64 s[18:19], s[22:23]
	s_cbranch_execnz .LBB63_170
.LBB63_164:
	s_or_b64 exec, exec, s[18:19]
	s_and_b64 s[22:23], s[6:7], s[10:11]
	s_and_saveexec_b64 s[18:19], s[22:23]
	s_cbranch_execnz .LBB63_174
.LBB63_165:
	s_or_b64 exec, exec, s[18:19]
	s_and_b64 s[18:19], s[8:9], s[10:11]
	s_and_saveexec_b64 s[10:11], s[18:19]
	s_cbranch_execnz .LBB63_178
	s_branch .LBB63_182
.LBB63_166:
	s_and_b64 vcc, exec, s[0:1]
	s_cbranch_vccnz .LBB63_168
; %bb.167:
	v_lshl_add_u64 v[60:61], v[80:81], 2, v[58:59]
	flat_load_dword v60, v[60:61]
	s_waitcnt vmcnt(0) lgkmcnt(0)
	v_mul_f32_e32 v60, s21, v60
	s_branch .LBB63_169
.LBB63_168:
	v_mov_b32_e32 v60, 0
.LBB63_169:
	v_pk_add_f32 v[62:63], v[16:17], v[52:53]
	s_nop 0
	v_min3_f32 v61, v62, v63, v133
	v_pk_add_f32 v[62:63], v[18:19], v[54:55]
	s_nop 0
	v_min_f32_e32 v62, v62, v63
	v_min3_f32 v62, v60, v62, v61
	v_lshl_add_u64 v[60:61], v[80:81], 2, v[56:57]
	global_store_dword v[60:61], v62, off
	s_or_b64 exec, exec, s[18:19]
	s_and_b64 s[22:23], s[4:5], s[10:11]
	s_and_saveexec_b64 s[18:19], s[22:23]
	s_cbranch_execz .LBB63_164
.LBB63_170:
	s_and_b64 vcc, exec, s[0:1]
	s_cbranch_vccnz .LBB63_172
; %bb.171:
	v_lshl_add_u64 v[60:61], v[82:83], 2, v[58:59]
	flat_load_dword v60, v[60:61]
	s_waitcnt vmcnt(0) lgkmcnt(0)
	v_mul_f32_e32 v60, s21, v60
	s_branch .LBB63_173
.LBB63_172:
	v_mov_b32_e32 v60, 0
.LBB63_173:
	v_pk_add_f32 v[62:63], v[12:13], v[52:53]
	s_nop 0
	v_min3_f32 v61, v62, v63, v132
	v_pk_add_f32 v[62:63], v[14:15], v[54:55]
	s_nop 0
	v_min_f32_e32 v62, v62, v63
	v_min3_f32 v62, v60, v62, v61
	v_lshl_add_u64 v[60:61], v[82:83], 2, v[56:57]
	global_store_dword v[60:61], v62, off
	s_or_b64 exec, exec, s[18:19]
	s_and_b64 s[22:23], s[6:7], s[10:11]
	s_and_saveexec_b64 s[18:19], s[22:23]
	s_cbranch_execz .LBB63_165
.LBB63_174:
	s_and_b64 vcc, exec, s[0:1]
	s_cbranch_vccnz .LBB63_176
; %bb.175:
	v_lshl_add_u64 v[60:61], v[84:85], 2, v[58:59]
	flat_load_dword v60, v[60:61]
	s_waitcnt vmcnt(0) lgkmcnt(0)
	v_mul_f32_e32 v60, s21, v60
	s_branch .LBB63_177
.LBB63_176:
	v_mov_b32_e32 v60, 0
.LBB63_177:
	v_pk_add_f32 v[62:63], v[8:9], v[52:53]
	s_nop 0
	v_min3_f32 v61, v62, v63, v131
	v_pk_add_f32 v[62:63], v[10:11], v[54:55]
	s_nop 0
	v_min_f32_e32 v62, v62, v63
	v_min3_f32 v62, v60, v62, v61
	v_lshl_add_u64 v[60:61], v[84:85], 2, v[56:57]
	global_store_dword v[60:61], v62, off
	s_or_b64 exec, exec, s[18:19]
	s_and_b64 s[18:19], s[8:9], s[10:11]
	s_and_saveexec_b64 s[10:11], s[18:19]
	s_cbranch_execz .LBB63_182
.LBB63_178:
	s_and_b64 vcc, exec, s[0:1]
	s_cbranch_vccnz .LBB63_180
; %bb.179:
	v_lshl_add_u64 v[58:59], v[86:87], 2, v[58:59]
	flat_load_dword v58, v[58:59]
	s_waitcnt vmcnt(0) lgkmcnt(0)
	v_mul_f32_e32 v58, s21, v58
	s_branch .LBB63_181
.LBB63_180:
	v_mov_b32_e32 v58, 0
.LBB63_181:
	v_pk_add_f32 v[52:53], v[0:1], v[52:53]
	s_nop 0
	v_min3_f32 v59, v52, v53, v130
	v_pk_add_f32 v[52:53], v[2:3], v[54:55]
	s_nop 0
	v_min_f32_e32 v52, v52, v53
	v_min3_f32 v54, v58, v52, v59
	v_lshl_add_u64 v[52:53], v[86:87], 2, v[56:57]
	global_store_dword v[52:53], v54, off
.LBB63_182:
	s_or_b64 exec, exec, s[10:11]
	v_add_u32_e32 v56, 56, v124
	v_mad_i64_i32 v[52:53], s[18:19], v56, s25, 0
	v_cmp_gt_i32_e64 s[10:11], s13, v56
	v_lshl_add_u64 v[54:55], v[52:53], 2, s[16:17]
	v_mad_i64_i32 v[52:53], s[18:19], v56, s24, 0
	v_lshl_add_u64 v[52:53], v[52:53], 2, s[14:15]
	s_and_b64 s[22:23], s[2:3], s[10:11]
	s_and_saveexec_b64 s[18:19], s[22:23]
	s_cbranch_execnz .LBB63_186
; %bb.183:
	s_or_b64 exec, exec, s[18:19]
	s_and_b64 s[22:23], s[4:5], s[10:11]
	s_and_saveexec_b64 s[18:19], s[22:23]
	s_cbranch_execnz .LBB63_190
.LBB63_184:
	s_or_b64 exec, exec, s[18:19]
	s_and_b64 s[22:23], s[6:7], s[10:11]
	s_and_saveexec_b64 s[18:19], s[22:23]
	s_cbranch_execnz .LBB63_194
.LBB63_185:
	s_or_b64 exec, exec, s[18:19]
	s_and_b64 s[18:19], s[8:9], s[10:11]
	s_and_saveexec_b64 s[10:11], s[18:19]
	s_cbranch_execnz .LBB63_198
	s_branch .LBB63_202
.LBB63_186:
	s_and_b64 vcc, exec, s[0:1]
	s_cbranch_vccnz .LBB63_188
; %bb.187:
	v_lshl_add_u64 v[56:57], v[80:81], 2, v[54:55]
	flat_load_dword v56, v[56:57]
	s_waitcnt vmcnt(0) lgkmcnt(0)
	v_mul_f32_e32 v56, s21, v56
	s_branch .LBB63_189
.LBB63_188:
	v_mov_b32_e32 v56, 0
.LBB63_189:
	v_pk_add_f32 v[58:59], v[16:17], v[48:49]
	s_nop 0
	v_min3_f32 v57, v58, v59, v129
	v_pk_add_f32 v[58:59], v[18:19], v[50:51]
	s_nop 0
	v_min_f32_e32 v58, v58, v59
	v_min3_f32 v58, v56, v58, v57
	v_lshl_add_u64 v[56:57], v[80:81], 2, v[52:53]
	global_store_dword v[56:57], v58, off
	s_or_b64 exec, exec, s[18:19]
	s_and_b64 s[22:23], s[4:5], s[10:11]
	s_and_saveexec_b64 s[18:19], s[22:23]
	s_cbranch_execz .LBB63_184
.LBB63_190:
	s_and_b64 vcc, exec, s[0:1]
	s_cbranch_vccnz .LBB63_192
; %bb.191:
	v_lshl_add_u64 v[56:57], v[82:83], 2, v[54:55]
	flat_load_dword v56, v[56:57]
	s_waitcnt vmcnt(0) lgkmcnt(0)
	v_mul_f32_e32 v56, s21, v56
	s_branch .LBB63_193
.LBB63_192:
	v_mov_b32_e32 v56, 0
.LBB63_193:
	v_pk_add_f32 v[58:59], v[12:13], v[48:49]
	s_nop 0
	v_min3_f32 v57, v58, v59, v128
	v_pk_add_f32 v[58:59], v[14:15], v[50:51]
	s_nop 0
	v_min_f32_e32 v58, v58, v59
	v_min3_f32 v58, v56, v58, v57
	v_lshl_add_u64 v[56:57], v[82:83], 2, v[52:53]
	global_store_dword v[56:57], v58, off
	s_or_b64 exec, exec, s[18:19]
	s_and_b64 s[22:23], s[6:7], s[10:11]
	s_and_saveexec_b64 s[18:19], s[22:23]
	s_cbranch_execz .LBB63_185
.LBB63_194:
	s_and_b64 vcc, exec, s[0:1]
	s_cbranch_vccnz .LBB63_196
; %bb.195:
	v_lshl_add_u64 v[56:57], v[84:85], 2, v[54:55]
	flat_load_dword v56, v[56:57]
	s_waitcnt vmcnt(0) lgkmcnt(0)
	v_mul_f32_e32 v56, s21, v56
	s_branch .LBB63_197
.LBB63_196:
	v_mov_b32_e32 v56, 0
.LBB63_197:
	v_pk_add_f32 v[58:59], v[8:9], v[48:49]
	s_nop 0
	v_min3_f32 v57, v58, v59, v127
	v_pk_add_f32 v[58:59], v[10:11], v[50:51]
	s_nop 0
	v_min_f32_e32 v58, v58, v59
	v_min3_f32 v58, v56, v58, v57
	v_lshl_add_u64 v[56:57], v[84:85], 2, v[52:53]
	global_store_dword v[56:57], v58, off
	s_or_b64 exec, exec, s[18:19]
	s_and_b64 s[18:19], s[8:9], s[10:11]
	s_and_saveexec_b64 s[10:11], s[18:19]
	s_cbranch_execz .LBB63_202
.LBB63_198:
	s_and_b64 vcc, exec, s[0:1]
	s_cbranch_vccnz .LBB63_200
; %bb.199:
	v_lshl_add_u64 v[54:55], v[86:87], 2, v[54:55]
	flat_load_dword v54, v[54:55]
	s_waitcnt vmcnt(0) lgkmcnt(0)
	v_mul_f32_e32 v54, s21, v54
	s_branch .LBB63_201
.LBB63_200:
	v_mov_b32_e32 v54, 0
.LBB63_201:
	v_pk_add_f32 v[48:49], v[0:1], v[48:49]
	s_nop 0
	v_min3_f32 v55, v48, v49, v126
	v_pk_add_f32 v[48:49], v[2:3], v[50:51]
	s_nop 0
	v_min_f32_e32 v48, v48, v49
	v_min3_f32 v50, v54, v48, v55
	v_lshl_add_u64 v[48:49], v[86:87], 2, v[52:53]
	global_store_dword v[48:49], v50, off
.LBB63_202:
	s_or_b64 exec, exec, s[10:11]
	v_add_u32_e32 v52, 64, v124
	v_mad_i64_i32 v[48:49], s[18:19], v52, s25, 0
	v_cmp_gt_i32_e64 s[10:11], s13, v52
	v_lshl_add_u64 v[50:51], v[48:49], 2, s[16:17]
	v_mad_i64_i32 v[48:49], s[18:19], v52, s24, 0
	v_lshl_add_u64 v[48:49], v[48:49], 2, s[14:15]
	s_and_b64 s[22:23], s[2:3], s[10:11]
	s_and_saveexec_b64 s[18:19], s[22:23]
	s_cbranch_execnz .LBB63_206
; %bb.203:
	s_or_b64 exec, exec, s[18:19]
	s_and_b64 s[22:23], s[4:5], s[10:11]
	s_and_saveexec_b64 s[18:19], s[22:23]
	s_cbranch_execnz .LBB63_210
.LBB63_204:
	s_or_b64 exec, exec, s[18:19]
	s_and_b64 s[22:23], s[6:7], s[10:11]
	s_and_saveexec_b64 s[18:19], s[22:23]
	s_cbranch_execnz .LBB63_214
.LBB63_205:
	s_or_b64 exec, exec, s[18:19]
	s_and_b64 s[18:19], s[8:9], s[10:11]
	s_and_saveexec_b64 s[10:11], s[18:19]
	s_cbranch_execnz .LBB63_218
	s_branch .LBB63_222
.LBB63_206:
	s_and_b64 vcc, exec, s[0:1]
	s_cbranch_vccnz .LBB63_208
; %bb.207:
	v_lshl_add_u64 v[52:53], v[80:81], 2, v[50:51]
	flat_load_dword v52, v[52:53]
	s_waitcnt vmcnt(0) lgkmcnt(0)
	v_mul_f32_e32 v52, s21, v52
	s_branch .LBB63_209
.LBB63_208:
	v_mov_b32_e32 v52, 0
.LBB63_209:
	v_pk_add_f32 v[54:55], v[16:17], v[44:45]
	s_nop 0
	v_min3_f32 v53, v54, v55, v123
	v_pk_add_f32 v[54:55], v[18:19], v[46:47]
	s_nop 0
	v_min_f32_e32 v54, v54, v55
	v_min3_f32 v54, v52, v54, v53
	v_lshl_add_u64 v[52:53], v[80:81], 2, v[48:49]
	global_store_dword v[52:53], v54, off
	s_or_b64 exec, exec, s[18:19]
	s_and_b64 s[22:23], s[4:5], s[10:11]
	s_and_saveexec_b64 s[18:19], s[22:23]
	s_cbranch_execz .LBB63_204
.LBB63_210:
	s_and_b64 vcc, exec, s[0:1]
	s_cbranch_vccnz .LBB63_212
; %bb.211:
	v_lshl_add_u64 v[52:53], v[82:83], 2, v[50:51]
	flat_load_dword v52, v[52:53]
	s_waitcnt vmcnt(0) lgkmcnt(0)
	v_mul_f32_e32 v52, s21, v52
	s_branch .LBB63_213
.LBB63_212:
	v_mov_b32_e32 v52, 0
.LBB63_213:
	v_pk_add_f32 v[54:55], v[12:13], v[44:45]
	s_nop 0
	v_min3_f32 v53, v54, v55, v122
	v_pk_add_f32 v[54:55], v[14:15], v[46:47]
	s_nop 0
	v_min_f32_e32 v54, v54, v55
	v_min3_f32 v54, v52, v54, v53
	v_lshl_add_u64 v[52:53], v[82:83], 2, v[48:49]
	global_store_dword v[52:53], v54, off
	s_or_b64 exec, exec, s[18:19]
	s_and_b64 s[22:23], s[6:7], s[10:11]
	s_and_saveexec_b64 s[18:19], s[22:23]
	s_cbranch_execz .LBB63_205
.LBB63_214:
	s_and_b64 vcc, exec, s[0:1]
	s_cbranch_vccnz .LBB63_216
; %bb.215:
	v_lshl_add_u64 v[52:53], v[84:85], 2, v[50:51]
	flat_load_dword v52, v[52:53]
	s_waitcnt vmcnt(0) lgkmcnt(0)
	v_mul_f32_e32 v52, s21, v52
	s_branch .LBB63_217
.LBB63_216:
	v_mov_b32_e32 v52, 0
.LBB63_217:
	v_pk_add_f32 v[54:55], v[8:9], v[44:45]
	s_nop 0
	v_min3_f32 v53, v54, v55, v121
	v_pk_add_f32 v[54:55], v[10:11], v[46:47]
	s_nop 0
	v_min_f32_e32 v54, v54, v55
	v_min3_f32 v54, v52, v54, v53
	v_lshl_add_u64 v[52:53], v[84:85], 2, v[48:49]
	global_store_dword v[52:53], v54, off
	s_or_b64 exec, exec, s[18:19]
	s_and_b64 s[18:19], s[8:9], s[10:11]
	s_and_saveexec_b64 s[10:11], s[18:19]
	s_cbranch_execz .LBB63_222
.LBB63_218:
	s_and_b64 vcc, exec, s[0:1]
	s_cbranch_vccnz .LBB63_220
; %bb.219:
	v_lshl_add_u64 v[50:51], v[86:87], 2, v[50:51]
	flat_load_dword v50, v[50:51]
	s_waitcnt vmcnt(0) lgkmcnt(0)
	v_mul_f32_e32 v50, s21, v50
	s_branch .LBB63_221
.LBB63_220:
	v_mov_b32_e32 v50, 0
.LBB63_221:
	v_pk_add_f32 v[44:45], v[0:1], v[44:45]
	s_nop 0
	v_min3_f32 v51, v44, v45, v120
	v_pk_add_f32 v[44:45], v[2:3], v[46:47]
	s_nop 0
	v_min_f32_e32 v44, v44, v45
	v_min3_f32 v46, v50, v44, v51
	v_lshl_add_u64 v[44:45], v[86:87], 2, v[48:49]
	global_store_dword v[44:45], v46, off
.LBB63_222:
	s_or_b64 exec, exec, s[10:11]
	v_add_u32_e32 v48, 0x48, v124
	v_mad_i64_i32 v[44:45], s[18:19], v48, s25, 0
	v_cmp_gt_i32_e64 s[10:11], s13, v48
	v_lshl_add_u64 v[46:47], v[44:45], 2, s[16:17]
	v_mad_i64_i32 v[44:45], s[18:19], v48, s24, 0
	v_lshl_add_u64 v[44:45], v[44:45], 2, s[14:15]
	s_and_b64 s[22:23], s[2:3], s[10:11]
	s_and_saveexec_b64 s[18:19], s[22:23]
	s_cbranch_execnz .LBB63_226
; %bb.223:
	s_or_b64 exec, exec, s[18:19]
	s_and_b64 s[22:23], s[4:5], s[10:11]
	s_and_saveexec_b64 s[18:19], s[22:23]
	s_cbranch_execnz .LBB63_230
.LBB63_224:
	s_or_b64 exec, exec, s[18:19]
	s_and_b64 s[22:23], s[6:7], s[10:11]
	s_and_saveexec_b64 s[18:19], s[22:23]
	s_cbranch_execnz .LBB63_234
.LBB63_225:
	s_or_b64 exec, exec, s[18:19]
	s_and_b64 s[18:19], s[8:9], s[10:11]
	s_and_saveexec_b64 s[10:11], s[18:19]
	s_cbranch_execnz .LBB63_238
	s_branch .LBB63_242
.LBB63_226:
	s_and_b64 vcc, exec, s[0:1]
	s_cbranch_vccnz .LBB63_228
; %bb.227:
	v_lshl_add_u64 v[48:49], v[80:81], 2, v[46:47]
	flat_load_dword v48, v[48:49]
	s_waitcnt vmcnt(0) lgkmcnt(0)
	v_mul_f32_e32 v48, s21, v48
	s_branch .LBB63_229
.LBB63_228:
	v_mov_b32_e32 v48, 0
.LBB63_229:
	v_pk_add_f32 v[50:51], v[16:17], v[40:41]
	s_nop 0
	v_min3_f32 v49, v50, v51, v119
	v_pk_add_f32 v[50:51], v[18:19], v[42:43]
	s_nop 0
	v_min_f32_e32 v50, v50, v51
	v_min3_f32 v50, v48, v50, v49
	v_lshl_add_u64 v[48:49], v[80:81], 2, v[44:45]
	global_store_dword v[48:49], v50, off
	s_or_b64 exec, exec, s[18:19]
	s_and_b64 s[22:23], s[4:5], s[10:11]
	s_and_saveexec_b64 s[18:19], s[22:23]
	s_cbranch_execz .LBB63_224
.LBB63_230:
	s_and_b64 vcc, exec, s[0:1]
	s_cbranch_vccnz .LBB63_232
; %bb.231:
	v_lshl_add_u64 v[48:49], v[82:83], 2, v[46:47]
	flat_load_dword v48, v[48:49]
	s_waitcnt vmcnt(0) lgkmcnt(0)
	v_mul_f32_e32 v48, s21, v48
	s_branch .LBB63_233
.LBB63_232:
	v_mov_b32_e32 v48, 0
.LBB63_233:
	v_pk_add_f32 v[50:51], v[12:13], v[40:41]
	s_nop 0
	v_min3_f32 v49, v50, v51, v118
	v_pk_add_f32 v[50:51], v[14:15], v[42:43]
	s_nop 0
	v_min_f32_e32 v50, v50, v51
	v_min3_f32 v50, v48, v50, v49
	v_lshl_add_u64 v[48:49], v[82:83], 2, v[44:45]
	global_store_dword v[48:49], v50, off
	s_or_b64 exec, exec, s[18:19]
	s_and_b64 s[22:23], s[6:7], s[10:11]
	s_and_saveexec_b64 s[18:19], s[22:23]
	s_cbranch_execz .LBB63_225
.LBB63_234:
	s_and_b64 vcc, exec, s[0:1]
	s_cbranch_vccnz .LBB63_236
; %bb.235:
	v_lshl_add_u64 v[48:49], v[84:85], 2, v[46:47]
	flat_load_dword v48, v[48:49]
	s_waitcnt vmcnt(0) lgkmcnt(0)
	v_mul_f32_e32 v48, s21, v48
	s_branch .LBB63_237
.LBB63_236:
	v_mov_b32_e32 v48, 0
.LBB63_237:
	v_pk_add_f32 v[50:51], v[8:9], v[40:41]
	s_nop 0
	v_min3_f32 v49, v50, v51, v117
	v_pk_add_f32 v[50:51], v[10:11], v[42:43]
	s_nop 0
	v_min_f32_e32 v50, v50, v51
	v_min3_f32 v50, v48, v50, v49
	v_lshl_add_u64 v[48:49], v[84:85], 2, v[44:45]
	global_store_dword v[48:49], v50, off
	s_or_b64 exec, exec, s[18:19]
	s_and_b64 s[18:19], s[8:9], s[10:11]
	s_and_saveexec_b64 s[10:11], s[18:19]
	s_cbranch_execz .LBB63_242
.LBB63_238:
	s_and_b64 vcc, exec, s[0:1]
	s_cbranch_vccnz .LBB63_240
; %bb.239:
	v_lshl_add_u64 v[46:47], v[86:87], 2, v[46:47]
	flat_load_dword v46, v[46:47]
	s_waitcnt vmcnt(0) lgkmcnt(0)
	v_mul_f32_e32 v46, s21, v46
	s_branch .LBB63_241
.LBB63_240:
	v_mov_b32_e32 v46, 0
.LBB63_241:
	v_pk_add_f32 v[40:41], v[0:1], v[40:41]
	s_nop 0
	v_min3_f32 v47, v40, v41, v116
	v_pk_add_f32 v[40:41], v[2:3], v[42:43]
	s_nop 0
	v_min_f32_e32 v40, v40, v41
	v_min3_f32 v42, v46, v40, v47
	v_lshl_add_u64 v[40:41], v[86:87], 2, v[44:45]
	global_store_dword v[40:41], v42, off
.LBB63_242:
	s_or_b64 exec, exec, s[10:11]
	v_add_u32_e32 v44, 0x50, v124
	v_mad_i64_i32 v[40:41], s[18:19], v44, s25, 0
	v_cmp_gt_i32_e64 s[10:11], s13, v44
	v_lshl_add_u64 v[42:43], v[40:41], 2, s[16:17]
	v_mad_i64_i32 v[40:41], s[18:19], v44, s24, 0
	v_lshl_add_u64 v[40:41], v[40:41], 2, s[14:15]
	s_and_b64 s[22:23], s[2:3], s[10:11]
	s_and_saveexec_b64 s[18:19], s[22:23]
	s_cbranch_execnz .LBB63_246
; %bb.243:
	s_or_b64 exec, exec, s[18:19]
	s_and_b64 s[22:23], s[4:5], s[10:11]
	s_and_saveexec_b64 s[18:19], s[22:23]
	s_cbranch_execnz .LBB63_250
.LBB63_244:
	s_or_b64 exec, exec, s[18:19]
	s_and_b64 s[22:23], s[6:7], s[10:11]
	s_and_saveexec_b64 s[18:19], s[22:23]
	s_cbranch_execnz .LBB63_254
.LBB63_245:
	s_or_b64 exec, exec, s[18:19]
	s_and_b64 s[18:19], s[8:9], s[10:11]
	s_and_saveexec_b64 s[10:11], s[18:19]
	s_cbranch_execnz .LBB63_258
	s_branch .LBB63_262
.LBB63_246:
	s_and_b64 vcc, exec, s[0:1]
	s_cbranch_vccnz .LBB63_248
; %bb.247:
	v_lshl_add_u64 v[44:45], v[80:81], 2, v[42:43]
	flat_load_dword v44, v[44:45]
	s_waitcnt vmcnt(0) lgkmcnt(0)
	v_mul_f32_e32 v44, s21, v44
	s_branch .LBB63_249
.LBB63_248:
	v_mov_b32_e32 v44, 0
.LBB63_249:
	v_pk_add_f32 v[46:47], v[16:17], v[36:37]
	s_nop 0
	v_min3_f32 v45, v46, v47, v115
	v_pk_add_f32 v[46:47], v[18:19], v[38:39]
	s_nop 0
	v_min_f32_e32 v46, v46, v47
	v_min3_f32 v46, v44, v46, v45
	v_lshl_add_u64 v[44:45], v[80:81], 2, v[40:41]
	global_store_dword v[44:45], v46, off
	s_or_b64 exec, exec, s[18:19]
	s_and_b64 s[22:23], s[4:5], s[10:11]
	s_and_saveexec_b64 s[18:19], s[22:23]
	s_cbranch_execz .LBB63_244
.LBB63_250:
	s_and_b64 vcc, exec, s[0:1]
	s_cbranch_vccnz .LBB63_252
; %bb.251:
	v_lshl_add_u64 v[44:45], v[82:83], 2, v[42:43]
	flat_load_dword v44, v[44:45]
	s_waitcnt vmcnt(0) lgkmcnt(0)
	v_mul_f32_e32 v44, s21, v44
	s_branch .LBB63_253
.LBB63_252:
	v_mov_b32_e32 v44, 0
.LBB63_253:
	v_pk_add_f32 v[46:47], v[12:13], v[36:37]
	s_nop 0
	v_min3_f32 v45, v46, v47, v114
	v_pk_add_f32 v[46:47], v[14:15], v[38:39]
	s_nop 0
	v_min_f32_e32 v46, v46, v47
	v_min3_f32 v46, v44, v46, v45
	v_lshl_add_u64 v[44:45], v[82:83], 2, v[40:41]
	global_store_dword v[44:45], v46, off
	s_or_b64 exec, exec, s[18:19]
	s_and_b64 s[22:23], s[6:7], s[10:11]
	s_and_saveexec_b64 s[18:19], s[22:23]
	s_cbranch_execz .LBB63_245
.LBB63_254:
	s_and_b64 vcc, exec, s[0:1]
	s_cbranch_vccnz .LBB63_256
; %bb.255:
	v_lshl_add_u64 v[44:45], v[84:85], 2, v[42:43]
	flat_load_dword v44, v[44:45]
	s_waitcnt vmcnt(0) lgkmcnt(0)
	v_mul_f32_e32 v44, s21, v44
	s_branch .LBB63_257
.LBB63_256:
	v_mov_b32_e32 v44, 0
.LBB63_257:
	v_pk_add_f32 v[46:47], v[8:9], v[36:37]
	s_nop 0
	v_min3_f32 v45, v46, v47, v113
	v_pk_add_f32 v[46:47], v[10:11], v[38:39]
	s_nop 0
	v_min_f32_e32 v46, v46, v47
	v_min3_f32 v46, v44, v46, v45
	v_lshl_add_u64 v[44:45], v[84:85], 2, v[40:41]
	global_store_dword v[44:45], v46, off
	s_or_b64 exec, exec, s[18:19]
	s_and_b64 s[18:19], s[8:9], s[10:11]
	s_and_saveexec_b64 s[10:11], s[18:19]
	s_cbranch_execz .LBB63_262
.LBB63_258:
	s_and_b64 vcc, exec, s[0:1]
	s_cbranch_vccnz .LBB63_260
; %bb.259:
	v_lshl_add_u64 v[42:43], v[86:87], 2, v[42:43]
	flat_load_dword v42, v[42:43]
	s_waitcnt vmcnt(0) lgkmcnt(0)
	v_mul_f32_e32 v42, s21, v42
	s_branch .LBB63_261
.LBB63_260:
	v_mov_b32_e32 v42, 0
.LBB63_261:
	v_pk_add_f32 v[36:37], v[0:1], v[36:37]
	s_nop 0
	v_min3_f32 v43, v36, v37, v112
	v_pk_add_f32 v[36:37], v[2:3], v[38:39]
	s_nop 0
	v_min_f32_e32 v36, v36, v37
	v_min3_f32 v38, v42, v36, v43
	v_lshl_add_u64 v[36:37], v[86:87], 2, v[40:41]
	global_store_dword v[36:37], v38, off
.LBB63_262:
	s_or_b64 exec, exec, s[10:11]
	v_add_u32_e32 v40, 0x58, v124
	v_mad_i64_i32 v[36:37], s[18:19], v40, s25, 0
	v_cmp_gt_i32_e64 s[10:11], s13, v40
	v_lshl_add_u64 v[38:39], v[36:37], 2, s[16:17]
	v_mad_i64_i32 v[36:37], s[18:19], v40, s24, 0
	v_lshl_add_u64 v[36:37], v[36:37], 2, s[14:15]
	s_and_b64 s[22:23], s[2:3], s[10:11]
	s_and_saveexec_b64 s[18:19], s[22:23]
	s_cbranch_execnz .LBB63_266
; %bb.263:
	s_or_b64 exec, exec, s[18:19]
	s_and_b64 s[22:23], s[4:5], s[10:11]
	s_and_saveexec_b64 s[18:19], s[22:23]
	s_cbranch_execnz .LBB63_270
.LBB63_264:
	s_or_b64 exec, exec, s[18:19]
	s_and_b64 s[22:23], s[6:7], s[10:11]
	s_and_saveexec_b64 s[18:19], s[22:23]
	s_cbranch_execnz .LBB63_274
.LBB63_265:
	s_or_b64 exec, exec, s[18:19]
	s_and_b64 s[18:19], s[8:9], s[10:11]
	s_and_saveexec_b64 s[10:11], s[18:19]
	s_cbranch_execnz .LBB63_278
	s_branch .LBB63_282
.LBB63_266:
	s_and_b64 vcc, exec, s[0:1]
	s_cbranch_vccnz .LBB63_268
; %bb.267:
	v_lshl_add_u64 v[40:41], v[80:81], 2, v[38:39]
	flat_load_dword v40, v[40:41]
	s_waitcnt vmcnt(0) lgkmcnt(0)
	v_mul_f32_e32 v40, s21, v40
	s_branch .LBB63_269
.LBB63_268:
	v_mov_b32_e32 v40, 0
.LBB63_269:
	v_pk_add_f32 v[42:43], v[16:17], v[32:33]
	s_nop 0
	v_min3_f32 v41, v42, v43, v111
	v_pk_add_f32 v[42:43], v[18:19], v[34:35]
	s_nop 0
	v_min_f32_e32 v42, v42, v43
	v_min3_f32 v42, v40, v42, v41
	v_lshl_add_u64 v[40:41], v[80:81], 2, v[36:37]
	global_store_dword v[40:41], v42, off
	s_or_b64 exec, exec, s[18:19]
	s_and_b64 s[22:23], s[4:5], s[10:11]
	s_and_saveexec_b64 s[18:19], s[22:23]
	s_cbranch_execz .LBB63_264
.LBB63_270:
	s_and_b64 vcc, exec, s[0:1]
	s_cbranch_vccnz .LBB63_272
; %bb.271:
	v_lshl_add_u64 v[40:41], v[82:83], 2, v[38:39]
	flat_load_dword v40, v[40:41]
	s_waitcnt vmcnt(0) lgkmcnt(0)
	v_mul_f32_e32 v40, s21, v40
	s_branch .LBB63_273
.LBB63_272:
	v_mov_b32_e32 v40, 0
.LBB63_273:
	v_pk_add_f32 v[42:43], v[12:13], v[32:33]
	s_nop 0
	v_min3_f32 v41, v42, v43, v110
	v_pk_add_f32 v[42:43], v[14:15], v[34:35]
	s_nop 0
	v_min_f32_e32 v42, v42, v43
	v_min3_f32 v42, v40, v42, v41
	v_lshl_add_u64 v[40:41], v[82:83], 2, v[36:37]
	global_store_dword v[40:41], v42, off
	s_or_b64 exec, exec, s[18:19]
	s_and_b64 s[22:23], s[6:7], s[10:11]
	s_and_saveexec_b64 s[18:19], s[22:23]
	s_cbranch_execz .LBB63_265
.LBB63_274:
	s_and_b64 vcc, exec, s[0:1]
	s_cbranch_vccnz .LBB63_276
; %bb.275:
	v_lshl_add_u64 v[40:41], v[84:85], 2, v[38:39]
	flat_load_dword v40, v[40:41]
	s_waitcnt vmcnt(0) lgkmcnt(0)
	v_mul_f32_e32 v40, s21, v40
	s_branch .LBB63_277
.LBB63_276:
	v_mov_b32_e32 v40, 0
.LBB63_277:
	v_pk_add_f32 v[42:43], v[8:9], v[32:33]
	s_nop 0
	v_min3_f32 v41, v42, v43, v109
	v_pk_add_f32 v[42:43], v[10:11], v[34:35]
	s_nop 0
	v_min_f32_e32 v42, v42, v43
	v_min3_f32 v42, v40, v42, v41
	v_lshl_add_u64 v[40:41], v[84:85], 2, v[36:37]
	global_store_dword v[40:41], v42, off
	s_or_b64 exec, exec, s[18:19]
	s_and_b64 s[18:19], s[8:9], s[10:11]
	s_and_saveexec_b64 s[10:11], s[18:19]
	s_cbranch_execz .LBB63_282
.LBB63_278:
	s_and_b64 vcc, exec, s[0:1]
	s_cbranch_vccnz .LBB63_280
; %bb.279:
	v_lshl_add_u64 v[38:39], v[86:87], 2, v[38:39]
	flat_load_dword v38, v[38:39]
	s_waitcnt vmcnt(0) lgkmcnt(0)
	v_mul_f32_e32 v38, s21, v38
	s_branch .LBB63_281
.LBB63_280:
	v_mov_b32_e32 v38, 0
.LBB63_281:
	v_pk_add_f32 v[32:33], v[0:1], v[32:33]
	s_nop 0
	v_min3_f32 v39, v32, v33, v108
	v_pk_add_f32 v[32:33], v[2:3], v[34:35]
	s_nop 0
	v_min_f32_e32 v32, v32, v33
	v_min3_f32 v34, v38, v32, v39
	v_lshl_add_u64 v[32:33], v[86:87], 2, v[36:37]
	global_store_dword v[32:33], v34, off
.LBB63_282:
	s_or_b64 exec, exec, s[10:11]
	v_add_u32_e32 v36, 0x60, v124
	v_mad_i64_i32 v[32:33], s[18:19], v36, s25, 0
	v_cmp_gt_i32_e64 s[10:11], s13, v36
	v_lshl_add_u64 v[34:35], v[32:33], 2, s[16:17]
	v_mad_i64_i32 v[32:33], s[18:19], v36, s24, 0
	v_lshl_add_u64 v[32:33], v[32:33], 2, s[14:15]
	s_and_b64 s[22:23], s[2:3], s[10:11]
	s_and_saveexec_b64 s[18:19], s[22:23]
	s_cbranch_execnz .LBB63_286
; %bb.283:
	s_or_b64 exec, exec, s[18:19]
	s_and_b64 s[22:23], s[4:5], s[10:11]
	s_and_saveexec_b64 s[18:19], s[22:23]
	s_cbranch_execnz .LBB63_290
.LBB63_284:
	s_or_b64 exec, exec, s[18:19]
	s_and_b64 s[22:23], s[6:7], s[10:11]
	s_and_saveexec_b64 s[18:19], s[22:23]
	s_cbranch_execnz .LBB63_294
.LBB63_285:
	s_or_b64 exec, exec, s[18:19]
	s_and_b64 s[18:19], s[8:9], s[10:11]
	s_and_saveexec_b64 s[10:11], s[18:19]
	s_cbranch_execnz .LBB63_298
	s_branch .LBB63_302
.LBB63_286:
	s_and_b64 vcc, exec, s[0:1]
	s_cbranch_vccnz .LBB63_288
; %bb.287:
	v_lshl_add_u64 v[36:37], v[80:81], 2, v[34:35]
	flat_load_dword v36, v[36:37]
	s_waitcnt vmcnt(0) lgkmcnt(0)
	v_mul_f32_e32 v36, s21, v36
	s_branch .LBB63_289
.LBB63_288:
	v_mov_b32_e32 v36, 0
.LBB63_289:
	v_pk_add_f32 v[38:39], v[16:17], v[28:29]
	s_nop 0
	v_min3_f32 v37, v38, v39, v107
	v_pk_add_f32 v[38:39], v[18:19], v[30:31]
	s_nop 0
	v_min_f32_e32 v38, v38, v39
	v_min3_f32 v38, v36, v38, v37
	v_lshl_add_u64 v[36:37], v[80:81], 2, v[32:33]
	global_store_dword v[36:37], v38, off
	s_or_b64 exec, exec, s[18:19]
	s_and_b64 s[22:23], s[4:5], s[10:11]
	s_and_saveexec_b64 s[18:19], s[22:23]
	s_cbranch_execz .LBB63_284
.LBB63_290:
	s_and_b64 vcc, exec, s[0:1]
	s_cbranch_vccnz .LBB63_292
; %bb.291:
	v_lshl_add_u64 v[36:37], v[82:83], 2, v[34:35]
	flat_load_dword v36, v[36:37]
	s_waitcnt vmcnt(0) lgkmcnt(0)
	v_mul_f32_e32 v36, s21, v36
	s_branch .LBB63_293
.LBB63_292:
	v_mov_b32_e32 v36, 0
.LBB63_293:
	v_pk_add_f32 v[38:39], v[12:13], v[28:29]
	s_nop 0
	v_min3_f32 v37, v38, v39, v106
	v_pk_add_f32 v[38:39], v[14:15], v[30:31]
	s_nop 0
	v_min_f32_e32 v38, v38, v39
	v_min3_f32 v38, v36, v38, v37
	v_lshl_add_u64 v[36:37], v[82:83], 2, v[32:33]
	global_store_dword v[36:37], v38, off
	s_or_b64 exec, exec, s[18:19]
	s_and_b64 s[22:23], s[6:7], s[10:11]
	s_and_saveexec_b64 s[18:19], s[22:23]
	s_cbranch_execz .LBB63_285
.LBB63_294:
	s_and_b64 vcc, exec, s[0:1]
	s_cbranch_vccnz .LBB63_296
; %bb.295:
	v_lshl_add_u64 v[36:37], v[84:85], 2, v[34:35]
	flat_load_dword v36, v[36:37]
	s_waitcnt vmcnt(0) lgkmcnt(0)
	v_mul_f32_e32 v36, s21, v36
	s_branch .LBB63_297
.LBB63_296:
	v_mov_b32_e32 v36, 0
.LBB63_297:
	v_pk_add_f32 v[38:39], v[8:9], v[28:29]
	s_nop 0
	v_min3_f32 v37, v38, v39, v105
	v_pk_add_f32 v[38:39], v[10:11], v[30:31]
	s_nop 0
	v_min_f32_e32 v38, v38, v39
	v_min3_f32 v38, v36, v38, v37
	v_lshl_add_u64 v[36:37], v[84:85], 2, v[32:33]
	global_store_dword v[36:37], v38, off
	s_or_b64 exec, exec, s[18:19]
	s_and_b64 s[18:19], s[8:9], s[10:11]
	s_and_saveexec_b64 s[10:11], s[18:19]
	s_cbranch_execz .LBB63_302
.LBB63_298:
	s_and_b64 vcc, exec, s[0:1]
	s_cbranch_vccnz .LBB63_300
; %bb.299:
	v_lshl_add_u64 v[34:35], v[86:87], 2, v[34:35]
	flat_load_dword v34, v[34:35]
	s_waitcnt vmcnt(0) lgkmcnt(0)
	v_mul_f32_e32 v34, s21, v34
	s_branch .LBB63_301
.LBB63_300:
	v_mov_b32_e32 v34, 0
.LBB63_301:
	v_pk_add_f32 v[28:29], v[0:1], v[28:29]
	s_nop 0
	v_min3_f32 v35, v28, v29, v104
	v_pk_add_f32 v[28:29], v[2:3], v[30:31]
	s_nop 0
	v_min_f32_e32 v28, v28, v29
	v_min3_f32 v30, v34, v28, v35
	v_lshl_add_u64 v[28:29], v[86:87], 2, v[32:33]
	global_store_dword v[28:29], v30, off
.LBB63_302:
	s_or_b64 exec, exec, s[10:11]
	v_add_u32_e32 v32, 0x68, v124
	v_mad_i64_i32 v[28:29], s[18:19], v32, s25, 0
	v_cmp_gt_i32_e64 s[10:11], s13, v32
	v_lshl_add_u64 v[30:31], v[28:29], 2, s[16:17]
	v_mad_i64_i32 v[28:29], s[18:19], v32, s24, 0
	v_lshl_add_u64 v[28:29], v[28:29], 2, s[14:15]
	s_and_b64 s[22:23], s[2:3], s[10:11]
	s_and_saveexec_b64 s[18:19], s[22:23]
	s_cbranch_execnz .LBB63_306
; %bb.303:
	s_or_b64 exec, exec, s[18:19]
	s_and_b64 s[22:23], s[4:5], s[10:11]
	s_and_saveexec_b64 s[18:19], s[22:23]
	s_cbranch_execnz .LBB63_310
.LBB63_304:
	s_or_b64 exec, exec, s[18:19]
	s_and_b64 s[22:23], s[6:7], s[10:11]
	s_and_saveexec_b64 s[18:19], s[22:23]
	s_cbranch_execnz .LBB63_314
.LBB63_305:
	s_or_b64 exec, exec, s[18:19]
	s_and_b64 s[18:19], s[8:9], s[10:11]
	s_and_saveexec_b64 s[10:11], s[18:19]
	s_cbranch_execnz .LBB63_318
	s_branch .LBB63_322
.LBB63_306:
	s_and_b64 vcc, exec, s[0:1]
	s_cbranch_vccnz .LBB63_308
; %bb.307:
	v_lshl_add_u64 v[32:33], v[80:81], 2, v[30:31]
	flat_load_dword v32, v[32:33]
	s_waitcnt vmcnt(0) lgkmcnt(0)
	v_mul_f32_e32 v32, s21, v32
	s_branch .LBB63_309
.LBB63_308:
	v_mov_b32_e32 v32, 0
.LBB63_309:
	v_pk_add_f32 v[34:35], v[16:17], v[24:25]
	s_nop 0
	v_min3_f32 v33, v34, v35, v103
	v_pk_add_f32 v[34:35], v[18:19], v[26:27]
	s_nop 0
	v_min_f32_e32 v34, v34, v35
	v_min3_f32 v34, v32, v34, v33
	v_lshl_add_u64 v[32:33], v[80:81], 2, v[28:29]
	global_store_dword v[32:33], v34, off
	s_or_b64 exec, exec, s[18:19]
	s_and_b64 s[22:23], s[4:5], s[10:11]
	s_and_saveexec_b64 s[18:19], s[22:23]
	s_cbranch_execz .LBB63_304
.LBB63_310:
	s_and_b64 vcc, exec, s[0:1]
	s_cbranch_vccnz .LBB63_312
; %bb.311:
	v_lshl_add_u64 v[32:33], v[82:83], 2, v[30:31]
	flat_load_dword v32, v[32:33]
	s_waitcnt vmcnt(0) lgkmcnt(0)
	v_mul_f32_e32 v32, s21, v32
	s_branch .LBB63_313
.LBB63_312:
	v_mov_b32_e32 v32, 0
.LBB63_313:
	v_pk_add_f32 v[34:35], v[12:13], v[24:25]
	s_nop 0
	v_min3_f32 v33, v34, v35, v102
	v_pk_add_f32 v[34:35], v[14:15], v[26:27]
	s_nop 0
	v_min_f32_e32 v34, v34, v35
	v_min3_f32 v34, v32, v34, v33
	v_lshl_add_u64 v[32:33], v[82:83], 2, v[28:29]
	global_store_dword v[32:33], v34, off
	s_or_b64 exec, exec, s[18:19]
	s_and_b64 s[22:23], s[6:7], s[10:11]
	s_and_saveexec_b64 s[18:19], s[22:23]
	s_cbranch_execz .LBB63_305
.LBB63_314:
	s_and_b64 vcc, exec, s[0:1]
	s_cbranch_vccnz .LBB63_316
; %bb.315:
	v_lshl_add_u64 v[32:33], v[84:85], 2, v[30:31]
	flat_load_dword v32, v[32:33]
	s_waitcnt vmcnt(0) lgkmcnt(0)
	v_mul_f32_e32 v32, s21, v32
	s_branch .LBB63_317
.LBB63_316:
	v_mov_b32_e32 v32, 0
.LBB63_317:
	v_pk_add_f32 v[34:35], v[8:9], v[24:25]
	s_nop 0
	v_min3_f32 v33, v34, v35, v101
	v_pk_add_f32 v[34:35], v[10:11], v[26:27]
	s_nop 0
	v_min_f32_e32 v34, v34, v35
	v_min3_f32 v34, v32, v34, v33
	v_lshl_add_u64 v[32:33], v[84:85], 2, v[28:29]
	global_store_dword v[32:33], v34, off
	s_or_b64 exec, exec, s[18:19]
	s_and_b64 s[18:19], s[8:9], s[10:11]
	s_and_saveexec_b64 s[10:11], s[18:19]
	s_cbranch_execz .LBB63_322
.LBB63_318:
	s_and_b64 vcc, exec, s[0:1]
	s_cbranch_vccnz .LBB63_320
; %bb.319:
	v_lshl_add_u64 v[30:31], v[86:87], 2, v[30:31]
	flat_load_dword v30, v[30:31]
	s_waitcnt vmcnt(0) lgkmcnt(0)
	v_mul_f32_e32 v30, s21, v30
	s_branch .LBB63_321
.LBB63_320:
	v_mov_b32_e32 v30, 0
.LBB63_321:
	v_pk_add_f32 v[24:25], v[0:1], v[24:25]
	s_nop 0
	v_min3_f32 v31, v24, v25, v100
	v_pk_add_f32 v[24:25], v[2:3], v[26:27]
	s_nop 0
	v_min_f32_e32 v24, v24, v25
	v_min3_f32 v26, v30, v24, v31
	v_lshl_add_u64 v[24:25], v[86:87], 2, v[28:29]
	global_store_dword v[24:25], v26, off
.LBB63_322:
	s_or_b64 exec, exec, s[10:11]
	v_add_u32_e32 v28, 0x70, v124
	v_mad_i64_i32 v[24:25], s[18:19], v28, s25, 0
	v_cmp_gt_i32_e64 s[10:11], s13, v28
	v_lshl_add_u64 v[26:27], v[24:25], 2, s[16:17]
	v_mad_i64_i32 v[24:25], s[18:19], v28, s24, 0
	v_lshl_add_u64 v[24:25], v[24:25], 2, s[14:15]
	s_and_b64 s[22:23], s[2:3], s[10:11]
	s_and_saveexec_b64 s[18:19], s[22:23]
	s_cbranch_execnz .LBB63_326
; %bb.323:
	s_or_b64 exec, exec, s[18:19]
	s_and_b64 s[22:23], s[4:5], s[10:11]
	s_and_saveexec_b64 s[18:19], s[22:23]
	s_cbranch_execnz .LBB63_330
.LBB63_324:
	s_or_b64 exec, exec, s[18:19]
	s_and_b64 s[22:23], s[6:7], s[10:11]
	s_and_saveexec_b64 s[18:19], s[22:23]
	s_cbranch_execnz .LBB63_334
.LBB63_325:
	s_or_b64 exec, exec, s[18:19]
	s_and_b64 s[18:19], s[8:9], s[10:11]
	s_and_saveexec_b64 s[10:11], s[18:19]
	s_cbranch_execnz .LBB63_338
	s_branch .LBB63_342
.LBB63_326:
	s_and_b64 vcc, exec, s[0:1]
	s_cbranch_vccnz .LBB63_328
; %bb.327:
	v_lshl_add_u64 v[28:29], v[80:81], 2, v[26:27]
	flat_load_dword v28, v[28:29]
	s_waitcnt vmcnt(0) lgkmcnt(0)
	v_mul_f32_e32 v28, s21, v28
	s_branch .LBB63_329
.LBB63_328:
	v_mov_b32_e32 v28, 0
.LBB63_329:
	v_pk_add_f32 v[30:31], v[16:17], v[20:21]
	s_nop 0
	v_min3_f32 v29, v30, v31, v99
	v_pk_add_f32 v[30:31], v[18:19], v[22:23]
	s_nop 0
	v_min_f32_e32 v30, v30, v31
	v_min3_f32 v30, v28, v30, v29
	v_lshl_add_u64 v[28:29], v[80:81], 2, v[24:25]
	global_store_dword v[28:29], v30, off
	s_or_b64 exec, exec, s[18:19]
	s_and_b64 s[22:23], s[4:5], s[10:11]
	s_and_saveexec_b64 s[18:19], s[22:23]
	s_cbranch_execz .LBB63_324
.LBB63_330:
	s_and_b64 vcc, exec, s[0:1]
	s_cbranch_vccnz .LBB63_332
; %bb.331:
	v_lshl_add_u64 v[28:29], v[82:83], 2, v[26:27]
	flat_load_dword v28, v[28:29]
	s_waitcnt vmcnt(0) lgkmcnt(0)
	v_mul_f32_e32 v28, s21, v28
	s_branch .LBB63_333
.LBB63_332:
	v_mov_b32_e32 v28, 0
.LBB63_333:
	v_pk_add_f32 v[30:31], v[12:13], v[20:21]
	s_nop 0
	v_min3_f32 v29, v30, v31, v98
	v_pk_add_f32 v[30:31], v[14:15], v[22:23]
	s_nop 0
	v_min_f32_e32 v30, v30, v31
	v_min3_f32 v30, v28, v30, v29
	v_lshl_add_u64 v[28:29], v[82:83], 2, v[24:25]
	global_store_dword v[28:29], v30, off
	s_or_b64 exec, exec, s[18:19]
	s_and_b64 s[22:23], s[6:7], s[10:11]
	s_and_saveexec_b64 s[18:19], s[22:23]
	s_cbranch_execz .LBB63_325
.LBB63_334:
	s_and_b64 vcc, exec, s[0:1]
	s_cbranch_vccnz .LBB63_336
; %bb.335:
	v_lshl_add_u64 v[28:29], v[84:85], 2, v[26:27]
	flat_load_dword v28, v[28:29]
	s_waitcnt vmcnt(0) lgkmcnt(0)
	v_mul_f32_e32 v28, s21, v28
	s_branch .LBB63_337
.LBB63_336:
	v_mov_b32_e32 v28, 0
.LBB63_337:
	v_pk_add_f32 v[30:31], v[8:9], v[20:21]
	s_nop 0
	v_min3_f32 v29, v30, v31, v97
	v_pk_add_f32 v[30:31], v[10:11], v[22:23]
	s_nop 0
	v_min_f32_e32 v30, v30, v31
	v_min3_f32 v30, v28, v30, v29
	v_lshl_add_u64 v[28:29], v[84:85], 2, v[24:25]
	global_store_dword v[28:29], v30, off
	s_or_b64 exec, exec, s[18:19]
	s_and_b64 s[18:19], s[8:9], s[10:11]
	s_and_saveexec_b64 s[10:11], s[18:19]
	s_cbranch_execz .LBB63_342
.LBB63_338:
	s_and_b64 vcc, exec, s[0:1]
	s_cbranch_vccnz .LBB63_340
; %bb.339:
	v_lshl_add_u64 v[26:27], v[86:87], 2, v[26:27]
	flat_load_dword v26, v[26:27]
	s_waitcnt vmcnt(0) lgkmcnt(0)
	v_mul_f32_e32 v26, s21, v26
	s_branch .LBB63_341
.LBB63_340:
	v_mov_b32_e32 v26, 0
.LBB63_341:
	v_pk_add_f32 v[20:21], v[0:1], v[20:21]
	s_nop 0
	v_min3_f32 v27, v20, v21, v96
	v_pk_add_f32 v[20:21], v[2:3], v[22:23]
	s_nop 0
	v_min_f32_e32 v20, v20, v21
	v_min3_f32 v22, v26, v20, v27
	v_lshl_add_u64 v[20:21], v[86:87], 2, v[24:25]
	global_store_dword v[20:21], v22, off
.LBB63_342:
	s_or_b64 exec, exec, s[10:11]
	v_add_u32_e32 v24, 0x78, v124
	v_cmp_gt_i32_e64 s[10:11], s13, v24
	v_mad_i64_i32 v[20:21], s[12:13], v24, s25, 0
	v_lshl_add_u64 v[22:23], v[20:21], 2, s[16:17]
	v_mad_i64_i32 v[20:21], s[12:13], v24, s24, 0
	v_lshl_add_u64 v[20:21], v[20:21], 2, s[14:15]
	s_and_b64 s[12:13], s[2:3], s[10:11]
	s_and_saveexec_b64 s[2:3], s[12:13]
	s_cbranch_execnz .LBB63_347
; %bb.343:
	s_or_b64 exec, exec, s[2:3]
	s_and_b64 s[4:5], s[4:5], s[10:11]
	s_and_saveexec_b64 s[2:3], s[4:5]
	s_cbranch_execnz .LBB63_351
.LBB63_344:
	s_or_b64 exec, exec, s[2:3]
	s_and_b64 s[4:5], s[6:7], s[10:11]
	s_and_saveexec_b64 s[2:3], s[4:5]
	s_cbranch_execnz .LBB63_355
.LBB63_345:
	s_or_b64 exec, exec, s[2:3]
	s_and_b64 s[2:3], s[8:9], s[10:11]
	s_and_saveexec_b64 s[4:5], s[2:3]
	s_cbranch_execnz .LBB63_359
.LBB63_346:
	s_endpgm
.LBB63_347:
	s_and_b64 vcc, exec, s[0:1]
	s_cbranch_vccnz .LBB63_349
; %bb.348:
	v_lshl_add_u64 v[24:25], v[80:81], 2, v[22:23]
	flat_load_dword v24, v[24:25]
	s_waitcnt vmcnt(0) lgkmcnt(0)
	v_mul_f32_e32 v24, s21, v24
	s_branch .LBB63_350
.LBB63_349:
	v_mov_b32_e32 v24, 0
.LBB63_350:
	v_pk_add_f32 v[16:17], v[16:17], v[4:5]
	s_nop 0
	v_min3_f32 v25, v16, v17, v94
	v_pk_add_f32 v[16:17], v[18:19], v[6:7]
	s_nop 0
	v_min_f32_e32 v16, v16, v17
	v_min3_f32 v18, v24, v16, v25
	v_lshl_add_u64 v[16:17], v[80:81], 2, v[20:21]
	global_store_dword v[16:17], v18, off
	s_or_b64 exec, exec, s[2:3]
	s_and_b64 s[4:5], s[4:5], s[10:11]
	s_and_saveexec_b64 s[2:3], s[4:5]
	s_cbranch_execz .LBB63_344
.LBB63_351:
	s_and_b64 vcc, exec, s[0:1]
	s_cbranch_vccnz .LBB63_353
; %bb.352:
	v_lshl_add_u64 v[16:17], v[82:83], 2, v[22:23]
	flat_load_dword v16, v[16:17]
	s_waitcnt vmcnt(0) lgkmcnt(0)
	v_mul_f32_e32 v16, s21, v16
	s_branch .LBB63_354
.LBB63_353:
	v_mov_b32_e32 v16, 0
.LBB63_354:
	v_pk_add_f32 v[12:13], v[12:13], v[4:5]
	s_nop 0
	v_min3_f32 v17, v12, v13, v93
	v_pk_add_f32 v[12:13], v[14:15], v[6:7]
	s_nop 0
	v_min_f32_e32 v12, v12, v13
	v_min3_f32 v14, v16, v12, v17
	v_lshl_add_u64 v[12:13], v[82:83], 2, v[20:21]
	global_store_dword v[12:13], v14, off
	s_or_b64 exec, exec, s[2:3]
	s_and_b64 s[4:5], s[6:7], s[10:11]
	s_and_saveexec_b64 s[2:3], s[4:5]
	s_cbranch_execz .LBB63_345
.LBB63_355:
	s_and_b64 vcc, exec, s[0:1]
	s_cbranch_vccnz .LBB63_357
; %bb.356:
	v_lshl_add_u64 v[12:13], v[84:85], 2, v[22:23]
	flat_load_dword v12, v[12:13]
	s_waitcnt vmcnt(0) lgkmcnt(0)
	v_mul_f32_e32 v12, s21, v12
	s_branch .LBB63_358
.LBB63_357:
	v_mov_b32_e32 v12, 0
.LBB63_358:
	v_pk_add_f32 v[8:9], v[8:9], v[4:5]
	s_nop 0
	v_min3_f32 v13, v8, v9, v92
	v_pk_add_f32 v[8:9], v[10:11], v[6:7]
	s_nop 0
	v_min_f32_e32 v8, v8, v9
	v_min3_f32 v10, v12, v8, v13
	v_lshl_add_u64 v[8:9], v[84:85], 2, v[20:21]
	global_store_dword v[8:9], v10, off
	s_or_b64 exec, exec, s[2:3]
	s_and_b64 s[2:3], s[8:9], s[10:11]
	s_and_saveexec_b64 s[4:5], s[2:3]
	s_cbranch_execz .LBB63_346
.LBB63_359:
	s_and_b64 vcc, exec, s[0:1]
	s_cbranch_vccnz .LBB63_361
; %bb.360:
	v_lshl_add_u64 v[8:9], v[86:87], 2, v[22:23]
	flat_load_dword v8, v[8:9]
	s_waitcnt vmcnt(0) lgkmcnt(0)
	v_mul_f32_e32 v8, s21, v8
	s_branch .LBB63_362
.LBB63_361:
	v_mov_b32_e32 v8, 0
.LBB63_362:
	v_pk_add_f32 v[0:1], v[0:1], v[4:5]
	s_nop 0
	v_min3_f32 v4, v0, v1, v95
	v_pk_add_f32 v[0:1], v[2:3], v[6:7]
	s_nop 0
	v_min_f32_e32 v0, v0, v1
	v_min3_f32 v2, v8, v0, v4
	v_lshl_add_u64 v[0:1], v[86:87], 2, v[20:21]
	global_store_dword v[0:1], v2, off
	s_endpgm
	.section	.rodata,"a",@progbits
	.p2align	6, 0x0
	.amdhsa_kernel _ZN12_GLOBAL__N_120geam_min_plus_kernelIf15HIP_vector_typeIfLj2EEfLi32ELi8ELi128ELi128ELi4ELi4ELi64ELi4ELi64ELc84ELc78ELb0ELb1ELb1EPKfS3_fEEviiiT16_PT17_ilS7_ilS5_S7_ilPT18_ili26rocblas_geam_ex_operation_
		.amdhsa_group_segment_fixed_size 8192
		.amdhsa_private_segment_fixed_size 0
		.amdhsa_kernarg_size 136
		.amdhsa_user_sgpr_count 2
		.amdhsa_user_sgpr_dispatch_ptr 0
		.amdhsa_user_sgpr_queue_ptr 0
		.amdhsa_user_sgpr_kernarg_segment_ptr 1
		.amdhsa_user_sgpr_dispatch_id 0
		.amdhsa_user_sgpr_kernarg_preload_length 0
		.amdhsa_user_sgpr_kernarg_preload_offset 0
		.amdhsa_user_sgpr_private_segment_size 0
		.amdhsa_uses_dynamic_stack 0
		.amdhsa_enable_private_segment 0
		.amdhsa_system_sgpr_workgroup_id_x 1
		.amdhsa_system_sgpr_workgroup_id_y 0
		.amdhsa_system_sgpr_workgroup_id_z 1
		.amdhsa_system_sgpr_workgroup_info 0
		.amdhsa_system_vgpr_workitem_id 1
		.amdhsa_next_free_vgpr 200
		.amdhsa_next_free_sgpr 40
		.amdhsa_accum_offset 200
		.amdhsa_reserve_vcc 1
		.amdhsa_float_round_mode_32 0
		.amdhsa_float_round_mode_16_64 0
		.amdhsa_float_denorm_mode_32 3
		.amdhsa_float_denorm_mode_16_64 3
		.amdhsa_dx10_clamp 1
		.amdhsa_ieee_mode 1
		.amdhsa_fp16_overflow 0
		.amdhsa_tg_split 0
		.amdhsa_exception_fp_ieee_invalid_op 0
		.amdhsa_exception_fp_denorm_src 0
		.amdhsa_exception_fp_ieee_div_zero 0
		.amdhsa_exception_fp_ieee_overflow 0
		.amdhsa_exception_fp_ieee_underflow 0
		.amdhsa_exception_fp_ieee_inexact 0
		.amdhsa_exception_int_div_zero 0
	.end_amdhsa_kernel
	.section	.text._ZN12_GLOBAL__N_120geam_min_plus_kernelIf15HIP_vector_typeIfLj2EEfLi32ELi8ELi128ELi128ELi4ELi4ELi64ELi4ELi64ELc84ELc78ELb0ELb1ELb1EPKfS3_fEEviiiT16_PT17_ilS7_ilS5_S7_ilPT18_ili26rocblas_geam_ex_operation_,"axG",@progbits,_ZN12_GLOBAL__N_120geam_min_plus_kernelIf15HIP_vector_typeIfLj2EEfLi32ELi8ELi128ELi128ELi4ELi4ELi64ELi4ELi64ELc84ELc78ELb0ELb1ELb1EPKfS3_fEEviiiT16_PT17_ilS7_ilS5_S7_ilPT18_ili26rocblas_geam_ex_operation_,comdat
.Lfunc_end63:
	.size	_ZN12_GLOBAL__N_120geam_min_plus_kernelIf15HIP_vector_typeIfLj2EEfLi32ELi8ELi128ELi128ELi4ELi4ELi64ELi4ELi64ELc84ELc78ELb0ELb1ELb1EPKfS3_fEEviiiT16_PT17_ilS7_ilS5_S7_ilPT18_ili26rocblas_geam_ex_operation_, .Lfunc_end63-_ZN12_GLOBAL__N_120geam_min_plus_kernelIf15HIP_vector_typeIfLj2EEfLi32ELi8ELi128ELi128ELi4ELi4ELi64ELi4ELi64ELc84ELc78ELb0ELb1ELb1EPKfS3_fEEviiiT16_PT17_ilS7_ilS5_S7_ilPT18_ili26rocblas_geam_ex_operation_
                                        ; -- End function
	.section	.AMDGPU.csdata,"",@progbits
; Kernel info:
; codeLenInByte = 18928
; NumSgprs: 46
; NumVgprs: 200
; NumAgprs: 0
; TotalNumVgprs: 200
; ScratchSize: 0
; MemoryBound: 0
; FloatMode: 240
; IeeeMode: 1
; LDSByteSize: 8192 bytes/workgroup (compile time only)
; SGPRBlocks: 5
; VGPRBlocks: 24
; NumSGPRsForWavesPerEU: 46
; NumVGPRsForWavesPerEU: 200
; AccumOffset: 200
; Occupancy: 2
; WaveLimiterHint : 0
; COMPUTE_PGM_RSRC2:SCRATCH_EN: 0
; COMPUTE_PGM_RSRC2:USER_SGPR: 2
; COMPUTE_PGM_RSRC2:TRAP_HANDLER: 0
; COMPUTE_PGM_RSRC2:TGID_X_EN: 1
; COMPUTE_PGM_RSRC2:TGID_Y_EN: 0
; COMPUTE_PGM_RSRC2:TGID_Z_EN: 1
; COMPUTE_PGM_RSRC2:TIDIG_COMP_CNT: 1
; COMPUTE_PGM_RSRC3_GFX90A:ACCUM_OFFSET: 49
; COMPUTE_PGM_RSRC3_GFX90A:TG_SPLIT: 0
	.section	.text._ZN12_GLOBAL__N_120geam_min_plus_kernelIf15HIP_vector_typeIfLj2EEfLi32ELi8ELi128ELi128ELi4ELi4ELi64ELi4ELi64ELc84ELc78ELb1ELb1ELb1EfKffEEviiiT16_PT17_ilS6_ilS4_S6_ilPT18_ili26rocblas_geam_ex_operation_,"axG",@progbits,_ZN12_GLOBAL__N_120geam_min_plus_kernelIf15HIP_vector_typeIfLj2EEfLi32ELi8ELi128ELi128ELi4ELi4ELi64ELi4ELi64ELc84ELc78ELb1ELb1ELb1EfKffEEviiiT16_PT17_ilS6_ilS4_S6_ilPT18_ili26rocblas_geam_ex_operation_,comdat
	.globl	_ZN12_GLOBAL__N_120geam_min_plus_kernelIf15HIP_vector_typeIfLj2EEfLi32ELi8ELi128ELi128ELi4ELi4ELi64ELi4ELi64ELc84ELc78ELb1ELb1ELb1EfKffEEviiiT16_PT17_ilS6_ilS4_S6_ilPT18_ili26rocblas_geam_ex_operation_ ; -- Begin function _ZN12_GLOBAL__N_120geam_min_plus_kernelIf15HIP_vector_typeIfLj2EEfLi32ELi8ELi128ELi128ELi4ELi4ELi64ELi4ELi64ELc84ELc78ELb1ELb1ELb1EfKffEEviiiT16_PT17_ilS6_ilS4_S6_ilPT18_ili26rocblas_geam_ex_operation_
	.p2align	8
	.type	_ZN12_GLOBAL__N_120geam_min_plus_kernelIf15HIP_vector_typeIfLj2EEfLi32ELi8ELi128ELi128ELi4ELi4ELi64ELi4ELi64ELc84ELc78ELb1ELb1ELb1EfKffEEviiiT16_PT17_ilS6_ilS4_S6_ilPT18_ili26rocblas_geam_ex_operation_,@function
_ZN12_GLOBAL__N_120geam_min_plus_kernelIf15HIP_vector_typeIfLj2EEfLi32ELi8ELi128ELi128ELi4ELi4ELi64ELi4ELi64ELc84ELc78ELb1ELb1ELb1EfKffEEviiiT16_PT17_ilS6_ilS4_S6_ilPT18_ili26rocblas_geam_ex_operation_: ; @_ZN12_GLOBAL__N_120geam_min_plus_kernelIf15HIP_vector_typeIfLj2EEfLi32ELi8ELi128ELi128ELi4ELi4ELi64ELi4ELi64ELc84ELc78ELb1ELb1ELb1EfKffEEviiiT16_PT17_ilS6_ilS4_S6_ilPT18_ili26rocblas_geam_ex_operation_
; %bb.0:
	s_load_dwordx4 s[12:15], s[0:1], 0x0
	s_load_dwordx4 s[4:7], s[0:1], 0x20
	s_waitcnt lgkmcnt(0)
	v_cmp_eq_f32_e64 s[8:9], s15, 0
	s_and_b64 vcc, exec, s[8:9]
	s_cbranch_vccnz .LBB64_3
; %bb.1:
	s_load_dwordx2 s[10:11], s[0:1], 0x10
	s_mul_i32 s5, s3, s5
	s_mul_hi_u32 s15, s3, s4
	s_add_i32 s5, s15, s5
	s_mul_i32 s4, s3, s4
	s_lshl_b64 s[4:5], s[4:5], 2
	s_waitcnt lgkmcnt(0)
	s_add_u32 s24, s10, s4
	s_addc_u32 s25, s11, s5
	s_andn2_b64 vcc, exec, s[8:9]
	s_cbranch_vccnz .LBB64_4
.LBB64_2:
	s_mov_b32 s23, 0
	s_mov_b64 s[26:27], 0
	s_cbranch_execz .LBB64_5
	s_branch .LBB64_6
.LBB64_3:
	s_mov_b64 s[24:25], 0
	s_andn2_b64 vcc, exec, s[8:9]
	s_cbranch_vccz .LBB64_2
.LBB64_4:
                                        ; implicit-def: $sgpr26_sgpr27
                                        ; implicit-def: $sgpr22_sgpr23
.LBB64_5:
	s_load_dwordx2 s[4:5], s[0:1], 0x38
	s_mov_b32 s23, 0
	s_waitcnt lgkmcnt(0)
	s_mul_i32 s5, s3, s5
	s_mul_hi_u32 s8, s3, s4
	s_add_i32 s5, s8, s5
	s_mul_i32 s4, s3, s4
	s_lshl_b64 s[4:5], s[4:5], 2
	s_add_u32 s26, s6, s4
	s_addc_u32 s27, s7, s5
.LBB64_6:
	s_load_dword s22, s[0:1], 0x40
	s_load_dwordx4 s[16:19], s[0:1], 0x58
	s_waitcnt lgkmcnt(0)
	v_cmp_eq_f32_e64 s[4:5], s22, 0
	v_cmp_neq_f32_e64 s[20:21], s22, 0
	s_and_b64 vcc, exec, s[4:5]
	s_cbranch_vccnz .LBB64_8
; %bb.7:
	s_load_dwordx2 s[4:5], s[0:1], 0x48
	s_mul_i32 s6, s3, s17
	s_mul_hi_u32 s7, s3, s16
	s_add_i32 s6, s7, s6
	s_mul_i32 s7, s23, s16
	s_add_i32 s7, s6, s7
	s_mul_i32 s6, s3, s16
	s_lshl_b64 s[6:7], s[6:7], 2
	s_waitcnt lgkmcnt(0)
	s_add_u32 s16, s4, s6
	s_addc_u32 s17, s5, s7
	s_branch .LBB64_9
.LBB64_8:
	s_mov_b64 s[16:17], 0
.LBB64_9:
	s_add_i32 s4, s12, -1
	s_ashr_i32 s5, s4, 31
	s_lshr_b32 s5, s5, 25
	s_add_i32 s4, s4, s5
	s_ashr_i32 s4, s4, 7
	s_add_i32 s5, s4, 1
	v_cvt_f32_u32_e32 v1, s5
	s_not_b32 s4, s4
	v_and_b32_e32 v131, 0x3ff, v0
	v_bfe_u32 v132, v0, 10, 10
	v_rcp_iflag_f32_e32 v1, v1
	v_lshl_add_u32 v0, v132, 5, v131
	s_load_dword s31, s[0:1], 0x18
	v_lshrrev_b32_e32 v4, 2, v0
	v_mul_f32_e32 v1, 0x4f7ffffe, v1
	v_cvt_u32_f32_e32 v1, v1
	v_and_b32_e32 v143, 3, v131
	v_mov_b32_e32 v81, 0
	v_lshlrev_b32_e32 v80, 2, v143
	v_readfirstlane_b32 s6, v1
	s_mul_i32 s4, s4, s6
	s_mul_hi_u32 s4, s6, s4
	s_add_i32 s6, s6, s4
	s_mul_hi_u32 s4, s2, s6
	s_mul_i32 s6, s4, s5
	s_sub_i32 s6, s2, s6
	s_add_i32 s7, s4, 1
	s_sub_i32 s8, s6, s5
	s_cmp_ge_u32 s6, s5
	s_cselect_b32 s4, s7, s4
	s_cselect_b32 s6, s8, s6
	s_add_i32 s7, s4, 1
	s_cmp_ge_u32 s6, s5
	s_cselect_b32 s6, s7, s4
	s_mul_i32 s4, s6, s5
	s_sub_i32 s2, s2, s4
	s_lshl_b32 s2, s2, 7
	v_add_u32_e32 v86, s2, v4
	v_cmp_le_i32_e64 s[8:9], s14, v143
	v_cmp_le_i32_e32 vcc, s12, v86
	s_or_b64 s[4:5], s[8:9], vcc
	v_lshl_add_u64 v[0:1], s[24:25], 0, v[80:81]
	s_xor_b64 s[10:11], s[4:5], -1
	v_mov_b32_e32 v5, 0x7f7fffff
	v_mov_b32_e32 v6, 0x7f7fffff
	s_and_saveexec_b64 s[4:5], s[10:11]
	s_cbranch_execz .LBB64_11
; %bb.10:
	s_waitcnt lgkmcnt(0)
	v_mad_i64_i32 v[2:3], s[10:11], v86, s31, 0
	v_lshl_add_u64 v[2:3], v[2:3], 2, v[0:1]
	flat_load_dword v6, v[2:3]
.LBB64_11:
	s_or_b64 exec, exec, s[4:5]
	v_add_u32_e32 v88, 64, v86
	v_cmp_le_i32_e64 s[10:11], s12, v88
	s_or_b64 s[4:5], s[8:9], s[10:11]
	s_xor_b64 s[28:29], s[4:5], -1
	s_and_saveexec_b64 s[4:5], s[28:29]
	s_cbranch_execz .LBB64_13
; %bb.12:
	s_waitcnt lgkmcnt(0)
	v_mad_i64_i32 v[2:3], s[28:29], v88, s31, 0
	v_lshl_add_u64 v[2:3], v[2:3], 2, v[0:1]
	flat_load_dword v5, v[2:3]
.LBB64_13:
	s_or_b64 exec, exec, s[4:5]
	s_load_dword s33, s[0:1], 0x30
	s_lshl_b32 s30, s6, 7
	v_add_u32_e32 v82, s30, v4
	v_cmp_le_i32_e64 s[4:5], s13, v82
	v_mov_b32_e32 v81, 0
	s_or_b64 s[6:7], s[8:9], s[4:5]
	v_lshl_add_u64 v[2:3], s[26:27], 0, v[80:81]
	s_xor_b64 s[28:29], s[6:7], -1
	v_mov_b32_e32 v7, 0x7f7fffff
	v_mov_b32_e32 v8, 0x7f7fffff
	s_and_saveexec_b64 s[6:7], s[28:29]
	s_cbranch_execz .LBB64_15
; %bb.14:
	s_waitcnt lgkmcnt(0)
	v_mad_i64_i32 v[8:9], s[28:29], v82, s33, 0
	v_lshl_add_u64 v[8:9], v[8:9], 2, v[2:3]
	flat_load_dword v8, v[8:9]
.LBB64_15:
	s_or_b64 exec, exec, s[6:7]
	v_add_u32_e32 v84, 64, v82
	v_cmp_le_i32_e64 s[6:7], s13, v84
	s_or_b64 s[8:9], s[8:9], s[6:7]
	s_xor_b64 s[28:29], s[8:9], -1
	s_and_saveexec_b64 s[8:9], s[28:29]
	s_cbranch_execz .LBB64_17
; %bb.16:
	s_waitcnt lgkmcnt(0)
	v_mad_i64_i32 v[10:11], s[28:29], v84, s33, 0
	v_lshl_add_u64 v[10:11], v[10:11], 2, v[2:3]
	flat_load_dword v7, v[10:11]
.LBB64_17:
	s_or_b64 exec, exec, s[8:9]
	v_or_b32_e32 v9, 4, v143
	v_cmp_le_i32_e64 s[8:9], s14, v9
	s_or_b64 s[28:29], s[8:9], vcc
	s_xor_b64 s[34:35], s[28:29], -1
	v_mov_b32_e32 v81, 0x7f7fffff
	v_mov_b32_e32 v83, 0x7f7fffff
	s_and_saveexec_b64 s[28:29], s[34:35]
	s_cbranch_execz .LBB64_19
; %bb.18:
	s_waitcnt lgkmcnt(0)
	v_mad_i64_i32 v[10:11], s[34:35], v86, s31, 0
	v_lshl_add_u64 v[10:11], v[10:11], 2, v[0:1]
	flat_load_dword v83, v[10:11] offset:16
.LBB64_19:
	s_or_b64 exec, exec, s[28:29]
	s_or_b64 s[28:29], s[8:9], s[10:11]
	s_xor_b64 s[34:35], s[28:29], -1
	s_and_saveexec_b64 s[28:29], s[34:35]
	s_cbranch_execz .LBB64_21
; %bb.20:
	s_waitcnt lgkmcnt(0)
	v_mad_i64_i32 v[10:11], s[34:35], v88, s31, 0
	v_lshl_add_u64 v[0:1], v[10:11], 2, v[0:1]
	flat_load_dword v81, v[0:1] offset:16
.LBB64_21:
	s_or_b64 exec, exec, s[28:29]
	s_or_b64 s[28:29], s[8:9], s[4:5]
	s_xor_b64 s[34:35], s[28:29], -1
	v_mov_b32_e32 v85, 0x7f7fffff
	v_mov_b32_e32 v87, 0x7f7fffff
	s_and_saveexec_b64 s[28:29], s[34:35]
	s_cbranch_execz .LBB64_23
; %bb.22:
	s_waitcnt lgkmcnt(0)
	v_mad_i64_i32 v[0:1], s[34:35], v82, s33, 0
	v_lshl_add_u64 v[0:1], v[0:1], 2, v[2:3]
	flat_load_dword v87, v[0:1] offset:16
.LBB64_23:
	s_or_b64 exec, exec, s[28:29]
	s_or_b64 s[8:9], s[8:9], s[6:7]
	s_xor_b64 s[28:29], s[8:9], -1
	s_and_saveexec_b64 s[8:9], s[28:29]
	s_cbranch_execz .LBB64_25
; %bb.24:
	s_waitcnt lgkmcnt(0)
	v_mad_i64_i32 v[0:1], s[28:29], v84, s33, 0
	v_lshl_add_u64 v[0:1], v[0:1], 2, v[2:3]
	flat_load_dword v85, v[0:1] offset:16
.LBB64_25:
	s_or_b64 exec, exec, s[8:9]
	v_lshl_or_b32 v150, v4, 4, v80
	v_lshlrev_b32_e32 v140, 4, v131
	s_waitcnt vmcnt(0) lgkmcnt(0)
	ds_write2st64_b32 v150, v6, v5 offset1:4
	ds_write2st64_b32 v150, v8, v7 offset0:16 offset1:20
	s_waitcnt lgkmcnt(0)
	s_barrier
	ds_read_b128 v[12:15], v140
	ds_read_b128 v[8:11], v140 offset:512
	ds_read_b128 v[4:7], v140 offset:1024
	;; [unrolled: 1-line block ×3, first 2 shown]
	v_lshlrev_b32_e32 v141, 4, v132
	ds_read_b128 v[76:79], v141 offset:4096
	ds_read_b128 v[72:75], v141 offset:4224
	;; [unrolled: 1-line block ×16, first 2 shown]
	s_waitcnt lgkmcnt(14)
	v_pk_add_f32 v[90:91], v[12:13], v[76:77]
	s_mov_b32 s8, 0x7f7fffff
	v_min3_f32 v89, v90, v91, s8
	v_pk_add_f32 v[90:91], v[8:9], v[76:77]
	s_cmp_lt_i32 s14, 9
	v_min3_f32 v92, v90, v91, s8
	v_pk_add_f32 v[90:91], v[4:5], v[76:77]
	v_pk_add_f32 v[76:77], v[0:1], v[76:77]
	v_min3_f32 v90, v90, v91, s8
	v_min3_f32 v91, v76, v77, s8
	v_pk_add_f32 v[76:77], v[12:13], v[72:73]
	ds_write2st64_b32 v150, v83, v81 offset0:8 offset1:12
	ds_write2st64_b32 v150, v87, v85 offset0:24 offset1:28
	v_min3_f32 v93, v76, v77, s8
	v_pk_add_f32 v[76:77], v[8:9], v[72:73]
	s_waitcnt lgkmcnt(0)
	v_min3_f32 v94, v76, v77, s8
	v_pk_add_f32 v[76:77], v[4:5], v[72:73]
	v_pk_add_f32 v[72:73], v[0:1], v[72:73]
	v_min3_f32 v76, v76, v77, s8
	v_min3_f32 v77, v72, v73, s8
	v_pk_add_f32 v[72:73], v[12:13], v[68:69]
	s_barrier
	v_min3_f32 v95, v72, v73, s8
	v_pk_add_f32 v[72:73], v[8:9], v[68:69]
	s_nop 0
	v_min3_f32 v96, v72, v73, s8
	v_pk_add_f32 v[72:73], v[4:5], v[68:69]
	v_pk_add_f32 v[68:69], v[0:1], v[68:69]
	v_min3_f32 v72, v72, v73, s8
	v_min3_f32 v73, v68, v69, s8
	v_pk_add_f32 v[68:69], v[12:13], v[64:65]
	s_nop 0
	v_min3_f32 v97, v68, v69, s8
	v_pk_add_f32 v[68:69], v[8:9], v[64:65]
	s_nop 0
	v_min3_f32 v98, v68, v69, s8
	v_pk_add_f32 v[68:69], v[4:5], v[64:65]
	v_pk_add_f32 v[64:65], v[0:1], v[64:65]
	v_min3_f32 v68, v68, v69, s8
	v_min3_f32 v69, v64, v65, s8
	v_pk_add_f32 v[64:65], v[12:13], v[60:61]
	s_nop 0
	v_min3_f32 v99, v64, v65, s8
	v_pk_add_f32 v[64:65], v[8:9], v[60:61]
	s_nop 0
	v_min3_f32 v100, v64, v65, s8
	v_pk_add_f32 v[64:65], v[4:5], v[60:61]
	v_pk_add_f32 v[60:61], v[0:1], v[60:61]
	v_min3_f32 v64, v64, v65, s8
	v_min3_f32 v65, v60, v61, s8
	v_pk_add_f32 v[60:61], v[12:13], v[56:57]
	s_nop 0
	v_min3_f32 v101, v60, v61, s8
	v_pk_add_f32 v[60:61], v[8:9], v[56:57]
	s_nop 0
	v_min3_f32 v102, v60, v61, s8
	v_pk_add_f32 v[60:61], v[4:5], v[56:57]
	v_pk_add_f32 v[56:57], v[0:1], v[56:57]
	v_min3_f32 v60, v60, v61, s8
	v_min3_f32 v61, v56, v57, s8
	v_pk_add_f32 v[56:57], v[12:13], v[52:53]
	s_nop 0
	v_min3_f32 v103, v56, v57, s8
	v_pk_add_f32 v[56:57], v[8:9], v[52:53]
	s_nop 0
	v_min3_f32 v104, v56, v57, s8
	v_pk_add_f32 v[56:57], v[4:5], v[52:53]
	v_pk_add_f32 v[52:53], v[0:1], v[52:53]
	v_min3_f32 v56, v56, v57, s8
	v_min3_f32 v57, v52, v53, s8
	v_pk_add_f32 v[52:53], v[12:13], v[48:49]
	s_nop 0
	v_min3_f32 v105, v52, v53, s8
	v_pk_add_f32 v[52:53], v[8:9], v[48:49]
	s_nop 0
	v_min3_f32 v106, v52, v53, s8
	v_pk_add_f32 v[52:53], v[4:5], v[48:49]
	v_pk_add_f32 v[48:49], v[0:1], v[48:49]
	v_min3_f32 v52, v52, v53, s8
	v_min3_f32 v53, v48, v49, s8
	v_pk_add_f32 v[48:49], v[12:13], v[44:45]
	s_nop 0
	v_min3_f32 v107, v48, v49, s8
	v_pk_add_f32 v[48:49], v[8:9], v[44:45]
	s_nop 0
	v_min3_f32 v108, v48, v49, s8
	v_pk_add_f32 v[48:49], v[4:5], v[44:45]
	v_pk_add_f32 v[44:45], v[0:1], v[44:45]
	v_min3_f32 v48, v48, v49, s8
	v_min3_f32 v49, v44, v45, s8
	v_pk_add_f32 v[44:45], v[12:13], v[40:41]
	s_nop 0
	v_min3_f32 v109, v44, v45, s8
	v_pk_add_f32 v[44:45], v[8:9], v[40:41]
	s_nop 0
	v_min3_f32 v110, v44, v45, s8
	v_pk_add_f32 v[44:45], v[4:5], v[40:41]
	v_pk_add_f32 v[40:41], v[0:1], v[40:41]
	v_min3_f32 v44, v44, v45, s8
	v_min3_f32 v45, v40, v41, s8
	v_pk_add_f32 v[40:41], v[12:13], v[36:37]
	s_nop 0
	v_min3_f32 v111, v40, v41, s8
	v_pk_add_f32 v[40:41], v[8:9], v[36:37]
	s_nop 0
	v_min3_f32 v112, v40, v41, s8
	v_pk_add_f32 v[40:41], v[4:5], v[36:37]
	v_pk_add_f32 v[36:37], v[0:1], v[36:37]
	v_min3_f32 v40, v40, v41, s8
	v_min3_f32 v41, v36, v37, s8
	v_pk_add_f32 v[36:37], v[12:13], v[32:33]
	s_nop 0
	v_min3_f32 v113, v36, v37, s8
	v_pk_add_f32 v[36:37], v[8:9], v[32:33]
	s_nop 0
	v_min3_f32 v114, v36, v37, s8
	v_pk_add_f32 v[36:37], v[4:5], v[32:33]
	v_pk_add_f32 v[32:33], v[0:1], v[32:33]
	v_min3_f32 v36, v36, v37, s8
	v_min3_f32 v37, v32, v33, s8
	v_pk_add_f32 v[32:33], v[12:13], v[28:29]
	s_nop 0
	v_min3_f32 v168, v32, v33, s8
	v_pk_add_f32 v[32:33], v[8:9], v[28:29]
	s_nop 0
	v_min3_f32 v169, v32, v33, s8
	v_pk_add_f32 v[32:33], v[4:5], v[28:29]
	v_pk_add_f32 v[28:29], v[0:1], v[28:29]
	v_min3_f32 v32, v32, v33, s8
	v_min3_f32 v33, v28, v29, s8
	v_pk_add_f32 v[28:29], v[12:13], v[24:25]
	s_nop 0
	v_min3_f32 v170, v28, v29, s8
	v_pk_add_f32 v[28:29], v[8:9], v[24:25]
	s_nop 0
	v_min3_f32 v171, v28, v29, s8
	v_pk_add_f32 v[28:29], v[4:5], v[24:25]
	v_pk_add_f32 v[24:25], v[0:1], v[24:25]
	v_min3_f32 v28, v28, v29, s8
	v_min3_f32 v29, v24, v25, s8
	v_pk_add_f32 v[24:25], v[12:13], v[20:21]
	v_pk_add_f32 v[12:13], v[12:13], v[16:17]
	v_min3_f32 v172, v24, v25, s8
	v_pk_add_f32 v[24:25], v[8:9], v[20:21]
	v_min3_f32 v12, v12, v13, s8
	v_min3_f32 v173, v24, v25, s8
	v_pk_add_f32 v[24:25], v[4:5], v[20:21]
	v_pk_add_f32 v[20:21], v[0:1], v[20:21]
	;; [unrolled: 1-line block ×4, first 2 shown]
	v_min3_f32 v4, v4, v5, s8
	v_min3_f32 v5, v0, v1, s8
	v_pk_add_f32 v[0:1], v[14:15], v[78:79]
	v_min3_f32 v24, v24, v25, s8
	v_min3_f32 v167, v0, v1, v89
	v_pk_add_f32 v[0:1], v[10:11], v[78:79]
	;; [unrolled: 3-line block ×3, first 2 shown]
	v_pk_add_f32 v[8:9], v[8:9], v[16:17]
	v_min3_f32 v165, v0, v1, v90
	v_pk_add_f32 v[0:1], v[2:3], v[78:79]
	v_min3_f32 v8, v8, v9, s8
	v_min3_f32 v164, v0, v1, v91
	v_pk_add_f32 v[0:1], v[14:15], v[74:75]
	s_nop 0
	v_min3_f32 v163, v0, v1, v93
	v_pk_add_f32 v[0:1], v[10:11], v[74:75]
	s_nop 0
	;; [unrolled: 3-line block ×60, first 2 shown]
	v_min3_f32 v101, v0, v1, v5
	s_cbranch_scc1 .LBB64_44
; %bb.26:
	v_mov_b32_e32 v0, 0x800
	v_lshl_add_u32 v172, v131, 4, v0
	v_mov_b32_e32 v0, 0x1800
	v_lshl_add_u32 v173, v132, 4, v0
	v_mad_i64_i32 v[0:1], s[8:9], s33, v82, 0
	v_lshl_add_u64 v[82:83], v[0:1], 2, s[26:27]
	v_mad_i64_i32 v[0:1], s[8:9], s33, v84, 0
	v_lshl_add_u64 v[84:85], v[0:1], 2, s[26:27]
	;; [unrolled: 2-line block ×3, first 2 shown]
	v_mad_i64_i32 v[0:1], s[8:9], s31, v88, 0
	v_add_u32_e32 v168, 0x1000, v150
	v_add_u32_e32 v169, 0x1000, v141
	;; [unrolled: 1-line block ×4, first 2 shown]
	s_add_i32 s15, s14, -8
	v_mov_b32_e32 v81, 0
	v_lshl_add_u64 v[88:89], v[0:1], 2, s[24:25]
	s_mov_b32 s26, 0
	s_branch .LBB64_28
.LBB64_27:                              ;   in Loop: Header=BB64_28 Depth=1
	s_or_b64 exec, exec, s[8:9]
	ds_read_b128 v[0:3], v140
	ds_read_b128 v[4:7], v140 offset:512
	ds_read_b128 v[8:11], v140 offset:1024
	;; [unrolled: 1-line block ×3, first 2 shown]
	ds_read_b128 v[102:105], v169
	ds_read_b128 v[106:109], v169 offset:128
	ds_read_b128 v[110:113], v169 offset:256
	;; [unrolled: 1-line block ×15, first 2 shown]
	s_waitcnt lgkmcnt(0)
	v_pk_add_f32 v[90:91], v[0:1], v[102:103]
	s_add_i32 s26, s26, 8
	v_min3_f32 v130, v90, v91, v24
	v_pk_add_f32 v[90:91], v[4:5], v[102:103]
	v_lshl_add_u64 v[82:83], v[82:83], 0, 32
	v_min3_f32 v90, v90, v91, v25
	v_pk_add_f32 v[24:25], v[8:9], v[102:103]
	v_lshl_add_u64 v[84:85], v[84:85], 0, 32
	;; [unrolled: 3-line block ×3, first 2 shown]
	v_min3_f32 v29, v24, v25, v29
	v_pk_add_f32 v[24:25], v[0:1], v[106:107]
	s_cmp_ge_i32 s26, s15
	v_min3_f32 v32, v24, v25, v32
	v_pk_add_f32 v[24:25], v[4:5], v[106:107]
	v_lshl_add_u64 v[88:89], v[88:89], 0, 32
	v_min3_f32 v33, v24, v25, v33
	v_pk_add_f32 v[24:25], v[8:9], v[106:107]
	s_waitcnt vmcnt(0)
	ds_write2st64_b32 v170, v175, v174 offset1:4
	ds_write2st64_b32 v171, v93, v92 offset1:4
	v_min3_f32 v36, v24, v25, v36
	v_pk_add_f32 v[24:25], v[12:13], v[106:107]
	s_waitcnt lgkmcnt(0)
	v_min3_f32 v37, v24, v25, v37
	v_pk_add_f32 v[24:25], v[0:1], v[110:111]
	s_barrier
	v_min3_f32 v40, v24, v25, v40
	v_pk_add_f32 v[24:25], v[4:5], v[110:111]
	s_nop 0
	v_min3_f32 v41, v24, v25, v41
	v_pk_add_f32 v[24:25], v[8:9], v[110:111]
	s_nop 0
	;; [unrolled: 3-line block ×47, first 2 shown]
	v_min3_f32 v26, v24, v25, v26
	v_pk_add_f32 v[24:25], v[0:1], v[20:21]
	v_pk_add_f32 v[0:1], v[0:1], v[16:17]
	v_min3_f32 v27, v24, v25, v27
	v_pk_add_f32 v[24:25], v[4:5], v[20:21]
	s_nop 0
	v_min3_f32 v94, v24, v25, v95
	v_pk_add_f32 v[24:25], v[8:9], v[20:21]
	v_pk_add_f32 v[20:21], v[12:13], v[20:21]
	v_min3_f32 v24, v24, v25, v96
	v_min3_f32 v20, v20, v21, v97
	;; [unrolled: 1-line block ×3, first 2 shown]
	v_pk_add_f32 v[0:1], v[4:5], v[16:17]
	s_nop 0
	v_min3_f32 v4, v0, v1, v99
	v_pk_add_f32 v[0:1], v[8:9], v[16:17]
	s_nop 0
	v_min3_f32 v5, v0, v1, v100
	;; [unrolled: 3-line block ×67, first 2 shown]
	s_cbranch_scc1 .LBB64_44
.LBB64_28:                              ; =>This Inner Loop Header: Depth=1
	v_add_u32_e32 v174, s26, v143
	v_add_u32_e32 v0, 8, v174
	v_cmp_le_i32_e64 s[8:9], s14, v0
	s_or_b64 s[24:25], vcc, s[8:9]
	s_xor_b64 s[28:29], s[24:25], -1
	v_mov_b32_e32 v175, 0x7f7fffff
	v_lshl_add_u64 v[92:93], v[86:87], 0, v[80:81]
	v_mov_b32_e32 v176, 0x7f7fffff
	s_and_saveexec_b64 s[24:25], s[28:29]
	s_cbranch_execz .LBB64_30
; %bb.29:                               ;   in Loop: Header=BB64_28 Depth=1
	flat_load_dword v176, v[92:93] offset:32
.LBB64_30:                              ;   in Loop: Header=BB64_28 Depth=1
	s_or_b64 exec, exec, s[24:25]
	s_or_b64 s[24:25], s[10:11], s[8:9]
	s_xor_b64 s[28:29], s[24:25], -1
	v_lshl_add_u64 v[94:95], v[88:89], 0, v[80:81]
	s_and_saveexec_b64 s[24:25], s[28:29]
	s_cbranch_execz .LBB64_32
; %bb.31:                               ;   in Loop: Header=BB64_28 Depth=1
	flat_load_dword v175, v[94:95] offset:32
.LBB64_32:                              ;   in Loop: Header=BB64_28 Depth=1
	s_or_b64 exec, exec, s[24:25]
	s_or_b64 s[24:25], s[4:5], s[8:9]
	s_xor_b64 s[28:29], s[24:25], -1
	v_mov_b32_e32 v177, 0x7f7fffff
	v_lshl_add_u64 v[96:97], v[82:83], 0, v[80:81]
	v_mov_b32_e32 v178, 0x7f7fffff
	s_and_saveexec_b64 s[24:25], s[28:29]
	s_cbranch_execz .LBB64_34
; %bb.33:                               ;   in Loop: Header=BB64_28 Depth=1
	flat_load_dword v178, v[96:97] offset:32
.LBB64_34:                              ;   in Loop: Header=BB64_28 Depth=1
	s_or_b64 exec, exec, s[24:25]
	s_or_b64 s[8:9], s[6:7], s[8:9]
	s_xor_b64 s[24:25], s[8:9], -1
	v_lshl_add_u64 v[90:91], v[84:85], 0, v[80:81]
	s_and_saveexec_b64 s[8:9], s[24:25]
	s_cbranch_execz .LBB64_36
; %bb.35:                               ;   in Loop: Header=BB64_28 Depth=1
	flat_load_dword v177, v[90:91] offset:32
.LBB64_36:                              ;   in Loop: Header=BB64_28 Depth=1
	s_or_b64 exec, exec, s[8:9]
	ds_read_b128 v[12:15], v172
	ds_read_b128 v[8:11], v172 offset:512
	ds_read_b128 v[4:7], v172 offset:1024
	;; [unrolled: 1-line block ×3, first 2 shown]
	ds_read_b128 v[76:79], v173
	ds_read_b128 v[72:75], v173 offset:128
	ds_read_b128 v[68:71], v173 offset:256
	;; [unrolled: 1-line block ×15, first 2 shown]
	v_add_u32_e32 v174, 12, v174
	v_cmp_le_i32_e64 s[8:9], s14, v174
	s_or_b64 s[24:25], vcc, s[8:9]
	s_waitcnt vmcnt(0) lgkmcnt(0)
	ds_write2st64_b32 v150, v176, v175 offset1:4
	ds_write2st64_b32 v168, v178, v177 offset1:4
	s_xor_b64 s[28:29], s[24:25], -1
	v_mov_b32_e32 v174, 0x7f7fffff
	v_mov_b32_e32 v175, 0x7f7fffff
	s_waitcnt lgkmcnt(0)
	s_barrier
	s_and_saveexec_b64 s[24:25], s[28:29]
	s_cbranch_execz .LBB64_38
; %bb.37:                               ;   in Loop: Header=BB64_28 Depth=1
	flat_load_dword v175, v[92:93] offset:48
.LBB64_38:                              ;   in Loop: Header=BB64_28 Depth=1
	s_or_b64 exec, exec, s[24:25]
	s_or_b64 s[24:25], s[10:11], s[8:9]
	s_xor_b64 s[28:29], s[24:25], -1
	s_and_saveexec_b64 s[24:25], s[28:29]
	s_cbranch_execz .LBB64_40
; %bb.39:                               ;   in Loop: Header=BB64_28 Depth=1
	flat_load_dword v174, v[94:95] offset:48
.LBB64_40:                              ;   in Loop: Header=BB64_28 Depth=1
	s_or_b64 exec, exec, s[24:25]
	s_or_b64 s[24:25], s[4:5], s[8:9]
	s_xor_b64 s[28:29], s[24:25], -1
	v_mov_b32_e32 v92, 0x7f7fffff
	v_mov_b32_e32 v93, 0x7f7fffff
	s_and_saveexec_b64 s[24:25], s[28:29]
	s_cbranch_execz .LBB64_42
; %bb.41:                               ;   in Loop: Header=BB64_28 Depth=1
	flat_load_dword v93, v[96:97] offset:48
.LBB64_42:                              ;   in Loop: Header=BB64_28 Depth=1
	s_or_b64 exec, exec, s[24:25]
	v_pk_add_f32 v[94:95], v[12:13], v[76:77]
	s_or_b64 s[8:9], s[6:7], s[8:9]
	v_min3_f32 v96, v94, v95, v167
	v_pk_add_f32 v[94:95], v[8:9], v[76:77]
	s_xor_b64 s[24:25], s[8:9], -1
	v_min3_f32 v97, v94, v95, v166
	v_pk_add_f32 v[94:95], v[4:5], v[76:77]
	v_pk_add_f32 v[76:77], v[0:1], v[76:77]
	v_min3_f32 v94, v94, v95, v165
	v_min3_f32 v95, v76, v77, v164
	v_pk_add_f32 v[76:77], v[12:13], v[72:73]
	s_nop 0
	v_min3_f32 v163, v76, v77, v163
	v_pk_add_f32 v[76:77], v[8:9], v[72:73]
	s_nop 0
	v_min3_f32 v162, v76, v77, v162
	v_pk_add_f32 v[76:77], v[4:5], v[72:73]
	v_pk_add_f32 v[72:73], v[0:1], v[72:73]
	v_min3_f32 v76, v76, v77, v161
	v_min3_f32 v77, v72, v73, v160
	v_pk_add_f32 v[72:73], v[12:13], v[68:69]
	s_nop 0
	v_min3_f32 v159, v72, v73, v159
	v_pk_add_f32 v[72:73], v[8:9], v[68:69]
	s_nop 0
	;; [unrolled: 10-line block ×13, first 2 shown]
	v_min3_f32 v108, v28, v29, v108
	v_pk_add_f32 v[28:29], v[4:5], v[24:25]
	v_pk_add_f32 v[24:25], v[0:1], v[24:25]
	v_min3_f32 v107, v28, v29, v107
	v_min3_f32 v106, v24, v25, v106
	v_pk_add_f32 v[24:25], v[12:13], v[20:21]
	v_pk_add_f32 v[12:13], v[12:13], v[16:17]
	v_min3_f32 v105, v24, v25, v105
	v_pk_add_f32 v[24:25], v[8:9], v[20:21]
	v_min3_f32 v12, v12, v13, v100
	v_min3_f32 v104, v24, v25, v104
	v_pk_add_f32 v[24:25], v[4:5], v[20:21]
	v_pk_add_f32 v[20:21], v[0:1], v[20:21]
	;; [unrolled: 1-line block ×4, first 2 shown]
	v_min3_f32 v4, v4, v5, v98
	v_min3_f32 v5, v0, v1, v101
	v_pk_add_f32 v[0:1], v[14:15], v[78:79]
	v_min3_f32 v103, v24, v25, v103
	v_min3_f32 v24, v0, v1, v96
	v_pk_add_f32 v[0:1], v[10:11], v[78:79]
	;; [unrolled: 3-line block ×3, first 2 shown]
	v_pk_add_f32 v[8:9], v[8:9], v[16:17]
	v_min3_f32 v28, v0, v1, v94
	v_pk_add_f32 v[0:1], v[2:3], v[78:79]
	v_min3_f32 v8, v8, v9, v99
	v_min3_f32 v29, v0, v1, v95
	v_pk_add_f32 v[0:1], v[14:15], v[74:75]
	s_nop 0
	v_min3_f32 v32, v0, v1, v163
	v_pk_add_f32 v[0:1], v[10:11], v[74:75]
	s_nop 0
	;; [unrolled: 3-line block ×60, first 2 shown]
	v_min3_f32 v101, v0, v1, v5
	s_and_saveexec_b64 s[8:9], s[24:25]
	s_cbranch_execz .LBB64_27
; %bb.43:                               ;   in Loop: Header=BB64_28 Depth=1
	flat_load_dword v92, v[90:91] offset:48
	s_branch .LBB64_27
.LBB64_44:
	s_load_dwordx2 s[4:5], s[0:1], 0x70
	s_load_dword s25, s[0:1], 0x50
	s_load_dword s24, s[0:1], 0x68
	ds_read_b128 v[16:19], v140 offset:2048
	ds_read_b128 v[12:15], v140 offset:2560
	;; [unrolled: 1-line block ×20, first 2 shown]
	v_add_u32_e32 v92, s30, v132
	s_waitcnt lgkmcnt(0)
	s_mul_i32 s0, s3, s5
	s_mul_hi_u32 s1, s3, s4
	s_mul_i32 s5, s23, s4
	s_add_i32 s0, s1, s0
	s_add_i32 s1, s0, s5
	s_mul_i32 s0, s3, s4
	s_lshl_b64 s[0:1], s[0:1], 2
	s_add_u32 s14, s18, s0
	s_addc_u32 s15, s19, s1
	v_mad_i64_i32 v[82:83], s[0:1], v92, s25, 0
	v_add_u32_e32 v80, s2, v131
	v_lshl_add_u64 v[90:91], v[82:83], 2, s[16:17]
	v_mad_i64_i32 v[82:83], s[0:1], v92, s24, 0
	v_cmp_gt_i32_e64 s[2:3], s12, v80
	v_cmp_gt_i32_e64 s[10:11], s13, v92
	v_lshl_add_u64 v[88:89], v[82:83], 2, s[14:15]
	v_cndmask_b32_e64 v82, 0, 1, s[20:21]
	v_ashrrev_i32_e32 v81, 31, v80
	s_and_b64 s[6:7], s[2:3], s[10:11]
	v_cmp_ne_u32_e64 s[0:1], 1, v82
	s_and_saveexec_b64 s[4:5], s[6:7]
	s_cbranch_execz .LBB64_49
; %bb.45:
	s_and_b64 vcc, exec, s[0:1]
	s_cbranch_vccnz .LBB64_47
; %bb.46:
	v_lshl_add_u64 v[82:83], v[80:81], 2, v[90:91]
	flat_load_dword v82, v[82:83]
	s_waitcnt vmcnt(0) lgkmcnt(0)
	v_mul_f32_e32 v82, s22, v82
	s_branch .LBB64_48
.LBB64_47:
	v_mov_b32_e32 v82, 0
.LBB64_48:
	v_pk_add_f32 v[84:85], v[16:17], v[76:77]
	s_nop 0
	v_min3_f32 v83, v84, v85, v167
	v_pk_add_f32 v[84:85], v[18:19], v[78:79]
	s_nop 0
	v_min_f32_e32 v84, v84, v85
	v_min3_f32 v84, v82, v84, v83
	v_lshl_add_u64 v[82:83], v[80:81], 2, v[88:89]
	global_store_dword v[82:83], v84, off
.LBB64_49:
	s_or_b64 exec, exec, s[4:5]
	v_add_u32_e32 v82, 32, v80
	v_cmp_gt_i32_e64 s[4:5], s12, v82
	v_ashrrev_i32_e32 v83, 31, v82
	s_and_b64 s[8:9], s[4:5], s[10:11]
	s_and_saveexec_b64 s[6:7], s[8:9]
	s_cbranch_execz .LBB64_54
; %bb.50:
	s_and_b64 vcc, exec, s[0:1]
	s_cbranch_vccnz .LBB64_52
; %bb.51:
	v_lshl_add_u64 v[84:85], v[82:83], 2, v[90:91]
	flat_load_dword v84, v[84:85]
	s_waitcnt vmcnt(0) lgkmcnt(0)
	v_mul_f32_e32 v84, s22, v84
	s_branch .LBB64_53
.LBB64_52:
	v_mov_b32_e32 v84, 0
.LBB64_53:
	v_pk_add_f32 v[86:87], v[12:13], v[76:77]
	s_nop 0
	v_min3_f32 v85, v86, v87, v166
	v_pk_add_f32 v[86:87], v[14:15], v[78:79]
	s_nop 0
	v_min_f32_e32 v86, v86, v87
	v_min3_f32 v86, v84, v86, v85
	v_lshl_add_u64 v[84:85], v[82:83], 2, v[88:89]
	global_store_dword v[84:85], v86, off
.LBB64_54:
	s_or_b64 exec, exec, s[6:7]
	v_add_u32_e32 v84, 64, v80
	v_cmp_gt_i32_e64 s[6:7], s12, v84
	v_ashrrev_i32_e32 v85, 31, v84
	s_and_b64 s[18:19], s[6:7], s[10:11]
	;; [unrolled: 29-line block ×3, first 2 shown]
	s_and_saveexec_b64 s[10:11], s[18:19]
	s_cbranch_execz .LBB64_64
; %bb.60:
	s_and_b64 vcc, exec, s[0:1]
	s_cbranch_vccnz .LBB64_62
; %bb.61:
	v_lshl_add_u64 v[90:91], v[86:87], 2, v[90:91]
	flat_load_dword v90, v[90:91]
	s_waitcnt vmcnt(0) lgkmcnt(0)
	v_mul_f32_e32 v90, s22, v90
	s_branch .LBB64_63
.LBB64_62:
	v_mov_b32_e32 v90, 0
.LBB64_63:
	v_pk_add_f32 v[76:77], v[0:1], v[76:77]
	s_nop 0
	v_min3_f32 v91, v76, v77, v164
	v_pk_add_f32 v[76:77], v[2:3], v[78:79]
	s_nop 0
	v_min_f32_e32 v76, v76, v77
	v_min3_f32 v78, v90, v76, v91
	v_lshl_add_u64 v[76:77], v[86:87], 2, v[88:89]
	global_store_dword v[76:77], v78, off
.LBB64_64:
	s_or_b64 exec, exec, s[10:11]
	v_add_u32_e32 v88, 8, v92
	v_mad_i64_i32 v[76:77], s[18:19], v88, s25, 0
	v_cmp_gt_i32_e64 s[10:11], s13, v88
	v_lshl_add_u64 v[78:79], v[76:77], 2, s[16:17]
	v_mad_i64_i32 v[76:77], s[18:19], v88, s24, 0
	v_lshl_add_u64 v[76:77], v[76:77], 2, s[14:15]
	s_and_b64 s[20:21], s[2:3], s[10:11]
	s_and_saveexec_b64 s[18:19], s[20:21]
	s_cbranch_execnz .LBB64_68
; %bb.65:
	s_or_b64 exec, exec, s[18:19]
	s_and_b64 s[20:21], s[4:5], s[10:11]
	s_and_saveexec_b64 s[18:19], s[20:21]
	s_cbranch_execnz .LBB64_72
.LBB64_66:
	s_or_b64 exec, exec, s[18:19]
	s_and_b64 s[20:21], s[6:7], s[10:11]
	s_and_saveexec_b64 s[18:19], s[20:21]
	s_cbranch_execnz .LBB64_76
.LBB64_67:
	s_or_b64 exec, exec, s[18:19]
	s_and_b64 s[18:19], s[8:9], s[10:11]
	s_and_saveexec_b64 s[10:11], s[18:19]
	s_cbranch_execnz .LBB64_80
	s_branch .LBB64_84
.LBB64_68:
	s_and_b64 vcc, exec, s[0:1]
	s_cbranch_vccnz .LBB64_70
; %bb.69:
	v_lshl_add_u64 v[88:89], v[80:81], 2, v[78:79]
	flat_load_dword v88, v[88:89]
	s_waitcnt vmcnt(0) lgkmcnt(0)
	v_mul_f32_e32 v88, s22, v88
	s_branch .LBB64_71
.LBB64_70:
	v_mov_b32_e32 v88, 0
.LBB64_71:
	v_pk_add_f32 v[90:91], v[16:17], v[72:73]
	s_nop 0
	v_min3_f32 v89, v90, v91, v163
	v_pk_add_f32 v[90:91], v[18:19], v[74:75]
	s_nop 0
	v_min_f32_e32 v90, v90, v91
	v_min3_f32 v90, v88, v90, v89
	v_lshl_add_u64 v[88:89], v[80:81], 2, v[76:77]
	global_store_dword v[88:89], v90, off
	s_or_b64 exec, exec, s[18:19]
	s_and_b64 s[20:21], s[4:5], s[10:11]
	s_and_saveexec_b64 s[18:19], s[20:21]
	s_cbranch_execz .LBB64_66
.LBB64_72:
	s_and_b64 vcc, exec, s[0:1]
	s_cbranch_vccnz .LBB64_74
; %bb.73:
	v_lshl_add_u64 v[88:89], v[82:83], 2, v[78:79]
	flat_load_dword v88, v[88:89]
	s_waitcnt vmcnt(0) lgkmcnt(0)
	v_mul_f32_e32 v88, s22, v88
	s_branch .LBB64_75
.LBB64_74:
	v_mov_b32_e32 v88, 0
.LBB64_75:
	v_pk_add_f32 v[90:91], v[12:13], v[72:73]
	s_nop 0
	v_min3_f32 v89, v90, v91, v162
	v_pk_add_f32 v[90:91], v[14:15], v[74:75]
	s_nop 0
	v_min_f32_e32 v90, v90, v91
	v_min3_f32 v90, v88, v90, v89
	v_lshl_add_u64 v[88:89], v[82:83], 2, v[76:77]
	global_store_dword v[88:89], v90, off
	s_or_b64 exec, exec, s[18:19]
	s_and_b64 s[20:21], s[6:7], s[10:11]
	s_and_saveexec_b64 s[18:19], s[20:21]
	s_cbranch_execz .LBB64_67
.LBB64_76:
	s_and_b64 vcc, exec, s[0:1]
	s_cbranch_vccnz .LBB64_78
; %bb.77:
	v_lshl_add_u64 v[88:89], v[84:85], 2, v[78:79]
	flat_load_dword v88, v[88:89]
	s_waitcnt vmcnt(0) lgkmcnt(0)
	v_mul_f32_e32 v88, s22, v88
	s_branch .LBB64_79
.LBB64_78:
	v_mov_b32_e32 v88, 0
.LBB64_79:
	v_pk_add_f32 v[90:91], v[8:9], v[72:73]
	s_nop 0
	v_min3_f32 v89, v90, v91, v161
	v_pk_add_f32 v[90:91], v[10:11], v[74:75]
	s_nop 0
	v_min_f32_e32 v90, v90, v91
	v_min3_f32 v90, v88, v90, v89
	v_lshl_add_u64 v[88:89], v[84:85], 2, v[76:77]
	global_store_dword v[88:89], v90, off
	s_or_b64 exec, exec, s[18:19]
	s_and_b64 s[18:19], s[8:9], s[10:11]
	s_and_saveexec_b64 s[10:11], s[18:19]
	s_cbranch_execz .LBB64_84
.LBB64_80:
	s_and_b64 vcc, exec, s[0:1]
	s_cbranch_vccnz .LBB64_82
; %bb.81:
	v_lshl_add_u64 v[78:79], v[86:87], 2, v[78:79]
	flat_load_dword v78, v[78:79]
	s_waitcnt vmcnt(0) lgkmcnt(0)
	v_mul_f32_e32 v78, s22, v78
	s_branch .LBB64_83
.LBB64_82:
	v_mov_b32_e32 v78, 0
.LBB64_83:
	v_pk_add_f32 v[72:73], v[0:1], v[72:73]
	s_nop 0
	v_min3_f32 v79, v72, v73, v160
	v_pk_add_f32 v[72:73], v[2:3], v[74:75]
	s_nop 0
	v_min_f32_e32 v72, v72, v73
	v_min3_f32 v74, v78, v72, v79
	v_lshl_add_u64 v[72:73], v[86:87], 2, v[76:77]
	global_store_dword v[72:73], v74, off
.LBB64_84:
	s_or_b64 exec, exec, s[10:11]
	v_add_u32_e32 v76, 16, v92
	v_mad_i64_i32 v[72:73], s[18:19], v76, s25, 0
	v_cmp_gt_i32_e64 s[10:11], s13, v76
	v_lshl_add_u64 v[74:75], v[72:73], 2, s[16:17]
	v_mad_i64_i32 v[72:73], s[18:19], v76, s24, 0
	v_lshl_add_u64 v[72:73], v[72:73], 2, s[14:15]
	s_and_b64 s[20:21], s[2:3], s[10:11]
	s_and_saveexec_b64 s[18:19], s[20:21]
	s_cbranch_execnz .LBB64_88
; %bb.85:
	s_or_b64 exec, exec, s[18:19]
	s_and_b64 s[20:21], s[4:5], s[10:11]
	s_and_saveexec_b64 s[18:19], s[20:21]
	s_cbranch_execnz .LBB64_92
.LBB64_86:
	s_or_b64 exec, exec, s[18:19]
	s_and_b64 s[20:21], s[6:7], s[10:11]
	s_and_saveexec_b64 s[18:19], s[20:21]
	s_cbranch_execnz .LBB64_96
.LBB64_87:
	s_or_b64 exec, exec, s[18:19]
	s_and_b64 s[18:19], s[8:9], s[10:11]
	s_and_saveexec_b64 s[10:11], s[18:19]
	s_cbranch_execnz .LBB64_100
	s_branch .LBB64_104
.LBB64_88:
	s_and_b64 vcc, exec, s[0:1]
	s_cbranch_vccnz .LBB64_90
; %bb.89:
	v_lshl_add_u64 v[76:77], v[80:81], 2, v[74:75]
	flat_load_dword v76, v[76:77]
	s_waitcnt vmcnt(0) lgkmcnt(0)
	v_mul_f32_e32 v76, s22, v76
	s_branch .LBB64_91
.LBB64_90:
	v_mov_b32_e32 v76, 0
.LBB64_91:
	v_pk_add_f32 v[78:79], v[16:17], v[68:69]
	s_nop 0
	v_min3_f32 v77, v78, v79, v159
	v_pk_add_f32 v[78:79], v[18:19], v[70:71]
	s_nop 0
	v_min_f32_e32 v78, v78, v79
	v_min3_f32 v78, v76, v78, v77
	v_lshl_add_u64 v[76:77], v[80:81], 2, v[72:73]
	global_store_dword v[76:77], v78, off
	s_or_b64 exec, exec, s[18:19]
	s_and_b64 s[20:21], s[4:5], s[10:11]
	s_and_saveexec_b64 s[18:19], s[20:21]
	s_cbranch_execz .LBB64_86
.LBB64_92:
	s_and_b64 vcc, exec, s[0:1]
	s_cbranch_vccnz .LBB64_94
; %bb.93:
	v_lshl_add_u64 v[76:77], v[82:83], 2, v[74:75]
	flat_load_dword v76, v[76:77]
	s_waitcnt vmcnt(0) lgkmcnt(0)
	v_mul_f32_e32 v76, s22, v76
	s_branch .LBB64_95
.LBB64_94:
	v_mov_b32_e32 v76, 0
.LBB64_95:
	v_pk_add_f32 v[78:79], v[12:13], v[68:69]
	s_nop 0
	v_min3_f32 v77, v78, v79, v158
	v_pk_add_f32 v[78:79], v[14:15], v[70:71]
	s_nop 0
	v_min_f32_e32 v78, v78, v79
	v_min3_f32 v78, v76, v78, v77
	v_lshl_add_u64 v[76:77], v[82:83], 2, v[72:73]
	global_store_dword v[76:77], v78, off
	s_or_b64 exec, exec, s[18:19]
	s_and_b64 s[20:21], s[6:7], s[10:11]
	s_and_saveexec_b64 s[18:19], s[20:21]
	s_cbranch_execz .LBB64_87
.LBB64_96:
	s_and_b64 vcc, exec, s[0:1]
	s_cbranch_vccnz .LBB64_98
; %bb.97:
	v_lshl_add_u64 v[76:77], v[84:85], 2, v[74:75]
	flat_load_dword v76, v[76:77]
	s_waitcnt vmcnt(0) lgkmcnt(0)
	v_mul_f32_e32 v76, s22, v76
	s_branch .LBB64_99
.LBB64_98:
	v_mov_b32_e32 v76, 0
.LBB64_99:
	v_pk_add_f32 v[78:79], v[8:9], v[68:69]
	s_nop 0
	v_min3_f32 v77, v78, v79, v157
	v_pk_add_f32 v[78:79], v[10:11], v[70:71]
	s_nop 0
	v_min_f32_e32 v78, v78, v79
	v_min3_f32 v78, v76, v78, v77
	v_lshl_add_u64 v[76:77], v[84:85], 2, v[72:73]
	global_store_dword v[76:77], v78, off
	s_or_b64 exec, exec, s[18:19]
	s_and_b64 s[18:19], s[8:9], s[10:11]
	s_and_saveexec_b64 s[10:11], s[18:19]
	s_cbranch_execz .LBB64_104
.LBB64_100:
	s_and_b64 vcc, exec, s[0:1]
	s_cbranch_vccnz .LBB64_102
; %bb.101:
	v_lshl_add_u64 v[74:75], v[86:87], 2, v[74:75]
	flat_load_dword v74, v[74:75]
	s_waitcnt vmcnt(0) lgkmcnt(0)
	v_mul_f32_e32 v74, s22, v74
	s_branch .LBB64_103
.LBB64_102:
	v_mov_b32_e32 v74, 0
.LBB64_103:
	v_pk_add_f32 v[68:69], v[0:1], v[68:69]
	s_nop 0
	v_min3_f32 v75, v68, v69, v156
	v_pk_add_f32 v[68:69], v[2:3], v[70:71]
	s_nop 0
	v_min_f32_e32 v68, v68, v69
	v_min3_f32 v70, v74, v68, v75
	v_lshl_add_u64 v[68:69], v[86:87], 2, v[72:73]
	global_store_dword v[68:69], v70, off
.LBB64_104:
	s_or_b64 exec, exec, s[10:11]
	v_add_u32_e32 v72, 24, v92
	v_mad_i64_i32 v[68:69], s[18:19], v72, s25, 0
	v_cmp_gt_i32_e64 s[10:11], s13, v72
	v_lshl_add_u64 v[70:71], v[68:69], 2, s[16:17]
	v_mad_i64_i32 v[68:69], s[18:19], v72, s24, 0
	v_lshl_add_u64 v[68:69], v[68:69], 2, s[14:15]
	s_and_b64 s[20:21], s[2:3], s[10:11]
	s_and_saveexec_b64 s[18:19], s[20:21]
	s_cbranch_execnz .LBB64_108
; %bb.105:
	s_or_b64 exec, exec, s[18:19]
	s_and_b64 s[20:21], s[4:5], s[10:11]
	s_and_saveexec_b64 s[18:19], s[20:21]
	s_cbranch_execnz .LBB64_112
.LBB64_106:
	s_or_b64 exec, exec, s[18:19]
	s_and_b64 s[20:21], s[6:7], s[10:11]
	s_and_saveexec_b64 s[18:19], s[20:21]
	s_cbranch_execnz .LBB64_116
.LBB64_107:
	s_or_b64 exec, exec, s[18:19]
	s_and_b64 s[18:19], s[8:9], s[10:11]
	s_and_saveexec_b64 s[10:11], s[18:19]
	s_cbranch_execnz .LBB64_120
	s_branch .LBB64_124
.LBB64_108:
	s_and_b64 vcc, exec, s[0:1]
	s_cbranch_vccnz .LBB64_110
; %bb.109:
	v_lshl_add_u64 v[72:73], v[80:81], 2, v[70:71]
	flat_load_dword v72, v[72:73]
	s_waitcnt vmcnt(0) lgkmcnt(0)
	v_mul_f32_e32 v72, s22, v72
	s_branch .LBB64_111
.LBB64_110:
	v_mov_b32_e32 v72, 0
.LBB64_111:
	v_pk_add_f32 v[74:75], v[16:17], v[64:65]
	s_nop 0
	v_min3_f32 v73, v74, v75, v155
	v_pk_add_f32 v[74:75], v[18:19], v[66:67]
	s_nop 0
	v_min_f32_e32 v74, v74, v75
	v_min3_f32 v74, v72, v74, v73
	v_lshl_add_u64 v[72:73], v[80:81], 2, v[68:69]
	global_store_dword v[72:73], v74, off
	s_or_b64 exec, exec, s[18:19]
	s_and_b64 s[20:21], s[4:5], s[10:11]
	s_and_saveexec_b64 s[18:19], s[20:21]
	s_cbranch_execz .LBB64_106
.LBB64_112:
	s_and_b64 vcc, exec, s[0:1]
	s_cbranch_vccnz .LBB64_114
; %bb.113:
	v_lshl_add_u64 v[72:73], v[82:83], 2, v[70:71]
	flat_load_dword v72, v[72:73]
	s_waitcnt vmcnt(0) lgkmcnt(0)
	v_mul_f32_e32 v72, s22, v72
	s_branch .LBB64_115
.LBB64_114:
	v_mov_b32_e32 v72, 0
.LBB64_115:
	v_pk_add_f32 v[74:75], v[12:13], v[64:65]
	s_nop 0
	v_min3_f32 v73, v74, v75, v154
	v_pk_add_f32 v[74:75], v[14:15], v[66:67]
	s_nop 0
	v_min_f32_e32 v74, v74, v75
	v_min3_f32 v74, v72, v74, v73
	v_lshl_add_u64 v[72:73], v[82:83], 2, v[68:69]
	global_store_dword v[72:73], v74, off
	s_or_b64 exec, exec, s[18:19]
	s_and_b64 s[20:21], s[6:7], s[10:11]
	s_and_saveexec_b64 s[18:19], s[20:21]
	s_cbranch_execz .LBB64_107
.LBB64_116:
	s_and_b64 vcc, exec, s[0:1]
	s_cbranch_vccnz .LBB64_118
; %bb.117:
	v_lshl_add_u64 v[72:73], v[84:85], 2, v[70:71]
	flat_load_dword v72, v[72:73]
	s_waitcnt vmcnt(0) lgkmcnt(0)
	v_mul_f32_e32 v72, s22, v72
	s_branch .LBB64_119
.LBB64_118:
	v_mov_b32_e32 v72, 0
.LBB64_119:
	v_pk_add_f32 v[74:75], v[8:9], v[64:65]
	s_nop 0
	v_min3_f32 v73, v74, v75, v153
	v_pk_add_f32 v[74:75], v[10:11], v[66:67]
	s_nop 0
	v_min_f32_e32 v74, v74, v75
	v_min3_f32 v74, v72, v74, v73
	v_lshl_add_u64 v[72:73], v[84:85], 2, v[68:69]
	global_store_dword v[72:73], v74, off
	s_or_b64 exec, exec, s[18:19]
	s_and_b64 s[18:19], s[8:9], s[10:11]
	s_and_saveexec_b64 s[10:11], s[18:19]
	s_cbranch_execz .LBB64_124
.LBB64_120:
	s_and_b64 vcc, exec, s[0:1]
	s_cbranch_vccnz .LBB64_122
; %bb.121:
	v_lshl_add_u64 v[70:71], v[86:87], 2, v[70:71]
	flat_load_dword v70, v[70:71]
	s_waitcnt vmcnt(0) lgkmcnt(0)
	v_mul_f32_e32 v70, s22, v70
	s_branch .LBB64_123
.LBB64_122:
	v_mov_b32_e32 v70, 0
.LBB64_123:
	v_pk_add_f32 v[64:65], v[0:1], v[64:65]
	s_nop 0
	v_min3_f32 v71, v64, v65, v152
	v_pk_add_f32 v[64:65], v[2:3], v[66:67]
	s_nop 0
	v_min_f32_e32 v64, v64, v65
	v_min3_f32 v66, v70, v64, v71
	v_lshl_add_u64 v[64:65], v[86:87], 2, v[68:69]
	global_store_dword v[64:65], v66, off
.LBB64_124:
	s_or_b64 exec, exec, s[10:11]
	v_add_u32_e32 v68, 32, v92
	v_mad_i64_i32 v[64:65], s[18:19], v68, s25, 0
	v_cmp_gt_i32_e64 s[10:11], s13, v68
	v_lshl_add_u64 v[66:67], v[64:65], 2, s[16:17]
	v_mad_i64_i32 v[64:65], s[18:19], v68, s24, 0
	v_lshl_add_u64 v[64:65], v[64:65], 2, s[14:15]
	s_and_b64 s[20:21], s[2:3], s[10:11]
	s_and_saveexec_b64 s[18:19], s[20:21]
	s_cbranch_execnz .LBB64_128
; %bb.125:
	s_or_b64 exec, exec, s[18:19]
	s_and_b64 s[20:21], s[4:5], s[10:11]
	s_and_saveexec_b64 s[18:19], s[20:21]
	s_cbranch_execnz .LBB64_132
.LBB64_126:
	s_or_b64 exec, exec, s[18:19]
	s_and_b64 s[20:21], s[6:7], s[10:11]
	s_and_saveexec_b64 s[18:19], s[20:21]
	s_cbranch_execnz .LBB64_136
.LBB64_127:
	s_or_b64 exec, exec, s[18:19]
	s_and_b64 s[18:19], s[8:9], s[10:11]
	s_and_saveexec_b64 s[10:11], s[18:19]
	s_cbranch_execnz .LBB64_140
	s_branch .LBB64_144
.LBB64_128:
	s_and_b64 vcc, exec, s[0:1]
	s_cbranch_vccnz .LBB64_130
; %bb.129:
	v_lshl_add_u64 v[68:69], v[80:81], 2, v[66:67]
	flat_load_dword v68, v[68:69]
	s_waitcnt vmcnt(0) lgkmcnt(0)
	v_mul_f32_e32 v68, s22, v68
	s_branch .LBB64_131
.LBB64_130:
	v_mov_b32_e32 v68, 0
.LBB64_131:
	v_pk_add_f32 v[70:71], v[16:17], v[60:61]
	s_nop 0
	v_min3_f32 v69, v70, v71, v151
	v_pk_add_f32 v[70:71], v[18:19], v[62:63]
	s_nop 0
	v_min_f32_e32 v70, v70, v71
	v_min3_f32 v70, v68, v70, v69
	v_lshl_add_u64 v[68:69], v[80:81], 2, v[64:65]
	global_store_dword v[68:69], v70, off
	s_or_b64 exec, exec, s[18:19]
	s_and_b64 s[20:21], s[4:5], s[10:11]
	s_and_saveexec_b64 s[18:19], s[20:21]
	s_cbranch_execz .LBB64_126
.LBB64_132:
	s_and_b64 vcc, exec, s[0:1]
	s_cbranch_vccnz .LBB64_134
; %bb.133:
	v_lshl_add_u64 v[68:69], v[82:83], 2, v[66:67]
	flat_load_dword v68, v[68:69]
	s_waitcnt vmcnt(0) lgkmcnt(0)
	v_mul_f32_e32 v68, s22, v68
	s_branch .LBB64_135
.LBB64_134:
	v_mov_b32_e32 v68, 0
.LBB64_135:
	v_pk_add_f32 v[70:71], v[12:13], v[60:61]
	s_nop 0
	v_min3_f32 v69, v70, v71, v149
	v_pk_add_f32 v[70:71], v[14:15], v[62:63]
	s_nop 0
	v_min_f32_e32 v70, v70, v71
	v_min3_f32 v70, v68, v70, v69
	v_lshl_add_u64 v[68:69], v[82:83], 2, v[64:65]
	global_store_dword v[68:69], v70, off
	s_or_b64 exec, exec, s[18:19]
	s_and_b64 s[20:21], s[6:7], s[10:11]
	s_and_saveexec_b64 s[18:19], s[20:21]
	s_cbranch_execz .LBB64_127
.LBB64_136:
	s_and_b64 vcc, exec, s[0:1]
	s_cbranch_vccnz .LBB64_138
; %bb.137:
	v_lshl_add_u64 v[68:69], v[84:85], 2, v[66:67]
	flat_load_dword v68, v[68:69]
	s_waitcnt vmcnt(0) lgkmcnt(0)
	v_mul_f32_e32 v68, s22, v68
	s_branch .LBB64_139
.LBB64_138:
	v_mov_b32_e32 v68, 0
.LBB64_139:
	v_pk_add_f32 v[70:71], v[8:9], v[60:61]
	s_nop 0
	v_min3_f32 v69, v70, v71, v148
	v_pk_add_f32 v[70:71], v[10:11], v[62:63]
	s_nop 0
	v_min_f32_e32 v70, v70, v71
	v_min3_f32 v70, v68, v70, v69
	v_lshl_add_u64 v[68:69], v[84:85], 2, v[64:65]
	global_store_dword v[68:69], v70, off
	s_or_b64 exec, exec, s[18:19]
	s_and_b64 s[18:19], s[8:9], s[10:11]
	s_and_saveexec_b64 s[10:11], s[18:19]
	s_cbranch_execz .LBB64_144
.LBB64_140:
	s_and_b64 vcc, exec, s[0:1]
	s_cbranch_vccnz .LBB64_142
; %bb.141:
	v_lshl_add_u64 v[66:67], v[86:87], 2, v[66:67]
	flat_load_dword v66, v[66:67]
	s_waitcnt vmcnt(0) lgkmcnt(0)
	v_mul_f32_e32 v66, s22, v66
	s_branch .LBB64_143
.LBB64_142:
	v_mov_b32_e32 v66, 0
.LBB64_143:
	v_pk_add_f32 v[60:61], v[0:1], v[60:61]
	s_nop 0
	v_min3_f32 v67, v60, v61, v147
	v_pk_add_f32 v[60:61], v[2:3], v[62:63]
	s_nop 0
	v_min_f32_e32 v60, v60, v61
	v_min3_f32 v62, v66, v60, v67
	v_lshl_add_u64 v[60:61], v[86:87], 2, v[64:65]
	global_store_dword v[60:61], v62, off
.LBB64_144:
	s_or_b64 exec, exec, s[10:11]
	v_add_u32_e32 v64, 40, v92
	v_mad_i64_i32 v[60:61], s[18:19], v64, s25, 0
	v_cmp_gt_i32_e64 s[10:11], s13, v64
	v_lshl_add_u64 v[62:63], v[60:61], 2, s[16:17]
	v_mad_i64_i32 v[60:61], s[18:19], v64, s24, 0
	v_lshl_add_u64 v[60:61], v[60:61], 2, s[14:15]
	s_and_b64 s[20:21], s[2:3], s[10:11]
	s_and_saveexec_b64 s[18:19], s[20:21]
	s_cbranch_execnz .LBB64_148
; %bb.145:
	s_or_b64 exec, exec, s[18:19]
	s_and_b64 s[20:21], s[4:5], s[10:11]
	s_and_saveexec_b64 s[18:19], s[20:21]
	s_cbranch_execnz .LBB64_152
.LBB64_146:
	s_or_b64 exec, exec, s[18:19]
	s_and_b64 s[20:21], s[6:7], s[10:11]
	s_and_saveexec_b64 s[18:19], s[20:21]
	s_cbranch_execnz .LBB64_156
.LBB64_147:
	s_or_b64 exec, exec, s[18:19]
	s_and_b64 s[18:19], s[8:9], s[10:11]
	s_and_saveexec_b64 s[10:11], s[18:19]
	s_cbranch_execnz .LBB64_160
	s_branch .LBB64_164
.LBB64_148:
	s_and_b64 vcc, exec, s[0:1]
	s_cbranch_vccnz .LBB64_150
; %bb.149:
	v_lshl_add_u64 v[64:65], v[80:81], 2, v[62:63]
	flat_load_dword v64, v[64:65]
	s_waitcnt vmcnt(0) lgkmcnt(0)
	v_mul_f32_e32 v64, s22, v64
	s_branch .LBB64_151
.LBB64_150:
	v_mov_b32_e32 v64, 0
.LBB64_151:
	v_pk_add_f32 v[66:67], v[16:17], v[56:57]
	s_nop 0
	v_min3_f32 v65, v66, v67, v146
	v_pk_add_f32 v[66:67], v[18:19], v[58:59]
	s_nop 0
	v_min_f32_e32 v66, v66, v67
	v_min3_f32 v66, v64, v66, v65
	v_lshl_add_u64 v[64:65], v[80:81], 2, v[60:61]
	global_store_dword v[64:65], v66, off
	s_or_b64 exec, exec, s[18:19]
	s_and_b64 s[20:21], s[4:5], s[10:11]
	s_and_saveexec_b64 s[18:19], s[20:21]
	s_cbranch_execz .LBB64_146
.LBB64_152:
	s_and_b64 vcc, exec, s[0:1]
	s_cbranch_vccnz .LBB64_154
; %bb.153:
	v_lshl_add_u64 v[64:65], v[82:83], 2, v[62:63]
	flat_load_dword v64, v[64:65]
	s_waitcnt vmcnt(0) lgkmcnt(0)
	v_mul_f32_e32 v64, s22, v64
	s_branch .LBB64_155
.LBB64_154:
	v_mov_b32_e32 v64, 0
.LBB64_155:
	v_pk_add_f32 v[66:67], v[12:13], v[56:57]
	s_nop 0
	v_min3_f32 v65, v66, v67, v145
	v_pk_add_f32 v[66:67], v[14:15], v[58:59]
	s_nop 0
	v_min_f32_e32 v66, v66, v67
	v_min3_f32 v66, v64, v66, v65
	v_lshl_add_u64 v[64:65], v[82:83], 2, v[60:61]
	global_store_dword v[64:65], v66, off
	s_or_b64 exec, exec, s[18:19]
	s_and_b64 s[20:21], s[6:7], s[10:11]
	s_and_saveexec_b64 s[18:19], s[20:21]
	s_cbranch_execz .LBB64_147
.LBB64_156:
	s_and_b64 vcc, exec, s[0:1]
	s_cbranch_vccnz .LBB64_158
; %bb.157:
	v_lshl_add_u64 v[64:65], v[84:85], 2, v[62:63]
	flat_load_dword v64, v[64:65]
	s_waitcnt vmcnt(0) lgkmcnt(0)
	v_mul_f32_e32 v64, s22, v64
	s_branch .LBB64_159
.LBB64_158:
	v_mov_b32_e32 v64, 0
.LBB64_159:
	v_pk_add_f32 v[66:67], v[8:9], v[56:57]
	s_nop 0
	v_min3_f32 v65, v66, v67, v144
	v_pk_add_f32 v[66:67], v[10:11], v[58:59]
	s_nop 0
	v_min_f32_e32 v66, v66, v67
	v_min3_f32 v66, v64, v66, v65
	v_lshl_add_u64 v[64:65], v[84:85], 2, v[60:61]
	global_store_dword v[64:65], v66, off
	s_or_b64 exec, exec, s[18:19]
	s_and_b64 s[18:19], s[8:9], s[10:11]
	s_and_saveexec_b64 s[10:11], s[18:19]
	s_cbranch_execz .LBB64_164
.LBB64_160:
	s_and_b64 vcc, exec, s[0:1]
	s_cbranch_vccnz .LBB64_162
; %bb.161:
	v_lshl_add_u64 v[62:63], v[86:87], 2, v[62:63]
	flat_load_dword v62, v[62:63]
	s_waitcnt vmcnt(0) lgkmcnt(0)
	v_mul_f32_e32 v62, s22, v62
	s_branch .LBB64_163
.LBB64_162:
	v_mov_b32_e32 v62, 0
.LBB64_163:
	v_pk_add_f32 v[56:57], v[0:1], v[56:57]
	s_nop 0
	v_min3_f32 v63, v56, v57, v142
	v_pk_add_f32 v[56:57], v[2:3], v[58:59]
	s_nop 0
	v_min_f32_e32 v56, v56, v57
	v_min3_f32 v58, v62, v56, v63
	v_lshl_add_u64 v[56:57], v[86:87], 2, v[60:61]
	global_store_dword v[56:57], v58, off
.LBB64_164:
	s_or_b64 exec, exec, s[10:11]
	v_add_u32_e32 v60, 48, v92
	v_mad_i64_i32 v[56:57], s[18:19], v60, s25, 0
	v_cmp_gt_i32_e64 s[10:11], s13, v60
	v_lshl_add_u64 v[58:59], v[56:57], 2, s[16:17]
	v_mad_i64_i32 v[56:57], s[18:19], v60, s24, 0
	v_lshl_add_u64 v[56:57], v[56:57], 2, s[14:15]
	s_and_b64 s[20:21], s[2:3], s[10:11]
	s_and_saveexec_b64 s[18:19], s[20:21]
	s_cbranch_execnz .LBB64_168
; %bb.165:
	s_or_b64 exec, exec, s[18:19]
	s_and_b64 s[20:21], s[4:5], s[10:11]
	s_and_saveexec_b64 s[18:19], s[20:21]
	s_cbranch_execnz .LBB64_172
.LBB64_166:
	s_or_b64 exec, exec, s[18:19]
	s_and_b64 s[20:21], s[6:7], s[10:11]
	s_and_saveexec_b64 s[18:19], s[20:21]
	s_cbranch_execnz .LBB64_176
.LBB64_167:
	s_or_b64 exec, exec, s[18:19]
	s_and_b64 s[18:19], s[8:9], s[10:11]
	s_and_saveexec_b64 s[10:11], s[18:19]
	s_cbranch_execnz .LBB64_180
	s_branch .LBB64_184
.LBB64_168:
	s_and_b64 vcc, exec, s[0:1]
	s_cbranch_vccnz .LBB64_170
; %bb.169:
	v_lshl_add_u64 v[60:61], v[80:81], 2, v[58:59]
	flat_load_dword v60, v[60:61]
	s_waitcnt vmcnt(0) lgkmcnt(0)
	v_mul_f32_e32 v60, s22, v60
	s_branch .LBB64_171
.LBB64_170:
	v_mov_b32_e32 v60, 0
.LBB64_171:
	v_pk_add_f32 v[62:63], v[16:17], v[52:53]
	s_nop 0
	v_min3_f32 v61, v62, v63, v139
	v_pk_add_f32 v[62:63], v[18:19], v[54:55]
	s_nop 0
	v_min_f32_e32 v62, v62, v63
	v_min3_f32 v62, v60, v62, v61
	v_lshl_add_u64 v[60:61], v[80:81], 2, v[56:57]
	global_store_dword v[60:61], v62, off
	s_or_b64 exec, exec, s[18:19]
	s_and_b64 s[20:21], s[4:5], s[10:11]
	s_and_saveexec_b64 s[18:19], s[20:21]
	s_cbranch_execz .LBB64_166
.LBB64_172:
	s_and_b64 vcc, exec, s[0:1]
	s_cbranch_vccnz .LBB64_174
; %bb.173:
	v_lshl_add_u64 v[60:61], v[82:83], 2, v[58:59]
	flat_load_dword v60, v[60:61]
	s_waitcnt vmcnt(0) lgkmcnt(0)
	v_mul_f32_e32 v60, s22, v60
	s_branch .LBB64_175
.LBB64_174:
	v_mov_b32_e32 v60, 0
.LBB64_175:
	v_pk_add_f32 v[62:63], v[12:13], v[52:53]
	s_nop 0
	v_min3_f32 v61, v62, v63, v138
	v_pk_add_f32 v[62:63], v[14:15], v[54:55]
	s_nop 0
	v_min_f32_e32 v62, v62, v63
	v_min3_f32 v62, v60, v62, v61
	v_lshl_add_u64 v[60:61], v[82:83], 2, v[56:57]
	global_store_dword v[60:61], v62, off
	s_or_b64 exec, exec, s[18:19]
	s_and_b64 s[20:21], s[6:7], s[10:11]
	s_and_saveexec_b64 s[18:19], s[20:21]
	s_cbranch_execz .LBB64_167
.LBB64_176:
	s_and_b64 vcc, exec, s[0:1]
	s_cbranch_vccnz .LBB64_178
; %bb.177:
	v_lshl_add_u64 v[60:61], v[84:85], 2, v[58:59]
	flat_load_dword v60, v[60:61]
	s_waitcnt vmcnt(0) lgkmcnt(0)
	v_mul_f32_e32 v60, s22, v60
	s_branch .LBB64_179
.LBB64_178:
	v_mov_b32_e32 v60, 0
.LBB64_179:
	v_pk_add_f32 v[62:63], v[8:9], v[52:53]
	s_nop 0
	v_min3_f32 v61, v62, v63, v137
	v_pk_add_f32 v[62:63], v[10:11], v[54:55]
	s_nop 0
	v_min_f32_e32 v62, v62, v63
	v_min3_f32 v62, v60, v62, v61
	v_lshl_add_u64 v[60:61], v[84:85], 2, v[56:57]
	global_store_dword v[60:61], v62, off
	s_or_b64 exec, exec, s[18:19]
	s_and_b64 s[18:19], s[8:9], s[10:11]
	s_and_saveexec_b64 s[10:11], s[18:19]
	s_cbranch_execz .LBB64_184
.LBB64_180:
	s_and_b64 vcc, exec, s[0:1]
	s_cbranch_vccnz .LBB64_182
; %bb.181:
	v_lshl_add_u64 v[58:59], v[86:87], 2, v[58:59]
	flat_load_dword v58, v[58:59]
	s_waitcnt vmcnt(0) lgkmcnt(0)
	v_mul_f32_e32 v58, s22, v58
	s_branch .LBB64_183
.LBB64_182:
	v_mov_b32_e32 v58, 0
.LBB64_183:
	v_pk_add_f32 v[52:53], v[0:1], v[52:53]
	s_nop 0
	v_min3_f32 v59, v52, v53, v136
	v_pk_add_f32 v[52:53], v[2:3], v[54:55]
	s_nop 0
	v_min_f32_e32 v52, v52, v53
	v_min3_f32 v54, v58, v52, v59
	v_lshl_add_u64 v[52:53], v[86:87], 2, v[56:57]
	global_store_dword v[52:53], v54, off
.LBB64_184:
	s_or_b64 exec, exec, s[10:11]
	v_add_u32_e32 v56, 56, v92
	v_mad_i64_i32 v[52:53], s[18:19], v56, s25, 0
	v_cmp_gt_i32_e64 s[10:11], s13, v56
	v_lshl_add_u64 v[54:55], v[52:53], 2, s[16:17]
	v_mad_i64_i32 v[52:53], s[18:19], v56, s24, 0
	v_lshl_add_u64 v[52:53], v[52:53], 2, s[14:15]
	s_and_b64 s[20:21], s[2:3], s[10:11]
	s_and_saveexec_b64 s[18:19], s[20:21]
	s_cbranch_execnz .LBB64_188
; %bb.185:
	s_or_b64 exec, exec, s[18:19]
	s_and_b64 s[20:21], s[4:5], s[10:11]
	s_and_saveexec_b64 s[18:19], s[20:21]
	s_cbranch_execnz .LBB64_192
.LBB64_186:
	s_or_b64 exec, exec, s[18:19]
	s_and_b64 s[20:21], s[6:7], s[10:11]
	s_and_saveexec_b64 s[18:19], s[20:21]
	s_cbranch_execnz .LBB64_196
.LBB64_187:
	s_or_b64 exec, exec, s[18:19]
	s_and_b64 s[18:19], s[8:9], s[10:11]
	s_and_saveexec_b64 s[10:11], s[18:19]
	s_cbranch_execnz .LBB64_200
	s_branch .LBB64_204
.LBB64_188:
	s_and_b64 vcc, exec, s[0:1]
	s_cbranch_vccnz .LBB64_190
; %bb.189:
	v_lshl_add_u64 v[56:57], v[80:81], 2, v[54:55]
	flat_load_dword v56, v[56:57]
	s_waitcnt vmcnt(0) lgkmcnt(0)
	v_mul_f32_e32 v56, s22, v56
	s_branch .LBB64_191
.LBB64_190:
	v_mov_b32_e32 v56, 0
.LBB64_191:
	v_pk_add_f32 v[58:59], v[16:17], v[48:49]
	s_nop 0
	v_min3_f32 v57, v58, v59, v135
	v_pk_add_f32 v[58:59], v[18:19], v[50:51]
	s_nop 0
	v_min_f32_e32 v58, v58, v59
	v_min3_f32 v58, v56, v58, v57
	v_lshl_add_u64 v[56:57], v[80:81], 2, v[52:53]
	global_store_dword v[56:57], v58, off
	s_or_b64 exec, exec, s[18:19]
	s_and_b64 s[20:21], s[4:5], s[10:11]
	s_and_saveexec_b64 s[18:19], s[20:21]
	s_cbranch_execz .LBB64_186
.LBB64_192:
	s_and_b64 vcc, exec, s[0:1]
	s_cbranch_vccnz .LBB64_194
; %bb.193:
	v_lshl_add_u64 v[56:57], v[82:83], 2, v[54:55]
	flat_load_dword v56, v[56:57]
	s_waitcnt vmcnt(0) lgkmcnt(0)
	v_mul_f32_e32 v56, s22, v56
	s_branch .LBB64_195
.LBB64_194:
	v_mov_b32_e32 v56, 0
.LBB64_195:
	v_pk_add_f32 v[58:59], v[12:13], v[48:49]
	s_nop 0
	v_min3_f32 v57, v58, v59, v134
	v_pk_add_f32 v[58:59], v[14:15], v[50:51]
	s_nop 0
	v_min_f32_e32 v58, v58, v59
	v_min3_f32 v58, v56, v58, v57
	v_lshl_add_u64 v[56:57], v[82:83], 2, v[52:53]
	global_store_dword v[56:57], v58, off
	s_or_b64 exec, exec, s[18:19]
	s_and_b64 s[20:21], s[6:7], s[10:11]
	s_and_saveexec_b64 s[18:19], s[20:21]
	s_cbranch_execz .LBB64_187
.LBB64_196:
	s_and_b64 vcc, exec, s[0:1]
	s_cbranch_vccnz .LBB64_198
; %bb.197:
	v_lshl_add_u64 v[56:57], v[84:85], 2, v[54:55]
	flat_load_dword v56, v[56:57]
	s_waitcnt vmcnt(0) lgkmcnt(0)
	v_mul_f32_e32 v56, s22, v56
	s_branch .LBB64_199
.LBB64_198:
	v_mov_b32_e32 v56, 0
.LBB64_199:
	v_pk_add_f32 v[58:59], v[8:9], v[48:49]
	s_nop 0
	v_min3_f32 v57, v58, v59, v133
	v_pk_add_f32 v[58:59], v[10:11], v[50:51]
	s_nop 0
	v_min_f32_e32 v58, v58, v59
	v_min3_f32 v58, v56, v58, v57
	v_lshl_add_u64 v[56:57], v[84:85], 2, v[52:53]
	global_store_dword v[56:57], v58, off
	s_or_b64 exec, exec, s[18:19]
	s_and_b64 s[18:19], s[8:9], s[10:11]
	s_and_saveexec_b64 s[10:11], s[18:19]
	s_cbranch_execz .LBB64_204
.LBB64_200:
	s_and_b64 vcc, exec, s[0:1]
	s_cbranch_vccnz .LBB64_202
; %bb.201:
	v_lshl_add_u64 v[54:55], v[86:87], 2, v[54:55]
	flat_load_dword v54, v[54:55]
	s_waitcnt vmcnt(0) lgkmcnt(0)
	v_mul_f32_e32 v54, s22, v54
	s_branch .LBB64_203
.LBB64_202:
	v_mov_b32_e32 v54, 0
.LBB64_203:
	v_pk_add_f32 v[48:49], v[0:1], v[48:49]
	s_nop 0
	v_min3_f32 v55, v48, v49, v130
	v_pk_add_f32 v[48:49], v[2:3], v[50:51]
	s_nop 0
	v_min_f32_e32 v48, v48, v49
	v_min3_f32 v50, v54, v48, v55
	v_lshl_add_u64 v[48:49], v[86:87], 2, v[52:53]
	global_store_dword v[48:49], v50, off
.LBB64_204:
	s_or_b64 exec, exec, s[10:11]
	v_add_u32_e32 v52, 64, v92
	v_mad_i64_i32 v[48:49], s[18:19], v52, s25, 0
	v_cmp_gt_i32_e64 s[10:11], s13, v52
	v_lshl_add_u64 v[50:51], v[48:49], 2, s[16:17]
	v_mad_i64_i32 v[48:49], s[18:19], v52, s24, 0
	v_lshl_add_u64 v[48:49], v[48:49], 2, s[14:15]
	s_and_b64 s[20:21], s[2:3], s[10:11]
	s_and_saveexec_b64 s[18:19], s[20:21]
	s_cbranch_execnz .LBB64_208
; %bb.205:
	s_or_b64 exec, exec, s[18:19]
	s_and_b64 s[20:21], s[4:5], s[10:11]
	s_and_saveexec_b64 s[18:19], s[20:21]
	s_cbranch_execnz .LBB64_212
.LBB64_206:
	s_or_b64 exec, exec, s[18:19]
	s_and_b64 s[20:21], s[6:7], s[10:11]
	s_and_saveexec_b64 s[18:19], s[20:21]
	s_cbranch_execnz .LBB64_216
.LBB64_207:
	s_or_b64 exec, exec, s[18:19]
	s_and_b64 s[18:19], s[8:9], s[10:11]
	s_and_saveexec_b64 s[10:11], s[18:19]
	s_cbranch_execnz .LBB64_220
	s_branch .LBB64_224
.LBB64_208:
	s_and_b64 vcc, exec, s[0:1]
	s_cbranch_vccnz .LBB64_210
; %bb.209:
	v_lshl_add_u64 v[52:53], v[80:81], 2, v[50:51]
	flat_load_dword v52, v[52:53]
	s_waitcnt vmcnt(0) lgkmcnt(0)
	v_mul_f32_e32 v52, s22, v52
	s_branch .LBB64_211
.LBB64_210:
	v_mov_b32_e32 v52, 0
.LBB64_211:
	v_pk_add_f32 v[54:55], v[16:17], v[44:45]
	s_nop 0
	v_min3_f32 v53, v54, v55, v129
	v_pk_add_f32 v[54:55], v[18:19], v[46:47]
	s_nop 0
	v_min_f32_e32 v54, v54, v55
	v_min3_f32 v54, v52, v54, v53
	v_lshl_add_u64 v[52:53], v[80:81], 2, v[48:49]
	global_store_dword v[52:53], v54, off
	s_or_b64 exec, exec, s[18:19]
	s_and_b64 s[20:21], s[4:5], s[10:11]
	s_and_saveexec_b64 s[18:19], s[20:21]
	s_cbranch_execz .LBB64_206
.LBB64_212:
	s_and_b64 vcc, exec, s[0:1]
	s_cbranch_vccnz .LBB64_214
; %bb.213:
	v_lshl_add_u64 v[52:53], v[82:83], 2, v[50:51]
	flat_load_dword v52, v[52:53]
	s_waitcnt vmcnt(0) lgkmcnt(0)
	v_mul_f32_e32 v52, s22, v52
	s_branch .LBB64_215
.LBB64_214:
	v_mov_b32_e32 v52, 0
.LBB64_215:
	v_pk_add_f32 v[54:55], v[12:13], v[44:45]
	s_nop 0
	v_min3_f32 v53, v54, v55, v128
	v_pk_add_f32 v[54:55], v[14:15], v[46:47]
	s_nop 0
	v_min_f32_e32 v54, v54, v55
	v_min3_f32 v54, v52, v54, v53
	v_lshl_add_u64 v[52:53], v[82:83], 2, v[48:49]
	global_store_dword v[52:53], v54, off
	s_or_b64 exec, exec, s[18:19]
	s_and_b64 s[20:21], s[6:7], s[10:11]
	s_and_saveexec_b64 s[18:19], s[20:21]
	s_cbranch_execz .LBB64_207
.LBB64_216:
	s_and_b64 vcc, exec, s[0:1]
	s_cbranch_vccnz .LBB64_218
; %bb.217:
	v_lshl_add_u64 v[52:53], v[84:85], 2, v[50:51]
	flat_load_dword v52, v[52:53]
	s_waitcnt vmcnt(0) lgkmcnt(0)
	v_mul_f32_e32 v52, s22, v52
	s_branch .LBB64_219
.LBB64_218:
	v_mov_b32_e32 v52, 0
.LBB64_219:
	v_pk_add_f32 v[54:55], v[8:9], v[44:45]
	s_nop 0
	v_min3_f32 v53, v54, v55, v127
	v_pk_add_f32 v[54:55], v[10:11], v[46:47]
	s_nop 0
	v_min_f32_e32 v54, v54, v55
	v_min3_f32 v54, v52, v54, v53
	v_lshl_add_u64 v[52:53], v[84:85], 2, v[48:49]
	global_store_dword v[52:53], v54, off
	s_or_b64 exec, exec, s[18:19]
	s_and_b64 s[18:19], s[8:9], s[10:11]
	s_and_saveexec_b64 s[10:11], s[18:19]
	s_cbranch_execz .LBB64_224
.LBB64_220:
	s_and_b64 vcc, exec, s[0:1]
	s_cbranch_vccnz .LBB64_222
; %bb.221:
	v_lshl_add_u64 v[50:51], v[86:87], 2, v[50:51]
	flat_load_dword v50, v[50:51]
	s_waitcnt vmcnt(0) lgkmcnt(0)
	v_mul_f32_e32 v50, s22, v50
	s_branch .LBB64_223
.LBB64_222:
	v_mov_b32_e32 v50, 0
.LBB64_223:
	v_pk_add_f32 v[44:45], v[0:1], v[44:45]
	s_nop 0
	v_min3_f32 v51, v44, v45, v126
	v_pk_add_f32 v[44:45], v[2:3], v[46:47]
	s_nop 0
	v_min_f32_e32 v44, v44, v45
	v_min3_f32 v46, v50, v44, v51
	v_lshl_add_u64 v[44:45], v[86:87], 2, v[48:49]
	global_store_dword v[44:45], v46, off
.LBB64_224:
	s_or_b64 exec, exec, s[10:11]
	v_add_u32_e32 v48, 0x48, v92
	v_mad_i64_i32 v[44:45], s[18:19], v48, s25, 0
	v_cmp_gt_i32_e64 s[10:11], s13, v48
	v_lshl_add_u64 v[46:47], v[44:45], 2, s[16:17]
	v_mad_i64_i32 v[44:45], s[18:19], v48, s24, 0
	v_lshl_add_u64 v[44:45], v[44:45], 2, s[14:15]
	s_and_b64 s[20:21], s[2:3], s[10:11]
	s_and_saveexec_b64 s[18:19], s[20:21]
	s_cbranch_execnz .LBB64_228
; %bb.225:
	s_or_b64 exec, exec, s[18:19]
	s_and_b64 s[20:21], s[4:5], s[10:11]
	s_and_saveexec_b64 s[18:19], s[20:21]
	s_cbranch_execnz .LBB64_232
.LBB64_226:
	s_or_b64 exec, exec, s[18:19]
	s_and_b64 s[20:21], s[6:7], s[10:11]
	s_and_saveexec_b64 s[18:19], s[20:21]
	s_cbranch_execnz .LBB64_236
.LBB64_227:
	s_or_b64 exec, exec, s[18:19]
	s_and_b64 s[18:19], s[8:9], s[10:11]
	s_and_saveexec_b64 s[10:11], s[18:19]
	s_cbranch_execnz .LBB64_240
	s_branch .LBB64_244
.LBB64_228:
	s_and_b64 vcc, exec, s[0:1]
	s_cbranch_vccnz .LBB64_230
; %bb.229:
	v_lshl_add_u64 v[48:49], v[80:81], 2, v[46:47]
	flat_load_dword v48, v[48:49]
	s_waitcnt vmcnt(0) lgkmcnt(0)
	v_mul_f32_e32 v48, s22, v48
	s_branch .LBB64_231
.LBB64_230:
	v_mov_b32_e32 v48, 0
.LBB64_231:
	v_pk_add_f32 v[50:51], v[16:17], v[40:41]
	s_nop 0
	v_min3_f32 v49, v50, v51, v125
	v_pk_add_f32 v[50:51], v[18:19], v[42:43]
	s_nop 0
	v_min_f32_e32 v50, v50, v51
	v_min3_f32 v50, v48, v50, v49
	v_lshl_add_u64 v[48:49], v[80:81], 2, v[44:45]
	global_store_dword v[48:49], v50, off
	s_or_b64 exec, exec, s[18:19]
	s_and_b64 s[20:21], s[4:5], s[10:11]
	s_and_saveexec_b64 s[18:19], s[20:21]
	s_cbranch_execz .LBB64_226
.LBB64_232:
	s_and_b64 vcc, exec, s[0:1]
	s_cbranch_vccnz .LBB64_234
; %bb.233:
	v_lshl_add_u64 v[48:49], v[82:83], 2, v[46:47]
	flat_load_dword v48, v[48:49]
	s_waitcnt vmcnt(0) lgkmcnt(0)
	v_mul_f32_e32 v48, s22, v48
	s_branch .LBB64_235
.LBB64_234:
	v_mov_b32_e32 v48, 0
.LBB64_235:
	v_pk_add_f32 v[50:51], v[12:13], v[40:41]
	s_nop 0
	v_min3_f32 v49, v50, v51, v124
	v_pk_add_f32 v[50:51], v[14:15], v[42:43]
	s_nop 0
	v_min_f32_e32 v50, v50, v51
	v_min3_f32 v50, v48, v50, v49
	v_lshl_add_u64 v[48:49], v[82:83], 2, v[44:45]
	global_store_dword v[48:49], v50, off
	s_or_b64 exec, exec, s[18:19]
	s_and_b64 s[20:21], s[6:7], s[10:11]
	s_and_saveexec_b64 s[18:19], s[20:21]
	s_cbranch_execz .LBB64_227
.LBB64_236:
	s_and_b64 vcc, exec, s[0:1]
	s_cbranch_vccnz .LBB64_238
; %bb.237:
	v_lshl_add_u64 v[48:49], v[84:85], 2, v[46:47]
	flat_load_dword v48, v[48:49]
	s_waitcnt vmcnt(0) lgkmcnt(0)
	v_mul_f32_e32 v48, s22, v48
	s_branch .LBB64_239
.LBB64_238:
	v_mov_b32_e32 v48, 0
.LBB64_239:
	v_pk_add_f32 v[50:51], v[8:9], v[40:41]
	s_nop 0
	v_min3_f32 v49, v50, v51, v123
	v_pk_add_f32 v[50:51], v[10:11], v[42:43]
	s_nop 0
	v_min_f32_e32 v50, v50, v51
	v_min3_f32 v50, v48, v50, v49
	v_lshl_add_u64 v[48:49], v[84:85], 2, v[44:45]
	global_store_dword v[48:49], v50, off
	s_or_b64 exec, exec, s[18:19]
	s_and_b64 s[18:19], s[8:9], s[10:11]
	s_and_saveexec_b64 s[10:11], s[18:19]
	s_cbranch_execz .LBB64_244
.LBB64_240:
	s_and_b64 vcc, exec, s[0:1]
	s_cbranch_vccnz .LBB64_242
; %bb.241:
	v_lshl_add_u64 v[46:47], v[86:87], 2, v[46:47]
	flat_load_dword v46, v[46:47]
	s_waitcnt vmcnt(0) lgkmcnt(0)
	v_mul_f32_e32 v46, s22, v46
	s_branch .LBB64_243
.LBB64_242:
	v_mov_b32_e32 v46, 0
.LBB64_243:
	v_pk_add_f32 v[40:41], v[0:1], v[40:41]
	s_nop 0
	v_min3_f32 v47, v40, v41, v122
	v_pk_add_f32 v[40:41], v[2:3], v[42:43]
	s_nop 0
	v_min_f32_e32 v40, v40, v41
	v_min3_f32 v42, v46, v40, v47
	v_lshl_add_u64 v[40:41], v[86:87], 2, v[44:45]
	global_store_dword v[40:41], v42, off
.LBB64_244:
	s_or_b64 exec, exec, s[10:11]
	v_add_u32_e32 v44, 0x50, v92
	v_mad_i64_i32 v[40:41], s[18:19], v44, s25, 0
	v_cmp_gt_i32_e64 s[10:11], s13, v44
	v_lshl_add_u64 v[42:43], v[40:41], 2, s[16:17]
	v_mad_i64_i32 v[40:41], s[18:19], v44, s24, 0
	v_lshl_add_u64 v[40:41], v[40:41], 2, s[14:15]
	s_and_b64 s[20:21], s[2:3], s[10:11]
	s_and_saveexec_b64 s[18:19], s[20:21]
	s_cbranch_execnz .LBB64_248
; %bb.245:
	s_or_b64 exec, exec, s[18:19]
	s_and_b64 s[20:21], s[4:5], s[10:11]
	s_and_saveexec_b64 s[18:19], s[20:21]
	s_cbranch_execnz .LBB64_252
.LBB64_246:
	s_or_b64 exec, exec, s[18:19]
	s_and_b64 s[20:21], s[6:7], s[10:11]
	s_and_saveexec_b64 s[18:19], s[20:21]
	s_cbranch_execnz .LBB64_256
.LBB64_247:
	s_or_b64 exec, exec, s[18:19]
	s_and_b64 s[18:19], s[8:9], s[10:11]
	s_and_saveexec_b64 s[10:11], s[18:19]
	s_cbranch_execnz .LBB64_260
	s_branch .LBB64_264
.LBB64_248:
	s_and_b64 vcc, exec, s[0:1]
	s_cbranch_vccnz .LBB64_250
; %bb.249:
	v_lshl_add_u64 v[44:45], v[80:81], 2, v[42:43]
	flat_load_dword v44, v[44:45]
	s_waitcnt vmcnt(0) lgkmcnt(0)
	v_mul_f32_e32 v44, s22, v44
	s_branch .LBB64_251
.LBB64_250:
	v_mov_b32_e32 v44, 0
.LBB64_251:
	v_pk_add_f32 v[46:47], v[16:17], v[36:37]
	s_nop 0
	v_min3_f32 v45, v46, v47, v121
	v_pk_add_f32 v[46:47], v[18:19], v[38:39]
	s_nop 0
	v_min_f32_e32 v46, v46, v47
	v_min3_f32 v46, v44, v46, v45
	v_lshl_add_u64 v[44:45], v[80:81], 2, v[40:41]
	global_store_dword v[44:45], v46, off
	s_or_b64 exec, exec, s[18:19]
	s_and_b64 s[20:21], s[4:5], s[10:11]
	s_and_saveexec_b64 s[18:19], s[20:21]
	s_cbranch_execz .LBB64_246
.LBB64_252:
	s_and_b64 vcc, exec, s[0:1]
	s_cbranch_vccnz .LBB64_254
; %bb.253:
	v_lshl_add_u64 v[44:45], v[82:83], 2, v[42:43]
	flat_load_dword v44, v[44:45]
	s_waitcnt vmcnt(0) lgkmcnt(0)
	v_mul_f32_e32 v44, s22, v44
	s_branch .LBB64_255
.LBB64_254:
	v_mov_b32_e32 v44, 0
.LBB64_255:
	v_pk_add_f32 v[46:47], v[12:13], v[36:37]
	s_nop 0
	v_min3_f32 v45, v46, v47, v120
	v_pk_add_f32 v[46:47], v[14:15], v[38:39]
	s_nop 0
	v_min_f32_e32 v46, v46, v47
	v_min3_f32 v46, v44, v46, v45
	v_lshl_add_u64 v[44:45], v[82:83], 2, v[40:41]
	global_store_dword v[44:45], v46, off
	s_or_b64 exec, exec, s[18:19]
	s_and_b64 s[20:21], s[6:7], s[10:11]
	s_and_saveexec_b64 s[18:19], s[20:21]
	s_cbranch_execz .LBB64_247
.LBB64_256:
	s_and_b64 vcc, exec, s[0:1]
	s_cbranch_vccnz .LBB64_258
; %bb.257:
	v_lshl_add_u64 v[44:45], v[84:85], 2, v[42:43]
	flat_load_dword v44, v[44:45]
	s_waitcnt vmcnt(0) lgkmcnt(0)
	v_mul_f32_e32 v44, s22, v44
	s_branch .LBB64_259
.LBB64_258:
	v_mov_b32_e32 v44, 0
.LBB64_259:
	v_pk_add_f32 v[46:47], v[8:9], v[36:37]
	s_nop 0
	v_min3_f32 v45, v46, v47, v119
	v_pk_add_f32 v[46:47], v[10:11], v[38:39]
	s_nop 0
	v_min_f32_e32 v46, v46, v47
	v_min3_f32 v46, v44, v46, v45
	v_lshl_add_u64 v[44:45], v[84:85], 2, v[40:41]
	global_store_dword v[44:45], v46, off
	s_or_b64 exec, exec, s[18:19]
	s_and_b64 s[18:19], s[8:9], s[10:11]
	s_and_saveexec_b64 s[10:11], s[18:19]
	s_cbranch_execz .LBB64_264
.LBB64_260:
	s_and_b64 vcc, exec, s[0:1]
	s_cbranch_vccnz .LBB64_262
; %bb.261:
	v_lshl_add_u64 v[42:43], v[86:87], 2, v[42:43]
	flat_load_dword v42, v[42:43]
	s_waitcnt vmcnt(0) lgkmcnt(0)
	v_mul_f32_e32 v42, s22, v42
	s_branch .LBB64_263
.LBB64_262:
	v_mov_b32_e32 v42, 0
.LBB64_263:
	v_pk_add_f32 v[36:37], v[0:1], v[36:37]
	s_nop 0
	v_min3_f32 v43, v36, v37, v118
	v_pk_add_f32 v[36:37], v[2:3], v[38:39]
	s_nop 0
	v_min_f32_e32 v36, v36, v37
	v_min3_f32 v38, v42, v36, v43
	v_lshl_add_u64 v[36:37], v[86:87], 2, v[40:41]
	global_store_dword v[36:37], v38, off
.LBB64_264:
	s_or_b64 exec, exec, s[10:11]
	v_add_u32_e32 v40, 0x58, v92
	v_mad_i64_i32 v[36:37], s[18:19], v40, s25, 0
	v_cmp_gt_i32_e64 s[10:11], s13, v40
	v_lshl_add_u64 v[38:39], v[36:37], 2, s[16:17]
	v_mad_i64_i32 v[36:37], s[18:19], v40, s24, 0
	v_lshl_add_u64 v[36:37], v[36:37], 2, s[14:15]
	s_and_b64 s[20:21], s[2:3], s[10:11]
	s_and_saveexec_b64 s[18:19], s[20:21]
	s_cbranch_execnz .LBB64_268
; %bb.265:
	s_or_b64 exec, exec, s[18:19]
	s_and_b64 s[20:21], s[4:5], s[10:11]
	s_and_saveexec_b64 s[18:19], s[20:21]
	s_cbranch_execnz .LBB64_272
.LBB64_266:
	s_or_b64 exec, exec, s[18:19]
	s_and_b64 s[20:21], s[6:7], s[10:11]
	s_and_saveexec_b64 s[18:19], s[20:21]
	s_cbranch_execnz .LBB64_276
.LBB64_267:
	s_or_b64 exec, exec, s[18:19]
	s_and_b64 s[18:19], s[8:9], s[10:11]
	s_and_saveexec_b64 s[10:11], s[18:19]
	s_cbranch_execnz .LBB64_280
	s_branch .LBB64_284
.LBB64_268:
	s_and_b64 vcc, exec, s[0:1]
	s_cbranch_vccnz .LBB64_270
; %bb.269:
	v_lshl_add_u64 v[40:41], v[80:81], 2, v[38:39]
	flat_load_dword v40, v[40:41]
	s_waitcnt vmcnt(0) lgkmcnt(0)
	v_mul_f32_e32 v40, s22, v40
	s_branch .LBB64_271
.LBB64_270:
	v_mov_b32_e32 v40, 0
.LBB64_271:
	v_pk_add_f32 v[42:43], v[16:17], v[32:33]
	s_nop 0
	v_min3_f32 v41, v42, v43, v117
	v_pk_add_f32 v[42:43], v[18:19], v[34:35]
	s_nop 0
	v_min_f32_e32 v42, v42, v43
	v_min3_f32 v42, v40, v42, v41
	v_lshl_add_u64 v[40:41], v[80:81], 2, v[36:37]
	global_store_dword v[40:41], v42, off
	s_or_b64 exec, exec, s[18:19]
	s_and_b64 s[20:21], s[4:5], s[10:11]
	s_and_saveexec_b64 s[18:19], s[20:21]
	s_cbranch_execz .LBB64_266
.LBB64_272:
	s_and_b64 vcc, exec, s[0:1]
	s_cbranch_vccnz .LBB64_274
; %bb.273:
	v_lshl_add_u64 v[40:41], v[82:83], 2, v[38:39]
	flat_load_dword v40, v[40:41]
	s_waitcnt vmcnt(0) lgkmcnt(0)
	v_mul_f32_e32 v40, s22, v40
	s_branch .LBB64_275
.LBB64_274:
	v_mov_b32_e32 v40, 0
.LBB64_275:
	v_pk_add_f32 v[42:43], v[12:13], v[32:33]
	s_nop 0
	v_min3_f32 v41, v42, v43, v116
	v_pk_add_f32 v[42:43], v[14:15], v[34:35]
	s_nop 0
	v_min_f32_e32 v42, v42, v43
	v_min3_f32 v42, v40, v42, v41
	v_lshl_add_u64 v[40:41], v[82:83], 2, v[36:37]
	global_store_dword v[40:41], v42, off
	s_or_b64 exec, exec, s[18:19]
	s_and_b64 s[20:21], s[6:7], s[10:11]
	s_and_saveexec_b64 s[18:19], s[20:21]
	s_cbranch_execz .LBB64_267
.LBB64_276:
	s_and_b64 vcc, exec, s[0:1]
	s_cbranch_vccnz .LBB64_278
; %bb.277:
	v_lshl_add_u64 v[40:41], v[84:85], 2, v[38:39]
	flat_load_dword v40, v[40:41]
	s_waitcnt vmcnt(0) lgkmcnt(0)
	v_mul_f32_e32 v40, s22, v40
	s_branch .LBB64_279
.LBB64_278:
	v_mov_b32_e32 v40, 0
.LBB64_279:
	v_pk_add_f32 v[42:43], v[8:9], v[32:33]
	s_nop 0
	v_min3_f32 v41, v42, v43, v115
	v_pk_add_f32 v[42:43], v[10:11], v[34:35]
	s_nop 0
	v_min_f32_e32 v42, v42, v43
	v_min3_f32 v42, v40, v42, v41
	v_lshl_add_u64 v[40:41], v[84:85], 2, v[36:37]
	global_store_dword v[40:41], v42, off
	s_or_b64 exec, exec, s[18:19]
	s_and_b64 s[18:19], s[8:9], s[10:11]
	s_and_saveexec_b64 s[10:11], s[18:19]
	s_cbranch_execz .LBB64_284
.LBB64_280:
	s_and_b64 vcc, exec, s[0:1]
	s_cbranch_vccnz .LBB64_282
; %bb.281:
	v_lshl_add_u64 v[38:39], v[86:87], 2, v[38:39]
	flat_load_dword v38, v[38:39]
	s_waitcnt vmcnt(0) lgkmcnt(0)
	v_mul_f32_e32 v38, s22, v38
	s_branch .LBB64_283
.LBB64_282:
	v_mov_b32_e32 v38, 0
.LBB64_283:
	v_pk_add_f32 v[32:33], v[0:1], v[32:33]
	s_nop 0
	v_min3_f32 v39, v32, v33, v114
	v_pk_add_f32 v[32:33], v[2:3], v[34:35]
	s_nop 0
	v_min_f32_e32 v32, v32, v33
	v_min3_f32 v34, v38, v32, v39
	v_lshl_add_u64 v[32:33], v[86:87], 2, v[36:37]
	global_store_dword v[32:33], v34, off
.LBB64_284:
	s_or_b64 exec, exec, s[10:11]
	v_add_u32_e32 v36, 0x60, v92
	v_mad_i64_i32 v[32:33], s[18:19], v36, s25, 0
	v_cmp_gt_i32_e64 s[10:11], s13, v36
	v_lshl_add_u64 v[34:35], v[32:33], 2, s[16:17]
	v_mad_i64_i32 v[32:33], s[18:19], v36, s24, 0
	v_lshl_add_u64 v[32:33], v[32:33], 2, s[14:15]
	s_and_b64 s[20:21], s[2:3], s[10:11]
	s_and_saveexec_b64 s[18:19], s[20:21]
	s_cbranch_execnz .LBB64_288
; %bb.285:
	s_or_b64 exec, exec, s[18:19]
	s_and_b64 s[20:21], s[4:5], s[10:11]
	s_and_saveexec_b64 s[18:19], s[20:21]
	s_cbranch_execnz .LBB64_292
.LBB64_286:
	s_or_b64 exec, exec, s[18:19]
	s_and_b64 s[20:21], s[6:7], s[10:11]
	s_and_saveexec_b64 s[18:19], s[20:21]
	s_cbranch_execnz .LBB64_296
.LBB64_287:
	s_or_b64 exec, exec, s[18:19]
	s_and_b64 s[18:19], s[8:9], s[10:11]
	s_and_saveexec_b64 s[10:11], s[18:19]
	s_cbranch_execnz .LBB64_300
	s_branch .LBB64_304
.LBB64_288:
	s_and_b64 vcc, exec, s[0:1]
	s_cbranch_vccnz .LBB64_290
; %bb.289:
	v_lshl_add_u64 v[36:37], v[80:81], 2, v[34:35]
	flat_load_dword v36, v[36:37]
	s_waitcnt vmcnt(0) lgkmcnt(0)
	v_mul_f32_e32 v36, s22, v36
	s_branch .LBB64_291
.LBB64_290:
	v_mov_b32_e32 v36, 0
.LBB64_291:
	v_pk_add_f32 v[38:39], v[16:17], v[28:29]
	s_nop 0
	v_min3_f32 v37, v38, v39, v113
	v_pk_add_f32 v[38:39], v[18:19], v[30:31]
	s_nop 0
	v_min_f32_e32 v38, v38, v39
	v_min3_f32 v38, v36, v38, v37
	v_lshl_add_u64 v[36:37], v[80:81], 2, v[32:33]
	global_store_dword v[36:37], v38, off
	s_or_b64 exec, exec, s[18:19]
	s_and_b64 s[20:21], s[4:5], s[10:11]
	s_and_saveexec_b64 s[18:19], s[20:21]
	s_cbranch_execz .LBB64_286
.LBB64_292:
	s_and_b64 vcc, exec, s[0:1]
	s_cbranch_vccnz .LBB64_294
; %bb.293:
	v_lshl_add_u64 v[36:37], v[82:83], 2, v[34:35]
	flat_load_dword v36, v[36:37]
	s_waitcnt vmcnt(0) lgkmcnt(0)
	v_mul_f32_e32 v36, s22, v36
	s_branch .LBB64_295
.LBB64_294:
	v_mov_b32_e32 v36, 0
.LBB64_295:
	v_pk_add_f32 v[38:39], v[12:13], v[28:29]
	s_nop 0
	v_min3_f32 v37, v38, v39, v112
	v_pk_add_f32 v[38:39], v[14:15], v[30:31]
	s_nop 0
	v_min_f32_e32 v38, v38, v39
	v_min3_f32 v38, v36, v38, v37
	v_lshl_add_u64 v[36:37], v[82:83], 2, v[32:33]
	global_store_dword v[36:37], v38, off
	s_or_b64 exec, exec, s[18:19]
	s_and_b64 s[20:21], s[6:7], s[10:11]
	s_and_saveexec_b64 s[18:19], s[20:21]
	s_cbranch_execz .LBB64_287
.LBB64_296:
	s_and_b64 vcc, exec, s[0:1]
	s_cbranch_vccnz .LBB64_298
; %bb.297:
	v_lshl_add_u64 v[36:37], v[84:85], 2, v[34:35]
	flat_load_dword v36, v[36:37]
	s_waitcnt vmcnt(0) lgkmcnt(0)
	v_mul_f32_e32 v36, s22, v36
	s_branch .LBB64_299
.LBB64_298:
	v_mov_b32_e32 v36, 0
.LBB64_299:
	v_pk_add_f32 v[38:39], v[8:9], v[28:29]
	s_nop 0
	v_min3_f32 v37, v38, v39, v111
	v_pk_add_f32 v[38:39], v[10:11], v[30:31]
	s_nop 0
	v_min_f32_e32 v38, v38, v39
	v_min3_f32 v38, v36, v38, v37
	v_lshl_add_u64 v[36:37], v[84:85], 2, v[32:33]
	global_store_dword v[36:37], v38, off
	s_or_b64 exec, exec, s[18:19]
	s_and_b64 s[18:19], s[8:9], s[10:11]
	s_and_saveexec_b64 s[10:11], s[18:19]
	s_cbranch_execz .LBB64_304
.LBB64_300:
	s_and_b64 vcc, exec, s[0:1]
	s_cbranch_vccnz .LBB64_302
; %bb.301:
	v_lshl_add_u64 v[34:35], v[86:87], 2, v[34:35]
	flat_load_dword v34, v[34:35]
	s_waitcnt vmcnt(0) lgkmcnt(0)
	v_mul_f32_e32 v34, s22, v34
	s_branch .LBB64_303
.LBB64_302:
	v_mov_b32_e32 v34, 0
.LBB64_303:
	v_pk_add_f32 v[28:29], v[0:1], v[28:29]
	s_nop 0
	v_min3_f32 v35, v28, v29, v110
	v_pk_add_f32 v[28:29], v[2:3], v[30:31]
	s_nop 0
	v_min_f32_e32 v28, v28, v29
	v_min3_f32 v30, v34, v28, v35
	v_lshl_add_u64 v[28:29], v[86:87], 2, v[32:33]
	global_store_dword v[28:29], v30, off
.LBB64_304:
	s_or_b64 exec, exec, s[10:11]
	v_add_u32_e32 v32, 0x68, v92
	v_mad_i64_i32 v[28:29], s[18:19], v32, s25, 0
	v_cmp_gt_i32_e64 s[10:11], s13, v32
	v_lshl_add_u64 v[30:31], v[28:29], 2, s[16:17]
	v_mad_i64_i32 v[28:29], s[18:19], v32, s24, 0
	v_lshl_add_u64 v[28:29], v[28:29], 2, s[14:15]
	s_and_b64 s[20:21], s[2:3], s[10:11]
	s_and_saveexec_b64 s[18:19], s[20:21]
	s_cbranch_execnz .LBB64_308
; %bb.305:
	s_or_b64 exec, exec, s[18:19]
	s_and_b64 s[20:21], s[4:5], s[10:11]
	s_and_saveexec_b64 s[18:19], s[20:21]
	s_cbranch_execnz .LBB64_312
.LBB64_306:
	s_or_b64 exec, exec, s[18:19]
	s_and_b64 s[20:21], s[6:7], s[10:11]
	s_and_saveexec_b64 s[18:19], s[20:21]
	s_cbranch_execnz .LBB64_316
.LBB64_307:
	s_or_b64 exec, exec, s[18:19]
	s_and_b64 s[18:19], s[8:9], s[10:11]
	s_and_saveexec_b64 s[10:11], s[18:19]
	s_cbranch_execnz .LBB64_320
	s_branch .LBB64_324
.LBB64_308:
	s_and_b64 vcc, exec, s[0:1]
	s_cbranch_vccnz .LBB64_310
; %bb.309:
	v_lshl_add_u64 v[32:33], v[80:81], 2, v[30:31]
	flat_load_dword v32, v[32:33]
	s_waitcnt vmcnt(0) lgkmcnt(0)
	v_mul_f32_e32 v32, s22, v32
	s_branch .LBB64_311
.LBB64_310:
	v_mov_b32_e32 v32, 0
.LBB64_311:
	v_pk_add_f32 v[34:35], v[16:17], v[24:25]
	s_nop 0
	v_min3_f32 v33, v34, v35, v109
	v_pk_add_f32 v[34:35], v[18:19], v[26:27]
	s_nop 0
	v_min_f32_e32 v34, v34, v35
	v_min3_f32 v34, v32, v34, v33
	v_lshl_add_u64 v[32:33], v[80:81], 2, v[28:29]
	global_store_dword v[32:33], v34, off
	s_or_b64 exec, exec, s[18:19]
	s_and_b64 s[20:21], s[4:5], s[10:11]
	s_and_saveexec_b64 s[18:19], s[20:21]
	s_cbranch_execz .LBB64_306
.LBB64_312:
	s_and_b64 vcc, exec, s[0:1]
	s_cbranch_vccnz .LBB64_314
; %bb.313:
	v_lshl_add_u64 v[32:33], v[82:83], 2, v[30:31]
	flat_load_dword v32, v[32:33]
	s_waitcnt vmcnt(0) lgkmcnt(0)
	v_mul_f32_e32 v32, s22, v32
	s_branch .LBB64_315
.LBB64_314:
	v_mov_b32_e32 v32, 0
.LBB64_315:
	v_pk_add_f32 v[34:35], v[12:13], v[24:25]
	s_nop 0
	v_min3_f32 v33, v34, v35, v108
	v_pk_add_f32 v[34:35], v[14:15], v[26:27]
	s_nop 0
	v_min_f32_e32 v34, v34, v35
	v_min3_f32 v34, v32, v34, v33
	v_lshl_add_u64 v[32:33], v[82:83], 2, v[28:29]
	global_store_dword v[32:33], v34, off
	s_or_b64 exec, exec, s[18:19]
	s_and_b64 s[20:21], s[6:7], s[10:11]
	s_and_saveexec_b64 s[18:19], s[20:21]
	s_cbranch_execz .LBB64_307
.LBB64_316:
	s_and_b64 vcc, exec, s[0:1]
	s_cbranch_vccnz .LBB64_318
; %bb.317:
	v_lshl_add_u64 v[32:33], v[84:85], 2, v[30:31]
	flat_load_dword v32, v[32:33]
	s_waitcnt vmcnt(0) lgkmcnt(0)
	v_mul_f32_e32 v32, s22, v32
	s_branch .LBB64_319
.LBB64_318:
	v_mov_b32_e32 v32, 0
.LBB64_319:
	v_pk_add_f32 v[34:35], v[8:9], v[24:25]
	s_nop 0
	v_min3_f32 v33, v34, v35, v107
	v_pk_add_f32 v[34:35], v[10:11], v[26:27]
	s_nop 0
	v_min_f32_e32 v34, v34, v35
	v_min3_f32 v34, v32, v34, v33
	v_lshl_add_u64 v[32:33], v[84:85], 2, v[28:29]
	global_store_dword v[32:33], v34, off
	s_or_b64 exec, exec, s[18:19]
	s_and_b64 s[18:19], s[8:9], s[10:11]
	s_and_saveexec_b64 s[10:11], s[18:19]
	s_cbranch_execz .LBB64_324
.LBB64_320:
	s_and_b64 vcc, exec, s[0:1]
	s_cbranch_vccnz .LBB64_322
; %bb.321:
	v_lshl_add_u64 v[30:31], v[86:87], 2, v[30:31]
	flat_load_dword v30, v[30:31]
	s_waitcnt vmcnt(0) lgkmcnt(0)
	v_mul_f32_e32 v30, s22, v30
	s_branch .LBB64_323
.LBB64_322:
	v_mov_b32_e32 v30, 0
.LBB64_323:
	v_pk_add_f32 v[24:25], v[0:1], v[24:25]
	s_nop 0
	v_min3_f32 v31, v24, v25, v106
	v_pk_add_f32 v[24:25], v[2:3], v[26:27]
	s_nop 0
	v_min_f32_e32 v24, v24, v25
	v_min3_f32 v26, v30, v24, v31
	v_lshl_add_u64 v[24:25], v[86:87], 2, v[28:29]
	global_store_dword v[24:25], v26, off
.LBB64_324:
	s_or_b64 exec, exec, s[10:11]
	v_add_u32_e32 v28, 0x70, v92
	v_mad_i64_i32 v[24:25], s[18:19], v28, s25, 0
	v_cmp_gt_i32_e64 s[10:11], s13, v28
	v_lshl_add_u64 v[26:27], v[24:25], 2, s[16:17]
	v_mad_i64_i32 v[24:25], s[18:19], v28, s24, 0
	v_lshl_add_u64 v[24:25], v[24:25], 2, s[14:15]
	s_and_b64 s[20:21], s[2:3], s[10:11]
	s_and_saveexec_b64 s[18:19], s[20:21]
	s_cbranch_execnz .LBB64_328
; %bb.325:
	s_or_b64 exec, exec, s[18:19]
	s_and_b64 s[20:21], s[4:5], s[10:11]
	s_and_saveexec_b64 s[18:19], s[20:21]
	s_cbranch_execnz .LBB64_332
.LBB64_326:
	s_or_b64 exec, exec, s[18:19]
	s_and_b64 s[20:21], s[6:7], s[10:11]
	s_and_saveexec_b64 s[18:19], s[20:21]
	s_cbranch_execnz .LBB64_336
.LBB64_327:
	s_or_b64 exec, exec, s[18:19]
	s_and_b64 s[18:19], s[8:9], s[10:11]
	s_and_saveexec_b64 s[10:11], s[18:19]
	s_cbranch_execnz .LBB64_340
	s_branch .LBB64_344
.LBB64_328:
	s_and_b64 vcc, exec, s[0:1]
	s_cbranch_vccnz .LBB64_330
; %bb.329:
	v_lshl_add_u64 v[28:29], v[80:81], 2, v[26:27]
	flat_load_dword v28, v[28:29]
	s_waitcnt vmcnt(0) lgkmcnt(0)
	v_mul_f32_e32 v28, s22, v28
	s_branch .LBB64_331
.LBB64_330:
	v_mov_b32_e32 v28, 0
.LBB64_331:
	v_pk_add_f32 v[30:31], v[16:17], v[20:21]
	s_nop 0
	v_min3_f32 v29, v30, v31, v105
	v_pk_add_f32 v[30:31], v[18:19], v[22:23]
	s_nop 0
	v_min_f32_e32 v30, v30, v31
	v_min3_f32 v30, v28, v30, v29
	v_lshl_add_u64 v[28:29], v[80:81], 2, v[24:25]
	global_store_dword v[28:29], v30, off
	s_or_b64 exec, exec, s[18:19]
	s_and_b64 s[20:21], s[4:5], s[10:11]
	s_and_saveexec_b64 s[18:19], s[20:21]
	s_cbranch_execz .LBB64_326
.LBB64_332:
	s_and_b64 vcc, exec, s[0:1]
	s_cbranch_vccnz .LBB64_334
; %bb.333:
	v_lshl_add_u64 v[28:29], v[82:83], 2, v[26:27]
	flat_load_dword v28, v[28:29]
	s_waitcnt vmcnt(0) lgkmcnt(0)
	v_mul_f32_e32 v28, s22, v28
	s_branch .LBB64_335
.LBB64_334:
	v_mov_b32_e32 v28, 0
.LBB64_335:
	v_pk_add_f32 v[30:31], v[12:13], v[20:21]
	s_nop 0
	v_min3_f32 v29, v30, v31, v104
	v_pk_add_f32 v[30:31], v[14:15], v[22:23]
	s_nop 0
	v_min_f32_e32 v30, v30, v31
	v_min3_f32 v30, v28, v30, v29
	v_lshl_add_u64 v[28:29], v[82:83], 2, v[24:25]
	global_store_dword v[28:29], v30, off
	s_or_b64 exec, exec, s[18:19]
	s_and_b64 s[20:21], s[6:7], s[10:11]
	s_and_saveexec_b64 s[18:19], s[20:21]
	s_cbranch_execz .LBB64_327
.LBB64_336:
	s_and_b64 vcc, exec, s[0:1]
	s_cbranch_vccnz .LBB64_338
; %bb.337:
	v_lshl_add_u64 v[28:29], v[84:85], 2, v[26:27]
	flat_load_dword v28, v[28:29]
	s_waitcnt vmcnt(0) lgkmcnt(0)
	v_mul_f32_e32 v28, s22, v28
	s_branch .LBB64_339
.LBB64_338:
	v_mov_b32_e32 v28, 0
.LBB64_339:
	v_pk_add_f32 v[30:31], v[8:9], v[20:21]
	s_nop 0
	v_min3_f32 v29, v30, v31, v103
	v_pk_add_f32 v[30:31], v[10:11], v[22:23]
	s_nop 0
	v_min_f32_e32 v30, v30, v31
	v_min3_f32 v30, v28, v30, v29
	v_lshl_add_u64 v[28:29], v[84:85], 2, v[24:25]
	global_store_dword v[28:29], v30, off
	s_or_b64 exec, exec, s[18:19]
	s_and_b64 s[18:19], s[8:9], s[10:11]
	s_and_saveexec_b64 s[10:11], s[18:19]
	s_cbranch_execz .LBB64_344
.LBB64_340:
	s_and_b64 vcc, exec, s[0:1]
	s_cbranch_vccnz .LBB64_342
; %bb.341:
	v_lshl_add_u64 v[26:27], v[86:87], 2, v[26:27]
	flat_load_dword v26, v[26:27]
	s_waitcnt vmcnt(0) lgkmcnt(0)
	v_mul_f32_e32 v26, s22, v26
	s_branch .LBB64_343
.LBB64_342:
	v_mov_b32_e32 v26, 0
.LBB64_343:
	v_pk_add_f32 v[20:21], v[0:1], v[20:21]
	s_nop 0
	v_min3_f32 v27, v20, v21, v102
	v_pk_add_f32 v[20:21], v[2:3], v[22:23]
	s_nop 0
	v_min_f32_e32 v20, v20, v21
	v_min3_f32 v22, v26, v20, v27
	v_lshl_add_u64 v[20:21], v[86:87], 2, v[24:25]
	global_store_dword v[20:21], v22, off
.LBB64_344:
	s_or_b64 exec, exec, s[10:11]
	v_add_u32_e32 v24, 0x78, v92
	v_cmp_gt_i32_e64 s[10:11], s13, v24
	v_mad_i64_i32 v[20:21], s[12:13], v24, s25, 0
	v_lshl_add_u64 v[22:23], v[20:21], 2, s[16:17]
	v_mad_i64_i32 v[20:21], s[12:13], v24, s24, 0
	v_lshl_add_u64 v[20:21], v[20:21], 2, s[14:15]
	s_and_b64 s[12:13], s[2:3], s[10:11]
	s_and_saveexec_b64 s[2:3], s[12:13]
	s_cbranch_execnz .LBB64_349
; %bb.345:
	s_or_b64 exec, exec, s[2:3]
	s_and_b64 s[4:5], s[4:5], s[10:11]
	s_and_saveexec_b64 s[2:3], s[4:5]
	s_cbranch_execnz .LBB64_353
.LBB64_346:
	s_or_b64 exec, exec, s[2:3]
	s_and_b64 s[4:5], s[6:7], s[10:11]
	s_and_saveexec_b64 s[2:3], s[4:5]
	s_cbranch_execnz .LBB64_357
.LBB64_347:
	s_or_b64 exec, exec, s[2:3]
	s_and_b64 s[2:3], s[8:9], s[10:11]
	s_and_saveexec_b64 s[4:5], s[2:3]
	s_cbranch_execnz .LBB64_361
.LBB64_348:
	s_endpgm
.LBB64_349:
	s_and_b64 vcc, exec, s[0:1]
	s_cbranch_vccnz .LBB64_351
; %bb.350:
	v_lshl_add_u64 v[24:25], v[80:81], 2, v[22:23]
	flat_load_dword v24, v[24:25]
	s_waitcnt vmcnt(0) lgkmcnt(0)
	v_mul_f32_e32 v24, s22, v24
	s_branch .LBB64_352
.LBB64_351:
	v_mov_b32_e32 v24, 0
.LBB64_352:
	v_pk_add_f32 v[16:17], v[16:17], v[4:5]
	s_nop 0
	v_min3_f32 v25, v16, v17, v100
	v_pk_add_f32 v[16:17], v[18:19], v[6:7]
	s_nop 0
	v_min_f32_e32 v16, v16, v17
	v_min3_f32 v18, v24, v16, v25
	v_lshl_add_u64 v[16:17], v[80:81], 2, v[20:21]
	global_store_dword v[16:17], v18, off
	s_or_b64 exec, exec, s[2:3]
	s_and_b64 s[4:5], s[4:5], s[10:11]
	s_and_saveexec_b64 s[2:3], s[4:5]
	s_cbranch_execz .LBB64_346
.LBB64_353:
	s_and_b64 vcc, exec, s[0:1]
	s_cbranch_vccnz .LBB64_355
; %bb.354:
	v_lshl_add_u64 v[16:17], v[82:83], 2, v[22:23]
	flat_load_dword v16, v[16:17]
	s_waitcnt vmcnt(0) lgkmcnt(0)
	v_mul_f32_e32 v16, s22, v16
	s_branch .LBB64_356
.LBB64_355:
	v_mov_b32_e32 v16, 0
.LBB64_356:
	v_pk_add_f32 v[12:13], v[12:13], v[4:5]
	s_nop 0
	v_min3_f32 v17, v12, v13, v99
	v_pk_add_f32 v[12:13], v[14:15], v[6:7]
	s_nop 0
	v_min_f32_e32 v12, v12, v13
	v_min3_f32 v14, v16, v12, v17
	v_lshl_add_u64 v[12:13], v[82:83], 2, v[20:21]
	global_store_dword v[12:13], v14, off
	s_or_b64 exec, exec, s[2:3]
	s_and_b64 s[4:5], s[6:7], s[10:11]
	s_and_saveexec_b64 s[2:3], s[4:5]
	s_cbranch_execz .LBB64_347
.LBB64_357:
	s_and_b64 vcc, exec, s[0:1]
	s_cbranch_vccnz .LBB64_359
; %bb.358:
	v_lshl_add_u64 v[12:13], v[84:85], 2, v[22:23]
	flat_load_dword v12, v[12:13]
	s_waitcnt vmcnt(0) lgkmcnt(0)
	v_mul_f32_e32 v12, s22, v12
	s_branch .LBB64_360
.LBB64_359:
	v_mov_b32_e32 v12, 0
.LBB64_360:
	v_pk_add_f32 v[8:9], v[8:9], v[4:5]
	s_nop 0
	v_min3_f32 v13, v8, v9, v98
	v_pk_add_f32 v[8:9], v[10:11], v[6:7]
	s_nop 0
	v_min_f32_e32 v8, v8, v9
	v_min3_f32 v10, v12, v8, v13
	v_lshl_add_u64 v[8:9], v[84:85], 2, v[20:21]
	global_store_dword v[8:9], v10, off
	s_or_b64 exec, exec, s[2:3]
	s_and_b64 s[2:3], s[8:9], s[10:11]
	s_and_saveexec_b64 s[4:5], s[2:3]
	s_cbranch_execz .LBB64_348
.LBB64_361:
	s_and_b64 vcc, exec, s[0:1]
	s_cbranch_vccnz .LBB64_363
; %bb.362:
	v_lshl_add_u64 v[8:9], v[86:87], 2, v[22:23]
	flat_load_dword v8, v[8:9]
	s_waitcnt vmcnt(0) lgkmcnt(0)
	v_mul_f32_e32 v8, s22, v8
	s_branch .LBB64_364
.LBB64_363:
	v_mov_b32_e32 v8, 0
.LBB64_364:
	v_pk_add_f32 v[0:1], v[0:1], v[4:5]
	s_nop 0
	v_min3_f32 v4, v0, v1, v101
	v_pk_add_f32 v[0:1], v[2:3], v[6:7]
	s_nop 0
	v_min_f32_e32 v0, v0, v1
	v_min3_f32 v2, v8, v0, v4
	v_lshl_add_u64 v[0:1], v[86:87], 2, v[20:21]
	global_store_dword v[0:1], v2, off
	s_endpgm
	.section	.rodata,"a",@progbits
	.p2align	6, 0x0
	.amdhsa_kernel _ZN12_GLOBAL__N_120geam_min_plus_kernelIf15HIP_vector_typeIfLj2EEfLi32ELi8ELi128ELi128ELi4ELi4ELi64ELi4ELi64ELc84ELc78ELb1ELb1ELb1EfKffEEviiiT16_PT17_ilS6_ilS4_S6_ilPT18_ili26rocblas_geam_ex_operation_
		.amdhsa_group_segment_fixed_size 8192
		.amdhsa_private_segment_fixed_size 0
		.amdhsa_kernarg_size 128
		.amdhsa_user_sgpr_count 2
		.amdhsa_user_sgpr_dispatch_ptr 0
		.amdhsa_user_sgpr_queue_ptr 0
		.amdhsa_user_sgpr_kernarg_segment_ptr 1
		.amdhsa_user_sgpr_dispatch_id 0
		.amdhsa_user_sgpr_kernarg_preload_length 0
		.amdhsa_user_sgpr_kernarg_preload_offset 0
		.amdhsa_user_sgpr_private_segment_size 0
		.amdhsa_uses_dynamic_stack 0
		.amdhsa_enable_private_segment 0
		.amdhsa_system_sgpr_workgroup_id_x 1
		.amdhsa_system_sgpr_workgroup_id_y 0
		.amdhsa_system_sgpr_workgroup_id_z 1
		.amdhsa_system_sgpr_workgroup_info 0
		.amdhsa_system_vgpr_workitem_id 1
		.amdhsa_next_free_vgpr 204
		.amdhsa_next_free_sgpr 36
		.amdhsa_accum_offset 204
		.amdhsa_reserve_vcc 1
		.amdhsa_float_round_mode_32 0
		.amdhsa_float_round_mode_16_64 0
		.amdhsa_float_denorm_mode_32 3
		.amdhsa_float_denorm_mode_16_64 3
		.amdhsa_dx10_clamp 1
		.amdhsa_ieee_mode 1
		.amdhsa_fp16_overflow 0
		.amdhsa_tg_split 0
		.amdhsa_exception_fp_ieee_invalid_op 0
		.amdhsa_exception_fp_denorm_src 0
		.amdhsa_exception_fp_ieee_div_zero 0
		.amdhsa_exception_fp_ieee_overflow 0
		.amdhsa_exception_fp_ieee_underflow 0
		.amdhsa_exception_fp_ieee_inexact 0
		.amdhsa_exception_int_div_zero 0
	.end_amdhsa_kernel
	.section	.text._ZN12_GLOBAL__N_120geam_min_plus_kernelIf15HIP_vector_typeIfLj2EEfLi32ELi8ELi128ELi128ELi4ELi4ELi64ELi4ELi64ELc84ELc78ELb1ELb1ELb1EfKffEEviiiT16_PT17_ilS6_ilS4_S6_ilPT18_ili26rocblas_geam_ex_operation_,"axG",@progbits,_ZN12_GLOBAL__N_120geam_min_plus_kernelIf15HIP_vector_typeIfLj2EEfLi32ELi8ELi128ELi128ELi4ELi4ELi64ELi4ELi64ELc84ELc78ELb1ELb1ELb1EfKffEEviiiT16_PT17_ilS6_ilS4_S6_ilPT18_ili26rocblas_geam_ex_operation_,comdat
.Lfunc_end64:
	.size	_ZN12_GLOBAL__N_120geam_min_plus_kernelIf15HIP_vector_typeIfLj2EEfLi32ELi8ELi128ELi128ELi4ELi4ELi64ELi4ELi64ELc84ELc78ELb1ELb1ELb1EfKffEEviiiT16_PT17_ilS6_ilS4_S6_ilPT18_ili26rocblas_geam_ex_operation_, .Lfunc_end64-_ZN12_GLOBAL__N_120geam_min_plus_kernelIf15HIP_vector_typeIfLj2EEfLi32ELi8ELi128ELi128ELi4ELi4ELi64ELi4ELi64ELc84ELc78ELb1ELb1ELb1EfKffEEviiiT16_PT17_ilS6_ilS4_S6_ilPT18_ili26rocblas_geam_ex_operation_
                                        ; -- End function
	.section	.AMDGPU.csdata,"",@progbits
; Kernel info:
; codeLenInByte = 18660
; NumSgprs: 42
; NumVgprs: 204
; NumAgprs: 0
; TotalNumVgprs: 204
; ScratchSize: 0
; MemoryBound: 0
; FloatMode: 240
; IeeeMode: 1
; LDSByteSize: 8192 bytes/workgroup (compile time only)
; SGPRBlocks: 5
; VGPRBlocks: 25
; NumSGPRsForWavesPerEU: 42
; NumVGPRsForWavesPerEU: 204
; AccumOffset: 204
; Occupancy: 2
; WaveLimiterHint : 0
; COMPUTE_PGM_RSRC2:SCRATCH_EN: 0
; COMPUTE_PGM_RSRC2:USER_SGPR: 2
; COMPUTE_PGM_RSRC2:TRAP_HANDLER: 0
; COMPUTE_PGM_RSRC2:TGID_X_EN: 1
; COMPUTE_PGM_RSRC2:TGID_Y_EN: 0
; COMPUTE_PGM_RSRC2:TGID_Z_EN: 1
; COMPUTE_PGM_RSRC2:TIDIG_COMP_CNT: 1
; COMPUTE_PGM_RSRC3_GFX90A:ACCUM_OFFSET: 50
; COMPUTE_PGM_RSRC3_GFX90A:TG_SPLIT: 0
	.section	.text._ZN12_GLOBAL__N_120geam_min_plus_kernelIf15HIP_vector_typeIfLj2EEfLi32ELi8ELi128ELi128ELi4ELi4ELi64ELi4ELi64ELc84ELc78ELb0ELb1ELb1EfKffEEviiiT16_PT17_ilS6_ilS4_S6_ilPT18_ili26rocblas_geam_ex_operation_,"axG",@progbits,_ZN12_GLOBAL__N_120geam_min_plus_kernelIf15HIP_vector_typeIfLj2EEfLi32ELi8ELi128ELi128ELi4ELi4ELi64ELi4ELi64ELc84ELc78ELb0ELb1ELb1EfKffEEviiiT16_PT17_ilS6_ilS4_S6_ilPT18_ili26rocblas_geam_ex_operation_,comdat
	.globl	_ZN12_GLOBAL__N_120geam_min_plus_kernelIf15HIP_vector_typeIfLj2EEfLi32ELi8ELi128ELi128ELi4ELi4ELi64ELi4ELi64ELc84ELc78ELb0ELb1ELb1EfKffEEviiiT16_PT17_ilS6_ilS4_S6_ilPT18_ili26rocblas_geam_ex_operation_ ; -- Begin function _ZN12_GLOBAL__N_120geam_min_plus_kernelIf15HIP_vector_typeIfLj2EEfLi32ELi8ELi128ELi128ELi4ELi4ELi64ELi4ELi64ELc84ELc78ELb0ELb1ELb1EfKffEEviiiT16_PT17_ilS6_ilS4_S6_ilPT18_ili26rocblas_geam_ex_operation_
	.p2align	8
	.type	_ZN12_GLOBAL__N_120geam_min_plus_kernelIf15HIP_vector_typeIfLj2EEfLi32ELi8ELi128ELi128ELi4ELi4ELi64ELi4ELi64ELc84ELc78ELb0ELb1ELb1EfKffEEviiiT16_PT17_ilS6_ilS4_S6_ilPT18_ili26rocblas_geam_ex_operation_,@function
_ZN12_GLOBAL__N_120geam_min_plus_kernelIf15HIP_vector_typeIfLj2EEfLi32ELi8ELi128ELi128ELi4ELi4ELi64ELi4ELi64ELc84ELc78ELb0ELb1ELb1EfKffEEviiiT16_PT17_ilS6_ilS4_S6_ilPT18_ili26rocblas_geam_ex_operation_: ; @_ZN12_GLOBAL__N_120geam_min_plus_kernelIf15HIP_vector_typeIfLj2EEfLi32ELi8ELi128ELi128ELi4ELi4ELi64ELi4ELi64ELc84ELc78ELb0ELb1ELb1EfKffEEviiiT16_PT17_ilS6_ilS4_S6_ilPT18_ili26rocblas_geam_ex_operation_
; %bb.0:
	s_load_dwordx4 s[16:19], s[0:1], 0x0
	s_load_dwordx4 s[4:7], s[0:1], 0x20
	s_waitcnt lgkmcnt(0)
	v_cmp_eq_f32_e64 s[8:9], s19, 0
	s_and_b64 vcc, exec, s[8:9]
	s_cbranch_vccnz .LBB65_3
; %bb.1:
	s_load_dwordx2 s[10:11], s[0:1], 0x10
	s_mul_i32 s5, s3, s5
	s_mul_hi_u32 s12, s3, s4
	s_add_i32 s5, s12, s5
	s_mul_i32 s4, s3, s4
	s_lshl_b64 s[4:5], s[4:5], 2
	s_waitcnt lgkmcnt(0)
	s_add_u32 s26, s10, s4
	s_addc_u32 s27, s11, s5
	s_andn2_b64 vcc, exec, s[8:9]
	s_cbranch_vccnz .LBB65_4
.LBB65_2:
	s_mov_b32 s25, 0
	s_mov_b64 s[28:29], 0
	s_cbranch_execz .LBB65_5
	s_branch .LBB65_6
.LBB65_3:
	s_mov_b64 s[26:27], 0
	s_andn2_b64 vcc, exec, s[8:9]
	s_cbranch_vccz .LBB65_2
.LBB65_4:
                                        ; implicit-def: $sgpr28_sgpr29
                                        ; implicit-def: $sgpr24_sgpr25
.LBB65_5:
	s_load_dwordx2 s[4:5], s[0:1], 0x38
	s_mov_b32 s25, 0
	s_waitcnt lgkmcnt(0)
	s_mul_i32 s5, s3, s5
	s_mul_hi_u32 s8, s3, s4
	s_add_i32 s5, s8, s5
	s_mul_i32 s4, s3, s4
	s_lshl_b64 s[4:5], s[4:5], 2
	s_add_u32 s28, s6, s4
	s_addc_u32 s29, s7, s5
.LBB65_6:
	s_load_dword s24, s[0:1], 0x40
	s_load_dwordx4 s[12:15], s[0:1], 0x58
	s_waitcnt lgkmcnt(0)
	v_cmp_eq_f32_e64 s[4:5], s24, 0
	v_cmp_neq_f32_e64 s[22:23], s24, 0
	s_and_b64 vcc, exec, s[4:5]
	s_cbranch_vccnz .LBB65_8
; %bb.7:
	s_load_dwordx2 s[4:5], s[0:1], 0x48
	s_mul_i32 s6, s3, s13
	s_mul_hi_u32 s7, s3, s12
	s_add_i32 s6, s7, s6
	s_mul_i32 s7, s25, s12
	s_add_i32 s7, s6, s7
	s_mul_i32 s6, s3, s12
	s_lshl_b64 s[6:7], s[6:7], 2
	s_waitcnt lgkmcnt(0)
	s_add_u32 s20, s4, s6
	s_addc_u32 s21, s5, s7
	s_branch .LBB65_9
.LBB65_8:
	s_mov_b64 s[20:21], 0
.LBB65_9:
	s_add_i32 s4, s16, -1
	s_ashr_i32 s5, s4, 31
	s_lshr_b32 s5, s5, 25
	s_add_i32 s4, s4, s5
	s_ashr_i32 s4, s4, 7
	s_add_i32 s5, s4, 1
	v_cvt_f32_u32_e32 v1, s5
	s_not_b32 s4, s4
	v_and_b32_e32 v124, 0x3ff, v0
	v_bfe_u32 v125, v0, 10, 10
	v_rcp_iflag_f32_e32 v1, v1
	v_lshl_add_u32 v0, v125, 5, v124
	v_lshrrev_b32_e32 v4, 2, v0
	s_load_dword s36, s[0:1], 0x18
	v_mul_f32_e32 v1, 0x4f7ffffe, v1
	v_cvt_u32_f32_e32 v1, v1
	v_and_b32_e32 v134, 3, v124
	v_cmp_eq_f32_e64 s[30:31], s19, 0
	v_mov_b32_e32 v6, 0x7f7fffff
	v_readfirstlane_b32 s6, v1
	s_mul_i32 s4, s4, s6
	s_mul_hi_u32 s4, s6, s4
	s_add_i32 s6, s6, s4
	s_mul_hi_u32 s4, s2, s6
	s_mul_i32 s6, s4, s5
	s_sub_i32 s6, s2, s6
	s_add_i32 s7, s4, 1
	s_sub_i32 s8, s6, s5
	s_cmp_ge_u32 s6, s5
	s_cselect_b32 s4, s7, s4
	s_cselect_b32 s6, s8, s6
	s_add_i32 s7, s4, 1
	s_cmp_ge_u32 s6, s5
	s_cselect_b32 s6, s7, s4
	s_mul_i32 s4, s6, s5
	s_sub_i32 s2, s2, s4
	s_lshl_b32 s2, s2, 7
	v_add_u32_e32 v80, s2, v4
	v_cmp_le_i32_e64 s[8:9], s18, v134
	s_add_i32 s34, s18, -1
	v_cmp_le_i32_e32 vcc, s16, v80
	v_min_i32_e32 v0, s34, v134
	s_or_b64 s[4:5], s[8:9], vcc
	v_ashrrev_i32_e32 v1, 31, v0
	v_cndmask_b32_e64 v5, 0, v6, s[4:5]
	s_or_b64 s[4:5], s[30:31], s[4:5]
	v_lshl_add_u64 v[2:3], v[0:1], 2, s[26:27]
	s_xor_b64 s[10:11], s[4:5], -1
	s_and_saveexec_b64 s[4:5], s[10:11]
	s_cbranch_execz .LBB65_11
; %bb.10:
	s_waitcnt lgkmcnt(0)
	v_mad_i64_i32 v[8:9], s[10:11], v80, s36, 0
	v_lshl_add_u64 v[8:9], v[8:9], 2, v[2:3]
	flat_load_dword v5, v[8:9]
	s_waitcnt vmcnt(0) lgkmcnt(0)
	v_mul_f32_e32 v5, s19, v5
.LBB65_11:
	s_or_b64 exec, exec, s[4:5]
	v_add_u32_e32 v82, 64, v80
	v_cmp_le_i32_e64 s[10:11], s16, v82
	s_or_b64 s[4:5], s[8:9], s[10:11]
	v_cndmask_b32_e64 v6, 0, v6, s[4:5]
	s_or_b64 s[4:5], s[30:31], s[4:5]
	s_xor_b64 s[12:13], s[4:5], -1
	s_and_saveexec_b64 s[4:5], s[12:13]
	s_cbranch_execz .LBB65_13
; %bb.12:
	s_waitcnt lgkmcnt(0)
	v_mad_i64_i32 v[6:7], s[12:13], v82, s36, 0
	v_lshl_add_u64 v[2:3], v[6:7], 2, v[2:3]
	flat_load_dword v2, v[2:3]
	s_waitcnt vmcnt(0) lgkmcnt(0)
	v_mul_f32_e32 v6, s19, v2
.LBB65_13:
	s_or_b64 exec, exec, s[4:5]
	s_lshl_b32 s33, s6, 7
	s_load_dword s37, s[0:1], 0x30
	v_add_u32_e32 v84, s33, v4
	v_cmp_le_i32_e64 s[4:5], s17, v84
	v_mov_b32_e32 v2, 0x7f7fffff
	s_or_b64 s[6:7], s[8:9], s[4:5]
	v_cndmask_b32_e64 v7, 0, v2, s[6:7]
	s_or_b64 s[6:7], s[30:31], s[6:7]
	v_lshl_add_u64 v[0:1], v[0:1], 2, s[28:29]
	s_xor_b64 s[12:13], s[6:7], -1
	s_and_saveexec_b64 s[6:7], s[12:13]
	s_cbranch_execz .LBB65_15
; %bb.14:
	s_waitcnt lgkmcnt(0)
	v_mad_i64_i32 v[8:9], s[12:13], v84, s37, 0
	v_lshl_add_u64 v[8:9], v[8:9], 2, v[0:1]
	flat_load_dword v3, v[8:9]
	s_waitcnt vmcnt(0) lgkmcnt(0)
	v_mul_f32_e32 v7, s19, v3
.LBB65_15:
	s_or_b64 exec, exec, s[6:7]
	v_add_u32_e32 v86, 64, v84
	v_cmp_le_i32_e64 s[6:7], s17, v86
	s_or_b64 s[8:9], s[8:9], s[6:7]
	v_cndmask_b32_e64 v8, 0, v2, s[8:9]
	s_or_b64 s[8:9], s[30:31], s[8:9]
	s_xor_b64 s[12:13], s[8:9], -1
	s_and_saveexec_b64 s[8:9], s[12:13]
	s_cbranch_execz .LBB65_17
; %bb.16:
	s_waitcnt lgkmcnt(0)
	v_mad_i64_i32 v[2:3], s[12:13], v86, s37, 0
	v_lshl_add_u64 v[0:1], v[2:3], 2, v[0:1]
	flat_load_dword v0, v[0:1]
	s_waitcnt vmcnt(0) lgkmcnt(0)
	v_mul_f32_e32 v8, s19, v0
.LBB65_17:
	s_or_b64 exec, exec, s[8:9]
	v_or_b32_e32 v0, 4, v134
	v_cmp_le_i32_e64 s[8:9], s18, v0
	v_min_i32_e32 v0, s34, v0
	v_mov_b32_e32 v9, 0x7f7fffff
	s_or_b64 s[12:13], s[8:9], vcc
	v_ashrrev_i32_e32 v1, 31, v0
	v_cndmask_b32_e64 v81, 0, v9, s[12:13]
	s_or_b64 s[12:13], s[30:31], s[12:13]
	v_lshl_add_u64 v[2:3], v[0:1], 2, s[26:27]
	s_xor_b64 s[38:39], s[12:13], -1
	s_and_saveexec_b64 s[12:13], s[38:39]
	s_cbranch_execz .LBB65_19
; %bb.18:
	s_waitcnt lgkmcnt(0)
	v_mad_i64_i32 v[10:11], s[38:39], v80, s36, 0
	v_lshl_add_u64 v[10:11], v[10:11], 2, v[2:3]
	flat_load_dword v10, v[10:11]
	s_waitcnt vmcnt(0) lgkmcnt(0)
	v_mul_f32_e32 v81, s19, v10
.LBB65_19:
	s_or_b64 exec, exec, s[12:13]
	s_or_b64 s[12:13], s[8:9], s[10:11]
	v_cndmask_b32_e64 v83, 0, v9, s[12:13]
	s_or_b64 s[12:13], s[30:31], s[12:13]
	s_xor_b64 s[38:39], s[12:13], -1
	s_and_saveexec_b64 s[12:13], s[38:39]
	s_cbranch_execz .LBB65_21
; %bb.20:
	s_waitcnt lgkmcnt(0)
	v_mad_i64_i32 v[10:11], s[38:39], v82, s36, 0
	v_lshl_add_u64 v[2:3], v[10:11], 2, v[2:3]
	flat_load_dword v2, v[2:3]
	s_waitcnt vmcnt(0) lgkmcnt(0)
	v_mul_f32_e32 v83, s19, v2
.LBB65_21:
	s_or_b64 exec, exec, s[12:13]
	v_mov_b32_e32 v2, 0x7f7fffff
	s_or_b64 s[12:13], s[8:9], s[4:5]
	v_cndmask_b32_e64 v85, 0, v2, s[12:13]
	s_or_b64 s[12:13], s[30:31], s[12:13]
	v_lshl_add_u64 v[0:1], v[0:1], 2, s[28:29]
	s_xor_b64 s[38:39], s[12:13], -1
	s_and_saveexec_b64 s[12:13], s[38:39]
	s_cbranch_execz .LBB65_23
; %bb.22:
	s_waitcnt lgkmcnt(0)
	v_mad_i64_i32 v[10:11], s[38:39], v84, s37, 0
	v_lshl_add_u64 v[10:11], v[10:11], 2, v[0:1]
	flat_load_dword v3, v[10:11]
	s_waitcnt vmcnt(0) lgkmcnt(0)
	v_mul_f32_e32 v85, s19, v3
.LBB65_23:
	s_or_b64 exec, exec, s[12:13]
	s_or_b64 s[8:9], s[8:9], s[6:7]
	v_cndmask_b32_e64 v87, 0, v2, s[8:9]
	s_or_b64 s[8:9], s[30:31], s[8:9]
	s_xor_b64 s[38:39], s[8:9], -1
	s_mov_b32 s12, 0x7f7fffff
	s_and_saveexec_b64 s[8:9], s[38:39]
	s_cbranch_execz .LBB65_25
; %bb.24:
	s_waitcnt lgkmcnt(0)
	v_mad_i64_i32 v[2:3], s[38:39], v86, s37, 0
	v_lshl_add_u64 v[0:1], v[2:3], 2, v[0:1]
	flat_load_dword v0, v[0:1]
	s_waitcnt vmcnt(0) lgkmcnt(0)
	v_mul_f32_e32 v87, s19, v0
.LBB65_25:
	s_or_b64 exec, exec, s[8:9]
	v_lshlrev_b32_e32 v0, 2, v134
	v_lshl_or_b32 v144, v4, 4, v0
	v_lshlrev_b32_e32 v135, 4, v124
	ds_write2st64_b32 v144, v5, v6 offset1:4
	ds_write2st64_b32 v144, v7, v8 offset0:16 offset1:20
	s_waitcnt lgkmcnt(0)
	s_barrier
	ds_read_b128 v[12:15], v135
	ds_read_b128 v[8:11], v135 offset:512
	ds_read_b128 v[4:7], v135 offset:1024
	;; [unrolled: 1-line block ×3, first 2 shown]
	v_lshlrev_b32_e32 v136, 4, v125
	ds_read_b128 v[76:79], v136 offset:4096
	ds_read_b128 v[72:75], v136 offset:4224
	;; [unrolled: 1-line block ×16, first 2 shown]
	s_waitcnt lgkmcnt(14)
	v_pk_add_f32 v[88:89], v[12:13], v[76:77]
	s_cmp_lt_i32 s18, 9
	v_min3_f32 v90, v88, v89, s12
	v_pk_add_f32 v[88:89], v[8:9], v[76:77]
	ds_write2st64_b32 v144, v81, v83 offset0:8 offset1:12
	ds_write2st64_b32 v144, v85, v87 offset0:24 offset1:28
	v_min3_f32 v91, v88, v89, s12
	v_pk_add_f32 v[88:89], v[4:5], v[76:77]
	v_pk_add_f32 v[76:77], v[0:1], v[76:77]
	v_min3_f32 v88, v88, v89, s12
	v_min3_f32 v89, v76, v77, s12
	v_pk_add_f32 v[76:77], v[12:13], v[72:73]
	s_waitcnt lgkmcnt(0)
	v_min3_f32 v92, v76, v77, s12
	v_pk_add_f32 v[76:77], v[8:9], v[72:73]
	s_barrier
	v_min3_f32 v93, v76, v77, s12
	v_pk_add_f32 v[76:77], v[4:5], v[72:73]
	v_pk_add_f32 v[72:73], v[0:1], v[72:73]
	v_min3_f32 v76, v76, v77, s12
	v_min3_f32 v77, v72, v73, s12
	v_pk_add_f32 v[72:73], v[12:13], v[68:69]
	s_nop 0
	v_min3_f32 v94, v72, v73, s12
	v_pk_add_f32 v[72:73], v[8:9], v[68:69]
	s_nop 0
	v_min3_f32 v95, v72, v73, s12
	v_pk_add_f32 v[72:73], v[4:5], v[68:69]
	v_pk_add_f32 v[68:69], v[0:1], v[68:69]
	v_min3_f32 v72, v72, v73, s12
	v_min3_f32 v73, v68, v69, s12
	v_pk_add_f32 v[68:69], v[12:13], v[64:65]
	s_nop 0
	v_min3_f32 v96, v68, v69, s12
	v_pk_add_f32 v[68:69], v[8:9], v[64:65]
	s_nop 0
	v_min3_f32 v97, v68, v69, s12
	v_pk_add_f32 v[68:69], v[4:5], v[64:65]
	v_pk_add_f32 v[64:65], v[0:1], v[64:65]
	v_min3_f32 v68, v68, v69, s12
	v_min3_f32 v69, v64, v65, s12
	v_pk_add_f32 v[64:65], v[12:13], v[60:61]
	s_nop 0
	v_min3_f32 v98, v64, v65, s12
	v_pk_add_f32 v[64:65], v[8:9], v[60:61]
	s_nop 0
	v_min3_f32 v99, v64, v65, s12
	v_pk_add_f32 v[64:65], v[4:5], v[60:61]
	v_pk_add_f32 v[60:61], v[0:1], v[60:61]
	v_min3_f32 v64, v64, v65, s12
	v_min3_f32 v65, v60, v61, s12
	v_pk_add_f32 v[60:61], v[12:13], v[56:57]
	s_nop 0
	v_min3_f32 v100, v60, v61, s12
	v_pk_add_f32 v[60:61], v[8:9], v[56:57]
	s_nop 0
	v_min3_f32 v101, v60, v61, s12
	v_pk_add_f32 v[60:61], v[4:5], v[56:57]
	v_pk_add_f32 v[56:57], v[0:1], v[56:57]
	v_min3_f32 v60, v60, v61, s12
	v_min3_f32 v61, v56, v57, s12
	v_pk_add_f32 v[56:57], v[12:13], v[52:53]
	s_nop 0
	v_min3_f32 v102, v56, v57, s12
	v_pk_add_f32 v[56:57], v[8:9], v[52:53]
	s_nop 0
	v_min3_f32 v103, v56, v57, s12
	v_pk_add_f32 v[56:57], v[4:5], v[52:53]
	v_pk_add_f32 v[52:53], v[0:1], v[52:53]
	v_min3_f32 v56, v56, v57, s12
	v_min3_f32 v57, v52, v53, s12
	v_pk_add_f32 v[52:53], v[12:13], v[48:49]
	s_nop 0
	v_min3_f32 v104, v52, v53, s12
	v_pk_add_f32 v[52:53], v[8:9], v[48:49]
	s_nop 0
	v_min3_f32 v105, v52, v53, s12
	v_pk_add_f32 v[52:53], v[4:5], v[48:49]
	v_pk_add_f32 v[48:49], v[0:1], v[48:49]
	v_min3_f32 v52, v52, v53, s12
	v_min3_f32 v53, v48, v49, s12
	v_pk_add_f32 v[48:49], v[12:13], v[44:45]
	s_nop 0
	v_min3_f32 v106, v48, v49, s12
	v_pk_add_f32 v[48:49], v[8:9], v[44:45]
	s_nop 0
	v_min3_f32 v107, v48, v49, s12
	v_pk_add_f32 v[48:49], v[4:5], v[44:45]
	v_pk_add_f32 v[44:45], v[0:1], v[44:45]
	v_min3_f32 v48, v48, v49, s12
	v_min3_f32 v49, v44, v45, s12
	v_pk_add_f32 v[44:45], v[12:13], v[40:41]
	s_nop 0
	v_min3_f32 v108, v44, v45, s12
	v_pk_add_f32 v[44:45], v[8:9], v[40:41]
	s_nop 0
	v_min3_f32 v109, v44, v45, s12
	v_pk_add_f32 v[44:45], v[4:5], v[40:41]
	v_pk_add_f32 v[40:41], v[0:1], v[40:41]
	v_min3_f32 v44, v44, v45, s12
	v_min3_f32 v45, v40, v41, s12
	v_pk_add_f32 v[40:41], v[12:13], v[36:37]
	s_nop 0
	v_min3_f32 v110, v40, v41, s12
	v_pk_add_f32 v[40:41], v[8:9], v[36:37]
	s_nop 0
	v_min3_f32 v111, v40, v41, s12
	v_pk_add_f32 v[40:41], v[4:5], v[36:37]
	v_pk_add_f32 v[36:37], v[0:1], v[36:37]
	v_min3_f32 v40, v40, v41, s12
	v_min3_f32 v41, v36, v37, s12
	v_pk_add_f32 v[36:37], v[12:13], v[32:33]
	s_nop 0
	v_min3_f32 v162, v36, v37, s12
	v_pk_add_f32 v[36:37], v[8:9], v[32:33]
	s_nop 0
	v_min3_f32 v163, v36, v37, s12
	v_pk_add_f32 v[36:37], v[4:5], v[32:33]
	v_pk_add_f32 v[32:33], v[0:1], v[32:33]
	v_min3_f32 v36, v36, v37, s12
	v_min3_f32 v37, v32, v33, s12
	v_pk_add_f32 v[32:33], v[12:13], v[28:29]
	s_nop 0
	v_min3_f32 v164, v32, v33, s12
	v_pk_add_f32 v[32:33], v[8:9], v[28:29]
	s_nop 0
	v_min3_f32 v165, v32, v33, s12
	v_pk_add_f32 v[32:33], v[4:5], v[28:29]
	v_pk_add_f32 v[28:29], v[0:1], v[28:29]
	v_min3_f32 v32, v32, v33, s12
	v_min3_f32 v33, v28, v29, s12
	v_pk_add_f32 v[28:29], v[12:13], v[24:25]
	s_nop 0
	v_min3_f32 v166, v28, v29, s12
	v_pk_add_f32 v[28:29], v[8:9], v[24:25]
	s_nop 0
	v_min3_f32 v167, v28, v29, s12
	v_pk_add_f32 v[28:29], v[4:5], v[24:25]
	v_pk_add_f32 v[24:25], v[0:1], v[24:25]
	v_min3_f32 v28, v28, v29, s12
	v_min3_f32 v29, v24, v25, s12
	v_pk_add_f32 v[24:25], v[12:13], v[20:21]
	v_pk_add_f32 v[12:13], v[12:13], v[16:17]
	v_min3_f32 v168, v24, v25, s12
	v_pk_add_f32 v[24:25], v[8:9], v[20:21]
	v_min3_f32 v12, v12, v13, s12
	v_min3_f32 v169, v24, v25, s12
	v_pk_add_f32 v[24:25], v[4:5], v[20:21]
	v_pk_add_f32 v[20:21], v[0:1], v[20:21]
	;; [unrolled: 1-line block ×4, first 2 shown]
	v_min3_f32 v4, v4, v5, s12
	v_min3_f32 v5, v0, v1, s12
	v_pk_add_f32 v[0:1], v[14:15], v[78:79]
	v_min3_f32 v24, v24, v25, s12
	v_min3_f32 v161, v0, v1, v90
	v_pk_add_f32 v[0:1], v[10:11], v[78:79]
	;; [unrolled: 3-line block ×3, first 2 shown]
	v_pk_add_f32 v[8:9], v[8:9], v[16:17]
	v_min3_f32 v159, v0, v1, v88
	v_pk_add_f32 v[0:1], v[2:3], v[78:79]
	v_min3_f32 v8, v8, v9, s12
	v_min3_f32 v158, v0, v1, v89
	v_pk_add_f32 v[0:1], v[14:15], v[74:75]
	s_nop 0
	v_min3_f32 v157, v0, v1, v92
	v_pk_add_f32 v[0:1], v[10:11], v[74:75]
	s_nop 0
	;; [unrolled: 3-line block ×60, first 2 shown]
	v_min3_f32 v95, v0, v1, v5
	s_cbranch_scc1 .LBB65_44
; %bb.26:
	v_mov_b32_e32 v0, 0x800
	v_lshl_add_u32 v166, v124, 4, v0
	v_mov_b32_e32 v0, 0x1800
	v_add_u32_e32 v162, 0x1000, v144
	v_add_u32_e32 v163, 0x1000, v136
	;; [unrolled: 1-line block ×4, first 2 shown]
	s_add_i32 s35, s18, -8
	v_mad_i64_i32 v[80:81], s[8:9], v80, s36, 0
	v_mad_i64_i32 v[82:83], s[8:9], v82, s36, 0
	;; [unrolled: 1-line block ×4, first 2 shown]
	v_lshl_add_u32 v167, v125, 4, v0
	s_mov_b32 s36, 0
	v_mov_b32_e32 v168, 0x7f7fffff
	s_branch .LBB65_28
.LBB65_27:                              ;   in Loop: Header=BB65_28 Depth=1
	s_or_b64 exec, exec, s[8:9]
	ds_read_b128 v[0:3], v135
	ds_read_b128 v[4:7], v135 offset:512
	ds_read_b128 v[8:11], v135 offset:1024
	;; [unrolled: 1-line block ×3, first 2 shown]
	ds_read_b128 v[100:103], v163
	ds_read_b128 v[104:107], v163 offset:128
	ds_read_b128 v[108:111], v163 offset:256
	;; [unrolled: 1-line block ×15, first 2 shown]
	s_waitcnt lgkmcnt(14)
	v_pk_add_f32 v[88:89], v[0:1], v[100:101]
	s_add_i32 s36, s36, 8
	v_min3_f32 v25, v88, v89, v25
	v_pk_add_f32 v[88:89], v[4:5], v[100:101]
	s_cmp_ge_i32 s36, s35
	v_min3_f32 v130, v88, v89, v28
	v_pk_add_f32 v[88:89], v[8:9], v[100:101]
	ds_write2st64_b32 v164, v169, v170 offset1:4
	ds_write2st64_b32 v165, v90, v24 offset1:4
	v_min3_f32 v88, v88, v89, v29
	v_pk_add_f32 v[28:29], v[12:13], v[100:101]
	s_waitcnt lgkmcnt(0)
	v_min3_f32 v32, v28, v29, v32
	v_pk_add_f32 v[28:29], v[0:1], v[104:105]
	s_barrier
	v_min3_f32 v33, v28, v29, v33
	v_pk_add_f32 v[28:29], v[4:5], v[104:105]
	s_nop 0
	v_min3_f32 v36, v28, v29, v36
	v_pk_add_f32 v[28:29], v[8:9], v[104:105]
	s_nop 0
	v_min3_f32 v37, v28, v29, v37
	v_pk_add_f32 v[28:29], v[12:13], v[104:105]
	s_nop 0
	v_min3_f32 v40, v28, v29, v40
	v_pk_add_f32 v[28:29], v[0:1], v[108:109]
	s_nop 0
	v_min3_f32 v41, v28, v29, v41
	v_pk_add_f32 v[28:29], v[4:5], v[108:109]
	s_nop 0
	v_min3_f32 v44, v28, v29, v44
	v_pk_add_f32 v[28:29], v[8:9], v[108:109]
	s_nop 0
	v_min3_f32 v45, v28, v29, v45
	v_pk_add_f32 v[28:29], v[12:13], v[108:109]
	s_nop 0
	v_min3_f32 v48, v28, v29, v48
	v_pk_add_f32 v[28:29], v[0:1], v[112:113]
	s_nop 0
	v_min3_f32 v49, v28, v29, v49
	v_pk_add_f32 v[28:29], v[4:5], v[112:113]
	s_nop 0
	v_min3_f32 v52, v28, v29, v52
	v_pk_add_f32 v[28:29], v[8:9], v[112:113]
	s_nop 0
	v_min3_f32 v53, v28, v29, v53
	v_pk_add_f32 v[28:29], v[12:13], v[112:113]
	s_nop 0
	v_min3_f32 v56, v28, v29, v56
	v_pk_add_f32 v[28:29], v[0:1], v[116:117]
	s_nop 0
	v_min3_f32 v57, v28, v29, v57
	v_pk_add_f32 v[28:29], v[4:5], v[116:117]
	s_nop 0
	v_min3_f32 v60, v28, v29, v60
	v_pk_add_f32 v[28:29], v[8:9], v[116:117]
	s_nop 0
	v_min3_f32 v61, v28, v29, v61
	v_pk_add_f32 v[28:29], v[12:13], v[116:117]
	s_nop 0
	v_min3_f32 v62, v28, v29, v62
	v_pk_add_f32 v[28:29], v[0:1], v[120:121]
	s_nop 0
	v_min3_f32 v63, v28, v29, v63
	v_pk_add_f32 v[28:29], v[4:5], v[120:121]
	s_nop 0
	v_min3_f32 v64, v28, v29, v64
	v_pk_add_f32 v[28:29], v[8:9], v[120:121]
	s_nop 0
	v_min3_f32 v65, v28, v29, v65
	v_pk_add_f32 v[28:29], v[12:13], v[120:121]
	s_nop 0
	v_min3_f32 v58, v28, v29, v58
	v_pk_add_f32 v[28:29], v[0:1], v[126:127]
	s_nop 0
	v_min3_f32 v59, v28, v29, v59
	v_pk_add_f32 v[28:29], v[4:5], v[126:127]
	s_nop 0
	v_min3_f32 v66, v28, v29, v66
	v_pk_add_f32 v[28:29], v[8:9], v[126:127]
	s_nop 0
	v_min3_f32 v67, v28, v29, v67
	v_pk_add_f32 v[28:29], v[12:13], v[126:127]
	s_nop 0
	v_min3_f32 v54, v28, v29, v54
	v_pk_add_f32 v[28:29], v[0:1], v[172:173]
	s_nop 0
	v_min3_f32 v55, v28, v29, v55
	v_pk_add_f32 v[28:29], v[4:5], v[172:173]
	s_nop 0
	v_min3_f32 v68, v28, v29, v68
	v_pk_add_f32 v[28:29], v[8:9], v[172:173]
	s_nop 0
	v_min3_f32 v69, v28, v29, v69
	v_pk_add_f32 v[28:29], v[12:13], v[172:173]
	s_nop 0
	v_min3_f32 v50, v28, v29, v50
	v_pk_add_f32 v[28:29], v[0:1], v[176:177]
	s_nop 0
	v_min3_f32 v51, v28, v29, v51
	v_pk_add_f32 v[28:29], v[4:5], v[176:177]
	s_nop 0
	v_min3_f32 v70, v28, v29, v70
	v_pk_add_f32 v[28:29], v[8:9], v[176:177]
	s_nop 0
	v_min3_f32 v71, v28, v29, v71
	v_pk_add_f32 v[28:29], v[12:13], v[176:177]
	s_nop 0
	v_min3_f32 v46, v28, v29, v46
	v_pk_add_f32 v[28:29], v[0:1], v[180:181]
	s_nop 0
	v_min3_f32 v47, v28, v29, v47
	v_pk_add_f32 v[28:29], v[4:5], v[180:181]
	s_nop 0
	v_min3_f32 v72, v28, v29, v72
	v_pk_add_f32 v[28:29], v[8:9], v[180:181]
	s_nop 0
	v_min3_f32 v73, v28, v29, v73
	v_pk_add_f32 v[28:29], v[12:13], v[180:181]
	s_nop 0
	v_min3_f32 v42, v28, v29, v42
	v_pk_add_f32 v[28:29], v[0:1], v[184:185]
	s_nop 0
	v_min3_f32 v43, v28, v29, v43
	v_pk_add_f32 v[28:29], v[4:5], v[184:185]
	s_nop 0
	v_min3_f32 v74, v28, v29, v74
	v_pk_add_f32 v[28:29], v[8:9], v[184:185]
	s_nop 0
	v_min3_f32 v75, v28, v29, v75
	v_pk_add_f32 v[28:29], v[12:13], v[184:185]
	s_nop 0
	v_min3_f32 v38, v28, v29, v38
	v_pk_add_f32 v[28:29], v[0:1], v[188:189]
	s_nop 0
	v_min3_f32 v39, v28, v29, v39
	v_pk_add_f32 v[28:29], v[4:5], v[188:189]
	s_nop 0
	v_min3_f32 v76, v28, v29, v76
	v_pk_add_f32 v[28:29], v[8:9], v[188:189]
	s_nop 0
	v_min3_f32 v77, v28, v29, v77
	v_pk_add_f32 v[28:29], v[12:13], v[188:189]
	s_nop 0
	v_min3_f32 v34, v28, v29, v34
	v_pk_add_f32 v[28:29], v[0:1], v[192:193]
	s_nop 0
	v_min3_f32 v35, v28, v29, v35
	v_pk_add_f32 v[28:29], v[4:5], v[192:193]
	s_nop 0
	v_min3_f32 v78, v28, v29, v78
	v_pk_add_f32 v[28:29], v[8:9], v[192:193]
	s_nop 0
	v_min3_f32 v79, v28, v29, v79
	v_pk_add_f32 v[28:29], v[12:13], v[192:193]
	s_nop 0
	v_min3_f32 v30, v28, v29, v30
	v_pk_add_f32 v[28:29], v[0:1], v[196:197]
	s_nop 0
	v_min3_f32 v31, v28, v29, v31
	v_pk_add_f32 v[28:29], v[4:5], v[196:197]
	s_nop 0
	v_min3_f32 v89, v28, v29, v91
	v_pk_add_f32 v[28:29], v[8:9], v[196:197]
	s_nop 0
	v_min3_f32 v91, v28, v29, v92
	v_pk_add_f32 v[28:29], v[12:13], v[196:197]
	s_nop 0
	v_min3_f32 v92, v28, v29, v26
	v_pk_add_f32 v[28:29], v[0:1], v[20:21]
	v_pk_add_f32 v[0:1], v[0:1], v[16:17]
	v_min3_f32 v28, v28, v29, v27
	v_pk_add_f32 v[26:27], v[4:5], v[20:21]
	s_nop 0
	v_min3_f32 v29, v26, v27, v93
	v_pk_add_f32 v[26:27], v[8:9], v[20:21]
	v_pk_add_f32 v[20:21], v[12:13], v[20:21]
	v_min3_f32 v26, v26, v27, v94
	v_min3_f32 v20, v20, v21, v95
	;; [unrolled: 1-line block ×3, first 2 shown]
	v_pk_add_f32 v[0:1], v[4:5], v[16:17]
	s_nop 0
	v_min3_f32 v4, v0, v1, v97
	v_pk_add_f32 v[0:1], v[8:9], v[16:17]
	s_nop 0
	v_min3_f32 v5, v0, v1, v98
	v_pk_add_f32 v[0:1], v[12:13], v[16:17]
	s_nop 0
	v_min3_f32 v8, v0, v1, v99
	v_pk_add_f32 v[0:1], v[2:3], v[102:103]
	s_nop 0
	v_min3_f32 v161, v0, v1, v25
	v_pk_add_f32 v[0:1], v[6:7], v[102:103]
	s_nop 0
	v_min3_f32 v160, v0, v1, v130
	v_pk_add_f32 v[0:1], v[10:11], v[102:103]
	s_nop 0
	v_min3_f32 v159, v0, v1, v88
	v_pk_add_f32 v[0:1], v[14:15], v[102:103]
	s_nop 0
	v_min3_f32 v158, v0, v1, v32
	v_pk_add_f32 v[0:1], v[2:3], v[106:107]
	s_nop 0
	v_min3_f32 v157, v0, v1, v33
	v_pk_add_f32 v[0:1], v[6:7], v[106:107]
	s_nop 0
	v_min3_f32 v156, v0, v1, v36
	v_pk_add_f32 v[0:1], v[10:11], v[106:107]
	s_nop 0
	v_min3_f32 v155, v0, v1, v37
	v_pk_add_f32 v[0:1], v[14:15], v[106:107]
	s_nop 0
	v_min3_f32 v154, v0, v1, v40
	v_pk_add_f32 v[0:1], v[2:3], v[110:111]
	s_nop 0
	v_min3_f32 v153, v0, v1, v41
	v_pk_add_f32 v[0:1], v[6:7], v[110:111]
	s_nop 0
	v_min3_f32 v152, v0, v1, v44
	v_pk_add_f32 v[0:1], v[10:11], v[110:111]
	s_nop 0
	v_min3_f32 v151, v0, v1, v45
	v_pk_add_f32 v[0:1], v[14:15], v[110:111]
	s_nop 0
	v_min3_f32 v150, v0, v1, v48
	v_pk_add_f32 v[0:1], v[2:3], v[114:115]
	s_nop 0
	v_min3_f32 v149, v0, v1, v49
	v_pk_add_f32 v[0:1], v[6:7], v[114:115]
	s_nop 0
	v_min3_f32 v148, v0, v1, v52
	v_pk_add_f32 v[0:1], v[10:11], v[114:115]
	s_nop 0
	v_min3_f32 v147, v0, v1, v53
	v_pk_add_f32 v[0:1], v[14:15], v[114:115]
	s_nop 0
	v_min3_f32 v146, v0, v1, v56
	v_pk_add_f32 v[0:1], v[2:3], v[118:119]
	s_nop 0
	v_min3_f32 v145, v0, v1, v57
	v_pk_add_f32 v[0:1], v[6:7], v[118:119]
	s_nop 0
	v_min3_f32 v143, v0, v1, v60
	v_pk_add_f32 v[0:1], v[10:11], v[118:119]
	s_nop 0
	v_min3_f32 v142, v0, v1, v61
	v_pk_add_f32 v[0:1], v[14:15], v[118:119]
	s_nop 0
	v_min3_f32 v141, v0, v1, v62
	v_pk_add_f32 v[0:1], v[2:3], v[122:123]
	s_nop 0
	v_min3_f32 v140, v0, v1, v63
	v_pk_add_f32 v[0:1], v[6:7], v[122:123]
	s_nop 0
	v_min3_f32 v139, v0, v1, v64
	v_pk_add_f32 v[0:1], v[10:11], v[122:123]
	s_nop 0
	v_min3_f32 v138, v0, v1, v65
	v_pk_add_f32 v[0:1], v[14:15], v[122:123]
	s_nop 0
	v_min3_f32 v137, v0, v1, v58
	v_pk_add_f32 v[0:1], v[2:3], v[128:129]
	s_nop 0
	v_min3_f32 v133, v0, v1, v59
	v_pk_add_f32 v[0:1], v[6:7], v[128:129]
	s_nop 0
	v_min3_f32 v132, v0, v1, v66
	v_pk_add_f32 v[0:1], v[10:11], v[128:129]
	s_nop 0
	v_min3_f32 v131, v0, v1, v67
	v_pk_add_f32 v[0:1], v[14:15], v[128:129]
	s_nop 0
	v_min3_f32 v130, v0, v1, v54
	v_pk_add_f32 v[0:1], v[2:3], v[174:175]
	s_nop 0
	v_min3_f32 v129, v0, v1, v55
	v_pk_add_f32 v[0:1], v[6:7], v[174:175]
	s_nop 0
	v_min3_f32 v128, v0, v1, v68
	v_pk_add_f32 v[0:1], v[10:11], v[174:175]
	s_nop 0
	v_min3_f32 v127, v0, v1, v69
	v_pk_add_f32 v[0:1], v[14:15], v[174:175]
	s_nop 0
	v_min3_f32 v126, v0, v1, v50
	v_pk_add_f32 v[0:1], v[2:3], v[178:179]
	s_nop 0
	v_min3_f32 v123, v0, v1, v51
	v_pk_add_f32 v[0:1], v[6:7], v[178:179]
	s_nop 0
	v_min3_f32 v122, v0, v1, v70
	v_pk_add_f32 v[0:1], v[10:11], v[178:179]
	s_nop 0
	v_min3_f32 v121, v0, v1, v71
	v_pk_add_f32 v[0:1], v[14:15], v[178:179]
	s_nop 0
	v_min3_f32 v120, v0, v1, v46
	v_pk_add_f32 v[0:1], v[2:3], v[182:183]
	s_nop 0
	v_min3_f32 v119, v0, v1, v47
	v_pk_add_f32 v[0:1], v[6:7], v[182:183]
	s_nop 0
	v_min3_f32 v118, v0, v1, v72
	v_pk_add_f32 v[0:1], v[10:11], v[182:183]
	s_nop 0
	v_min3_f32 v117, v0, v1, v73
	v_pk_add_f32 v[0:1], v[14:15], v[182:183]
	s_nop 0
	v_min3_f32 v116, v0, v1, v42
	v_pk_add_f32 v[0:1], v[2:3], v[186:187]
	s_nop 0
	v_min3_f32 v115, v0, v1, v43
	v_pk_add_f32 v[0:1], v[6:7], v[186:187]
	s_nop 0
	v_min3_f32 v114, v0, v1, v74
	v_pk_add_f32 v[0:1], v[10:11], v[186:187]
	s_nop 0
	v_min3_f32 v113, v0, v1, v75
	v_pk_add_f32 v[0:1], v[14:15], v[186:187]
	s_nop 0
	v_min3_f32 v112, v0, v1, v38
	v_pk_add_f32 v[0:1], v[2:3], v[190:191]
	s_nop 0
	v_min3_f32 v111, v0, v1, v39
	v_pk_add_f32 v[0:1], v[6:7], v[190:191]
	s_nop 0
	v_min3_f32 v110, v0, v1, v76
	v_pk_add_f32 v[0:1], v[10:11], v[190:191]
	s_nop 0
	v_min3_f32 v109, v0, v1, v77
	v_pk_add_f32 v[0:1], v[14:15], v[190:191]
	s_nop 0
	v_min3_f32 v108, v0, v1, v34
	v_pk_add_f32 v[0:1], v[2:3], v[194:195]
	s_nop 0
	v_min3_f32 v107, v0, v1, v35
	v_pk_add_f32 v[0:1], v[6:7], v[194:195]
	s_nop 0
	v_min3_f32 v106, v0, v1, v78
	v_pk_add_f32 v[0:1], v[10:11], v[194:195]
	s_nop 0
	v_min3_f32 v105, v0, v1, v79
	v_pk_add_f32 v[0:1], v[14:15], v[194:195]
	s_nop 0
	v_min3_f32 v104, v0, v1, v30
	v_pk_add_f32 v[0:1], v[2:3], v[198:199]
	s_nop 0
	v_min3_f32 v103, v0, v1, v31
	v_pk_add_f32 v[0:1], v[6:7], v[198:199]
	s_nop 0
	v_min3_f32 v102, v0, v1, v89
	v_pk_add_f32 v[0:1], v[10:11], v[198:199]
	s_nop 0
	v_min3_f32 v101, v0, v1, v91
	v_pk_add_f32 v[0:1], v[14:15], v[198:199]
	s_nop 0
	v_min3_f32 v100, v0, v1, v92
	v_pk_add_f32 v[0:1], v[2:3], v[22:23]
	s_nop 0
	v_min3_f32 v99, v0, v1, v28
	v_pk_add_f32 v[0:1], v[6:7], v[22:23]
	s_nop 0
	v_min3_f32 v98, v0, v1, v29
	v_pk_add_f32 v[0:1], v[10:11], v[22:23]
	s_nop 0
	v_min3_f32 v97, v0, v1, v26
	v_pk_add_f32 v[0:1], v[14:15], v[22:23]
	s_nop 0
	v_min3_f32 v96, v0, v1, v20
	v_pk_add_f32 v[0:1], v[2:3], v[18:19]
	s_nop 0
	v_min3_f32 v94, v0, v1, v21
	v_pk_add_f32 v[0:1], v[6:7], v[18:19]
	s_nop 0
	v_min3_f32 v93, v0, v1, v4
	v_pk_add_f32 v[0:1], v[10:11], v[18:19]
	s_nop 0
	v_min3_f32 v92, v0, v1, v5
	v_pk_add_f32 v[0:1], v[14:15], v[18:19]
	s_nop 0
	v_min3_f32 v95, v0, v1, v8
	s_cbranch_scc1 .LBB65_44
.LBB65_28:                              ; =>This Inner Loop Header: Depth=1
	v_add_u32_e32 v88, s36, v134
	v_add_u32_e32 v0, 8, v88
	v_cmp_le_i32_e64 s[8:9], s18, v0
	v_min_i32_e32 v0, s34, v0
	s_or_b64 s[12:13], vcc, s[8:9]
	v_ashrrev_i32_e32 v1, 31, v0
	v_cndmask_b32_e64 v89, 0, v168, s[12:13]
	s_or_b64 s[12:13], s[30:31], s[12:13]
	v_lshl_add_u64 v[2:3], v[0:1], 2, s[26:27]
	s_xor_b64 s[38:39], s[12:13], -1
	s_and_saveexec_b64 s[12:13], s[38:39]
	s_cbranch_execz .LBB65_30
; %bb.29:                               ;   in Loop: Header=BB65_28 Depth=1
	v_lshl_add_u64 v[4:5], v[80:81], 2, v[2:3]
	flat_load_dword v4, v[4:5]
	s_waitcnt vmcnt(0) lgkmcnt(0)
	v_mul_f32_e32 v89, s19, v4
.LBB65_30:                              ;   in Loop: Header=BB65_28 Depth=1
	s_or_b64 exec, exec, s[12:13]
	s_or_b64 s[12:13], s[10:11], s[8:9]
	v_cndmask_b32_e64 v90, 0, v168, s[12:13]
	s_or_b64 s[12:13], s[30:31], s[12:13]
	s_xor_b64 s[38:39], s[12:13], -1
	s_and_saveexec_b64 s[12:13], s[38:39]
	s_cbranch_execz .LBB65_32
; %bb.31:                               ;   in Loop: Header=BB65_28 Depth=1
	v_lshl_add_u64 v[2:3], v[82:83], 2, v[2:3]
	flat_load_dword v2, v[2:3]
	s_waitcnt vmcnt(0) lgkmcnt(0)
	v_mul_f32_e32 v90, s19, v2
.LBB65_32:                              ;   in Loop: Header=BB65_28 Depth=1
	s_or_b64 exec, exec, s[12:13]
	s_or_b64 s[12:13], s[4:5], s[8:9]
	v_cndmask_b32_e64 v91, 0, v168, s[12:13]
	s_or_b64 s[12:13], s[30:31], s[12:13]
	v_lshl_add_u64 v[0:1], v[0:1], 2, s[28:29]
	s_xor_b64 s[38:39], s[12:13], -1
	s_and_saveexec_b64 s[12:13], s[38:39]
	s_cbranch_execz .LBB65_34
; %bb.33:                               ;   in Loop: Header=BB65_28 Depth=1
	v_lshl_add_u64 v[2:3], v[84:85], 2, v[0:1]
	flat_load_dword v2, v[2:3]
	s_waitcnt vmcnt(0) lgkmcnt(0)
	v_mul_f32_e32 v91, s19, v2
.LBB65_34:                              ;   in Loop: Header=BB65_28 Depth=1
	s_or_b64 exec, exec, s[12:13]
	s_or_b64 s[8:9], s[6:7], s[8:9]
	v_cndmask_b32_e64 v169, 0, v168, s[8:9]
	s_or_b64 s[8:9], s[30:31], s[8:9]
	s_xor_b64 s[12:13], s[8:9], -1
	s_and_saveexec_b64 s[8:9], s[12:13]
	s_cbranch_execz .LBB65_36
; %bb.35:                               ;   in Loop: Header=BB65_28 Depth=1
	v_lshl_add_u64 v[0:1], v[86:87], 2, v[0:1]
	flat_load_dword v0, v[0:1]
	s_waitcnt vmcnt(0) lgkmcnt(0)
	v_mul_f32_e32 v169, s19, v0
.LBB65_36:                              ;   in Loop: Header=BB65_28 Depth=1
	s_or_b64 exec, exec, s[8:9]
	ds_read_b128 v[12:15], v166
	ds_read_b128 v[8:11], v166 offset:512
	ds_read_b128 v[4:7], v166 offset:1024
	;; [unrolled: 1-line block ×3, first 2 shown]
	ds_read_b128 v[76:79], v167
	ds_read_b128 v[72:75], v167 offset:128
	ds_read_b128 v[68:71], v167 offset:256
	;; [unrolled: 1-line block ×15, first 2 shown]
	v_add_u32_e32 v88, 12, v88
	v_cmp_le_i32_e64 s[8:9], s18, v88
	v_min_i32_e32 v88, s34, v88
	s_or_b64 s[12:13], vcc, s[8:9]
	ds_write2st64_b32 v144, v89, v90 offset1:4
	ds_write2st64_b32 v162, v91, v169 offset1:4
	v_ashrrev_i32_e32 v89, 31, v88
	v_cndmask_b32_e64 v169, 0, v168, s[12:13]
	s_or_b64 s[12:13], s[30:31], s[12:13]
	v_lshl_add_u64 v[90:91], v[88:89], 2, s[26:27]
	s_xor_b64 s[38:39], s[12:13], -1
	s_waitcnt lgkmcnt(0)
	s_barrier
	s_and_saveexec_b64 s[12:13], s[38:39]
	s_cbranch_execz .LBB65_38
; %bb.37:                               ;   in Loop: Header=BB65_28 Depth=1
	v_lshl_add_u64 v[170:171], v[80:81], 2, v[90:91]
	flat_load_dword v169, v[170:171]
	s_waitcnt vmcnt(0) lgkmcnt(0)
	v_mul_f32_e32 v169, s19, v169
.LBB65_38:                              ;   in Loop: Header=BB65_28 Depth=1
	s_or_b64 exec, exec, s[12:13]
	s_or_b64 s[12:13], s[10:11], s[8:9]
	v_cndmask_b32_e64 v170, 0, v168, s[12:13]
	s_or_b64 s[12:13], s[30:31], s[12:13]
	s_xor_b64 s[38:39], s[12:13], -1
	s_and_saveexec_b64 s[12:13], s[38:39]
	s_cbranch_execz .LBB65_40
; %bb.39:                               ;   in Loop: Header=BB65_28 Depth=1
	v_lshl_add_u64 v[90:91], v[82:83], 2, v[90:91]
	flat_load_dword v90, v[90:91]
	s_waitcnt vmcnt(0) lgkmcnt(0)
	v_mul_f32_e32 v170, s19, v90
.LBB65_40:                              ;   in Loop: Header=BB65_28 Depth=1
	s_or_b64 exec, exec, s[12:13]
	s_or_b64 s[12:13], s[4:5], s[8:9]
	v_cndmask_b32_e64 v90, 0, v168, s[12:13]
	s_or_b64 s[12:13], s[30:31], s[12:13]
	v_lshl_add_u64 v[88:89], v[88:89], 2, s[28:29]
	s_xor_b64 s[38:39], s[12:13], -1
	s_and_saveexec_b64 s[12:13], s[38:39]
	s_cbranch_execz .LBB65_42
; %bb.41:                               ;   in Loop: Header=BB65_28 Depth=1
	v_lshl_add_u64 v[90:91], v[84:85], 2, v[88:89]
	flat_load_dword v90, v[90:91]
	s_waitcnt vmcnt(0) lgkmcnt(0)
	v_mul_f32_e32 v90, s19, v90
.LBB65_42:                              ;   in Loop: Header=BB65_28 Depth=1
	s_or_b64 exec, exec, s[12:13]
	v_pk_add_f32 v[172:173], v[12:13], v[76:77]
	s_or_b64 s[8:9], s[6:7], s[8:9]
	v_min3_f32 v91, v172, v173, v161
	v_pk_add_f32 v[172:173], v[8:9], v[76:77]
	s_nop 0
	v_min3_f32 v171, v172, v173, v160
	v_pk_add_f32 v[160:161], v[4:5], v[76:77]
	v_pk_add_f32 v[76:77], v[0:1], v[76:77]
	v_min3_f32 v159, v160, v161, v159
	v_min3_f32 v158, v76, v77, v158
	v_pk_add_f32 v[76:77], v[12:13], v[72:73]
	s_nop 0
	v_min3_f32 v157, v76, v77, v157
	v_pk_add_f32 v[76:77], v[8:9], v[72:73]
	s_nop 0
	v_min3_f32 v156, v76, v77, v156
	v_pk_add_f32 v[76:77], v[4:5], v[72:73]
	v_pk_add_f32 v[72:73], v[0:1], v[72:73]
	v_min3_f32 v76, v76, v77, v155
	v_min3_f32 v77, v72, v73, v154
	v_pk_add_f32 v[72:73], v[12:13], v[68:69]
	s_nop 0
	;; [unrolled: 10-line block ×13, first 2 shown]
	v_min3_f32 v103, v28, v29, v103
	v_pk_add_f32 v[28:29], v[8:9], v[24:25]
	s_nop 0
	v_min3_f32 v102, v28, v29, v102
	v_pk_add_f32 v[28:29], v[4:5], v[24:25]
	v_pk_add_f32 v[24:25], v[0:1], v[24:25]
	v_min3_f32 v101, v28, v29, v101
	v_min3_f32 v100, v24, v25, v100
	v_pk_add_f32 v[24:25], v[12:13], v[20:21]
	v_pk_add_f32 v[12:13], v[12:13], v[16:17]
	v_min3_f32 v99, v24, v25, v99
	v_pk_add_f32 v[24:25], v[8:9], v[20:21]
	v_pk_add_f32 v[8:9], v[8:9], v[16:17]
	;; [unrolled: 3-line block ×3, first 2 shown]
	v_pk_add_f32 v[4:5], v[4:5], v[16:17]
	v_pk_add_f32 v[0:1], v[0:1], v[16:17]
	v_min3_f32 v4, v4, v5, v92
	v_min3_f32 v5, v0, v1, v95
	v_pk_add_f32 v[0:1], v[14:15], v[78:79]
	v_min3_f32 v24, v24, v25, v97
	v_min3_f32 v25, v0, v1, v91
	;; [unrolled: 3-line block ×5, first 2 shown]
	v_pk_add_f32 v[0:1], v[14:15], v[74:75]
	s_nop 0
	v_min3_f32 v33, v0, v1, v157
	v_pk_add_f32 v[0:1], v[10:11], v[74:75]
	s_nop 0
	v_min3_f32 v36, v0, v1, v156
	;; [unrolled: 3-line block ×55, first 2 shown]
	v_pk_add_f32 v[0:1], v[2:3], v[22:23]
	v_cndmask_b32_e64 v24, 0, v168, s[8:9]
	v_min3_f32 v95, v0, v1, v20
	v_pk_add_f32 v[0:1], v[14:15], v[18:19]
	s_or_b64 s[8:9], s[30:31], s[8:9]
	v_min3_f32 v96, v0, v1, v12
	v_pk_add_f32 v[0:1], v[10:11], v[18:19]
	s_xor_b64 s[12:13], s[8:9], -1
	v_min3_f32 v97, v0, v1, v8
	v_pk_add_f32 v[0:1], v[6:7], v[18:19]
	s_nop 0
	v_min3_f32 v98, v0, v1, v4
	v_pk_add_f32 v[0:1], v[2:3], v[18:19]
	s_nop 0
	v_min3_f32 v99, v0, v1, v5
	s_and_saveexec_b64 s[8:9], s[12:13]
	s_cbranch_execz .LBB65_27
; %bb.43:                               ;   in Loop: Header=BB65_28 Depth=1
	v_lshl_add_u64 v[0:1], v[86:87], 2, v[88:89]
	flat_load_dword v0, v[0:1]
	s_waitcnt vmcnt(0) lgkmcnt(0)
	v_mul_f32_e32 v24, s19, v0
	s_branch .LBB65_27
.LBB65_44:
	s_load_dwordx2 s[4:5], s[0:1], 0x70
	s_load_dword s19, s[0:1], 0x50
	s_load_dword s18, s[0:1], 0x68
	ds_read_b128 v[16:19], v135 offset:2048
	ds_read_b128 v[12:15], v135 offset:2560
	;; [unrolled: 1-line block ×20, first 2 shown]
	v_add_u32_e32 v80, s2, v124
	s_waitcnt lgkmcnt(0)
	s_mul_i32 s0, s3, s5
	s_mul_hi_u32 s1, s3, s4
	s_mul_i32 s5, s25, s4
	s_add_i32 s0, s1, s0
	s_add_i32 s1, s0, s5
	s_mul_i32 s0, s3, s4
	s_lshl_b64 s[0:1], s[0:1], 2
	s_add_u32 s12, s14, s0
	v_add_u32_e32 v124, s33, v125
	s_addc_u32 s13, s15, s1
	v_mad_i64_i32 v[82:83], s[0:1], v124, s19, 0
	v_lshl_add_u64 v[90:91], v[82:83], 2, s[20:21]
	v_mad_i64_i32 v[82:83], s[0:1], v124, s18, 0
	v_cmp_gt_i32_e64 s[2:3], s16, v80
	v_cmp_gt_i32_e64 s[10:11], s17, v124
	v_lshl_add_u64 v[88:89], v[82:83], 2, s[12:13]
	v_cndmask_b32_e64 v82, 0, 1, s[22:23]
	v_ashrrev_i32_e32 v81, 31, v80
	s_and_b64 s[6:7], s[2:3], s[10:11]
	v_cmp_ne_u32_e64 s[0:1], 1, v82
	s_and_saveexec_b64 s[4:5], s[6:7]
	s_cbranch_execz .LBB65_49
; %bb.45:
	s_and_b64 vcc, exec, s[0:1]
	s_cbranch_vccnz .LBB65_47
; %bb.46:
	v_lshl_add_u64 v[82:83], v[80:81], 2, v[90:91]
	flat_load_dword v82, v[82:83]
	s_waitcnt vmcnt(0) lgkmcnt(0)
	v_mul_f32_e32 v82, s24, v82
	s_branch .LBB65_48
.LBB65_47:
	v_mov_b32_e32 v82, 0
.LBB65_48:
	v_pk_add_f32 v[84:85], v[16:17], v[76:77]
	s_nop 0
	v_min3_f32 v83, v84, v85, v161
	v_pk_add_f32 v[84:85], v[18:19], v[78:79]
	s_nop 0
	v_min_f32_e32 v84, v84, v85
	v_min3_f32 v84, v82, v84, v83
	v_lshl_add_u64 v[82:83], v[80:81], 2, v[88:89]
	global_store_dword v[82:83], v84, off
.LBB65_49:
	s_or_b64 exec, exec, s[4:5]
	v_add_u32_e32 v82, 32, v80
	v_cmp_gt_i32_e64 s[4:5], s16, v82
	v_ashrrev_i32_e32 v83, 31, v82
	s_and_b64 s[8:9], s[4:5], s[10:11]
	s_and_saveexec_b64 s[6:7], s[8:9]
	s_cbranch_execz .LBB65_54
; %bb.50:
	s_and_b64 vcc, exec, s[0:1]
	s_cbranch_vccnz .LBB65_52
; %bb.51:
	v_lshl_add_u64 v[84:85], v[82:83], 2, v[90:91]
	flat_load_dword v84, v[84:85]
	s_waitcnt vmcnt(0) lgkmcnt(0)
	v_mul_f32_e32 v84, s24, v84
	s_branch .LBB65_53
.LBB65_52:
	v_mov_b32_e32 v84, 0
.LBB65_53:
	v_pk_add_f32 v[86:87], v[12:13], v[76:77]
	s_nop 0
	v_min3_f32 v85, v86, v87, v160
	v_pk_add_f32 v[86:87], v[14:15], v[78:79]
	s_nop 0
	v_min_f32_e32 v86, v86, v87
	v_min3_f32 v86, v84, v86, v85
	v_lshl_add_u64 v[84:85], v[82:83], 2, v[88:89]
	global_store_dword v[84:85], v86, off
.LBB65_54:
	s_or_b64 exec, exec, s[6:7]
	v_add_u32_e32 v84, 64, v80
	v_cmp_gt_i32_e64 s[6:7], s16, v84
	v_ashrrev_i32_e32 v85, 31, v84
	s_and_b64 s[14:15], s[6:7], s[10:11]
	;; [unrolled: 29-line block ×3, first 2 shown]
	s_and_saveexec_b64 s[10:11], s[14:15]
	s_cbranch_execz .LBB65_64
; %bb.60:
	s_and_b64 vcc, exec, s[0:1]
	s_cbranch_vccnz .LBB65_62
; %bb.61:
	v_lshl_add_u64 v[90:91], v[86:87], 2, v[90:91]
	flat_load_dword v90, v[90:91]
	s_waitcnt vmcnt(0) lgkmcnt(0)
	v_mul_f32_e32 v90, s24, v90
	s_branch .LBB65_63
.LBB65_62:
	v_mov_b32_e32 v90, 0
.LBB65_63:
	v_pk_add_f32 v[76:77], v[0:1], v[76:77]
	s_nop 0
	v_min3_f32 v91, v76, v77, v158
	v_pk_add_f32 v[76:77], v[2:3], v[78:79]
	s_nop 0
	v_min_f32_e32 v76, v76, v77
	v_min3_f32 v78, v90, v76, v91
	v_lshl_add_u64 v[76:77], v[86:87], 2, v[88:89]
	global_store_dword v[76:77], v78, off
.LBB65_64:
	s_or_b64 exec, exec, s[10:11]
	v_add_u32_e32 v88, 8, v124
	v_mad_i64_i32 v[76:77], s[14:15], v88, s19, 0
	v_cmp_gt_i32_e64 s[10:11], s17, v88
	v_lshl_add_u64 v[78:79], v[76:77], 2, s[20:21]
	v_mad_i64_i32 v[76:77], s[14:15], v88, s18, 0
	v_lshl_add_u64 v[76:77], v[76:77], 2, s[12:13]
	s_and_b64 s[22:23], s[2:3], s[10:11]
	s_and_saveexec_b64 s[14:15], s[22:23]
	s_cbranch_execnz .LBB65_68
; %bb.65:
	s_or_b64 exec, exec, s[14:15]
	s_and_b64 s[22:23], s[4:5], s[10:11]
	s_and_saveexec_b64 s[14:15], s[22:23]
	s_cbranch_execnz .LBB65_72
.LBB65_66:
	s_or_b64 exec, exec, s[14:15]
	s_and_b64 s[22:23], s[6:7], s[10:11]
	s_and_saveexec_b64 s[14:15], s[22:23]
	s_cbranch_execnz .LBB65_76
.LBB65_67:
	s_or_b64 exec, exec, s[14:15]
	s_and_b64 s[14:15], s[8:9], s[10:11]
	s_and_saveexec_b64 s[10:11], s[14:15]
	s_cbranch_execnz .LBB65_80
	s_branch .LBB65_84
.LBB65_68:
	s_and_b64 vcc, exec, s[0:1]
	s_cbranch_vccnz .LBB65_70
; %bb.69:
	v_lshl_add_u64 v[88:89], v[80:81], 2, v[78:79]
	flat_load_dword v88, v[88:89]
	s_waitcnt vmcnt(0) lgkmcnt(0)
	v_mul_f32_e32 v88, s24, v88
	s_branch .LBB65_71
.LBB65_70:
	v_mov_b32_e32 v88, 0
.LBB65_71:
	v_pk_add_f32 v[90:91], v[16:17], v[72:73]
	s_nop 0
	v_min3_f32 v89, v90, v91, v157
	v_pk_add_f32 v[90:91], v[18:19], v[74:75]
	s_nop 0
	v_min_f32_e32 v90, v90, v91
	v_min3_f32 v90, v88, v90, v89
	v_lshl_add_u64 v[88:89], v[80:81], 2, v[76:77]
	global_store_dword v[88:89], v90, off
	s_or_b64 exec, exec, s[14:15]
	s_and_b64 s[22:23], s[4:5], s[10:11]
	s_and_saveexec_b64 s[14:15], s[22:23]
	s_cbranch_execz .LBB65_66
.LBB65_72:
	s_and_b64 vcc, exec, s[0:1]
	s_cbranch_vccnz .LBB65_74
; %bb.73:
	v_lshl_add_u64 v[88:89], v[82:83], 2, v[78:79]
	flat_load_dword v88, v[88:89]
	s_waitcnt vmcnt(0) lgkmcnt(0)
	v_mul_f32_e32 v88, s24, v88
	s_branch .LBB65_75
.LBB65_74:
	v_mov_b32_e32 v88, 0
.LBB65_75:
	v_pk_add_f32 v[90:91], v[12:13], v[72:73]
	s_nop 0
	v_min3_f32 v89, v90, v91, v156
	v_pk_add_f32 v[90:91], v[14:15], v[74:75]
	s_nop 0
	v_min_f32_e32 v90, v90, v91
	v_min3_f32 v90, v88, v90, v89
	v_lshl_add_u64 v[88:89], v[82:83], 2, v[76:77]
	global_store_dword v[88:89], v90, off
	s_or_b64 exec, exec, s[14:15]
	s_and_b64 s[22:23], s[6:7], s[10:11]
	s_and_saveexec_b64 s[14:15], s[22:23]
	s_cbranch_execz .LBB65_67
.LBB65_76:
	s_and_b64 vcc, exec, s[0:1]
	s_cbranch_vccnz .LBB65_78
; %bb.77:
	v_lshl_add_u64 v[88:89], v[84:85], 2, v[78:79]
	flat_load_dword v88, v[88:89]
	s_waitcnt vmcnt(0) lgkmcnt(0)
	v_mul_f32_e32 v88, s24, v88
	s_branch .LBB65_79
.LBB65_78:
	v_mov_b32_e32 v88, 0
.LBB65_79:
	v_pk_add_f32 v[90:91], v[8:9], v[72:73]
	s_nop 0
	v_min3_f32 v89, v90, v91, v155
	v_pk_add_f32 v[90:91], v[10:11], v[74:75]
	s_nop 0
	v_min_f32_e32 v90, v90, v91
	v_min3_f32 v90, v88, v90, v89
	v_lshl_add_u64 v[88:89], v[84:85], 2, v[76:77]
	global_store_dword v[88:89], v90, off
	s_or_b64 exec, exec, s[14:15]
	s_and_b64 s[14:15], s[8:9], s[10:11]
	s_and_saveexec_b64 s[10:11], s[14:15]
	s_cbranch_execz .LBB65_84
.LBB65_80:
	s_and_b64 vcc, exec, s[0:1]
	s_cbranch_vccnz .LBB65_82
; %bb.81:
	v_lshl_add_u64 v[78:79], v[86:87], 2, v[78:79]
	flat_load_dword v78, v[78:79]
	s_waitcnt vmcnt(0) lgkmcnt(0)
	v_mul_f32_e32 v78, s24, v78
	s_branch .LBB65_83
.LBB65_82:
	v_mov_b32_e32 v78, 0
.LBB65_83:
	v_pk_add_f32 v[72:73], v[0:1], v[72:73]
	s_nop 0
	v_min3_f32 v79, v72, v73, v154
	v_pk_add_f32 v[72:73], v[2:3], v[74:75]
	s_nop 0
	v_min_f32_e32 v72, v72, v73
	v_min3_f32 v74, v78, v72, v79
	v_lshl_add_u64 v[72:73], v[86:87], 2, v[76:77]
	global_store_dword v[72:73], v74, off
.LBB65_84:
	s_or_b64 exec, exec, s[10:11]
	v_add_u32_e32 v76, 16, v124
	v_mad_i64_i32 v[72:73], s[14:15], v76, s19, 0
	v_cmp_gt_i32_e64 s[10:11], s17, v76
	v_lshl_add_u64 v[74:75], v[72:73], 2, s[20:21]
	v_mad_i64_i32 v[72:73], s[14:15], v76, s18, 0
	v_lshl_add_u64 v[72:73], v[72:73], 2, s[12:13]
	s_and_b64 s[22:23], s[2:3], s[10:11]
	s_and_saveexec_b64 s[14:15], s[22:23]
	s_cbranch_execnz .LBB65_88
; %bb.85:
	s_or_b64 exec, exec, s[14:15]
	s_and_b64 s[22:23], s[4:5], s[10:11]
	s_and_saveexec_b64 s[14:15], s[22:23]
	s_cbranch_execnz .LBB65_92
.LBB65_86:
	s_or_b64 exec, exec, s[14:15]
	s_and_b64 s[22:23], s[6:7], s[10:11]
	s_and_saveexec_b64 s[14:15], s[22:23]
	s_cbranch_execnz .LBB65_96
.LBB65_87:
	s_or_b64 exec, exec, s[14:15]
	s_and_b64 s[14:15], s[8:9], s[10:11]
	s_and_saveexec_b64 s[10:11], s[14:15]
	s_cbranch_execnz .LBB65_100
	s_branch .LBB65_104
.LBB65_88:
	s_and_b64 vcc, exec, s[0:1]
	s_cbranch_vccnz .LBB65_90
; %bb.89:
	v_lshl_add_u64 v[76:77], v[80:81], 2, v[74:75]
	flat_load_dword v76, v[76:77]
	s_waitcnt vmcnt(0) lgkmcnt(0)
	v_mul_f32_e32 v76, s24, v76
	s_branch .LBB65_91
.LBB65_90:
	v_mov_b32_e32 v76, 0
.LBB65_91:
	v_pk_add_f32 v[78:79], v[16:17], v[68:69]
	s_nop 0
	v_min3_f32 v77, v78, v79, v153
	v_pk_add_f32 v[78:79], v[18:19], v[70:71]
	s_nop 0
	v_min_f32_e32 v78, v78, v79
	v_min3_f32 v78, v76, v78, v77
	v_lshl_add_u64 v[76:77], v[80:81], 2, v[72:73]
	global_store_dword v[76:77], v78, off
	s_or_b64 exec, exec, s[14:15]
	s_and_b64 s[22:23], s[4:5], s[10:11]
	s_and_saveexec_b64 s[14:15], s[22:23]
	s_cbranch_execz .LBB65_86
.LBB65_92:
	s_and_b64 vcc, exec, s[0:1]
	s_cbranch_vccnz .LBB65_94
; %bb.93:
	v_lshl_add_u64 v[76:77], v[82:83], 2, v[74:75]
	flat_load_dword v76, v[76:77]
	s_waitcnt vmcnt(0) lgkmcnt(0)
	v_mul_f32_e32 v76, s24, v76
	s_branch .LBB65_95
.LBB65_94:
	v_mov_b32_e32 v76, 0
.LBB65_95:
	v_pk_add_f32 v[78:79], v[12:13], v[68:69]
	s_nop 0
	v_min3_f32 v77, v78, v79, v152
	v_pk_add_f32 v[78:79], v[14:15], v[70:71]
	s_nop 0
	v_min_f32_e32 v78, v78, v79
	v_min3_f32 v78, v76, v78, v77
	v_lshl_add_u64 v[76:77], v[82:83], 2, v[72:73]
	global_store_dword v[76:77], v78, off
	s_or_b64 exec, exec, s[14:15]
	s_and_b64 s[22:23], s[6:7], s[10:11]
	s_and_saveexec_b64 s[14:15], s[22:23]
	s_cbranch_execz .LBB65_87
.LBB65_96:
	s_and_b64 vcc, exec, s[0:1]
	s_cbranch_vccnz .LBB65_98
; %bb.97:
	v_lshl_add_u64 v[76:77], v[84:85], 2, v[74:75]
	flat_load_dword v76, v[76:77]
	s_waitcnt vmcnt(0) lgkmcnt(0)
	v_mul_f32_e32 v76, s24, v76
	s_branch .LBB65_99
.LBB65_98:
	v_mov_b32_e32 v76, 0
.LBB65_99:
	v_pk_add_f32 v[78:79], v[8:9], v[68:69]
	s_nop 0
	v_min3_f32 v77, v78, v79, v151
	v_pk_add_f32 v[78:79], v[10:11], v[70:71]
	s_nop 0
	v_min_f32_e32 v78, v78, v79
	v_min3_f32 v78, v76, v78, v77
	v_lshl_add_u64 v[76:77], v[84:85], 2, v[72:73]
	global_store_dword v[76:77], v78, off
	s_or_b64 exec, exec, s[14:15]
	s_and_b64 s[14:15], s[8:9], s[10:11]
	s_and_saveexec_b64 s[10:11], s[14:15]
	s_cbranch_execz .LBB65_104
.LBB65_100:
	s_and_b64 vcc, exec, s[0:1]
	s_cbranch_vccnz .LBB65_102
; %bb.101:
	v_lshl_add_u64 v[74:75], v[86:87], 2, v[74:75]
	flat_load_dword v74, v[74:75]
	s_waitcnt vmcnt(0) lgkmcnt(0)
	v_mul_f32_e32 v74, s24, v74
	s_branch .LBB65_103
.LBB65_102:
	v_mov_b32_e32 v74, 0
.LBB65_103:
	v_pk_add_f32 v[68:69], v[0:1], v[68:69]
	s_nop 0
	v_min3_f32 v75, v68, v69, v150
	v_pk_add_f32 v[68:69], v[2:3], v[70:71]
	s_nop 0
	v_min_f32_e32 v68, v68, v69
	v_min3_f32 v70, v74, v68, v75
	v_lshl_add_u64 v[68:69], v[86:87], 2, v[72:73]
	global_store_dword v[68:69], v70, off
.LBB65_104:
	s_or_b64 exec, exec, s[10:11]
	v_add_u32_e32 v72, 24, v124
	v_mad_i64_i32 v[68:69], s[14:15], v72, s19, 0
	v_cmp_gt_i32_e64 s[10:11], s17, v72
	v_lshl_add_u64 v[70:71], v[68:69], 2, s[20:21]
	v_mad_i64_i32 v[68:69], s[14:15], v72, s18, 0
	v_lshl_add_u64 v[68:69], v[68:69], 2, s[12:13]
	s_and_b64 s[22:23], s[2:3], s[10:11]
	s_and_saveexec_b64 s[14:15], s[22:23]
	s_cbranch_execnz .LBB65_108
; %bb.105:
	s_or_b64 exec, exec, s[14:15]
	s_and_b64 s[22:23], s[4:5], s[10:11]
	s_and_saveexec_b64 s[14:15], s[22:23]
	s_cbranch_execnz .LBB65_112
.LBB65_106:
	s_or_b64 exec, exec, s[14:15]
	s_and_b64 s[22:23], s[6:7], s[10:11]
	s_and_saveexec_b64 s[14:15], s[22:23]
	s_cbranch_execnz .LBB65_116
.LBB65_107:
	s_or_b64 exec, exec, s[14:15]
	s_and_b64 s[14:15], s[8:9], s[10:11]
	s_and_saveexec_b64 s[10:11], s[14:15]
	s_cbranch_execnz .LBB65_120
	s_branch .LBB65_124
.LBB65_108:
	s_and_b64 vcc, exec, s[0:1]
	s_cbranch_vccnz .LBB65_110
; %bb.109:
	v_lshl_add_u64 v[72:73], v[80:81], 2, v[70:71]
	flat_load_dword v72, v[72:73]
	s_waitcnt vmcnt(0) lgkmcnt(0)
	v_mul_f32_e32 v72, s24, v72
	s_branch .LBB65_111
.LBB65_110:
	v_mov_b32_e32 v72, 0
.LBB65_111:
	v_pk_add_f32 v[74:75], v[16:17], v[64:65]
	s_nop 0
	v_min3_f32 v73, v74, v75, v149
	v_pk_add_f32 v[74:75], v[18:19], v[66:67]
	s_nop 0
	v_min_f32_e32 v74, v74, v75
	v_min3_f32 v74, v72, v74, v73
	v_lshl_add_u64 v[72:73], v[80:81], 2, v[68:69]
	global_store_dword v[72:73], v74, off
	s_or_b64 exec, exec, s[14:15]
	s_and_b64 s[22:23], s[4:5], s[10:11]
	s_and_saveexec_b64 s[14:15], s[22:23]
	s_cbranch_execz .LBB65_106
.LBB65_112:
	s_and_b64 vcc, exec, s[0:1]
	s_cbranch_vccnz .LBB65_114
; %bb.113:
	v_lshl_add_u64 v[72:73], v[82:83], 2, v[70:71]
	flat_load_dword v72, v[72:73]
	s_waitcnt vmcnt(0) lgkmcnt(0)
	v_mul_f32_e32 v72, s24, v72
	s_branch .LBB65_115
.LBB65_114:
	v_mov_b32_e32 v72, 0
.LBB65_115:
	v_pk_add_f32 v[74:75], v[12:13], v[64:65]
	s_nop 0
	v_min3_f32 v73, v74, v75, v148
	v_pk_add_f32 v[74:75], v[14:15], v[66:67]
	s_nop 0
	v_min_f32_e32 v74, v74, v75
	v_min3_f32 v74, v72, v74, v73
	v_lshl_add_u64 v[72:73], v[82:83], 2, v[68:69]
	global_store_dword v[72:73], v74, off
	s_or_b64 exec, exec, s[14:15]
	s_and_b64 s[22:23], s[6:7], s[10:11]
	s_and_saveexec_b64 s[14:15], s[22:23]
	s_cbranch_execz .LBB65_107
.LBB65_116:
	s_and_b64 vcc, exec, s[0:1]
	s_cbranch_vccnz .LBB65_118
; %bb.117:
	v_lshl_add_u64 v[72:73], v[84:85], 2, v[70:71]
	flat_load_dword v72, v[72:73]
	s_waitcnt vmcnt(0) lgkmcnt(0)
	v_mul_f32_e32 v72, s24, v72
	s_branch .LBB65_119
.LBB65_118:
	v_mov_b32_e32 v72, 0
.LBB65_119:
	v_pk_add_f32 v[74:75], v[8:9], v[64:65]
	s_nop 0
	v_min3_f32 v73, v74, v75, v147
	v_pk_add_f32 v[74:75], v[10:11], v[66:67]
	s_nop 0
	v_min_f32_e32 v74, v74, v75
	v_min3_f32 v74, v72, v74, v73
	v_lshl_add_u64 v[72:73], v[84:85], 2, v[68:69]
	global_store_dword v[72:73], v74, off
	s_or_b64 exec, exec, s[14:15]
	s_and_b64 s[14:15], s[8:9], s[10:11]
	s_and_saveexec_b64 s[10:11], s[14:15]
	s_cbranch_execz .LBB65_124
.LBB65_120:
	s_and_b64 vcc, exec, s[0:1]
	s_cbranch_vccnz .LBB65_122
; %bb.121:
	v_lshl_add_u64 v[70:71], v[86:87], 2, v[70:71]
	flat_load_dword v70, v[70:71]
	s_waitcnt vmcnt(0) lgkmcnt(0)
	v_mul_f32_e32 v70, s24, v70
	s_branch .LBB65_123
.LBB65_122:
	v_mov_b32_e32 v70, 0
.LBB65_123:
	v_pk_add_f32 v[64:65], v[0:1], v[64:65]
	s_nop 0
	v_min3_f32 v71, v64, v65, v146
	v_pk_add_f32 v[64:65], v[2:3], v[66:67]
	s_nop 0
	v_min_f32_e32 v64, v64, v65
	v_min3_f32 v66, v70, v64, v71
	v_lshl_add_u64 v[64:65], v[86:87], 2, v[68:69]
	global_store_dword v[64:65], v66, off
.LBB65_124:
	s_or_b64 exec, exec, s[10:11]
	v_add_u32_e32 v68, 32, v124
	v_mad_i64_i32 v[64:65], s[14:15], v68, s19, 0
	v_cmp_gt_i32_e64 s[10:11], s17, v68
	v_lshl_add_u64 v[66:67], v[64:65], 2, s[20:21]
	v_mad_i64_i32 v[64:65], s[14:15], v68, s18, 0
	v_lshl_add_u64 v[64:65], v[64:65], 2, s[12:13]
	s_and_b64 s[22:23], s[2:3], s[10:11]
	s_and_saveexec_b64 s[14:15], s[22:23]
	s_cbranch_execnz .LBB65_128
; %bb.125:
	s_or_b64 exec, exec, s[14:15]
	s_and_b64 s[22:23], s[4:5], s[10:11]
	s_and_saveexec_b64 s[14:15], s[22:23]
	s_cbranch_execnz .LBB65_132
.LBB65_126:
	s_or_b64 exec, exec, s[14:15]
	s_and_b64 s[22:23], s[6:7], s[10:11]
	s_and_saveexec_b64 s[14:15], s[22:23]
	s_cbranch_execnz .LBB65_136
.LBB65_127:
	s_or_b64 exec, exec, s[14:15]
	s_and_b64 s[14:15], s[8:9], s[10:11]
	s_and_saveexec_b64 s[10:11], s[14:15]
	s_cbranch_execnz .LBB65_140
	s_branch .LBB65_144
.LBB65_128:
	s_and_b64 vcc, exec, s[0:1]
	s_cbranch_vccnz .LBB65_130
; %bb.129:
	v_lshl_add_u64 v[68:69], v[80:81], 2, v[66:67]
	flat_load_dword v68, v[68:69]
	s_waitcnt vmcnt(0) lgkmcnt(0)
	v_mul_f32_e32 v68, s24, v68
	s_branch .LBB65_131
.LBB65_130:
	v_mov_b32_e32 v68, 0
.LBB65_131:
	v_pk_add_f32 v[70:71], v[16:17], v[60:61]
	s_nop 0
	v_min3_f32 v69, v70, v71, v145
	v_pk_add_f32 v[70:71], v[18:19], v[62:63]
	s_nop 0
	v_min_f32_e32 v70, v70, v71
	v_min3_f32 v70, v68, v70, v69
	v_lshl_add_u64 v[68:69], v[80:81], 2, v[64:65]
	global_store_dword v[68:69], v70, off
	s_or_b64 exec, exec, s[14:15]
	s_and_b64 s[22:23], s[4:5], s[10:11]
	s_and_saveexec_b64 s[14:15], s[22:23]
	s_cbranch_execz .LBB65_126
.LBB65_132:
	s_and_b64 vcc, exec, s[0:1]
	s_cbranch_vccnz .LBB65_134
; %bb.133:
	v_lshl_add_u64 v[68:69], v[82:83], 2, v[66:67]
	flat_load_dword v68, v[68:69]
	s_waitcnt vmcnt(0) lgkmcnt(0)
	v_mul_f32_e32 v68, s24, v68
	s_branch .LBB65_135
.LBB65_134:
	v_mov_b32_e32 v68, 0
.LBB65_135:
	v_pk_add_f32 v[70:71], v[12:13], v[60:61]
	s_nop 0
	v_min3_f32 v69, v70, v71, v143
	v_pk_add_f32 v[70:71], v[14:15], v[62:63]
	s_nop 0
	v_min_f32_e32 v70, v70, v71
	v_min3_f32 v70, v68, v70, v69
	v_lshl_add_u64 v[68:69], v[82:83], 2, v[64:65]
	global_store_dword v[68:69], v70, off
	s_or_b64 exec, exec, s[14:15]
	s_and_b64 s[22:23], s[6:7], s[10:11]
	s_and_saveexec_b64 s[14:15], s[22:23]
	s_cbranch_execz .LBB65_127
.LBB65_136:
	s_and_b64 vcc, exec, s[0:1]
	s_cbranch_vccnz .LBB65_138
; %bb.137:
	v_lshl_add_u64 v[68:69], v[84:85], 2, v[66:67]
	flat_load_dword v68, v[68:69]
	s_waitcnt vmcnt(0) lgkmcnt(0)
	v_mul_f32_e32 v68, s24, v68
	s_branch .LBB65_139
.LBB65_138:
	v_mov_b32_e32 v68, 0
.LBB65_139:
	v_pk_add_f32 v[70:71], v[8:9], v[60:61]
	s_nop 0
	v_min3_f32 v69, v70, v71, v142
	v_pk_add_f32 v[70:71], v[10:11], v[62:63]
	s_nop 0
	v_min_f32_e32 v70, v70, v71
	v_min3_f32 v70, v68, v70, v69
	v_lshl_add_u64 v[68:69], v[84:85], 2, v[64:65]
	global_store_dword v[68:69], v70, off
	s_or_b64 exec, exec, s[14:15]
	s_and_b64 s[14:15], s[8:9], s[10:11]
	s_and_saveexec_b64 s[10:11], s[14:15]
	s_cbranch_execz .LBB65_144
.LBB65_140:
	s_and_b64 vcc, exec, s[0:1]
	s_cbranch_vccnz .LBB65_142
; %bb.141:
	v_lshl_add_u64 v[66:67], v[86:87], 2, v[66:67]
	flat_load_dword v66, v[66:67]
	s_waitcnt vmcnt(0) lgkmcnt(0)
	v_mul_f32_e32 v66, s24, v66
	s_branch .LBB65_143
.LBB65_142:
	v_mov_b32_e32 v66, 0
.LBB65_143:
	v_pk_add_f32 v[60:61], v[0:1], v[60:61]
	s_nop 0
	v_min3_f32 v67, v60, v61, v141
	v_pk_add_f32 v[60:61], v[2:3], v[62:63]
	s_nop 0
	v_min_f32_e32 v60, v60, v61
	v_min3_f32 v62, v66, v60, v67
	v_lshl_add_u64 v[60:61], v[86:87], 2, v[64:65]
	global_store_dword v[60:61], v62, off
.LBB65_144:
	s_or_b64 exec, exec, s[10:11]
	v_add_u32_e32 v64, 40, v124
	v_mad_i64_i32 v[60:61], s[14:15], v64, s19, 0
	v_cmp_gt_i32_e64 s[10:11], s17, v64
	v_lshl_add_u64 v[62:63], v[60:61], 2, s[20:21]
	v_mad_i64_i32 v[60:61], s[14:15], v64, s18, 0
	v_lshl_add_u64 v[60:61], v[60:61], 2, s[12:13]
	s_and_b64 s[22:23], s[2:3], s[10:11]
	s_and_saveexec_b64 s[14:15], s[22:23]
	s_cbranch_execnz .LBB65_148
; %bb.145:
	s_or_b64 exec, exec, s[14:15]
	s_and_b64 s[22:23], s[4:5], s[10:11]
	s_and_saveexec_b64 s[14:15], s[22:23]
	s_cbranch_execnz .LBB65_152
.LBB65_146:
	s_or_b64 exec, exec, s[14:15]
	s_and_b64 s[22:23], s[6:7], s[10:11]
	s_and_saveexec_b64 s[14:15], s[22:23]
	s_cbranch_execnz .LBB65_156
.LBB65_147:
	s_or_b64 exec, exec, s[14:15]
	s_and_b64 s[14:15], s[8:9], s[10:11]
	s_and_saveexec_b64 s[10:11], s[14:15]
	s_cbranch_execnz .LBB65_160
	s_branch .LBB65_164
.LBB65_148:
	s_and_b64 vcc, exec, s[0:1]
	s_cbranch_vccnz .LBB65_150
; %bb.149:
	v_lshl_add_u64 v[64:65], v[80:81], 2, v[62:63]
	flat_load_dword v64, v[64:65]
	s_waitcnt vmcnt(0) lgkmcnt(0)
	v_mul_f32_e32 v64, s24, v64
	s_branch .LBB65_151
.LBB65_150:
	v_mov_b32_e32 v64, 0
.LBB65_151:
	v_pk_add_f32 v[66:67], v[16:17], v[56:57]
	s_nop 0
	v_min3_f32 v65, v66, v67, v140
	v_pk_add_f32 v[66:67], v[18:19], v[58:59]
	s_nop 0
	v_min_f32_e32 v66, v66, v67
	v_min3_f32 v66, v64, v66, v65
	v_lshl_add_u64 v[64:65], v[80:81], 2, v[60:61]
	global_store_dword v[64:65], v66, off
	s_or_b64 exec, exec, s[14:15]
	s_and_b64 s[22:23], s[4:5], s[10:11]
	s_and_saveexec_b64 s[14:15], s[22:23]
	s_cbranch_execz .LBB65_146
.LBB65_152:
	s_and_b64 vcc, exec, s[0:1]
	s_cbranch_vccnz .LBB65_154
; %bb.153:
	v_lshl_add_u64 v[64:65], v[82:83], 2, v[62:63]
	flat_load_dword v64, v[64:65]
	s_waitcnt vmcnt(0) lgkmcnt(0)
	v_mul_f32_e32 v64, s24, v64
	s_branch .LBB65_155
.LBB65_154:
	v_mov_b32_e32 v64, 0
.LBB65_155:
	v_pk_add_f32 v[66:67], v[12:13], v[56:57]
	s_nop 0
	v_min3_f32 v65, v66, v67, v139
	v_pk_add_f32 v[66:67], v[14:15], v[58:59]
	s_nop 0
	v_min_f32_e32 v66, v66, v67
	v_min3_f32 v66, v64, v66, v65
	v_lshl_add_u64 v[64:65], v[82:83], 2, v[60:61]
	global_store_dword v[64:65], v66, off
	s_or_b64 exec, exec, s[14:15]
	s_and_b64 s[22:23], s[6:7], s[10:11]
	s_and_saveexec_b64 s[14:15], s[22:23]
	s_cbranch_execz .LBB65_147
.LBB65_156:
	s_and_b64 vcc, exec, s[0:1]
	s_cbranch_vccnz .LBB65_158
; %bb.157:
	v_lshl_add_u64 v[64:65], v[84:85], 2, v[62:63]
	flat_load_dword v64, v[64:65]
	s_waitcnt vmcnt(0) lgkmcnt(0)
	v_mul_f32_e32 v64, s24, v64
	s_branch .LBB65_159
.LBB65_158:
	v_mov_b32_e32 v64, 0
.LBB65_159:
	v_pk_add_f32 v[66:67], v[8:9], v[56:57]
	s_nop 0
	v_min3_f32 v65, v66, v67, v138
	v_pk_add_f32 v[66:67], v[10:11], v[58:59]
	s_nop 0
	v_min_f32_e32 v66, v66, v67
	v_min3_f32 v66, v64, v66, v65
	v_lshl_add_u64 v[64:65], v[84:85], 2, v[60:61]
	global_store_dword v[64:65], v66, off
	s_or_b64 exec, exec, s[14:15]
	s_and_b64 s[14:15], s[8:9], s[10:11]
	s_and_saveexec_b64 s[10:11], s[14:15]
	s_cbranch_execz .LBB65_164
.LBB65_160:
	s_and_b64 vcc, exec, s[0:1]
	s_cbranch_vccnz .LBB65_162
; %bb.161:
	v_lshl_add_u64 v[62:63], v[86:87], 2, v[62:63]
	flat_load_dword v62, v[62:63]
	s_waitcnt vmcnt(0) lgkmcnt(0)
	v_mul_f32_e32 v62, s24, v62
	s_branch .LBB65_163
.LBB65_162:
	v_mov_b32_e32 v62, 0
.LBB65_163:
	v_pk_add_f32 v[56:57], v[0:1], v[56:57]
	s_nop 0
	v_min3_f32 v63, v56, v57, v137
	v_pk_add_f32 v[56:57], v[2:3], v[58:59]
	s_nop 0
	v_min_f32_e32 v56, v56, v57
	v_min3_f32 v58, v62, v56, v63
	v_lshl_add_u64 v[56:57], v[86:87], 2, v[60:61]
	global_store_dword v[56:57], v58, off
.LBB65_164:
	s_or_b64 exec, exec, s[10:11]
	v_add_u32_e32 v60, 48, v124
	v_mad_i64_i32 v[56:57], s[14:15], v60, s19, 0
	v_cmp_gt_i32_e64 s[10:11], s17, v60
	v_lshl_add_u64 v[58:59], v[56:57], 2, s[20:21]
	v_mad_i64_i32 v[56:57], s[14:15], v60, s18, 0
	v_lshl_add_u64 v[56:57], v[56:57], 2, s[12:13]
	s_and_b64 s[22:23], s[2:3], s[10:11]
	s_and_saveexec_b64 s[14:15], s[22:23]
	s_cbranch_execnz .LBB65_168
; %bb.165:
	s_or_b64 exec, exec, s[14:15]
	s_and_b64 s[22:23], s[4:5], s[10:11]
	s_and_saveexec_b64 s[14:15], s[22:23]
	s_cbranch_execnz .LBB65_172
.LBB65_166:
	s_or_b64 exec, exec, s[14:15]
	s_and_b64 s[22:23], s[6:7], s[10:11]
	s_and_saveexec_b64 s[14:15], s[22:23]
	s_cbranch_execnz .LBB65_176
.LBB65_167:
	s_or_b64 exec, exec, s[14:15]
	s_and_b64 s[14:15], s[8:9], s[10:11]
	s_and_saveexec_b64 s[10:11], s[14:15]
	s_cbranch_execnz .LBB65_180
	s_branch .LBB65_184
.LBB65_168:
	s_and_b64 vcc, exec, s[0:1]
	s_cbranch_vccnz .LBB65_170
; %bb.169:
	v_lshl_add_u64 v[60:61], v[80:81], 2, v[58:59]
	flat_load_dword v60, v[60:61]
	s_waitcnt vmcnt(0) lgkmcnt(0)
	v_mul_f32_e32 v60, s24, v60
	s_branch .LBB65_171
.LBB65_170:
	v_mov_b32_e32 v60, 0
.LBB65_171:
	v_pk_add_f32 v[62:63], v[16:17], v[52:53]
	s_nop 0
	v_min3_f32 v61, v62, v63, v133
	v_pk_add_f32 v[62:63], v[18:19], v[54:55]
	s_nop 0
	v_min_f32_e32 v62, v62, v63
	v_min3_f32 v62, v60, v62, v61
	v_lshl_add_u64 v[60:61], v[80:81], 2, v[56:57]
	global_store_dword v[60:61], v62, off
	s_or_b64 exec, exec, s[14:15]
	s_and_b64 s[22:23], s[4:5], s[10:11]
	s_and_saveexec_b64 s[14:15], s[22:23]
	s_cbranch_execz .LBB65_166
.LBB65_172:
	s_and_b64 vcc, exec, s[0:1]
	s_cbranch_vccnz .LBB65_174
; %bb.173:
	v_lshl_add_u64 v[60:61], v[82:83], 2, v[58:59]
	flat_load_dword v60, v[60:61]
	s_waitcnt vmcnt(0) lgkmcnt(0)
	v_mul_f32_e32 v60, s24, v60
	s_branch .LBB65_175
.LBB65_174:
	v_mov_b32_e32 v60, 0
.LBB65_175:
	v_pk_add_f32 v[62:63], v[12:13], v[52:53]
	s_nop 0
	v_min3_f32 v61, v62, v63, v132
	v_pk_add_f32 v[62:63], v[14:15], v[54:55]
	s_nop 0
	v_min_f32_e32 v62, v62, v63
	v_min3_f32 v62, v60, v62, v61
	v_lshl_add_u64 v[60:61], v[82:83], 2, v[56:57]
	global_store_dword v[60:61], v62, off
	s_or_b64 exec, exec, s[14:15]
	s_and_b64 s[22:23], s[6:7], s[10:11]
	s_and_saveexec_b64 s[14:15], s[22:23]
	s_cbranch_execz .LBB65_167
.LBB65_176:
	s_and_b64 vcc, exec, s[0:1]
	s_cbranch_vccnz .LBB65_178
; %bb.177:
	v_lshl_add_u64 v[60:61], v[84:85], 2, v[58:59]
	flat_load_dword v60, v[60:61]
	s_waitcnt vmcnt(0) lgkmcnt(0)
	v_mul_f32_e32 v60, s24, v60
	s_branch .LBB65_179
.LBB65_178:
	v_mov_b32_e32 v60, 0
.LBB65_179:
	v_pk_add_f32 v[62:63], v[8:9], v[52:53]
	s_nop 0
	v_min3_f32 v61, v62, v63, v131
	v_pk_add_f32 v[62:63], v[10:11], v[54:55]
	s_nop 0
	v_min_f32_e32 v62, v62, v63
	v_min3_f32 v62, v60, v62, v61
	v_lshl_add_u64 v[60:61], v[84:85], 2, v[56:57]
	global_store_dword v[60:61], v62, off
	s_or_b64 exec, exec, s[14:15]
	s_and_b64 s[14:15], s[8:9], s[10:11]
	s_and_saveexec_b64 s[10:11], s[14:15]
	s_cbranch_execz .LBB65_184
.LBB65_180:
	s_and_b64 vcc, exec, s[0:1]
	s_cbranch_vccnz .LBB65_182
; %bb.181:
	v_lshl_add_u64 v[58:59], v[86:87], 2, v[58:59]
	flat_load_dword v58, v[58:59]
	s_waitcnt vmcnt(0) lgkmcnt(0)
	v_mul_f32_e32 v58, s24, v58
	s_branch .LBB65_183
.LBB65_182:
	v_mov_b32_e32 v58, 0
.LBB65_183:
	v_pk_add_f32 v[52:53], v[0:1], v[52:53]
	s_nop 0
	v_min3_f32 v59, v52, v53, v130
	v_pk_add_f32 v[52:53], v[2:3], v[54:55]
	s_nop 0
	v_min_f32_e32 v52, v52, v53
	v_min3_f32 v54, v58, v52, v59
	v_lshl_add_u64 v[52:53], v[86:87], 2, v[56:57]
	global_store_dword v[52:53], v54, off
.LBB65_184:
	s_or_b64 exec, exec, s[10:11]
	v_add_u32_e32 v56, 56, v124
	v_mad_i64_i32 v[52:53], s[14:15], v56, s19, 0
	v_cmp_gt_i32_e64 s[10:11], s17, v56
	v_lshl_add_u64 v[54:55], v[52:53], 2, s[20:21]
	v_mad_i64_i32 v[52:53], s[14:15], v56, s18, 0
	v_lshl_add_u64 v[52:53], v[52:53], 2, s[12:13]
	s_and_b64 s[22:23], s[2:3], s[10:11]
	s_and_saveexec_b64 s[14:15], s[22:23]
	s_cbranch_execnz .LBB65_188
; %bb.185:
	s_or_b64 exec, exec, s[14:15]
	s_and_b64 s[22:23], s[4:5], s[10:11]
	s_and_saveexec_b64 s[14:15], s[22:23]
	s_cbranch_execnz .LBB65_192
.LBB65_186:
	s_or_b64 exec, exec, s[14:15]
	s_and_b64 s[22:23], s[6:7], s[10:11]
	s_and_saveexec_b64 s[14:15], s[22:23]
	s_cbranch_execnz .LBB65_196
.LBB65_187:
	s_or_b64 exec, exec, s[14:15]
	s_and_b64 s[14:15], s[8:9], s[10:11]
	s_and_saveexec_b64 s[10:11], s[14:15]
	s_cbranch_execnz .LBB65_200
	s_branch .LBB65_204
.LBB65_188:
	s_and_b64 vcc, exec, s[0:1]
	s_cbranch_vccnz .LBB65_190
; %bb.189:
	v_lshl_add_u64 v[56:57], v[80:81], 2, v[54:55]
	flat_load_dword v56, v[56:57]
	s_waitcnt vmcnt(0) lgkmcnt(0)
	v_mul_f32_e32 v56, s24, v56
	s_branch .LBB65_191
.LBB65_190:
	v_mov_b32_e32 v56, 0
.LBB65_191:
	v_pk_add_f32 v[58:59], v[16:17], v[48:49]
	s_nop 0
	v_min3_f32 v57, v58, v59, v129
	v_pk_add_f32 v[58:59], v[18:19], v[50:51]
	s_nop 0
	v_min_f32_e32 v58, v58, v59
	v_min3_f32 v58, v56, v58, v57
	v_lshl_add_u64 v[56:57], v[80:81], 2, v[52:53]
	global_store_dword v[56:57], v58, off
	s_or_b64 exec, exec, s[14:15]
	s_and_b64 s[22:23], s[4:5], s[10:11]
	s_and_saveexec_b64 s[14:15], s[22:23]
	s_cbranch_execz .LBB65_186
.LBB65_192:
	s_and_b64 vcc, exec, s[0:1]
	s_cbranch_vccnz .LBB65_194
; %bb.193:
	v_lshl_add_u64 v[56:57], v[82:83], 2, v[54:55]
	flat_load_dword v56, v[56:57]
	s_waitcnt vmcnt(0) lgkmcnt(0)
	v_mul_f32_e32 v56, s24, v56
	s_branch .LBB65_195
.LBB65_194:
	v_mov_b32_e32 v56, 0
.LBB65_195:
	v_pk_add_f32 v[58:59], v[12:13], v[48:49]
	s_nop 0
	v_min3_f32 v57, v58, v59, v128
	v_pk_add_f32 v[58:59], v[14:15], v[50:51]
	s_nop 0
	v_min_f32_e32 v58, v58, v59
	v_min3_f32 v58, v56, v58, v57
	v_lshl_add_u64 v[56:57], v[82:83], 2, v[52:53]
	global_store_dword v[56:57], v58, off
	s_or_b64 exec, exec, s[14:15]
	s_and_b64 s[22:23], s[6:7], s[10:11]
	s_and_saveexec_b64 s[14:15], s[22:23]
	s_cbranch_execz .LBB65_187
.LBB65_196:
	s_and_b64 vcc, exec, s[0:1]
	s_cbranch_vccnz .LBB65_198
; %bb.197:
	v_lshl_add_u64 v[56:57], v[84:85], 2, v[54:55]
	flat_load_dword v56, v[56:57]
	s_waitcnt vmcnt(0) lgkmcnt(0)
	v_mul_f32_e32 v56, s24, v56
	s_branch .LBB65_199
.LBB65_198:
	v_mov_b32_e32 v56, 0
.LBB65_199:
	v_pk_add_f32 v[58:59], v[8:9], v[48:49]
	s_nop 0
	v_min3_f32 v57, v58, v59, v127
	v_pk_add_f32 v[58:59], v[10:11], v[50:51]
	s_nop 0
	v_min_f32_e32 v58, v58, v59
	v_min3_f32 v58, v56, v58, v57
	v_lshl_add_u64 v[56:57], v[84:85], 2, v[52:53]
	global_store_dword v[56:57], v58, off
	s_or_b64 exec, exec, s[14:15]
	s_and_b64 s[14:15], s[8:9], s[10:11]
	s_and_saveexec_b64 s[10:11], s[14:15]
	s_cbranch_execz .LBB65_204
.LBB65_200:
	s_and_b64 vcc, exec, s[0:1]
	s_cbranch_vccnz .LBB65_202
; %bb.201:
	v_lshl_add_u64 v[54:55], v[86:87], 2, v[54:55]
	flat_load_dword v54, v[54:55]
	s_waitcnt vmcnt(0) lgkmcnt(0)
	v_mul_f32_e32 v54, s24, v54
	s_branch .LBB65_203
.LBB65_202:
	v_mov_b32_e32 v54, 0
.LBB65_203:
	v_pk_add_f32 v[48:49], v[0:1], v[48:49]
	s_nop 0
	v_min3_f32 v55, v48, v49, v126
	v_pk_add_f32 v[48:49], v[2:3], v[50:51]
	s_nop 0
	v_min_f32_e32 v48, v48, v49
	v_min3_f32 v50, v54, v48, v55
	v_lshl_add_u64 v[48:49], v[86:87], 2, v[52:53]
	global_store_dword v[48:49], v50, off
.LBB65_204:
	s_or_b64 exec, exec, s[10:11]
	v_add_u32_e32 v52, 64, v124
	v_mad_i64_i32 v[48:49], s[14:15], v52, s19, 0
	v_cmp_gt_i32_e64 s[10:11], s17, v52
	v_lshl_add_u64 v[50:51], v[48:49], 2, s[20:21]
	v_mad_i64_i32 v[48:49], s[14:15], v52, s18, 0
	v_lshl_add_u64 v[48:49], v[48:49], 2, s[12:13]
	s_and_b64 s[22:23], s[2:3], s[10:11]
	s_and_saveexec_b64 s[14:15], s[22:23]
	s_cbranch_execnz .LBB65_208
; %bb.205:
	s_or_b64 exec, exec, s[14:15]
	s_and_b64 s[22:23], s[4:5], s[10:11]
	s_and_saveexec_b64 s[14:15], s[22:23]
	s_cbranch_execnz .LBB65_212
.LBB65_206:
	s_or_b64 exec, exec, s[14:15]
	s_and_b64 s[22:23], s[6:7], s[10:11]
	s_and_saveexec_b64 s[14:15], s[22:23]
	s_cbranch_execnz .LBB65_216
.LBB65_207:
	s_or_b64 exec, exec, s[14:15]
	s_and_b64 s[14:15], s[8:9], s[10:11]
	s_and_saveexec_b64 s[10:11], s[14:15]
	s_cbranch_execnz .LBB65_220
	s_branch .LBB65_224
.LBB65_208:
	s_and_b64 vcc, exec, s[0:1]
	s_cbranch_vccnz .LBB65_210
; %bb.209:
	v_lshl_add_u64 v[52:53], v[80:81], 2, v[50:51]
	flat_load_dword v52, v[52:53]
	s_waitcnt vmcnt(0) lgkmcnt(0)
	v_mul_f32_e32 v52, s24, v52
	s_branch .LBB65_211
.LBB65_210:
	v_mov_b32_e32 v52, 0
.LBB65_211:
	v_pk_add_f32 v[54:55], v[16:17], v[44:45]
	s_nop 0
	v_min3_f32 v53, v54, v55, v123
	v_pk_add_f32 v[54:55], v[18:19], v[46:47]
	s_nop 0
	v_min_f32_e32 v54, v54, v55
	v_min3_f32 v54, v52, v54, v53
	v_lshl_add_u64 v[52:53], v[80:81], 2, v[48:49]
	global_store_dword v[52:53], v54, off
	s_or_b64 exec, exec, s[14:15]
	s_and_b64 s[22:23], s[4:5], s[10:11]
	s_and_saveexec_b64 s[14:15], s[22:23]
	s_cbranch_execz .LBB65_206
.LBB65_212:
	s_and_b64 vcc, exec, s[0:1]
	s_cbranch_vccnz .LBB65_214
; %bb.213:
	v_lshl_add_u64 v[52:53], v[82:83], 2, v[50:51]
	flat_load_dword v52, v[52:53]
	s_waitcnt vmcnt(0) lgkmcnt(0)
	v_mul_f32_e32 v52, s24, v52
	s_branch .LBB65_215
.LBB65_214:
	v_mov_b32_e32 v52, 0
.LBB65_215:
	v_pk_add_f32 v[54:55], v[12:13], v[44:45]
	s_nop 0
	v_min3_f32 v53, v54, v55, v122
	v_pk_add_f32 v[54:55], v[14:15], v[46:47]
	s_nop 0
	v_min_f32_e32 v54, v54, v55
	v_min3_f32 v54, v52, v54, v53
	v_lshl_add_u64 v[52:53], v[82:83], 2, v[48:49]
	global_store_dword v[52:53], v54, off
	s_or_b64 exec, exec, s[14:15]
	s_and_b64 s[22:23], s[6:7], s[10:11]
	s_and_saveexec_b64 s[14:15], s[22:23]
	s_cbranch_execz .LBB65_207
.LBB65_216:
	s_and_b64 vcc, exec, s[0:1]
	s_cbranch_vccnz .LBB65_218
; %bb.217:
	v_lshl_add_u64 v[52:53], v[84:85], 2, v[50:51]
	flat_load_dword v52, v[52:53]
	s_waitcnt vmcnt(0) lgkmcnt(0)
	v_mul_f32_e32 v52, s24, v52
	s_branch .LBB65_219
.LBB65_218:
	v_mov_b32_e32 v52, 0
.LBB65_219:
	v_pk_add_f32 v[54:55], v[8:9], v[44:45]
	s_nop 0
	v_min3_f32 v53, v54, v55, v121
	v_pk_add_f32 v[54:55], v[10:11], v[46:47]
	s_nop 0
	v_min_f32_e32 v54, v54, v55
	v_min3_f32 v54, v52, v54, v53
	v_lshl_add_u64 v[52:53], v[84:85], 2, v[48:49]
	global_store_dword v[52:53], v54, off
	s_or_b64 exec, exec, s[14:15]
	s_and_b64 s[14:15], s[8:9], s[10:11]
	s_and_saveexec_b64 s[10:11], s[14:15]
	s_cbranch_execz .LBB65_224
.LBB65_220:
	s_and_b64 vcc, exec, s[0:1]
	s_cbranch_vccnz .LBB65_222
; %bb.221:
	v_lshl_add_u64 v[50:51], v[86:87], 2, v[50:51]
	flat_load_dword v50, v[50:51]
	s_waitcnt vmcnt(0) lgkmcnt(0)
	v_mul_f32_e32 v50, s24, v50
	s_branch .LBB65_223
.LBB65_222:
	v_mov_b32_e32 v50, 0
.LBB65_223:
	v_pk_add_f32 v[44:45], v[0:1], v[44:45]
	s_nop 0
	v_min3_f32 v51, v44, v45, v120
	v_pk_add_f32 v[44:45], v[2:3], v[46:47]
	s_nop 0
	v_min_f32_e32 v44, v44, v45
	v_min3_f32 v46, v50, v44, v51
	v_lshl_add_u64 v[44:45], v[86:87], 2, v[48:49]
	global_store_dword v[44:45], v46, off
.LBB65_224:
	s_or_b64 exec, exec, s[10:11]
	v_add_u32_e32 v48, 0x48, v124
	v_mad_i64_i32 v[44:45], s[14:15], v48, s19, 0
	v_cmp_gt_i32_e64 s[10:11], s17, v48
	v_lshl_add_u64 v[46:47], v[44:45], 2, s[20:21]
	v_mad_i64_i32 v[44:45], s[14:15], v48, s18, 0
	v_lshl_add_u64 v[44:45], v[44:45], 2, s[12:13]
	s_and_b64 s[22:23], s[2:3], s[10:11]
	s_and_saveexec_b64 s[14:15], s[22:23]
	s_cbranch_execnz .LBB65_228
; %bb.225:
	s_or_b64 exec, exec, s[14:15]
	s_and_b64 s[22:23], s[4:5], s[10:11]
	s_and_saveexec_b64 s[14:15], s[22:23]
	s_cbranch_execnz .LBB65_232
.LBB65_226:
	s_or_b64 exec, exec, s[14:15]
	s_and_b64 s[22:23], s[6:7], s[10:11]
	s_and_saveexec_b64 s[14:15], s[22:23]
	s_cbranch_execnz .LBB65_236
.LBB65_227:
	s_or_b64 exec, exec, s[14:15]
	s_and_b64 s[14:15], s[8:9], s[10:11]
	s_and_saveexec_b64 s[10:11], s[14:15]
	s_cbranch_execnz .LBB65_240
	s_branch .LBB65_244
.LBB65_228:
	s_and_b64 vcc, exec, s[0:1]
	s_cbranch_vccnz .LBB65_230
; %bb.229:
	v_lshl_add_u64 v[48:49], v[80:81], 2, v[46:47]
	flat_load_dword v48, v[48:49]
	s_waitcnt vmcnt(0) lgkmcnt(0)
	v_mul_f32_e32 v48, s24, v48
	s_branch .LBB65_231
.LBB65_230:
	v_mov_b32_e32 v48, 0
.LBB65_231:
	v_pk_add_f32 v[50:51], v[16:17], v[40:41]
	s_nop 0
	v_min3_f32 v49, v50, v51, v119
	v_pk_add_f32 v[50:51], v[18:19], v[42:43]
	s_nop 0
	v_min_f32_e32 v50, v50, v51
	v_min3_f32 v50, v48, v50, v49
	v_lshl_add_u64 v[48:49], v[80:81], 2, v[44:45]
	global_store_dword v[48:49], v50, off
	s_or_b64 exec, exec, s[14:15]
	s_and_b64 s[22:23], s[4:5], s[10:11]
	s_and_saveexec_b64 s[14:15], s[22:23]
	s_cbranch_execz .LBB65_226
.LBB65_232:
	s_and_b64 vcc, exec, s[0:1]
	s_cbranch_vccnz .LBB65_234
; %bb.233:
	v_lshl_add_u64 v[48:49], v[82:83], 2, v[46:47]
	flat_load_dword v48, v[48:49]
	s_waitcnt vmcnt(0) lgkmcnt(0)
	v_mul_f32_e32 v48, s24, v48
	s_branch .LBB65_235
.LBB65_234:
	v_mov_b32_e32 v48, 0
.LBB65_235:
	v_pk_add_f32 v[50:51], v[12:13], v[40:41]
	s_nop 0
	v_min3_f32 v49, v50, v51, v118
	v_pk_add_f32 v[50:51], v[14:15], v[42:43]
	s_nop 0
	v_min_f32_e32 v50, v50, v51
	v_min3_f32 v50, v48, v50, v49
	v_lshl_add_u64 v[48:49], v[82:83], 2, v[44:45]
	global_store_dword v[48:49], v50, off
	s_or_b64 exec, exec, s[14:15]
	s_and_b64 s[22:23], s[6:7], s[10:11]
	s_and_saveexec_b64 s[14:15], s[22:23]
	s_cbranch_execz .LBB65_227
.LBB65_236:
	s_and_b64 vcc, exec, s[0:1]
	s_cbranch_vccnz .LBB65_238
; %bb.237:
	v_lshl_add_u64 v[48:49], v[84:85], 2, v[46:47]
	flat_load_dword v48, v[48:49]
	s_waitcnt vmcnt(0) lgkmcnt(0)
	v_mul_f32_e32 v48, s24, v48
	s_branch .LBB65_239
.LBB65_238:
	v_mov_b32_e32 v48, 0
.LBB65_239:
	v_pk_add_f32 v[50:51], v[8:9], v[40:41]
	s_nop 0
	v_min3_f32 v49, v50, v51, v117
	v_pk_add_f32 v[50:51], v[10:11], v[42:43]
	s_nop 0
	v_min_f32_e32 v50, v50, v51
	v_min3_f32 v50, v48, v50, v49
	v_lshl_add_u64 v[48:49], v[84:85], 2, v[44:45]
	global_store_dword v[48:49], v50, off
	s_or_b64 exec, exec, s[14:15]
	s_and_b64 s[14:15], s[8:9], s[10:11]
	s_and_saveexec_b64 s[10:11], s[14:15]
	s_cbranch_execz .LBB65_244
.LBB65_240:
	s_and_b64 vcc, exec, s[0:1]
	s_cbranch_vccnz .LBB65_242
; %bb.241:
	v_lshl_add_u64 v[46:47], v[86:87], 2, v[46:47]
	flat_load_dword v46, v[46:47]
	s_waitcnt vmcnt(0) lgkmcnt(0)
	v_mul_f32_e32 v46, s24, v46
	s_branch .LBB65_243
.LBB65_242:
	v_mov_b32_e32 v46, 0
.LBB65_243:
	v_pk_add_f32 v[40:41], v[0:1], v[40:41]
	s_nop 0
	v_min3_f32 v47, v40, v41, v116
	v_pk_add_f32 v[40:41], v[2:3], v[42:43]
	s_nop 0
	v_min_f32_e32 v40, v40, v41
	v_min3_f32 v42, v46, v40, v47
	v_lshl_add_u64 v[40:41], v[86:87], 2, v[44:45]
	global_store_dword v[40:41], v42, off
.LBB65_244:
	s_or_b64 exec, exec, s[10:11]
	v_add_u32_e32 v44, 0x50, v124
	v_mad_i64_i32 v[40:41], s[14:15], v44, s19, 0
	v_cmp_gt_i32_e64 s[10:11], s17, v44
	v_lshl_add_u64 v[42:43], v[40:41], 2, s[20:21]
	v_mad_i64_i32 v[40:41], s[14:15], v44, s18, 0
	v_lshl_add_u64 v[40:41], v[40:41], 2, s[12:13]
	s_and_b64 s[22:23], s[2:3], s[10:11]
	s_and_saveexec_b64 s[14:15], s[22:23]
	s_cbranch_execnz .LBB65_248
; %bb.245:
	s_or_b64 exec, exec, s[14:15]
	s_and_b64 s[22:23], s[4:5], s[10:11]
	s_and_saveexec_b64 s[14:15], s[22:23]
	s_cbranch_execnz .LBB65_252
.LBB65_246:
	s_or_b64 exec, exec, s[14:15]
	s_and_b64 s[22:23], s[6:7], s[10:11]
	s_and_saveexec_b64 s[14:15], s[22:23]
	s_cbranch_execnz .LBB65_256
.LBB65_247:
	s_or_b64 exec, exec, s[14:15]
	s_and_b64 s[14:15], s[8:9], s[10:11]
	s_and_saveexec_b64 s[10:11], s[14:15]
	s_cbranch_execnz .LBB65_260
	s_branch .LBB65_264
.LBB65_248:
	s_and_b64 vcc, exec, s[0:1]
	s_cbranch_vccnz .LBB65_250
; %bb.249:
	v_lshl_add_u64 v[44:45], v[80:81], 2, v[42:43]
	flat_load_dword v44, v[44:45]
	s_waitcnt vmcnt(0) lgkmcnt(0)
	v_mul_f32_e32 v44, s24, v44
	s_branch .LBB65_251
.LBB65_250:
	v_mov_b32_e32 v44, 0
.LBB65_251:
	v_pk_add_f32 v[46:47], v[16:17], v[36:37]
	s_nop 0
	v_min3_f32 v45, v46, v47, v115
	v_pk_add_f32 v[46:47], v[18:19], v[38:39]
	s_nop 0
	v_min_f32_e32 v46, v46, v47
	v_min3_f32 v46, v44, v46, v45
	v_lshl_add_u64 v[44:45], v[80:81], 2, v[40:41]
	global_store_dword v[44:45], v46, off
	s_or_b64 exec, exec, s[14:15]
	s_and_b64 s[22:23], s[4:5], s[10:11]
	s_and_saveexec_b64 s[14:15], s[22:23]
	s_cbranch_execz .LBB65_246
.LBB65_252:
	s_and_b64 vcc, exec, s[0:1]
	s_cbranch_vccnz .LBB65_254
; %bb.253:
	v_lshl_add_u64 v[44:45], v[82:83], 2, v[42:43]
	flat_load_dword v44, v[44:45]
	s_waitcnt vmcnt(0) lgkmcnt(0)
	v_mul_f32_e32 v44, s24, v44
	s_branch .LBB65_255
.LBB65_254:
	v_mov_b32_e32 v44, 0
.LBB65_255:
	v_pk_add_f32 v[46:47], v[12:13], v[36:37]
	s_nop 0
	v_min3_f32 v45, v46, v47, v114
	v_pk_add_f32 v[46:47], v[14:15], v[38:39]
	s_nop 0
	v_min_f32_e32 v46, v46, v47
	v_min3_f32 v46, v44, v46, v45
	v_lshl_add_u64 v[44:45], v[82:83], 2, v[40:41]
	global_store_dword v[44:45], v46, off
	s_or_b64 exec, exec, s[14:15]
	s_and_b64 s[22:23], s[6:7], s[10:11]
	s_and_saveexec_b64 s[14:15], s[22:23]
	s_cbranch_execz .LBB65_247
.LBB65_256:
	s_and_b64 vcc, exec, s[0:1]
	s_cbranch_vccnz .LBB65_258
; %bb.257:
	v_lshl_add_u64 v[44:45], v[84:85], 2, v[42:43]
	flat_load_dword v44, v[44:45]
	s_waitcnt vmcnt(0) lgkmcnt(0)
	v_mul_f32_e32 v44, s24, v44
	s_branch .LBB65_259
.LBB65_258:
	v_mov_b32_e32 v44, 0
.LBB65_259:
	v_pk_add_f32 v[46:47], v[8:9], v[36:37]
	s_nop 0
	v_min3_f32 v45, v46, v47, v113
	v_pk_add_f32 v[46:47], v[10:11], v[38:39]
	s_nop 0
	v_min_f32_e32 v46, v46, v47
	v_min3_f32 v46, v44, v46, v45
	v_lshl_add_u64 v[44:45], v[84:85], 2, v[40:41]
	global_store_dword v[44:45], v46, off
	s_or_b64 exec, exec, s[14:15]
	s_and_b64 s[14:15], s[8:9], s[10:11]
	s_and_saveexec_b64 s[10:11], s[14:15]
	s_cbranch_execz .LBB65_264
.LBB65_260:
	s_and_b64 vcc, exec, s[0:1]
	s_cbranch_vccnz .LBB65_262
; %bb.261:
	v_lshl_add_u64 v[42:43], v[86:87], 2, v[42:43]
	flat_load_dword v42, v[42:43]
	s_waitcnt vmcnt(0) lgkmcnt(0)
	v_mul_f32_e32 v42, s24, v42
	s_branch .LBB65_263
.LBB65_262:
	v_mov_b32_e32 v42, 0
.LBB65_263:
	v_pk_add_f32 v[36:37], v[0:1], v[36:37]
	s_nop 0
	v_min3_f32 v43, v36, v37, v112
	v_pk_add_f32 v[36:37], v[2:3], v[38:39]
	s_nop 0
	v_min_f32_e32 v36, v36, v37
	v_min3_f32 v38, v42, v36, v43
	v_lshl_add_u64 v[36:37], v[86:87], 2, v[40:41]
	global_store_dword v[36:37], v38, off
.LBB65_264:
	s_or_b64 exec, exec, s[10:11]
	v_add_u32_e32 v40, 0x58, v124
	v_mad_i64_i32 v[36:37], s[14:15], v40, s19, 0
	v_cmp_gt_i32_e64 s[10:11], s17, v40
	v_lshl_add_u64 v[38:39], v[36:37], 2, s[20:21]
	v_mad_i64_i32 v[36:37], s[14:15], v40, s18, 0
	v_lshl_add_u64 v[36:37], v[36:37], 2, s[12:13]
	s_and_b64 s[22:23], s[2:3], s[10:11]
	s_and_saveexec_b64 s[14:15], s[22:23]
	s_cbranch_execnz .LBB65_268
; %bb.265:
	s_or_b64 exec, exec, s[14:15]
	s_and_b64 s[22:23], s[4:5], s[10:11]
	s_and_saveexec_b64 s[14:15], s[22:23]
	s_cbranch_execnz .LBB65_272
.LBB65_266:
	s_or_b64 exec, exec, s[14:15]
	s_and_b64 s[22:23], s[6:7], s[10:11]
	s_and_saveexec_b64 s[14:15], s[22:23]
	s_cbranch_execnz .LBB65_276
.LBB65_267:
	s_or_b64 exec, exec, s[14:15]
	s_and_b64 s[14:15], s[8:9], s[10:11]
	s_and_saveexec_b64 s[10:11], s[14:15]
	s_cbranch_execnz .LBB65_280
	s_branch .LBB65_284
.LBB65_268:
	s_and_b64 vcc, exec, s[0:1]
	s_cbranch_vccnz .LBB65_270
; %bb.269:
	v_lshl_add_u64 v[40:41], v[80:81], 2, v[38:39]
	flat_load_dword v40, v[40:41]
	s_waitcnt vmcnt(0) lgkmcnt(0)
	v_mul_f32_e32 v40, s24, v40
	s_branch .LBB65_271
.LBB65_270:
	v_mov_b32_e32 v40, 0
.LBB65_271:
	v_pk_add_f32 v[42:43], v[16:17], v[32:33]
	s_nop 0
	v_min3_f32 v41, v42, v43, v111
	v_pk_add_f32 v[42:43], v[18:19], v[34:35]
	s_nop 0
	v_min_f32_e32 v42, v42, v43
	v_min3_f32 v42, v40, v42, v41
	v_lshl_add_u64 v[40:41], v[80:81], 2, v[36:37]
	global_store_dword v[40:41], v42, off
	s_or_b64 exec, exec, s[14:15]
	s_and_b64 s[22:23], s[4:5], s[10:11]
	s_and_saveexec_b64 s[14:15], s[22:23]
	s_cbranch_execz .LBB65_266
.LBB65_272:
	s_and_b64 vcc, exec, s[0:1]
	s_cbranch_vccnz .LBB65_274
; %bb.273:
	v_lshl_add_u64 v[40:41], v[82:83], 2, v[38:39]
	flat_load_dword v40, v[40:41]
	s_waitcnt vmcnt(0) lgkmcnt(0)
	v_mul_f32_e32 v40, s24, v40
	s_branch .LBB65_275
.LBB65_274:
	v_mov_b32_e32 v40, 0
.LBB65_275:
	v_pk_add_f32 v[42:43], v[12:13], v[32:33]
	s_nop 0
	v_min3_f32 v41, v42, v43, v110
	v_pk_add_f32 v[42:43], v[14:15], v[34:35]
	s_nop 0
	v_min_f32_e32 v42, v42, v43
	v_min3_f32 v42, v40, v42, v41
	v_lshl_add_u64 v[40:41], v[82:83], 2, v[36:37]
	global_store_dword v[40:41], v42, off
	s_or_b64 exec, exec, s[14:15]
	s_and_b64 s[22:23], s[6:7], s[10:11]
	s_and_saveexec_b64 s[14:15], s[22:23]
	s_cbranch_execz .LBB65_267
.LBB65_276:
	s_and_b64 vcc, exec, s[0:1]
	s_cbranch_vccnz .LBB65_278
; %bb.277:
	v_lshl_add_u64 v[40:41], v[84:85], 2, v[38:39]
	flat_load_dword v40, v[40:41]
	s_waitcnt vmcnt(0) lgkmcnt(0)
	v_mul_f32_e32 v40, s24, v40
	s_branch .LBB65_279
.LBB65_278:
	v_mov_b32_e32 v40, 0
.LBB65_279:
	v_pk_add_f32 v[42:43], v[8:9], v[32:33]
	s_nop 0
	v_min3_f32 v41, v42, v43, v109
	v_pk_add_f32 v[42:43], v[10:11], v[34:35]
	s_nop 0
	v_min_f32_e32 v42, v42, v43
	v_min3_f32 v42, v40, v42, v41
	v_lshl_add_u64 v[40:41], v[84:85], 2, v[36:37]
	global_store_dword v[40:41], v42, off
	s_or_b64 exec, exec, s[14:15]
	s_and_b64 s[14:15], s[8:9], s[10:11]
	s_and_saveexec_b64 s[10:11], s[14:15]
	s_cbranch_execz .LBB65_284
.LBB65_280:
	s_and_b64 vcc, exec, s[0:1]
	s_cbranch_vccnz .LBB65_282
; %bb.281:
	v_lshl_add_u64 v[38:39], v[86:87], 2, v[38:39]
	flat_load_dword v38, v[38:39]
	s_waitcnt vmcnt(0) lgkmcnt(0)
	v_mul_f32_e32 v38, s24, v38
	s_branch .LBB65_283
.LBB65_282:
	v_mov_b32_e32 v38, 0
.LBB65_283:
	v_pk_add_f32 v[32:33], v[0:1], v[32:33]
	s_nop 0
	v_min3_f32 v39, v32, v33, v108
	v_pk_add_f32 v[32:33], v[2:3], v[34:35]
	s_nop 0
	v_min_f32_e32 v32, v32, v33
	v_min3_f32 v34, v38, v32, v39
	v_lshl_add_u64 v[32:33], v[86:87], 2, v[36:37]
	global_store_dword v[32:33], v34, off
.LBB65_284:
	s_or_b64 exec, exec, s[10:11]
	v_add_u32_e32 v36, 0x60, v124
	v_mad_i64_i32 v[32:33], s[14:15], v36, s19, 0
	v_cmp_gt_i32_e64 s[10:11], s17, v36
	v_lshl_add_u64 v[34:35], v[32:33], 2, s[20:21]
	v_mad_i64_i32 v[32:33], s[14:15], v36, s18, 0
	v_lshl_add_u64 v[32:33], v[32:33], 2, s[12:13]
	s_and_b64 s[22:23], s[2:3], s[10:11]
	s_and_saveexec_b64 s[14:15], s[22:23]
	s_cbranch_execnz .LBB65_288
; %bb.285:
	s_or_b64 exec, exec, s[14:15]
	s_and_b64 s[22:23], s[4:5], s[10:11]
	s_and_saveexec_b64 s[14:15], s[22:23]
	s_cbranch_execnz .LBB65_292
.LBB65_286:
	s_or_b64 exec, exec, s[14:15]
	s_and_b64 s[22:23], s[6:7], s[10:11]
	s_and_saveexec_b64 s[14:15], s[22:23]
	s_cbranch_execnz .LBB65_296
.LBB65_287:
	s_or_b64 exec, exec, s[14:15]
	s_and_b64 s[14:15], s[8:9], s[10:11]
	s_and_saveexec_b64 s[10:11], s[14:15]
	s_cbranch_execnz .LBB65_300
	s_branch .LBB65_304
.LBB65_288:
	s_and_b64 vcc, exec, s[0:1]
	s_cbranch_vccnz .LBB65_290
; %bb.289:
	v_lshl_add_u64 v[36:37], v[80:81], 2, v[34:35]
	flat_load_dword v36, v[36:37]
	s_waitcnt vmcnt(0) lgkmcnt(0)
	v_mul_f32_e32 v36, s24, v36
	s_branch .LBB65_291
.LBB65_290:
	v_mov_b32_e32 v36, 0
.LBB65_291:
	v_pk_add_f32 v[38:39], v[16:17], v[28:29]
	s_nop 0
	v_min3_f32 v37, v38, v39, v107
	v_pk_add_f32 v[38:39], v[18:19], v[30:31]
	s_nop 0
	v_min_f32_e32 v38, v38, v39
	v_min3_f32 v38, v36, v38, v37
	v_lshl_add_u64 v[36:37], v[80:81], 2, v[32:33]
	global_store_dword v[36:37], v38, off
	s_or_b64 exec, exec, s[14:15]
	s_and_b64 s[22:23], s[4:5], s[10:11]
	s_and_saveexec_b64 s[14:15], s[22:23]
	s_cbranch_execz .LBB65_286
.LBB65_292:
	s_and_b64 vcc, exec, s[0:1]
	s_cbranch_vccnz .LBB65_294
; %bb.293:
	v_lshl_add_u64 v[36:37], v[82:83], 2, v[34:35]
	flat_load_dword v36, v[36:37]
	s_waitcnt vmcnt(0) lgkmcnt(0)
	v_mul_f32_e32 v36, s24, v36
	s_branch .LBB65_295
.LBB65_294:
	v_mov_b32_e32 v36, 0
.LBB65_295:
	v_pk_add_f32 v[38:39], v[12:13], v[28:29]
	s_nop 0
	v_min3_f32 v37, v38, v39, v106
	v_pk_add_f32 v[38:39], v[14:15], v[30:31]
	s_nop 0
	v_min_f32_e32 v38, v38, v39
	v_min3_f32 v38, v36, v38, v37
	v_lshl_add_u64 v[36:37], v[82:83], 2, v[32:33]
	global_store_dword v[36:37], v38, off
	s_or_b64 exec, exec, s[14:15]
	s_and_b64 s[22:23], s[6:7], s[10:11]
	s_and_saveexec_b64 s[14:15], s[22:23]
	s_cbranch_execz .LBB65_287
.LBB65_296:
	s_and_b64 vcc, exec, s[0:1]
	s_cbranch_vccnz .LBB65_298
; %bb.297:
	v_lshl_add_u64 v[36:37], v[84:85], 2, v[34:35]
	flat_load_dword v36, v[36:37]
	s_waitcnt vmcnt(0) lgkmcnt(0)
	v_mul_f32_e32 v36, s24, v36
	s_branch .LBB65_299
.LBB65_298:
	v_mov_b32_e32 v36, 0
.LBB65_299:
	v_pk_add_f32 v[38:39], v[8:9], v[28:29]
	s_nop 0
	v_min3_f32 v37, v38, v39, v105
	v_pk_add_f32 v[38:39], v[10:11], v[30:31]
	s_nop 0
	v_min_f32_e32 v38, v38, v39
	v_min3_f32 v38, v36, v38, v37
	v_lshl_add_u64 v[36:37], v[84:85], 2, v[32:33]
	global_store_dword v[36:37], v38, off
	s_or_b64 exec, exec, s[14:15]
	s_and_b64 s[14:15], s[8:9], s[10:11]
	s_and_saveexec_b64 s[10:11], s[14:15]
	s_cbranch_execz .LBB65_304
.LBB65_300:
	s_and_b64 vcc, exec, s[0:1]
	s_cbranch_vccnz .LBB65_302
; %bb.301:
	v_lshl_add_u64 v[34:35], v[86:87], 2, v[34:35]
	flat_load_dword v34, v[34:35]
	s_waitcnt vmcnt(0) lgkmcnt(0)
	v_mul_f32_e32 v34, s24, v34
	s_branch .LBB65_303
.LBB65_302:
	v_mov_b32_e32 v34, 0
.LBB65_303:
	v_pk_add_f32 v[28:29], v[0:1], v[28:29]
	s_nop 0
	v_min3_f32 v35, v28, v29, v104
	v_pk_add_f32 v[28:29], v[2:3], v[30:31]
	s_nop 0
	v_min_f32_e32 v28, v28, v29
	v_min3_f32 v30, v34, v28, v35
	v_lshl_add_u64 v[28:29], v[86:87], 2, v[32:33]
	global_store_dword v[28:29], v30, off
.LBB65_304:
	s_or_b64 exec, exec, s[10:11]
	v_add_u32_e32 v32, 0x68, v124
	v_mad_i64_i32 v[28:29], s[14:15], v32, s19, 0
	v_cmp_gt_i32_e64 s[10:11], s17, v32
	v_lshl_add_u64 v[30:31], v[28:29], 2, s[20:21]
	v_mad_i64_i32 v[28:29], s[14:15], v32, s18, 0
	v_lshl_add_u64 v[28:29], v[28:29], 2, s[12:13]
	s_and_b64 s[22:23], s[2:3], s[10:11]
	s_and_saveexec_b64 s[14:15], s[22:23]
	s_cbranch_execnz .LBB65_308
; %bb.305:
	s_or_b64 exec, exec, s[14:15]
	s_and_b64 s[22:23], s[4:5], s[10:11]
	s_and_saveexec_b64 s[14:15], s[22:23]
	s_cbranch_execnz .LBB65_312
.LBB65_306:
	s_or_b64 exec, exec, s[14:15]
	s_and_b64 s[22:23], s[6:7], s[10:11]
	s_and_saveexec_b64 s[14:15], s[22:23]
	s_cbranch_execnz .LBB65_316
.LBB65_307:
	s_or_b64 exec, exec, s[14:15]
	s_and_b64 s[14:15], s[8:9], s[10:11]
	s_and_saveexec_b64 s[10:11], s[14:15]
	s_cbranch_execnz .LBB65_320
	s_branch .LBB65_324
.LBB65_308:
	s_and_b64 vcc, exec, s[0:1]
	s_cbranch_vccnz .LBB65_310
; %bb.309:
	v_lshl_add_u64 v[32:33], v[80:81], 2, v[30:31]
	flat_load_dword v32, v[32:33]
	s_waitcnt vmcnt(0) lgkmcnt(0)
	v_mul_f32_e32 v32, s24, v32
	s_branch .LBB65_311
.LBB65_310:
	v_mov_b32_e32 v32, 0
.LBB65_311:
	v_pk_add_f32 v[34:35], v[16:17], v[24:25]
	s_nop 0
	v_min3_f32 v33, v34, v35, v103
	v_pk_add_f32 v[34:35], v[18:19], v[26:27]
	s_nop 0
	v_min_f32_e32 v34, v34, v35
	v_min3_f32 v34, v32, v34, v33
	v_lshl_add_u64 v[32:33], v[80:81], 2, v[28:29]
	global_store_dword v[32:33], v34, off
	s_or_b64 exec, exec, s[14:15]
	s_and_b64 s[22:23], s[4:5], s[10:11]
	s_and_saveexec_b64 s[14:15], s[22:23]
	s_cbranch_execz .LBB65_306
.LBB65_312:
	s_and_b64 vcc, exec, s[0:1]
	s_cbranch_vccnz .LBB65_314
; %bb.313:
	v_lshl_add_u64 v[32:33], v[82:83], 2, v[30:31]
	flat_load_dword v32, v[32:33]
	s_waitcnt vmcnt(0) lgkmcnt(0)
	v_mul_f32_e32 v32, s24, v32
	s_branch .LBB65_315
.LBB65_314:
	v_mov_b32_e32 v32, 0
.LBB65_315:
	v_pk_add_f32 v[34:35], v[12:13], v[24:25]
	s_nop 0
	v_min3_f32 v33, v34, v35, v102
	v_pk_add_f32 v[34:35], v[14:15], v[26:27]
	s_nop 0
	v_min_f32_e32 v34, v34, v35
	v_min3_f32 v34, v32, v34, v33
	v_lshl_add_u64 v[32:33], v[82:83], 2, v[28:29]
	global_store_dword v[32:33], v34, off
	s_or_b64 exec, exec, s[14:15]
	s_and_b64 s[22:23], s[6:7], s[10:11]
	s_and_saveexec_b64 s[14:15], s[22:23]
	s_cbranch_execz .LBB65_307
.LBB65_316:
	s_and_b64 vcc, exec, s[0:1]
	s_cbranch_vccnz .LBB65_318
; %bb.317:
	v_lshl_add_u64 v[32:33], v[84:85], 2, v[30:31]
	flat_load_dword v32, v[32:33]
	s_waitcnt vmcnt(0) lgkmcnt(0)
	v_mul_f32_e32 v32, s24, v32
	s_branch .LBB65_319
.LBB65_318:
	v_mov_b32_e32 v32, 0
.LBB65_319:
	v_pk_add_f32 v[34:35], v[8:9], v[24:25]
	s_nop 0
	v_min3_f32 v33, v34, v35, v101
	v_pk_add_f32 v[34:35], v[10:11], v[26:27]
	s_nop 0
	v_min_f32_e32 v34, v34, v35
	v_min3_f32 v34, v32, v34, v33
	v_lshl_add_u64 v[32:33], v[84:85], 2, v[28:29]
	global_store_dword v[32:33], v34, off
	s_or_b64 exec, exec, s[14:15]
	s_and_b64 s[14:15], s[8:9], s[10:11]
	s_and_saveexec_b64 s[10:11], s[14:15]
	s_cbranch_execz .LBB65_324
.LBB65_320:
	s_and_b64 vcc, exec, s[0:1]
	s_cbranch_vccnz .LBB65_322
; %bb.321:
	v_lshl_add_u64 v[30:31], v[86:87], 2, v[30:31]
	flat_load_dword v30, v[30:31]
	s_waitcnt vmcnt(0) lgkmcnt(0)
	v_mul_f32_e32 v30, s24, v30
	s_branch .LBB65_323
.LBB65_322:
	v_mov_b32_e32 v30, 0
.LBB65_323:
	v_pk_add_f32 v[24:25], v[0:1], v[24:25]
	s_nop 0
	v_min3_f32 v31, v24, v25, v100
	v_pk_add_f32 v[24:25], v[2:3], v[26:27]
	s_nop 0
	v_min_f32_e32 v24, v24, v25
	v_min3_f32 v26, v30, v24, v31
	v_lshl_add_u64 v[24:25], v[86:87], 2, v[28:29]
	global_store_dword v[24:25], v26, off
.LBB65_324:
	s_or_b64 exec, exec, s[10:11]
	v_add_u32_e32 v28, 0x70, v124
	v_mad_i64_i32 v[24:25], s[14:15], v28, s19, 0
	v_cmp_gt_i32_e64 s[10:11], s17, v28
	v_lshl_add_u64 v[26:27], v[24:25], 2, s[20:21]
	v_mad_i64_i32 v[24:25], s[14:15], v28, s18, 0
	v_lshl_add_u64 v[24:25], v[24:25], 2, s[12:13]
	s_and_b64 s[22:23], s[2:3], s[10:11]
	s_and_saveexec_b64 s[14:15], s[22:23]
	s_cbranch_execnz .LBB65_328
; %bb.325:
	s_or_b64 exec, exec, s[14:15]
	s_and_b64 s[22:23], s[4:5], s[10:11]
	s_and_saveexec_b64 s[14:15], s[22:23]
	s_cbranch_execnz .LBB65_332
.LBB65_326:
	s_or_b64 exec, exec, s[14:15]
	s_and_b64 s[22:23], s[6:7], s[10:11]
	s_and_saveexec_b64 s[14:15], s[22:23]
	s_cbranch_execnz .LBB65_336
.LBB65_327:
	s_or_b64 exec, exec, s[14:15]
	s_and_b64 s[14:15], s[8:9], s[10:11]
	s_and_saveexec_b64 s[10:11], s[14:15]
	s_cbranch_execnz .LBB65_340
	s_branch .LBB65_344
.LBB65_328:
	s_and_b64 vcc, exec, s[0:1]
	s_cbranch_vccnz .LBB65_330
; %bb.329:
	v_lshl_add_u64 v[28:29], v[80:81], 2, v[26:27]
	flat_load_dword v28, v[28:29]
	s_waitcnt vmcnt(0) lgkmcnt(0)
	v_mul_f32_e32 v28, s24, v28
	s_branch .LBB65_331
.LBB65_330:
	v_mov_b32_e32 v28, 0
.LBB65_331:
	v_pk_add_f32 v[30:31], v[16:17], v[20:21]
	s_nop 0
	v_min3_f32 v29, v30, v31, v99
	v_pk_add_f32 v[30:31], v[18:19], v[22:23]
	s_nop 0
	v_min_f32_e32 v30, v30, v31
	v_min3_f32 v30, v28, v30, v29
	v_lshl_add_u64 v[28:29], v[80:81], 2, v[24:25]
	global_store_dword v[28:29], v30, off
	s_or_b64 exec, exec, s[14:15]
	s_and_b64 s[22:23], s[4:5], s[10:11]
	s_and_saveexec_b64 s[14:15], s[22:23]
	s_cbranch_execz .LBB65_326
.LBB65_332:
	s_and_b64 vcc, exec, s[0:1]
	s_cbranch_vccnz .LBB65_334
; %bb.333:
	v_lshl_add_u64 v[28:29], v[82:83], 2, v[26:27]
	flat_load_dword v28, v[28:29]
	s_waitcnt vmcnt(0) lgkmcnt(0)
	v_mul_f32_e32 v28, s24, v28
	s_branch .LBB65_335
.LBB65_334:
	v_mov_b32_e32 v28, 0
.LBB65_335:
	v_pk_add_f32 v[30:31], v[12:13], v[20:21]
	s_nop 0
	v_min3_f32 v29, v30, v31, v98
	v_pk_add_f32 v[30:31], v[14:15], v[22:23]
	s_nop 0
	v_min_f32_e32 v30, v30, v31
	v_min3_f32 v30, v28, v30, v29
	v_lshl_add_u64 v[28:29], v[82:83], 2, v[24:25]
	global_store_dword v[28:29], v30, off
	s_or_b64 exec, exec, s[14:15]
	s_and_b64 s[22:23], s[6:7], s[10:11]
	s_and_saveexec_b64 s[14:15], s[22:23]
	s_cbranch_execz .LBB65_327
.LBB65_336:
	s_and_b64 vcc, exec, s[0:1]
	s_cbranch_vccnz .LBB65_338
; %bb.337:
	v_lshl_add_u64 v[28:29], v[84:85], 2, v[26:27]
	flat_load_dword v28, v[28:29]
	s_waitcnt vmcnt(0) lgkmcnt(0)
	v_mul_f32_e32 v28, s24, v28
	s_branch .LBB65_339
.LBB65_338:
	v_mov_b32_e32 v28, 0
.LBB65_339:
	v_pk_add_f32 v[30:31], v[8:9], v[20:21]
	s_nop 0
	v_min3_f32 v29, v30, v31, v97
	v_pk_add_f32 v[30:31], v[10:11], v[22:23]
	s_nop 0
	v_min_f32_e32 v30, v30, v31
	v_min3_f32 v30, v28, v30, v29
	v_lshl_add_u64 v[28:29], v[84:85], 2, v[24:25]
	global_store_dword v[28:29], v30, off
	s_or_b64 exec, exec, s[14:15]
	s_and_b64 s[14:15], s[8:9], s[10:11]
	s_and_saveexec_b64 s[10:11], s[14:15]
	s_cbranch_execz .LBB65_344
.LBB65_340:
	s_and_b64 vcc, exec, s[0:1]
	s_cbranch_vccnz .LBB65_342
; %bb.341:
	v_lshl_add_u64 v[26:27], v[86:87], 2, v[26:27]
	flat_load_dword v26, v[26:27]
	s_waitcnt vmcnt(0) lgkmcnt(0)
	v_mul_f32_e32 v26, s24, v26
	s_branch .LBB65_343
.LBB65_342:
	v_mov_b32_e32 v26, 0
.LBB65_343:
	v_pk_add_f32 v[20:21], v[0:1], v[20:21]
	s_nop 0
	v_min3_f32 v27, v20, v21, v96
	v_pk_add_f32 v[20:21], v[2:3], v[22:23]
	s_nop 0
	v_min_f32_e32 v20, v20, v21
	v_min3_f32 v22, v26, v20, v27
	v_lshl_add_u64 v[20:21], v[86:87], 2, v[24:25]
	global_store_dword v[20:21], v22, off
.LBB65_344:
	s_or_b64 exec, exec, s[10:11]
	v_add_u32_e32 v24, 0x78, v124
	v_mad_i64_i32 v[20:21], s[14:15], v24, s19, 0
	v_cmp_gt_i32_e64 s[10:11], s17, v24
	v_lshl_add_u64 v[22:23], v[20:21], 2, s[20:21]
	v_mad_i64_i32 v[20:21], s[14:15], v24, s18, 0
	v_lshl_add_u64 v[20:21], v[20:21], 2, s[12:13]
	s_and_b64 s[12:13], s[2:3], s[10:11]
	s_and_saveexec_b64 s[2:3], s[12:13]
	s_cbranch_execnz .LBB65_349
; %bb.345:
	s_or_b64 exec, exec, s[2:3]
	s_and_b64 s[4:5], s[4:5], s[10:11]
	s_and_saveexec_b64 s[2:3], s[4:5]
	s_cbranch_execnz .LBB65_353
.LBB65_346:
	s_or_b64 exec, exec, s[2:3]
	s_and_b64 s[4:5], s[6:7], s[10:11]
	s_and_saveexec_b64 s[2:3], s[4:5]
	s_cbranch_execnz .LBB65_357
.LBB65_347:
	s_or_b64 exec, exec, s[2:3]
	s_and_b64 s[2:3], s[8:9], s[10:11]
	s_and_saveexec_b64 s[4:5], s[2:3]
	s_cbranch_execnz .LBB65_361
.LBB65_348:
	s_endpgm
.LBB65_349:
	s_and_b64 vcc, exec, s[0:1]
	s_cbranch_vccnz .LBB65_351
; %bb.350:
	v_lshl_add_u64 v[24:25], v[80:81], 2, v[22:23]
	flat_load_dword v24, v[24:25]
	s_waitcnt vmcnt(0) lgkmcnt(0)
	v_mul_f32_e32 v24, s24, v24
	s_branch .LBB65_352
.LBB65_351:
	v_mov_b32_e32 v24, 0
.LBB65_352:
	v_pk_add_f32 v[16:17], v[16:17], v[4:5]
	s_nop 0
	v_min3_f32 v25, v16, v17, v94
	v_pk_add_f32 v[16:17], v[18:19], v[6:7]
	s_nop 0
	v_min_f32_e32 v16, v16, v17
	v_min3_f32 v18, v24, v16, v25
	v_lshl_add_u64 v[16:17], v[80:81], 2, v[20:21]
	global_store_dword v[16:17], v18, off
	s_or_b64 exec, exec, s[2:3]
	s_and_b64 s[4:5], s[4:5], s[10:11]
	s_and_saveexec_b64 s[2:3], s[4:5]
	s_cbranch_execz .LBB65_346
.LBB65_353:
	s_and_b64 vcc, exec, s[0:1]
	s_cbranch_vccnz .LBB65_355
; %bb.354:
	v_lshl_add_u64 v[16:17], v[82:83], 2, v[22:23]
	flat_load_dword v16, v[16:17]
	s_waitcnt vmcnt(0) lgkmcnt(0)
	v_mul_f32_e32 v16, s24, v16
	s_branch .LBB65_356
.LBB65_355:
	v_mov_b32_e32 v16, 0
.LBB65_356:
	v_pk_add_f32 v[12:13], v[12:13], v[4:5]
	s_nop 0
	v_min3_f32 v17, v12, v13, v93
	v_pk_add_f32 v[12:13], v[14:15], v[6:7]
	s_nop 0
	v_min_f32_e32 v12, v12, v13
	v_min3_f32 v14, v16, v12, v17
	v_lshl_add_u64 v[12:13], v[82:83], 2, v[20:21]
	global_store_dword v[12:13], v14, off
	s_or_b64 exec, exec, s[2:3]
	s_and_b64 s[4:5], s[6:7], s[10:11]
	s_and_saveexec_b64 s[2:3], s[4:5]
	s_cbranch_execz .LBB65_347
.LBB65_357:
	s_and_b64 vcc, exec, s[0:1]
	s_cbranch_vccnz .LBB65_359
; %bb.358:
	v_lshl_add_u64 v[12:13], v[84:85], 2, v[22:23]
	flat_load_dword v12, v[12:13]
	s_waitcnt vmcnt(0) lgkmcnt(0)
	v_mul_f32_e32 v12, s24, v12
	s_branch .LBB65_360
.LBB65_359:
	v_mov_b32_e32 v12, 0
.LBB65_360:
	v_pk_add_f32 v[8:9], v[8:9], v[4:5]
	s_nop 0
	v_min3_f32 v13, v8, v9, v92
	v_pk_add_f32 v[8:9], v[10:11], v[6:7]
	s_nop 0
	v_min_f32_e32 v8, v8, v9
	v_min3_f32 v10, v12, v8, v13
	v_lshl_add_u64 v[8:9], v[84:85], 2, v[20:21]
	global_store_dword v[8:9], v10, off
	s_or_b64 exec, exec, s[2:3]
	s_and_b64 s[2:3], s[8:9], s[10:11]
	s_and_saveexec_b64 s[4:5], s[2:3]
	s_cbranch_execz .LBB65_348
.LBB65_361:
	s_and_b64 vcc, exec, s[0:1]
	s_cbranch_vccnz .LBB65_363
; %bb.362:
	v_lshl_add_u64 v[8:9], v[86:87], 2, v[22:23]
	flat_load_dword v8, v[8:9]
	s_waitcnt vmcnt(0) lgkmcnt(0)
	v_mul_f32_e32 v8, s24, v8
	s_branch .LBB65_364
.LBB65_363:
	v_mov_b32_e32 v8, 0
.LBB65_364:
	v_pk_add_f32 v[0:1], v[0:1], v[4:5]
	s_nop 0
	v_min3_f32 v4, v0, v1, v95
	v_pk_add_f32 v[0:1], v[2:3], v[6:7]
	s_nop 0
	v_min_f32_e32 v0, v0, v1
	v_min3_f32 v2, v8, v0, v4
	v_lshl_add_u64 v[0:1], v[86:87], 2, v[20:21]
	global_store_dword v[0:1], v2, off
	s_endpgm
	.section	.rodata,"a",@progbits
	.p2align	6, 0x0
	.amdhsa_kernel _ZN12_GLOBAL__N_120geam_min_plus_kernelIf15HIP_vector_typeIfLj2EEfLi32ELi8ELi128ELi128ELi4ELi4ELi64ELi4ELi64ELc84ELc78ELb0ELb1ELb1EfKffEEviiiT16_PT17_ilS6_ilS4_S6_ilPT18_ili26rocblas_geam_ex_operation_
		.amdhsa_group_segment_fixed_size 8192
		.amdhsa_private_segment_fixed_size 0
		.amdhsa_kernarg_size 128
		.amdhsa_user_sgpr_count 2
		.amdhsa_user_sgpr_dispatch_ptr 0
		.amdhsa_user_sgpr_queue_ptr 0
		.amdhsa_user_sgpr_kernarg_segment_ptr 1
		.amdhsa_user_sgpr_dispatch_id 0
		.amdhsa_user_sgpr_kernarg_preload_length 0
		.amdhsa_user_sgpr_kernarg_preload_offset 0
		.amdhsa_user_sgpr_private_segment_size 0
		.amdhsa_uses_dynamic_stack 0
		.amdhsa_enable_private_segment 0
		.amdhsa_system_sgpr_workgroup_id_x 1
		.amdhsa_system_sgpr_workgroup_id_y 0
		.amdhsa_system_sgpr_workgroup_id_z 1
		.amdhsa_system_sgpr_workgroup_info 0
		.amdhsa_system_vgpr_workitem_id 1
		.amdhsa_next_free_vgpr 200
		.amdhsa_next_free_sgpr 40
		.amdhsa_accum_offset 200
		.amdhsa_reserve_vcc 1
		.amdhsa_float_round_mode_32 0
		.amdhsa_float_round_mode_16_64 0
		.amdhsa_float_denorm_mode_32 3
		.amdhsa_float_denorm_mode_16_64 3
		.amdhsa_dx10_clamp 1
		.amdhsa_ieee_mode 1
		.amdhsa_fp16_overflow 0
		.amdhsa_tg_split 0
		.amdhsa_exception_fp_ieee_invalid_op 0
		.amdhsa_exception_fp_denorm_src 0
		.amdhsa_exception_fp_ieee_div_zero 0
		.amdhsa_exception_fp_ieee_overflow 0
		.amdhsa_exception_fp_ieee_underflow 0
		.amdhsa_exception_fp_ieee_inexact 0
		.amdhsa_exception_int_div_zero 0
	.end_amdhsa_kernel
	.section	.text._ZN12_GLOBAL__N_120geam_min_plus_kernelIf15HIP_vector_typeIfLj2EEfLi32ELi8ELi128ELi128ELi4ELi4ELi64ELi4ELi64ELc84ELc78ELb0ELb1ELb1EfKffEEviiiT16_PT17_ilS6_ilS4_S6_ilPT18_ili26rocblas_geam_ex_operation_,"axG",@progbits,_ZN12_GLOBAL__N_120geam_min_plus_kernelIf15HIP_vector_typeIfLj2EEfLi32ELi8ELi128ELi128ELi4ELi4ELi64ELi4ELi64ELc84ELc78ELb0ELb1ELb1EfKffEEviiiT16_PT17_ilS6_ilS4_S6_ilPT18_ili26rocblas_geam_ex_operation_,comdat
.Lfunc_end65:
	.size	_ZN12_GLOBAL__N_120geam_min_plus_kernelIf15HIP_vector_typeIfLj2EEfLi32ELi8ELi128ELi128ELi4ELi4ELi64ELi4ELi64ELc84ELc78ELb0ELb1ELb1EfKffEEviiiT16_PT17_ilS6_ilS4_S6_ilPT18_ili26rocblas_geam_ex_operation_, .Lfunc_end65-_ZN12_GLOBAL__N_120geam_min_plus_kernelIf15HIP_vector_typeIfLj2EEfLi32ELi8ELi128ELi128ELi4ELi4ELi64ELi4ELi64ELc84ELc78ELb0ELb1ELb1EfKffEEviiiT16_PT17_ilS6_ilS4_S6_ilPT18_ili26rocblas_geam_ex_operation_
                                        ; -- End function
	.section	.AMDGPU.csdata,"",@progbits
; Kernel info:
; codeLenInByte = 18940
; NumSgprs: 46
; NumVgprs: 200
; NumAgprs: 0
; TotalNumVgprs: 200
; ScratchSize: 0
; MemoryBound: 0
; FloatMode: 240
; IeeeMode: 1
; LDSByteSize: 8192 bytes/workgroup (compile time only)
; SGPRBlocks: 5
; VGPRBlocks: 24
; NumSGPRsForWavesPerEU: 46
; NumVGPRsForWavesPerEU: 200
; AccumOffset: 200
; Occupancy: 2
; WaveLimiterHint : 0
; COMPUTE_PGM_RSRC2:SCRATCH_EN: 0
; COMPUTE_PGM_RSRC2:USER_SGPR: 2
; COMPUTE_PGM_RSRC2:TRAP_HANDLER: 0
; COMPUTE_PGM_RSRC2:TGID_X_EN: 1
; COMPUTE_PGM_RSRC2:TGID_Y_EN: 0
; COMPUTE_PGM_RSRC2:TGID_Z_EN: 1
; COMPUTE_PGM_RSRC2:TIDIG_COMP_CNT: 1
; COMPUTE_PGM_RSRC3_GFX90A:ACCUM_OFFSET: 49
; COMPUTE_PGM_RSRC3_GFX90A:TG_SPLIT: 0
	.section	.text._ZN12_GLOBAL__N_120geam_min_plus_kernelIf15HIP_vector_typeIfLj2EEfLi8ELi32ELi64ELi256ELi4ELi64ELi4ELi64ELi4ELc78ELc84ELb0ELb0ELb1EPKfS3_fEEviiiT16_PT17_ilS7_ilS5_S7_ilPT18_ili26rocblas_geam_ex_operation_,"axG",@progbits,_ZN12_GLOBAL__N_120geam_min_plus_kernelIf15HIP_vector_typeIfLj2EEfLi8ELi32ELi64ELi256ELi4ELi64ELi4ELi64ELi4ELc78ELc84ELb0ELb0ELb1EPKfS3_fEEviiiT16_PT17_ilS7_ilS5_S7_ilPT18_ili26rocblas_geam_ex_operation_,comdat
	.globl	_ZN12_GLOBAL__N_120geam_min_plus_kernelIf15HIP_vector_typeIfLj2EEfLi8ELi32ELi64ELi256ELi4ELi64ELi4ELi64ELi4ELc78ELc84ELb0ELb0ELb1EPKfS3_fEEviiiT16_PT17_ilS7_ilS5_S7_ilPT18_ili26rocblas_geam_ex_operation_ ; -- Begin function _ZN12_GLOBAL__N_120geam_min_plus_kernelIf15HIP_vector_typeIfLj2EEfLi8ELi32ELi64ELi256ELi4ELi64ELi4ELi64ELi4ELc78ELc84ELb0ELb0ELb1EPKfS3_fEEviiiT16_PT17_ilS7_ilS5_S7_ilPT18_ili26rocblas_geam_ex_operation_
	.p2align	8
	.type	_ZN12_GLOBAL__N_120geam_min_plus_kernelIf15HIP_vector_typeIfLj2EEfLi8ELi32ELi64ELi256ELi4ELi64ELi4ELi64ELi4ELc78ELc84ELb0ELb0ELb1EPKfS3_fEEviiiT16_PT17_ilS7_ilS5_S7_ilPT18_ili26rocblas_geam_ex_operation_,@function
_ZN12_GLOBAL__N_120geam_min_plus_kernelIf15HIP_vector_typeIfLj2EEfLi8ELi32ELi64ELi256ELi4ELi64ELi4ELi64ELi4ELc78ELc84ELb0ELb0ELb1EPKfS3_fEEviiiT16_PT17_ilS7_ilS5_S7_ilPT18_ili26rocblas_geam_ex_operation_: ; @_ZN12_GLOBAL__N_120geam_min_plus_kernelIf15HIP_vector_typeIfLj2EEfLi8ELi32ELi64ELi256ELi4ELi64ELi4ELi64ELi4ELc78ELc84ELb0ELb0ELb1EPKfS3_fEEviiiT16_PT17_ilS7_ilS5_S7_ilPT18_ili26rocblas_geam_ex_operation_
; %bb.0:
	s_load_dwordx4 s[12:15], s[0:1], 0x10
	s_load_dwordx4 s[4:7], s[0:1], 0x28
	s_mov_b32 s16, s3
	s_mov_b32 s17, 0
	s_lshl_b64 s[20:21], s[16:17], 2
	s_waitcnt lgkmcnt(0)
	s_add_u32 s12, s12, s20
	s_load_dwordx4 s[8:11], s[0:1], 0x40
	s_addc_u32 s13, s13, s21
	s_load_dword s18, s[12:13], 0x0
	s_load_dwordx2 s[26:27], s[0:1], 0x50
	s_mov_b64 s[22:23], 0
	s_waitcnt lgkmcnt(0)
	s_add_u32 s10, s10, s20
	v_cmp_eq_f32_e64 s[24:25], s18, 0
	s_addc_u32 s11, s11, s21
	v_cmp_neq_f32_e64 s[12:13], s18, 0
	s_mov_b64 s[20:21], 0
	s_and_b64 vcc, exec, s[24:25]
	s_cbranch_vccnz .LBB66_2
; %bb.1:
	s_mul_i32 s3, s16, s5
	s_mul_hi_u32 s5, s16, s4
	s_add_i32 s5, s5, s3
	s_mul_i32 s4, s16, s4
	s_lshl_b64 s[4:5], s[4:5], 2
	s_add_u32 s22, s14, s4
	s_addc_u32 s23, s15, s5
.LBB66_2:
	s_load_dword s17, s[10:11], 0x0
	v_cndmask_b32_e64 v1, 0, 1, s[12:13]
	v_cmp_ne_u32_e64 s[4:5], 1, v1
	s_andn2_b64 vcc, exec, s[12:13]
	s_cbranch_vccnz .LBB66_4
; %bb.3:
	s_mul_i32 s3, s16, s9
	s_mul_hi_u32 s9, s16, s8
	s_add_i32 s9, s9, s3
	s_mul_i32 s8, s16, s8
	s_lshl_b64 s[8:9], s[8:9], 2
	s_add_u32 s20, s6, s8
	s_addc_u32 s21, s7, s9
.LBB66_4:
	s_load_dwordx4 s[12:15], s[0:1], 0x60
	s_waitcnt lgkmcnt(0)
	v_cmp_eq_f32_e64 s[6:7], s17, 0
	s_and_b64 s[8:9], exec, s[6:7]
	s_mov_b64 vcc, s[8:9]
	s_cbranch_vccnz .LBB66_6
; %bb.5:
	s_mul_i32 s3, s16, s13
	s_mul_hi_u32 s6, s16, s12
	s_add_i32 s7, s6, s3
	s_mul_i32 s6, s16, s12
	s_lshl_b64 s[6:7], s[6:7], 2
	s_add_u32 s10, s26, s6
	s_addc_u32 s11, s27, s7
	s_branch .LBB66_7
.LBB66_6:
	s_mov_b64 s[10:11], 0
.LBB66_7:
	s_load_dword s3, s[0:1], 0x0
	s_load_dword s12, s[0:1], 0x20
	v_and_b32_e32 v80, 0x3ff, v0
	v_bfe_u32 v81, v0, 10, 10
	v_cndmask_b32_e64 v0, 0, 1, s[24:25]
	s_waitcnt lgkmcnt(0)
	s_add_i32 s3, s3, -1
	s_ashr_i32 s6, s3, 31
	s_lshr_b32 s6, s6, 26
	s_add_i32 s3, s3, s6
	s_ashr_i32 s3, s3, 6
	s_add_i32 s26, s3, 1
	v_cvt_f32_u32_e32 v1, s26
	v_cmp_ne_u32_e64 s[6:7], 1, v0
	s_not_b32 s3, s3
	s_ashr_i32 s13, s12, 31
	v_rcp_iflag_f32_e32 v1, v1
	v_lshl_add_u32 v2, v81, 3, v80
	v_and_b32_e32 v57, 63, v2
	v_lshrrev_b32_e32 v56, 6, v2
	v_mul_f32_e32 v0, 0x4f7ffffe, v1
	v_cvt_u32_f32_e32 v0, v0
	s_nop 0
	v_readfirstlane_b32 s19, v0
	s_mul_i32 s3, s3, s19
	s_mul_hi_u32 s3, s19, s3
	s_add_i32 s19, s19, s3
	s_mul_hi_u32 s3, s2, s19
	s_mul_i32 s19, s3, s26
	s_sub_i32 s19, s2, s19
	s_add_i32 s27, s3, 1
	s_sub_i32 s28, s19, s26
	s_cmp_ge_u32 s19, s26
	s_cselect_b32 s3, s27, s3
	s_cselect_b32 s19, s28, s19
	s_add_i32 s27, s3, 1
	s_cmp_ge_u32 s19, s26
	s_cselect_b32 s19, s27, s3
	s_mul_i32 s3, s19, s26
	s_sub_i32 s26, s2, s3
	s_andn2_b64 vcc, exec, s[24:25]
	s_lshl_b32 s26, s26, 6
	s_cbranch_vccnz .LBB66_10
; %bb.8:
	v_mov_b32_e32 v1, 0
	s_mov_b32 s27, 0
	v_or_b32_e32 v4, s26, v57
	v_ashrrev_i32_e32 v5, 31, v4
	s_cbranch_execz .LBB66_11
; %bb.9:
	v_mov_b32_e32 v9, s27
	s_branch .LBB66_12
.LBB66_10:
                                        ; implicit-def: $sgpr27
                                        ; implicit-def: $vgpr0_vgpr1
	v_or_b32_e32 v4, s26, v57
	v_ashrrev_i32_e32 v5, 31, v4
.LBB66_11:
	v_mad_i64_i32 v[0:1], s[24:25], s12, v56, 0
	v_lshl_add_u64 v[0:1], v[0:1], 2, s[22:23]
	v_lshl_add_u64 v[0:1], v[4:5], 2, v[0:1]
	flat_load_dword v0, v[0:1]
	v_mov_b32_e32 v1, 0
	s_waitcnt vmcnt(0) lgkmcnt(0)
	v_mul_f32_e32 v9, s18, v0
.LBB66_12:
	s_load_dword s24, s[0:1], 0x38
	s_lshl_b32 s27, s19, 8
	v_or_b32_e32 v2, s27, v57
	s_and_b64 vcc, exec, s[4:5]
	s_waitcnt lgkmcnt(0)
	s_ashr_i32 s25, s24, 31
	v_mul_lo_u32 v3, v1, s24
	v_mul_lo_u32 v6, v56, s25
	v_mad_u64_u32 v[0:1], s[28:29], v56, s24, 0
	v_add3_u32 v1, v1, v6, v3
	v_lshl_add_u64 v[6:7], v[0:1], 2, s[20:21]
	v_ashrrev_i32_e32 v3, 31, v2
	s_cbranch_vccnz .LBB66_17
; %bb.13:
	v_lshl_add_u64 v[0:1], v[2:3], 2, v[6:7]
	flat_load_dword v10, v[0:1]
	flat_load_dword v11, v[0:1] offset:256
	s_waitcnt vmcnt(0) lgkmcnt(0)
	v_pk_mul_f32 v[0:1], s[18:19], v[10:11] op_sel_hi:[0,1]
	s_and_b64 vcc, exec, s[4:5]
	s_cbranch_vccnz .LBB66_18
.LBB66_14:
	v_lshl_add_u64 v[6:7], v[2:3], 2, v[6:7]
	flat_load_dword v10, v[6:7] offset:512
	flat_load_dword v11, v[6:7] offset:768
	s_waitcnt vmcnt(0) lgkmcnt(0)
	v_pk_mul_f32 v[6:7], s[18:19], v[10:11] op_sel_hi:[0,1]
	s_and_b64 vcc, exec, s[6:7]
	v_add_u32_e32 v8, 4, v56
	s_cbranch_vccnz .LBB66_19
.LBB66_15:
	v_mov_b32_e32 v11, 0
	s_mov_b32 s19, 0
	s_cbranch_execz .LBB66_20
; %bb.16:
	v_mov_b32_e32 v62, s19
	s_branch .LBB66_21
.LBB66_17:
	v_mov_b32_e32 v0, 0
	v_mov_b32_e32 v1, 0
	s_and_b64 vcc, exec, s[4:5]
	s_cbranch_vccz .LBB66_14
.LBB66_18:
	v_mov_b32_e32 v6, 0
	v_mov_b32_e32 v7, 0
	s_and_b64 vcc, exec, s[6:7]
	v_add_u32_e32 v8, 4, v56
	s_cbranch_vccz .LBB66_15
.LBB66_19:
                                        ; implicit-def: $sgpr19
                                        ; implicit-def: $vgpr10_vgpr11
.LBB66_20:
	v_mad_i64_i32 v[10:11], s[6:7], s12, v8, 0
	v_lshl_add_u64 v[10:11], v[10:11], 2, s[22:23]
	v_lshl_add_u64 v[4:5], v[4:5], 2, v[10:11]
	flat_load_dword v4, v[4:5]
	v_mov_b32_e32 v11, 0
	s_waitcnt vmcnt(0) lgkmcnt(0)
	v_mul_f32_e32 v62, s18, v4
.LBB66_21:
	v_mul_lo_u32 v10, v11, s24
	v_mul_lo_u32 v11, v8, s25
	v_mad_u64_u32 v[4:5], s[6:7], v8, s24, 0
	v_add3_u32 v5, v5, v11, v10
	s_and_b64 vcc, exec, s[4:5]
	v_lshl_add_u64 v[4:5], v[4:5], 2, s[20:21]
	s_cbranch_vccnz .LBB66_24
; %bb.22:
	v_lshl_add_u64 v[10:11], v[2:3], 2, v[4:5]
	flat_load_dword v12, v[10:11]
	flat_load_dword v13, v[10:11] offset:256
	s_waitcnt vmcnt(0) lgkmcnt(0)
	v_pk_mul_f32 v[58:59], s[18:19], v[12:13] op_sel_hi:[0,1]
	s_and_b64 vcc, exec, s[4:5]
	s_cbranch_vccnz .LBB66_25
.LBB66_23:
	v_lshl_add_u64 v[2:3], v[2:3], 2, v[4:5]
	flat_load_dword v4, v[2:3] offset:512
	flat_load_dword v5, v[2:3] offset:768
	s_waitcnt vmcnt(0) lgkmcnt(0)
	v_pk_mul_f32 v[60:61], s[18:19], v[4:5] op_sel_hi:[0,1]
	s_branch .LBB66_26
.LBB66_24:
	v_mov_b32_e32 v58, 0
	v_mov_b32_e32 v59, 0
	s_and_b64 vcc, exec, s[4:5]
	s_cbranch_vccz .LBB66_23
.LBB66_25:
	v_mov_b32_e32 v60, 0
	v_mov_b32_e32 v61, 0
.LBB66_26:
	v_lshlrev_b32_e32 v2, 2, v56
	v_lshl_add_u32 v84, v57, 4, v2
	v_lshlrev_b32_e32 v82, 4, v80
	v_lshlrev_b32_e32 v83, 4, v81
	ds_write_b32 v84, v9 offset:8192
	ds_write2st64_b32 v84, v0, v1 offset1:4
	ds_write2st64_b32 v84, v6, v7 offset0:8 offset1:12
	s_waitcnt lgkmcnt(0)
	s_barrier
	ds_read_b128 v[12:15], v82 offset:8192
	ds_read_b128 v[20:23], v82 offset:8320
	;; [unrolled: 1-line block ×8, first 2 shown]
	ds_read_b128 v[52:55], v83
	ds_read_b128 v[48:51], v83 offset:512
	ds_read_b128 v[44:47], v83 offset:1024
	;; [unrolled: 1-line block ×5, first 2 shown]
	s_waitcnt lgkmcnt(5)
	v_pk_add_f32 v[64:65], v[12:13], v[52:53]
	s_mov_b32 s6, 0x7f7fffff
	v_min3_f32 v63, v64, v65, s6
	v_pk_add_f32 v[64:65], v[20:21], v[52:53]
	s_load_dword s28, s[0:1], 0x8
	v_min3_f32 v66, v64, v65, s6
	v_pk_add_f32 v[64:65], v[24:25], v[52:53]
	s_waitcnt lgkmcnt(0)
	s_cmp_lt_i32 s28, 9
	v_min3_f32 v67, v64, v65, s6
	v_pk_add_f32 v[64:65], v[28:29], v[52:53]
	s_nop 0
	v_min3_f32 v68, v64, v65, s6
	v_pk_add_f32 v[64:65], v[16:17], v[52:53]
	s_nop 0
	v_min3_f32 v69, v64, v65, s6
	v_pk_add_f32 v[64:65], v[8:9], v[52:53]
	s_nop 0
	v_min3_f32 v70, v64, v65, s6
	v_pk_add_f32 v[64:65], v[4:5], v[52:53]
	v_pk_add_f32 v[52:53], v[0:1], v[52:53]
	v_min3_f32 v64, v64, v65, s6
	v_min3_f32 v65, v52, v53, s6
	v_pk_add_f32 v[52:53], v[12:13], v[48:49]
	s_nop 0
	v_min3_f32 v71, v52, v53, s6
	v_pk_add_f32 v[52:53], v[20:21], v[48:49]
	s_nop 0
	v_min3_f32 v72, v52, v53, s6
	v_pk_add_f32 v[52:53], v[24:25], v[48:49]
	s_nop 0
	v_min3_f32 v73, v52, v53, s6
	v_pk_add_f32 v[52:53], v[28:29], v[48:49]
	s_nop 0
	v_min3_f32 v74, v52, v53, s6
	v_pk_add_f32 v[52:53], v[16:17], v[48:49]
	s_nop 0
	v_min3_f32 v75, v52, v53, s6
	v_pk_add_f32 v[52:53], v[8:9], v[48:49]
	s_nop 0
	v_min3_f32 v76, v52, v53, s6
	v_pk_add_f32 v[52:53], v[4:5], v[48:49]
	v_pk_add_f32 v[48:49], v[0:1], v[48:49]
	v_min3_f32 v77, v52, v53, s6
	v_min3_f32 v78, v48, v49, s6
	v_pk_add_f32 v[48:49], v[12:13], v[44:45]
	s_nop 0
	v_min3_f32 v79, v48, v49, s6
	v_pk_add_f32 v[48:49], v[20:21], v[44:45]
	s_nop 0
	v_min3_f32 v89, v48, v49, s6
	v_pk_add_f32 v[48:49], v[24:25], v[44:45]
	s_nop 0
	;; [unrolled: 22-line block ×5, first 2 shown]
	v_min3_f32 v110, v36, v37, s6
	v_pk_add_f32 v[36:37], v[28:29], v[32:33]
	s_nop 0
	v_min3_f32 v111, v36, v37, s6
	v_pk_add_f32 v[36:37], v[16:17], v[32:33]
	s_nop 0
	;; [unrolled: 3-line block ×10, first 2 shown]
	v_min3_f32 v86, v36, v37, v64
	v_pk_add_f32 v[36:37], v[4:5], v[32:33]
	v_pk_add_f32 v[32:33], v[0:1], v[32:33]
	v_min3_f32 v63, v36, v37, s6
	v_min3_f32 v64, v32, v33, s6
	v_pk_add_f32 v[32:33], v[2:3], v[54:55]
	ds_read_b128 v[52:55], v83 offset:3072
	v_min3_f32 v148, v32, v33, v65
	v_pk_add_f32 v[32:33], v[14:15], v[50:51]
	s_nop 0
	v_min3_f32 v149, v32, v33, v71
	v_pk_add_f32 v[32:33], v[22:23], v[50:51]
	s_nop 0
	;; [unrolled: 3-line block ×7, first 2 shown]
	v_min3_f32 v141, v32, v33, v77
	v_pk_add_f32 v[32:33], v[2:3], v[50:51]
	ds_read_b128 v[48:51], v83 offset:3584
	v_min3_f32 v145, v32, v33, v78
	v_pk_add_f32 v[32:33], v[14:15], v[46:47]
	s_waitcnt lgkmcnt(1)
	v_pk_add_f32 v[36:37], v[12:13], v[52:53]
	v_min3_f32 v144, v32, v33, v79
	v_pk_add_f32 v[32:33], v[22:23], v[46:47]
	v_min3_f32 v65, v36, v37, s6
	v_min3_f32 v140, v32, v33, v89
	v_pk_add_f32 v[32:33], v[26:27], v[46:47]
	v_pk_add_f32 v[36:37], v[20:21], v[52:53]
	v_min3_f32 v139, v32, v33, v90
	v_pk_add_f32 v[32:33], v[30:31], v[46:47]
	v_min3_f32 v66, v36, v37, s6
	v_min3_f32 v136, v32, v33, v91
	v_pk_add_f32 v[32:33], v[18:19], v[46:47]
	v_pk_add_f32 v[36:37], v[16:17], v[52:53]
	v_min3_f32 v135, v32, v33, v92
	v_pk_add_f32 v[32:33], v[10:11], v[46:47]
	s_waitcnt lgkmcnt(0)
	v_pk_add_f32 v[12:13], v[12:13], v[48:49]
	v_min3_f32 v134, v32, v33, v93
	v_pk_add_f32 v[32:33], v[6:7], v[46:47]
	v_pk_add_f32 v[16:17], v[16:17], v[48:49]
	v_min3_f32 v133, v32, v33, v94
	v_pk_add_f32 v[32:33], v[24:25], v[52:53]
	v_min3_f32 v16, v16, v17, s6
	v_min3_f32 v67, v32, v33, s6
	v_pk_add_f32 v[32:33], v[28:29], v[52:53]
	ds_write_b32 v84, v62 offset:9216
	ds_write2st64_b32 v84, v58, v59 offset0:16 offset1:20
	ds_write2st64_b32 v84, v60, v61 offset0:24 offset1:28
	v_min3_f32 v68, v32, v33, s6
	v_pk_add_f32 v[32:33], v[2:3], v[46:47]
	v_min3_f32 v46, v36, v37, s6
	v_min3_f32 v132, v32, v33, v95
	v_pk_add_f32 v[32:33], v[14:15], v[42:43]
	v_pk_add_f32 v[36:37], v[8:9], v[52:53]
	v_min3_f32 v131, v32, v33, v96
	v_pk_add_f32 v[32:33], v[22:23], v[42:43]
	v_min3_f32 v36, v36, v37, s6
	v_min3_f32 v130, v32, v33, v97
	v_pk_add_f32 v[32:33], v[26:27], v[42:43]
	v_pk_add_f32 v[8:9], v[8:9], v[48:49]
	v_min3_f32 v129, v32, v33, v98
	v_pk_add_f32 v[32:33], v[30:31], v[42:43]
	v_min3_f32 v17, v8, v9, s6
	v_min3_f32 v128, v32, v33, v99
	v_pk_add_f32 v[32:33], v[18:19], v[42:43]
	v_pk_add_f32 v[8:9], v[14:15], v[54:55]
	v_min3_f32 v127, v32, v33, v100
	v_pk_add_f32 v[32:33], v[10:11], v[42:43]
	s_waitcnt lgkmcnt(0)
	v_min3_f32 v126, v32, v33, v101
	v_pk_add_f32 v[32:33], v[6:7], v[42:43]
	s_barrier
	v_min3_f32 v125, v32, v33, v44
	v_pk_add_f32 v[32:33], v[4:5], v[52:53]
	v_pk_add_f32 v[4:5], v[4:5], v[48:49]
	v_min3_f32 v37, v32, v33, s6
	v_pk_add_f32 v[32:33], v[0:1], v[52:53]
	v_pk_add_f32 v[0:1], v[0:1], v[48:49]
	v_min3_f32 v44, v32, v33, s6
	v_pk_add_f32 v[32:33], v[2:3], v[42:43]
	v_min3_f32 v4, v4, v5, s6
	v_min3_f32 v124, v32, v33, v45
	v_pk_add_f32 v[32:33], v[14:15], v[38:39]
	v_min3_f32 v5, v0, v1, s6
	v_min3_f32 v123, v32, v33, v102
	v_pk_add_f32 v[32:33], v[22:23], v[38:39]
	v_pk_add_f32 v[0:1], v[2:3], v[54:55]
	v_min3_f32 v122, v32, v33, v103
	v_pk_add_f32 v[32:33], v[26:27], v[38:39]
	v_min3_f32 v99, v0, v1, v44
	v_min3_f32 v121, v32, v33, v104
	v_pk_add_f32 v[32:33], v[30:31], v[38:39]
	v_pk_add_f32 v[0:1], v[14:15], v[50:51]
	v_min3_f32 v120, v32, v33, v105
	v_pk_add_f32 v[32:33], v[18:19], v[38:39]
	s_nop 0
	v_min3_f32 v119, v32, v33, v106
	v_pk_add_f32 v[32:33], v[10:11], v[38:39]
	s_nop 0
	;; [unrolled: 3-line block ×3, first 2 shown]
	v_min3_f32 v117, v32, v33, v40
	v_pk_add_f32 v[32:33], v[2:3], v[38:39]
	v_min3_f32 v38, v12, v13, s6
	v_pk_add_f32 v[12:13], v[20:21], v[48:49]
	v_min3_f32 v100, v0, v1, v38
	v_min3_f32 v20, v12, v13, s6
	v_pk_add_f32 v[12:13], v[14:15], v[34:35]
	v_pk_add_f32 v[0:1], v[22:23], v[50:51]
	v_min3_f32 v116, v12, v13, v108
	v_pk_add_f32 v[12:13], v[22:23], v[34:35]
	v_min3_f32 v108, v8, v9, v65
	v_min3_f32 v113, v12, v13, v109
	v_pk_add_f32 v[12:13], v[26:27], v[34:35]
	;; [unrolled: 6-line block ×5, first 2 shown]
	v_min3_f32 v98, v0, v1, v21
	v_min3_f32 v24, v12, v13, s6
	v_pk_add_f32 v[0:1], v[30:31], v[50:51]
	v_pk_add_f32 v[8:9], v[30:31], v[54:55]
	v_min3_f32 v94, v0, v1, v24
	v_pk_add_f32 v[0:1], v[18:19], v[50:51]
	v_min3_f32 v103, v8, v9, v68
	;; [unrolled: 2-line block ×5, first 2 shown]
	v_pk_add_f32 v[0:1], v[6:7], v[50:51]
	v_pk_add_f32 v[12:13], v[2:3], v[34:35]
	v_min3_f32 v101, v8, v9, v36
	v_pk_add_f32 v[8:9], v[6:7], v[54:55]
	v_min3_f32 v93, v0, v1, v4
	v_pk_add_f32 v[0:1], v[2:3], v[50:51]
	v_min3_f32 v115, v32, v33, v41
	v_min3_f32 v107, v12, v13, v64
	v_min3_f32 v102, v8, v9, v37
	;; [unrolled: 1-line block ×3, first 2 shown]
	s_cbranch_scc1 .LBB66_44
; %bb.27:
	v_mov_b32_e32 v0, 0x2400
	v_lshl_add_u32 v153, v80, 4, v0
	v_mov_b32_e32 v0, 0x1000
	v_add_u32_e32 v2, 12, v56
	v_lshl_add_u32 v154, v81, 4, v0
	v_mad_i64_i32 v[0:1], s[6:7], v2, s12, 0
	v_lshlrev_b64 v[64:65], 2, v[0:1]
	v_lshl_or_b32 v0, s2, 6, v57
	s_lshl_b32 s2, s3, 6
	v_subrev_u32_e32 v0, s2, v0
	v_ashrrev_i32_e32 v1, 31, v0
	v_lshl_add_u64 v[66:67], v[0:1], 2, s[22:23]
	v_mad_i64_i32 v[0:1], s[6:7], v2, s24, 0
	v_lshlrev_b64 v[68:69], 2, v[0:1]
	v_add_u32_e32 v0, s27, v57
	v_ashrrev_i32_e32 v1, 31, v0
	v_add_u32_e32 v2, 8, v56
	v_lshl_add_u64 v[70:71], v[0:1], 2, s[20:21]
	v_mad_i64_i32 v[0:1], s[20:21], v2, s24, 0
	s_lshl_b64 s[2:3], s[12:13], 5
	v_lshlrev_b64 v[72:73], 2, v[0:1]
	v_mad_i64_i32 v[0:1], s[12:13], v2, s12, 0
	v_or_b32_e32 v89, 0x2000, v84
	v_add_u32_e32 v90, 0x2000, v82
	v_add_u32_e32 v91, 0x2400, v84
	v_or_b32_e32 v137, 0x1000, v84
	s_add_i32 s28, s28, -8
	s_mov_b32 s19, s18
	s_lshl_b64 s[6:7], s[24:25], 5
	v_lshlrev_b64 v[74:75], 2, v[0:1]
	s_mov_b32 s12, 0
	s_branch .LBB66_30
.LBB66_28:                              ;   in Loop: Header=BB66_30 Depth=1
	flat_load_dword v0, v[78:79] offset:512
	flat_load_dword v1, v[78:79] offset:768
	s_waitcnt vmcnt(0) lgkmcnt(0)
	v_pk_mul_f32 v[36:37], s[18:19], v[0:1]
.LBB66_29:                              ;   in Loop: Header=BB66_30 Depth=1
	ds_read_b128 v[0:3], v90
	ds_read_b128 v[4:7], v90 offset:128
	ds_read_b128 v[8:11], v90 offset:256
	;; [unrolled: 1-line block ×7, first 2 shown]
	ds_read_b128 v[126:129], v83
	ds_read_b128 v[130:133], v83 offset:512
	ds_read_b128 v[156:159], v83 offset:1024
	ds_read_b128 v[160:163], v83 offset:1536
	ds_read_b128 v[164:167], v83 offset:2048
	ds_read_b128 v[168:171], v83 offset:2560
	ds_read_b128 v[172:175], v83 offset:3072
	ds_read_b128 v[32:35], v83 offset:3584
	s_waitcnt lgkmcnt(7)
	v_pk_add_f32 v[78:79], v[0:1], v[126:127]
	s_add_i32 s12, s12, 8
	v_min3_f32 v134, v78, v79, v40
	v_pk_add_f32 v[78:79], v[4:5], v[126:127]
	v_lshl_add_u64 v[66:67], v[66:67], 0, s[2:3]
	v_min3_f32 v78, v78, v79, v41
	v_pk_add_f32 v[40:41], v[8:9], v[126:127]
	s_cmp_ge_i32 s12, s28
	v_min3_f32 v44, v40, v41, v44
	v_pk_add_f32 v[40:41], v[12:13], v[126:127]
	v_lshl_add_u64 v[70:71], v[70:71], 0, s[6:7]
	v_min3_f32 v45, v40, v41, v45
	v_pk_add_f32 v[40:41], v[16:17], v[126:127]
	ds_write_b32 v91, v155
	ds_write2st64_b32 v137, v76, v77 offset1:4
	ds_write2st64_b32 v137, v36, v37 offset0:8 offset1:12
	v_min3_f32 v48, v40, v41, v48
	v_pk_add_f32 v[40:41], v[20:21], v[126:127]
	s_waitcnt lgkmcnt(0)
	v_min3_f32 v49, v40, v41, v49
	v_pk_add_f32 v[40:41], v[24:25], v[126:127]
	s_barrier
	v_min3_f32 v52, v40, v41, v52
	v_pk_add_f32 v[40:41], v[28:29], v[126:127]
	s_nop 0
	v_min3_f32 v53, v40, v41, v53
	v_pk_add_f32 v[40:41], v[0:1], v[130:131]
	s_nop 0
	;; [unrolled: 3-line block ×41, first 2 shown]
	v_min3_f32 v42, v40, v41, v42
	v_pk_add_f32 v[40:41], v[0:1], v[172:173]
	v_pk_add_f32 v[0:1], v[0:1], v[32:33]
	v_min3_f32 v43, v40, v41, v43
	v_min3_f32 v39, v0, v1, v39
	v_pk_add_f32 v[0:1], v[4:5], v[32:33]
	v_pk_add_f32 v[40:41], v[4:5], v[172:173]
	v_min3_f32 v4, v0, v1, v119
	v_pk_add_f32 v[0:1], v[8:9], v[32:33]
	v_min3_f32 v160, v40, v41, v113
	v_min3_f32 v5, v0, v1, v120
	v_pk_add_f32 v[0:1], v[12:13], v[32:33]
	v_pk_add_f32 v[40:41], v[8:9], v[172:173]
	v_min3_f32 v8, v0, v1, v121
	v_pk_add_f32 v[0:1], v[16:17], v[32:33]
	v_min3_f32 v161, v40, v41, v114
	v_min3_f32 v9, v0, v1, v122
	v_pk_add_f32 v[0:1], v[20:21], v[32:33]
	v_pk_add_f32 v[40:41], v[12:13], v[172:173]
	v_min3_f32 v12, v0, v1, v123
	v_pk_add_f32 v[0:1], v[24:25], v[32:33]
	v_min3_f32 v164, v40, v41, v115
	v_min3_f32 v13, v0, v1, v124
	v_pk_add_f32 v[0:1], v[28:29], v[32:33]
	v_pk_add_f32 v[40:41], v[16:17], v[172:173]
	v_min3_f32 v16, v0, v1, v125
	v_pk_add_f32 v[0:1], v[2:3], v[128:129]
	v_min3_f32 v165, v40, v41, v116
	v_min3_f32 v88, v0, v1, v134
	v_pk_add_f32 v[0:1], v[6:7], v[128:129]
	v_pk_add_f32 v[40:41], v[20:21], v[172:173]
	v_min3_f32 v151, v0, v1, v78
	v_pk_add_f32 v[0:1], v[10:11], v[128:129]
	v_min3_f32 v168, v40, v41, v117
	v_min3_f32 v152, v0, v1, v44
	v_pk_add_f32 v[0:1], v[14:15], v[128:129]
	v_pk_add_f32 v[40:41], v[24:25], v[172:173]
	v_min3_f32 v87, v0, v1, v45
	v_pk_add_f32 v[0:1], v[18:19], v[128:129]
	v_min3_f32 v169, v40, v41, v118
	v_min3_f32 v150, v0, v1, v48
	v_pk_add_f32 v[0:1], v[22:23], v[128:129]
	v_pk_add_f32 v[40:41], v[28:29], v[172:173]
	v_min3_f32 v85, v0, v1, v49
	v_pk_add_f32 v[0:1], v[26:27], v[128:129]
	v_min3_f32 v38, v40, v41, v38
	v_min3_f32 v86, v0, v1, v52
	v_pk_add_f32 v[0:1], v[30:31], v[128:129]
	s_nop 0
	v_min3_f32 v148, v0, v1, v53
	v_pk_add_f32 v[0:1], v[2:3], v[132:133]
	s_nop 0
	v_min3_f32 v149, v0, v1, v56
	v_pk_add_f32 v[0:1], v[6:7], v[132:133]
	s_nop 0
	v_min3_f32 v146, v0, v1, v57
	v_pk_add_f32 v[0:1], v[10:11], v[132:133]
	s_nop 0
	v_min3_f32 v147, v0, v1, v60
	v_pk_add_f32 v[0:1], v[14:15], v[132:133]
	s_nop 0
	v_min3_f32 v142, v0, v1, v61
	v_pk_add_f32 v[0:1], v[18:19], v[132:133]
	s_nop 0
	v_min3_f32 v143, v0, v1, v62
	v_pk_add_f32 v[0:1], v[22:23], v[132:133]
	s_nop 0
	v_min3_f32 v138, v0, v1, v63
	v_pk_add_f32 v[0:1], v[26:27], v[132:133]
	s_nop 0
	v_min3_f32 v141, v0, v1, v79
	v_pk_add_f32 v[0:1], v[30:31], v[132:133]
	s_nop 0
	v_min3_f32 v145, v0, v1, v58
	v_pk_add_f32 v[0:1], v[2:3], v[158:159]
	s_nop 0
	v_min3_f32 v144, v0, v1, v59
	v_pk_add_f32 v[0:1], v[6:7], v[158:159]
	s_nop 0
	v_min3_f32 v140, v0, v1, v126
	v_pk_add_f32 v[0:1], v[10:11], v[158:159]
	s_nop 0
	v_min3_f32 v139, v0, v1, v127
	v_pk_add_f32 v[0:1], v[14:15], v[158:159]
	s_nop 0
	v_min3_f32 v136, v0, v1, v130
	v_pk_add_f32 v[0:1], v[18:19], v[158:159]
	s_nop 0
	v_min3_f32 v135, v0, v1, v92
	v_pk_add_f32 v[0:1], v[22:23], v[158:159]
	s_nop 0
	v_min3_f32 v134, v0, v1, v93
	v_pk_add_f32 v[0:1], v[26:27], v[158:159]
	s_nop 0
	v_min3_f32 v133, v0, v1, v94
	v_pk_add_f32 v[0:1], v[30:31], v[158:159]
	s_nop 0
	v_min3_f32 v132, v0, v1, v54
	v_pk_add_f32 v[0:1], v[2:3], v[162:163]
	s_nop 0
	v_min3_f32 v131, v0, v1, v55
	v_pk_add_f32 v[0:1], v[6:7], v[162:163]
	s_nop 0
	v_min3_f32 v130, v0, v1, v95
	v_pk_add_f32 v[0:1], v[10:11], v[162:163]
	s_nop 0
	v_min3_f32 v129, v0, v1, v96
	v_pk_add_f32 v[0:1], v[14:15], v[162:163]
	s_nop 0
	v_min3_f32 v128, v0, v1, v97
	v_pk_add_f32 v[0:1], v[18:19], v[162:163]
	s_nop 0
	v_min3_f32 v127, v0, v1, v98
	v_pk_add_f32 v[0:1], v[22:23], v[162:163]
	s_nop 0
	v_min3_f32 v126, v0, v1, v99
	v_pk_add_f32 v[0:1], v[26:27], v[162:163]
	s_nop 0
	v_min3_f32 v125, v0, v1, v100
	v_pk_add_f32 v[0:1], v[30:31], v[162:163]
	s_nop 0
	v_min3_f32 v124, v0, v1, v50
	v_pk_add_f32 v[0:1], v[2:3], v[166:167]
	s_nop 0
	v_min3_f32 v123, v0, v1, v51
	v_pk_add_f32 v[0:1], v[6:7], v[166:167]
	s_nop 0
	v_min3_f32 v122, v0, v1, v101
	v_pk_add_f32 v[0:1], v[10:11], v[166:167]
	s_nop 0
	v_min3_f32 v121, v0, v1, v102
	v_pk_add_f32 v[0:1], v[14:15], v[166:167]
	s_nop 0
	v_min3_f32 v120, v0, v1, v103
	v_pk_add_f32 v[0:1], v[18:19], v[166:167]
	s_nop 0
	v_min3_f32 v119, v0, v1, v104
	v_pk_add_f32 v[0:1], v[22:23], v[166:167]
	s_nop 0
	v_min3_f32 v118, v0, v1, v105
	v_pk_add_f32 v[0:1], v[26:27], v[166:167]
	s_nop 0
	v_min3_f32 v117, v0, v1, v106
	v_pk_add_f32 v[0:1], v[30:31], v[166:167]
	s_nop 0
	v_min3_f32 v115, v0, v1, v46
	v_pk_add_f32 v[0:1], v[2:3], v[170:171]
	s_nop 0
	v_min3_f32 v116, v0, v1, v47
	v_pk_add_f32 v[0:1], v[6:7], v[170:171]
	s_nop 0
	v_min3_f32 v113, v0, v1, v107
	v_pk_add_f32 v[0:1], v[10:11], v[170:171]
	s_nop 0
	v_min3_f32 v114, v0, v1, v108
	v_pk_add_f32 v[0:1], v[14:15], v[170:171]
	s_nop 0
	v_min3_f32 v111, v0, v1, v109
	v_pk_add_f32 v[0:1], v[18:19], v[170:171]
	s_nop 0
	v_min3_f32 v112, v0, v1, v110
	v_pk_add_f32 v[0:1], v[22:23], v[170:171]
	s_nop 0
	v_min3_f32 v109, v0, v1, v156
	v_pk_add_f32 v[0:1], v[26:27], v[170:171]
	s_nop 0
	v_min3_f32 v110, v0, v1, v157
	v_pk_add_f32 v[0:1], v[30:31], v[170:171]
	s_nop 0
	v_min3_f32 v107, v0, v1, v42
	v_pk_add_f32 v[0:1], v[2:3], v[174:175]
	s_nop 0
	v_min3_f32 v108, v0, v1, v43
	v_pk_add_f32 v[0:1], v[6:7], v[174:175]
	s_nop 0
	v_min3_f32 v105, v0, v1, v160
	v_pk_add_f32 v[0:1], v[10:11], v[174:175]
	s_nop 0
	v_min3_f32 v106, v0, v1, v161
	v_pk_add_f32 v[0:1], v[14:15], v[174:175]
	s_nop 0
	v_min3_f32 v103, v0, v1, v164
	v_pk_add_f32 v[0:1], v[18:19], v[174:175]
	s_nop 0
	v_min3_f32 v104, v0, v1, v165
	v_pk_add_f32 v[0:1], v[22:23], v[174:175]
	s_nop 0
	v_min3_f32 v101, v0, v1, v168
	v_pk_add_f32 v[0:1], v[26:27], v[174:175]
	s_nop 0
	v_min3_f32 v102, v0, v1, v169
	v_pk_add_f32 v[0:1], v[30:31], v[174:175]
	s_nop 0
	v_min3_f32 v99, v0, v1, v38
	v_pk_add_f32 v[0:1], v[2:3], v[34:35]
	s_nop 0
	v_min3_f32 v100, v0, v1, v39
	v_pk_add_f32 v[0:1], v[6:7], v[34:35]
	s_nop 0
	v_min3_f32 v97, v0, v1, v4
	v_pk_add_f32 v[0:1], v[10:11], v[34:35]
	s_nop 0
	v_min3_f32 v98, v0, v1, v5
	v_pk_add_f32 v[0:1], v[14:15], v[34:35]
	s_nop 0
	v_min3_f32 v94, v0, v1, v8
	v_pk_add_f32 v[0:1], v[18:19], v[34:35]
	s_nop 0
	v_min3_f32 v95, v0, v1, v9
	v_pk_add_f32 v[0:1], v[22:23], v[34:35]
	s_nop 0
	v_min3_f32 v92, v0, v1, v12
	v_pk_add_f32 v[0:1], v[26:27], v[34:35]
	s_nop 0
	v_min3_f32 v93, v0, v1, v13
	v_pk_add_f32 v[0:1], v[30:31], v[34:35]
	s_nop 0
	v_min3_f32 v96, v0, v1, v16
	s_cbranch_scc1 .LBB66_44
.LBB66_30:                              ; =>This Inner Loop Header: Depth=1
	s_and_b64 vcc, exec, s[4:5]
	s_cbranch_vccnz .LBB66_34
; %bb.31:                               ;   in Loop: Header=BB66_30 Depth=1
	v_lshl_add_u64 v[0:1], v[66:67], 0, v[74:75]
	flat_load_dword v0, v[0:1]
	s_waitcnt vmcnt(0) lgkmcnt(0)
	v_mul_f32_e32 v155, s18, v0
	s_and_b64 vcc, exec, s[4:5]
	v_lshl_add_u64 v[0:1], v[70:71], 0, v[72:73]
	s_cbranch_vccnz .LBB66_35
.LBB66_32:                              ;   in Loop: Header=BB66_30 Depth=1
	flat_load_dword v2, v[0:1]
	flat_load_dword v3, v[0:1] offset:256
	s_waitcnt vmcnt(0) lgkmcnt(0)
	v_pk_mul_f32 v[76:77], s[18:19], v[2:3]
	s_and_b64 vcc, exec, s[4:5]
	s_cbranch_vccnz .LBB66_36
.LBB66_33:                              ;   in Loop: Header=BB66_30 Depth=1
	flat_load_dword v2, v[0:1] offset:512
	flat_load_dword v3, v[0:1] offset:768
	s_waitcnt vmcnt(0) lgkmcnt(0)
	v_pk_mul_f32 v[78:79], s[18:19], v[2:3]
	s_branch .LBB66_37
.LBB66_34:                              ;   in Loop: Header=BB66_30 Depth=1
	v_mov_b32_e32 v155, 0
	s_and_b64 vcc, exec, s[4:5]
	v_lshl_add_u64 v[0:1], v[70:71], 0, v[72:73]
	s_cbranch_vccz .LBB66_32
.LBB66_35:                              ;   in Loop: Header=BB66_30 Depth=1
	v_mov_b32_e32 v76, 0
	v_mov_b32_e32 v77, 0
	s_and_b64 vcc, exec, s[4:5]
	s_cbranch_vccz .LBB66_33
.LBB66_36:                              ;   in Loop: Header=BB66_30 Depth=1
	v_mov_b32_e32 v78, 0
	v_mov_b32_e32 v79, 0
.LBB66_37:                              ;   in Loop: Header=BB66_30 Depth=1
	ds_read_b128 v[28:31], v153
	ds_read_b128 v[24:27], v153 offset:128
	ds_read_b128 v[20:23], v153 offset:256
	;; [unrolled: 1-line block ×7, first 2 shown]
	ds_read_b128 v[60:63], v154
	ds_read_b128 v[56:59], v154 offset:512
	ds_read_b128 v[52:55], v154 offset:1024
	;; [unrolled: 1-line block ×7, first 2 shown]
	s_and_b64 vcc, exec, s[4:5]
	ds_write_b32 v89, v155
	ds_write2st64_b32 v84, v76, v77 offset1:4
	ds_write2st64_b32 v84, v78, v79 offset0:8 offset1:12
	s_waitcnt lgkmcnt(0)
	s_barrier
	s_cbranch_vccnz .LBB66_40
; %bb.38:                               ;   in Loop: Header=BB66_30 Depth=1
	v_lshl_add_u64 v[76:77], v[66:67], 0, v[64:65]
	flat_load_dword v76, v[76:77]
	s_waitcnt vmcnt(0) lgkmcnt(0)
	v_mul_f32_e32 v155, s18, v76
	s_and_b64 vcc, exec, s[4:5]
	v_lshl_add_u64 v[78:79], v[70:71], 0, v[68:69]
	s_cbranch_vccnz .LBB66_41
.LBB66_39:                              ;   in Loop: Header=BB66_30 Depth=1
	flat_load_dword v76, v[78:79]
	flat_load_dword v77, v[78:79] offset:256
	s_waitcnt vmcnt(0) lgkmcnt(0)
	v_pk_mul_f32 v[76:77], s[18:19], v[76:77]
	s_branch .LBB66_42
.LBB66_40:                              ;   in Loop: Header=BB66_30 Depth=1
	v_mov_b32_e32 v155, 0
	s_and_b64 vcc, exec, s[4:5]
	v_lshl_add_u64 v[78:79], v[70:71], 0, v[68:69]
	s_cbranch_vccz .LBB66_39
.LBB66_41:                              ;   in Loop: Header=BB66_30 Depth=1
	v_mov_b32_e32 v76, 0
	v_mov_b32_e32 v77, 0
.LBB66_42:                              ;   in Loop: Header=BB66_30 Depth=1
	v_pk_add_f32 v[156:157], v[28:29], v[60:61]
	s_and_b64 vcc, exec, s[4:5]
	v_min3_f32 v88, v156, v157, v88
	v_pk_add_f32 v[156:157], v[24:25], v[60:61]
	s_nop 0
	v_min3_f32 v158, v156, v157, v151
	v_pk_add_f32 v[156:157], v[20:21], v[60:61]
	s_nop 0
	v_min3_f32 v152, v156, v157, v152
	v_pk_add_f32 v[156:157], v[16:17], v[60:61]
	s_nop 0
	v_min3_f32 v87, v156, v157, v87
	v_pk_add_f32 v[156:157], v[12:13], v[60:61]
	s_nop 0
	v_min3_f32 v156, v156, v157, v150
	v_pk_add_f32 v[150:151], v[8:9], v[60:61]
	s_nop 0
	v_min3_f32 v85, v150, v151, v85
	v_pk_add_f32 v[150:151], v[4:5], v[60:61]
	v_pk_add_f32 v[60:61], v[0:1], v[60:61]
	v_min3_f32 v86, v150, v151, v86
	v_min3_f32 v148, v60, v61, v148
	v_pk_add_f32 v[60:61], v[28:29], v[56:57]
	s_nop 0
	v_min3_f32 v149, v60, v61, v149
	v_pk_add_f32 v[60:61], v[24:25], v[56:57]
	s_nop 0
	v_min3_f32 v146, v60, v61, v146
	v_pk_add_f32 v[60:61], v[20:21], v[56:57]
	s_nop 0
	v_min3_f32 v147, v60, v61, v147
	v_pk_add_f32 v[60:61], v[16:17], v[56:57]
	s_nop 0
	v_min3_f32 v142, v60, v61, v142
	v_pk_add_f32 v[60:61], v[12:13], v[56:57]
	s_nop 0
	v_min3_f32 v143, v60, v61, v143
	v_pk_add_f32 v[60:61], v[8:9], v[56:57]
	s_nop 0
	v_min3_f32 v138, v60, v61, v138
	v_pk_add_f32 v[60:61], v[4:5], v[56:57]
	v_pk_add_f32 v[56:57], v[0:1], v[56:57]
	v_min3_f32 v141, v60, v61, v141
	v_min3_f32 v145, v56, v57, v145
	v_pk_add_f32 v[56:57], v[28:29], v[52:53]
	s_nop 0
	;; [unrolled: 22-line block ×5, first 2 shown]
	v_min3_f32 v116, v44, v45, v116
	v_pk_add_f32 v[44:45], v[24:25], v[40:41]
	s_nop 0
	v_min3_f32 v113, v44, v45, v113
	v_pk_add_f32 v[44:45], v[20:21], v[40:41]
	s_nop 0
	;; [unrolled: 3-line block ×5, first 2 shown]
	v_min3_f32 v150, v44, v45, v109
	v_pk_add_f32 v[44:45], v[4:5], v[40:41]
	v_pk_add_f32 v[40:41], v[0:1], v[40:41]
	v_min3_f32 v151, v44, v45, v110
	v_min3_f32 v157, v40, v41, v107
	v_pk_add_f32 v[40:41], v[28:29], v[36:37]
	v_pk_add_f32 v[28:29], v[28:29], v[32:33]
	v_min3_f32 v159, v40, v41, v108
	v_pk_add_f32 v[40:41], v[24:25], v[36:37]
	v_pk_add_f32 v[24:25], v[24:25], v[32:33]
	v_min3_f32 v160, v40, v41, v105
	v_pk_add_f32 v[40:41], v[20:21], v[36:37]
	v_min3_f32 v24, v24, v25, v97
	v_min3_f32 v161, v40, v41, v106
	v_pk_add_f32 v[40:41], v[16:17], v[36:37]
	v_pk_add_f32 v[16:17], v[16:17], v[32:33]
	v_min3_f32 v162, v40, v41, v103
	v_pk_add_f32 v[40:41], v[12:13], v[36:37]
	v_min3_f32 v16, v16, v17, v94
	v_min3_f32 v163, v40, v41, v104
	v_pk_add_f32 v[40:41], v[8:9], v[36:37]
	v_pk_add_f32 v[8:9], v[8:9], v[32:33]
	v_min3_f32 v164, v40, v41, v101
	v_pk_add_f32 v[40:41], v[4:5], v[36:37]
	v_pk_add_f32 v[36:37], v[0:1], v[36:37]
	;; [unrolled: 1-line block ×4, first 2 shown]
	v_min3_f32 v4, v4, v5, v93
	v_min3_f32 v5, v0, v1, v96
	v_pk_add_f32 v[0:1], v[30:31], v[62:63]
	v_min3_f32 v165, v40, v41, v102
	v_min3_f32 v40, v0, v1, v88
	v_pk_add_f32 v[0:1], v[26:27], v[62:63]
	;; [unrolled: 3-line block ×3, first 2 shown]
	v_pk_add_f32 v[12:13], v[12:13], v[32:33]
	v_min3_f32 v44, v0, v1, v152
	v_pk_add_f32 v[0:1], v[18:19], v[62:63]
	v_min3_f32 v12, v12, v13, v95
	v_min3_f32 v45, v0, v1, v87
	v_pk_add_f32 v[0:1], v[14:15], v[62:63]
	v_pk_add_f32 v[20:21], v[20:21], v[32:33]
	v_min3_f32 v48, v0, v1, v156
	v_pk_add_f32 v[0:1], v[10:11], v[62:63]
	v_min3_f32 v20, v20, v21, v98
	v_min3_f32 v49, v0, v1, v85
	v_pk_add_f32 v[0:1], v[6:7], v[62:63]
	v_min3_f32 v36, v36, v37, v99
	v_min3_f32 v52, v0, v1, v86
	v_pk_add_f32 v[0:1], v[2:3], v[62:63]
	v_min3_f32 v28, v28, v29, v100
	v_min3_f32 v53, v0, v1, v148
	v_pk_add_f32 v[0:1], v[30:31], v[58:59]
	s_nop 0
	v_min3_f32 v56, v0, v1, v149
	v_pk_add_f32 v[0:1], v[26:27], v[58:59]
	s_nop 0
	;; [unrolled: 3-line block ×56, first 2 shown]
	v_min3_f32 v125, v0, v1, v5
	s_cbranch_vccz .LBB66_28
; %bb.43:                               ;   in Loop: Header=BB66_30 Depth=1
	v_mov_b32_e32 v36, 0
	v_mov_b32_e32 v37, 0
	s_branch .LBB66_29
.LBB66_44:
	s_load_dwordx2 s[2:3], s[0:1], 0x78
	s_load_dword s4, s[0:1], 0x58
	s_load_dword s5, s[0:1], 0x70
	ds_read_b128 v[32:35], v82 offset:9216
	ds_read_b128 v[60:63], v83 offset:4096
	s_waitcnt lgkmcnt(0)
	s_mul_i32 s0, s16, s3
	s_mul_hi_u32 s1, s16, s2
	s_add_i32 s1, s1, s0
	s_mul_i32 s0, s16, s2
	s_lshl_b64 s[0:1], s[0:1], 2
	v_pk_add_f32 v[0:1], v[32:33], v[60:61]
	s_add_u32 s0, s14, s0
	v_min3_f32 v2, v0, v1, v88
	v_pk_add_f32 v[0:1], v[34:35], v[62:63]
	v_add_u32_e32 v68, s26, v80
	v_add_u32_e32 v137, s27, v81
	s_addc_u32 s1, s15, s1
	v_min3_f32 v2, v0, v1, v2
	v_add_u32_e32 v64, 8, v68
	v_mad_i64_i32 v[0:1], s[2:3], v137, s5, 0
	v_ashrrev_i32_e32 v69, 31, v68
	v_ashrrev_i32_e32 v65, 31, v64
	v_lshl_add_u64 v[88:89], v[0:1], 2, s[0:1]
	v_mad_i64_i32 v[0:1], s[2:3], v137, s4, 0
	v_max_f32_e32 v2, v2, v2
	s_mov_b64 vcc, s[8:9]
	s_cbranch_vccz .LBB66_46
; %bb.45:
	v_min_f32_e32 v3, 0, v2
	v_lshl_add_u64 v[4:5], v[68:69], 2, v[88:89]
	s_mov_b32 s6, 0
	global_store_dword v[4:5], v3, off
	s_mov_b64 s[2:3], 0
	s_branch .LBB66_47
.LBB66_46:
	s_mov_b64 s[2:3], -1
                                        ; implicit-def: $sgpr6
.LBB66_47:
	ds_read_b128 v[28:31], v82 offset:9344
	ds_read_b128 v[24:27], v82 offset:9472
	v_lshl_add_u64 v[90:91], v[0:1], 2, s[10:11]
	s_andn2_b64 vcc, exec, s[2:3]
	v_lshlrev_b64 v[72:73], 2, v[68:69]
	s_cbranch_vccnz .LBB66_49
; %bb.48:
	v_lshl_add_u64 v[0:1], v[90:91], 0, v[72:73]
	flat_load_dword v3, v[0:1]
	v_lshl_add_u64 v[0:1], v[88:89], 0, v[72:73]
	s_waitcnt vmcnt(0) lgkmcnt(0)
	v_mul_f32_e32 v3, s17, v3
	v_min_f32_e32 v2, v3, v2
	global_store_dword v[0:1], v2, off
	v_lshl_add_u64 v[0:1], v[64:65], 2, v[90:91]
	flat_load_dword v0, v[0:1]
	s_waitcnt vmcnt(0) lgkmcnt(0)
	v_mul_f32_e32 v70, s17, v0
	s_branch .LBB66_50
.LBB66_49:
	v_mov_b32_e32 v70, s6
.LBB66_50:
	ds_read_b128 v[16:19], v82 offset:9728
	ds_read_b128 v[12:15], v82 offset:9856
	;; [unrolled: 1-line block ×12, first 2 shown]
	s_waitcnt lgkmcnt(13)
	v_pk_add_f32 v[66:67], v[28:29], v[60:61]
	s_mov_b64 vcc, s[8:9]
	v_min3_f32 v71, v66, v67, v151
	s_waitcnt lgkmcnt(12)
	v_pk_add_f32 v[66:67], v[24:25], v[60:61]
	s_nop 0
	v_min3_f32 v74, v66, v67, v152
	v_pk_add_f32 v[66:67], v[30:31], v[62:63]
	s_nop 0
	v_min_f32_e32 v76, v66, v67
	v_pk_add_f32 v[66:67], v[26:27], v[62:63]
	v_min3_f32 v76, v70, v76, v71
	v_min3_f32 v77, v66, v67, v74
	v_add_u32_e32 v74, 16, v68
	v_add_u32_e32 v66, 24, v68
	v_lshl_add_u64 v[70:71], v[64:65], 2, v[88:89]
	v_ashrrev_i32_e32 v75, 31, v74
	v_ashrrev_i32_e32 v67, 31, v66
	global_store_dword v[70:71], v76, off
	v_max_f32_e32 v70, v77, v77
	s_cbranch_vccz .LBB66_53
; %bb.51:
	v_min_f32_e32 v71, 0, v70
	v_lshl_add_u64 v[76:77], v[74:75], 2, v[88:89]
	s_mov_b32 s6, 0
	global_store_dword v[76:77], v71, off
	v_lshlrev_b64 v[78:79], 2, v[74:75]
	s_cbranch_execz .LBB66_54
; %bb.52:
	v_mov_b32_e32 v76, s6
	s_branch .LBB66_55
.LBB66_53:
                                        ; implicit-def: $sgpr6
	v_lshlrev_b64 v[78:79], 2, v[74:75]
.LBB66_54:
	v_lshl_add_u64 v[76:77], v[90:91], 0, v[78:79]
	flat_load_dword v71, v[76:77]
	v_lshl_add_u64 v[76:77], v[88:89], 0, v[78:79]
	s_waitcnt vmcnt(0) lgkmcnt(0)
	v_mul_f32_e32 v71, s17, v71
	v_min_f32_e32 v70, v71, v70
	global_store_dword v[76:77], v70, off
	v_lshl_add_u64 v[70:71], v[66:67], 2, v[90:91]
	flat_load_dword v70, v[70:71]
	s_waitcnt vmcnt(0) lgkmcnt(0)
	v_mul_f32_e32 v76, s17, v70
.LBB66_55:
	s_waitcnt lgkmcnt(1)
	v_pk_add_f32 v[70:71], v[20:21], v[60:61]
	s_mov_b64 vcc, s[8:9]
	v_min3_f32 v77, v70, v71, v87
	v_pk_add_f32 v[70:71], v[16:17], v[60:61]
	s_nop 0
	v_min3_f32 v80, v70, v71, v150
	v_pk_add_f32 v[70:71], v[22:23], v[62:63]
	s_nop 0
	v_min_f32_e32 v82, v70, v71
	v_pk_add_f32 v[70:71], v[18:19], v[62:63]
	v_min3_f32 v82, v76, v82, v77
	v_min3_f32 v83, v70, v71, v80
	v_add_u32_e32 v80, 32, v68
	v_add_u32_e32 v70, 40, v68
	v_lshl_add_u64 v[76:77], v[66:67], 2, v[88:89]
	v_ashrrev_i32_e32 v81, 31, v80
	v_ashrrev_i32_e32 v71, 31, v70
	global_store_dword v[76:77], v82, off
	v_max_f32_e32 v76, v83, v83
	s_cbranch_vccz .LBB66_58
; %bb.56:
	v_min_f32_e32 v77, 0, v76
	v_lshl_add_u64 v[82:83], v[80:81], 2, v[88:89]
	s_mov_b32 s6, 0
	global_store_dword v[82:83], v77, off
	v_lshlrev_b64 v[82:83], 2, v[80:81]
	s_cbranch_execz .LBB66_59
; %bb.57:
	v_mov_b32_e32 v87, s6
	s_branch .LBB66_60
.LBB66_58:
                                        ; implicit-def: $sgpr6
	v_lshlrev_b64 v[82:83], 2, v[80:81]
.LBB66_59:
	v_lshl_add_u64 v[150:151], v[90:91], 0, v[82:83]
	flat_load_dword v77, v[150:151]
	v_lshl_add_u64 v[150:151], v[88:89], 0, v[82:83]
	s_waitcnt vmcnt(0) lgkmcnt(0)
	v_mul_f32_e32 v77, s17, v77
	v_min_f32_e32 v76, v77, v76
	global_store_dword v[150:151], v76, off
	v_lshl_add_u64 v[76:77], v[70:71], 2, v[90:91]
	flat_load_dword v76, v[76:77]
	s_waitcnt vmcnt(0) lgkmcnt(0)
	v_mul_f32_e32 v87, s17, v76
.LBB66_60:
	v_pk_add_f32 v[76:77], v[12:13], v[60:61]
	s_mov_b64 vcc, s[8:9]
	v_min3_f32 v150, v76, v77, v85
	v_pk_add_f32 v[76:77], v[8:9], v[60:61]
	s_nop 0
	v_min3_f32 v84, v76, v77, v86
	v_pk_add_f32 v[76:77], v[14:15], v[62:63]
	s_nop 0
	v_min_f32_e32 v86, v76, v77
	v_pk_add_f32 v[76:77], v[10:11], v[62:63]
	v_min3_f32 v150, v87, v86, v150
	v_min3_f32 v151, v76, v77, v84
	v_add_u32_e32 v84, 48, v68
	v_add_u32_e32 v76, 56, v68
	v_lshl_add_u64 v[86:87], v[70:71], 2, v[88:89]
	v_ashrrev_i32_e32 v85, 31, v84
	v_ashrrev_i32_e32 v77, 31, v76
	global_store_dword v[86:87], v150, off
	v_max_f32_e32 v150, v151, v151
	s_cbranch_vccz .LBB66_63
; %bb.61:
	v_min_f32_e32 v151, 0, v150
	v_lshl_add_u64 v[86:87], v[84:85], 2, v[88:89]
	s_mov_b32 s6, 0
	global_store_dword v[86:87], v151, off
	v_lshlrev_b64 v[86:87], 2, v[84:85]
	s_cbranch_execz .LBB66_64
; %bb.62:
	v_mov_b32_e32 v90, s6
	s_branch .LBB66_65
.LBB66_63:
                                        ; implicit-def: $sgpr6
	v_lshlrev_b64 v[86:87], 2, v[84:85]
.LBB66_64:
	v_lshl_add_u64 v[152:153], v[90:91], 0, v[86:87]
	flat_load_dword v151, v[152:153]
	v_lshl_add_u64 v[152:153], v[88:89], 0, v[86:87]
	v_lshl_add_u64 v[90:91], v[76:77], 2, v[90:91]
	s_waitcnt vmcnt(0) lgkmcnt(0)
	v_mul_f32_e32 v151, s17, v151
	v_min_f32_e32 v150, v151, v150
	global_store_dword v[152:153], v150, off
	flat_load_dword v90, v[90:91]
	s_waitcnt vmcnt(0) lgkmcnt(0)
	v_mul_f32_e32 v90, s17, v90
.LBB66_65:
	v_pk_add_f32 v[60:61], v[0:1], v[60:61]
	s_mov_b64 vcc, s[8:9]
	v_min3_f32 v91, v60, v61, v148
	v_pk_add_f32 v[60:61], v[32:33], v[56:57]
	s_nop 0
	v_min3_f32 v148, v60, v61, v149
	v_pk_add_f32 v[60:61], v[2:3], v[62:63]
	s_nop 0
	v_min_f32_e32 v62, v60, v61
	v_pk_add_f32 v[60:61], v[34:35], v[58:59]
	v_min3_f32 v62, v90, v62, v91
	v_min3_f32 v148, v60, v61, v148
	v_lshl_add_u64 v[60:61], v[76:77], 2, v[88:89]
	global_store_dword v[60:61], v62, off
	v_add_u32_e32 v62, 32, v137
	v_mad_i64_i32 v[60:61], s[2:3], v62, s5, 0
	v_lshl_add_u64 v[60:61], v[60:61], 2, s[0:1]
	v_mad_i64_i32 v[62:63], s[2:3], v62, s4, 0
	v_max_f32_e32 v88, v148, v148
	s_cbranch_vccz .LBB66_68
; %bb.66:
	v_min_f32_e32 v89, 0, v88
	v_lshl_add_u64 v[90:91], v[68:69], 2, v[60:61]
	s_mov_b32 s6, 0
	global_store_dword v[90:91], v89, off
	v_lshl_add_u64 v[62:63], v[62:63], 2, s[10:11]
	s_cbranch_execz .LBB66_69
; %bb.67:
	v_mov_b32_e32 v88, s6
	s_branch .LBB66_70
.LBB66_68:
                                        ; implicit-def: $sgpr6
	v_lshl_add_u64 v[62:63], v[62:63], 2, s[10:11]
.LBB66_69:
	v_lshl_add_u64 v[90:91], v[62:63], 0, v[72:73]
	flat_load_dword v89, v[90:91]
	v_lshl_add_u64 v[90:91], v[60:61], 0, v[72:73]
	s_waitcnt vmcnt(0) lgkmcnt(0)
	v_mul_f32_e32 v89, s17, v89
	v_min_f32_e32 v88, v89, v88
	global_store_dword v[90:91], v88, off
	v_lshl_add_u64 v[88:89], v[64:65], 2, v[62:63]
	flat_load_dword v88, v[88:89]
	s_waitcnt vmcnt(0) lgkmcnt(0)
	v_mul_f32_e32 v88, s17, v88
.LBB66_70:
	v_pk_add_f32 v[90:91], v[28:29], v[56:57]
	s_mov_b64 vcc, s[8:9]
	v_min3_f32 v89, v90, v91, v146
	v_pk_add_f32 v[90:91], v[24:25], v[56:57]
	s_nop 0
	v_min3_f32 v146, v90, v91, v147
	v_pk_add_f32 v[90:91], v[30:31], v[58:59]
	s_nop 0
	v_min_f32_e32 v147, v90, v91
	v_pk_add_f32 v[90:91], v[26:27], v[58:59]
	s_nop 0
	v_min3_f32 v90, v90, v91, v146
	v_min3_f32 v91, v88, v147, v89
	v_lshl_add_u64 v[88:89], v[64:65], 2, v[60:61]
	global_store_dword v[88:89], v91, off
	v_max_f32_e32 v88, v90, v90
	s_cbranch_vccz .LBB66_73
; %bb.71:
	v_min_f32_e32 v89, 0, v88
	v_lshl_add_u64 v[90:91], v[74:75], 2, v[60:61]
	s_mov_b32 s6, 0
	global_store_dword v[90:91], v89, off
	s_cbranch_execz .LBB66_74
; %bb.72:
	v_mov_b32_e32 v88, s6
	s_branch .LBB66_75
.LBB66_73:
                                        ; implicit-def: $sgpr6
.LBB66_74:
	v_lshl_add_u64 v[90:91], v[62:63], 0, v[78:79]
	flat_load_dword v89, v[90:91]
	v_lshl_add_u64 v[90:91], v[60:61], 0, v[78:79]
	s_waitcnt vmcnt(0) lgkmcnt(0)
	v_mul_f32_e32 v89, s17, v89
	v_min_f32_e32 v88, v89, v88
	global_store_dword v[90:91], v88, off
	v_lshl_add_u64 v[88:89], v[66:67], 2, v[62:63]
	flat_load_dword v88, v[88:89]
	s_waitcnt vmcnt(0) lgkmcnt(0)
	v_mul_f32_e32 v88, s17, v88
.LBB66_75:
	v_pk_add_f32 v[90:91], v[20:21], v[56:57]
	s_mov_b64 vcc, s[8:9]
	v_min3_f32 v89, v90, v91, v142
	v_pk_add_f32 v[90:91], v[16:17], v[56:57]
	s_nop 0
	v_min3_f32 v142, v90, v91, v143
	v_pk_add_f32 v[90:91], v[22:23], v[58:59]
	s_nop 0
	v_min_f32_e32 v143, v90, v91
	v_pk_add_f32 v[90:91], v[18:19], v[58:59]
	s_nop 0
	v_min3_f32 v90, v90, v91, v142
	v_min3_f32 v91, v88, v143, v89
	v_lshl_add_u64 v[88:89], v[66:67], 2, v[60:61]
	global_store_dword v[88:89], v91, off
	v_max_f32_e32 v88, v90, v90
	s_cbranch_vccz .LBB66_78
; %bb.76:
	v_min_f32_e32 v89, 0, v88
	v_lshl_add_u64 v[90:91], v[80:81], 2, v[60:61]
	s_mov_b32 s6, 0
	global_store_dword v[90:91], v89, off
	s_cbranch_execz .LBB66_79
; %bb.77:
	v_mov_b32_e32 v88, s6
	s_branch .LBB66_80
.LBB66_78:
                                        ; implicit-def: $sgpr6
.LBB66_79:
	v_lshl_add_u64 v[90:91], v[62:63], 0, v[82:83]
	flat_load_dword v89, v[90:91]
	v_lshl_add_u64 v[90:91], v[60:61], 0, v[82:83]
	s_waitcnt vmcnt(0) lgkmcnt(0)
	v_mul_f32_e32 v89, s17, v89
	v_min_f32_e32 v88, v89, v88
	global_store_dword v[90:91], v88, off
	v_lshl_add_u64 v[88:89], v[70:71], 2, v[62:63]
	flat_load_dword v88, v[88:89]
	s_waitcnt vmcnt(0) lgkmcnt(0)
	v_mul_f32_e32 v88, s17, v88
.LBB66_80:
	v_pk_add_f32 v[90:91], v[12:13], v[56:57]
	s_mov_b64 vcc, s[8:9]
	v_min3_f32 v89, v90, v91, v138
	v_pk_add_f32 v[90:91], v[8:9], v[56:57]
	s_nop 0
	v_min3_f32 v138, v90, v91, v141
	v_pk_add_f32 v[90:91], v[14:15], v[58:59]
	s_nop 0
	v_min_f32_e32 v141, v90, v91
	v_pk_add_f32 v[90:91], v[10:11], v[58:59]
	s_nop 0
	v_min3_f32 v90, v90, v91, v138
	v_min3_f32 v91, v88, v141, v89
	v_lshl_add_u64 v[88:89], v[70:71], 2, v[60:61]
	global_store_dword v[88:89], v91, off
	v_max_f32_e32 v88, v90, v90
	s_cbranch_vccz .LBB66_83
; %bb.81:
	v_min_f32_e32 v89, 0, v88
	v_lshl_add_u64 v[90:91], v[84:85], 2, v[60:61]
	s_mov_b32 s6, 0
	global_store_dword v[90:91], v89, off
	s_cbranch_execz .LBB66_84
; %bb.82:
	v_mov_b32_e32 v62, s6
	s_branch .LBB66_85
.LBB66_83:
                                        ; implicit-def: $sgpr6
.LBB66_84:
	v_lshl_add_u64 v[90:91], v[62:63], 0, v[86:87]
	flat_load_dword v89, v[90:91]
	v_lshl_add_u64 v[90:91], v[60:61], 0, v[86:87]
	v_lshl_add_u64 v[62:63], v[76:77], 2, v[62:63]
	s_waitcnt vmcnt(0) lgkmcnt(0)
	v_mul_f32_e32 v89, s17, v89
	v_min_f32_e32 v88, v89, v88
	global_store_dword v[90:91], v88, off
	flat_load_dword v62, v[62:63]
	s_waitcnt vmcnt(0) lgkmcnt(0)
	v_mul_f32_e32 v62, s17, v62
.LBB66_85:
	v_pk_add_f32 v[56:57], v[0:1], v[56:57]
	s_mov_b64 vcc, s[8:9]
	v_min3_f32 v63, v56, v57, v145
	v_pk_add_f32 v[56:57], v[32:33], v[52:53]
	s_nop 0
	v_min3_f32 v88, v56, v57, v144
	v_pk_add_f32 v[56:57], v[2:3], v[58:59]
	s_nop 0
	v_min_f32_e32 v58, v56, v57
	v_pk_add_f32 v[56:57], v[34:35], v[54:55]
	v_min3_f32 v58, v62, v58, v63
	v_min3_f32 v88, v56, v57, v88
	v_lshl_add_u64 v[56:57], v[76:77], 2, v[60:61]
	global_store_dword v[56:57], v58, off
	v_add_u32_e32 v58, 64, v137
	v_mad_i64_i32 v[56:57], s[2:3], v58, s5, 0
	v_lshl_add_u64 v[56:57], v[56:57], 2, s[0:1]
	v_mad_i64_i32 v[58:59], s[2:3], v58, s4, 0
	v_max_f32_e32 v60, v88, v88
	s_cbranch_vccz .LBB66_88
; %bb.86:
	v_min_f32_e32 v61, 0, v60
	v_lshl_add_u64 v[62:63], v[68:69], 2, v[56:57]
	s_mov_b32 s6, 0
	global_store_dword v[62:63], v61, off
	v_lshl_add_u64 v[58:59], v[58:59], 2, s[10:11]
	s_cbranch_execz .LBB66_89
; %bb.87:
	v_mov_b32_e32 v60, s6
	s_branch .LBB66_90
.LBB66_88:
                                        ; implicit-def: $sgpr6
	v_lshl_add_u64 v[58:59], v[58:59], 2, s[10:11]
.LBB66_89:
	v_lshl_add_u64 v[62:63], v[58:59], 0, v[72:73]
	flat_load_dword v61, v[62:63]
	v_lshl_add_u64 v[62:63], v[56:57], 0, v[72:73]
	s_waitcnt vmcnt(0) lgkmcnt(0)
	v_mul_f32_e32 v61, s17, v61
	v_min_f32_e32 v60, v61, v60
	global_store_dword v[62:63], v60, off
	v_lshl_add_u64 v[60:61], v[64:65], 2, v[58:59]
	flat_load_dword v60, v[60:61]
	s_waitcnt vmcnt(0) lgkmcnt(0)
	v_mul_f32_e32 v60, s17, v60
.LBB66_90:
	v_pk_add_f32 v[62:63], v[28:29], v[52:53]
	s_mov_b64 vcc, s[8:9]
	v_min3_f32 v61, v62, v63, v140
	v_pk_add_f32 v[62:63], v[24:25], v[52:53]
	s_nop 0
	v_min3_f32 v88, v62, v63, v139
	v_pk_add_f32 v[62:63], v[30:31], v[54:55]
	s_nop 0
	v_min_f32_e32 v89, v62, v63
	v_pk_add_f32 v[62:63], v[26:27], v[54:55]
	s_nop 0
	v_min3_f32 v62, v62, v63, v88
	v_min3_f32 v63, v60, v89, v61
	v_lshl_add_u64 v[60:61], v[64:65], 2, v[56:57]
	global_store_dword v[60:61], v63, off
	v_max_f32_e32 v60, v62, v62
	s_cbranch_vccz .LBB66_93
; %bb.91:
	v_min_f32_e32 v61, 0, v60
	v_lshl_add_u64 v[62:63], v[74:75], 2, v[56:57]
	s_mov_b32 s6, 0
	global_store_dword v[62:63], v61, off
	s_cbranch_execz .LBB66_94
; %bb.92:
	v_mov_b32_e32 v60, s6
	s_branch .LBB66_95
.LBB66_93:
                                        ; implicit-def: $sgpr6
.LBB66_94:
	v_lshl_add_u64 v[62:63], v[58:59], 0, v[78:79]
	flat_load_dword v61, v[62:63]
	v_lshl_add_u64 v[62:63], v[56:57], 0, v[78:79]
	s_waitcnt vmcnt(0) lgkmcnt(0)
	v_mul_f32_e32 v61, s17, v61
	v_min_f32_e32 v60, v61, v60
	global_store_dword v[62:63], v60, off
	v_lshl_add_u64 v[60:61], v[66:67], 2, v[58:59]
	flat_load_dword v60, v[60:61]
	s_waitcnt vmcnt(0) lgkmcnt(0)
	v_mul_f32_e32 v60, s17, v60
.LBB66_95:
	v_pk_add_f32 v[62:63], v[20:21], v[52:53]
	s_mov_b64 vcc, s[8:9]
	v_min3_f32 v61, v62, v63, v136
	v_pk_add_f32 v[62:63], v[16:17], v[52:53]
	s_nop 0
	v_min3_f32 v88, v62, v63, v135
	v_pk_add_f32 v[62:63], v[22:23], v[54:55]
	s_nop 0
	v_min_f32_e32 v89, v62, v63
	v_pk_add_f32 v[62:63], v[18:19], v[54:55]
	s_nop 0
	v_min3_f32 v62, v62, v63, v88
	v_min3_f32 v63, v60, v89, v61
	v_lshl_add_u64 v[60:61], v[66:67], 2, v[56:57]
	global_store_dword v[60:61], v63, off
	v_max_f32_e32 v60, v62, v62
	s_cbranch_vccz .LBB66_98
; %bb.96:
	v_min_f32_e32 v61, 0, v60
	v_lshl_add_u64 v[62:63], v[80:81], 2, v[56:57]
	s_mov_b32 s6, 0
	global_store_dword v[62:63], v61, off
	s_cbranch_execz .LBB66_99
; %bb.97:
	v_mov_b32_e32 v60, s6
	s_branch .LBB66_100
.LBB66_98:
                                        ; implicit-def: $sgpr6
.LBB66_99:
	v_lshl_add_u64 v[62:63], v[58:59], 0, v[82:83]
	flat_load_dword v61, v[62:63]
	v_lshl_add_u64 v[62:63], v[56:57], 0, v[82:83]
	s_waitcnt vmcnt(0) lgkmcnt(0)
	v_mul_f32_e32 v61, s17, v61
	v_min_f32_e32 v60, v61, v60
	global_store_dword v[62:63], v60, off
	v_lshl_add_u64 v[60:61], v[70:71], 2, v[58:59]
	flat_load_dword v60, v[60:61]
	s_waitcnt vmcnt(0) lgkmcnt(0)
	v_mul_f32_e32 v60, s17, v60
.LBB66_100:
	v_pk_add_f32 v[62:63], v[12:13], v[52:53]
	s_mov_b64 vcc, s[8:9]
	v_min3_f32 v61, v62, v63, v134
	v_pk_add_f32 v[62:63], v[8:9], v[52:53]
	s_nop 0
	v_min3_f32 v88, v62, v63, v133
	v_pk_add_f32 v[62:63], v[14:15], v[54:55]
	s_nop 0
	v_min_f32_e32 v89, v62, v63
	v_pk_add_f32 v[62:63], v[10:11], v[54:55]
	s_nop 0
	v_min3_f32 v62, v62, v63, v88
	v_min3_f32 v63, v60, v89, v61
	v_lshl_add_u64 v[60:61], v[70:71], 2, v[56:57]
	global_store_dword v[60:61], v63, off
	v_max_f32_e32 v60, v62, v62
	s_cbranch_vccz .LBB66_103
; %bb.101:
	v_min_f32_e32 v61, 0, v60
	v_lshl_add_u64 v[62:63], v[84:85], 2, v[56:57]
	s_mov_b32 s6, 0
	global_store_dword v[62:63], v61, off
	s_cbranch_execz .LBB66_104
; %bb.102:
	v_mov_b32_e32 v58, s6
	s_branch .LBB66_105
.LBB66_103:
                                        ; implicit-def: $sgpr6
.LBB66_104:
	v_lshl_add_u64 v[62:63], v[58:59], 0, v[86:87]
	flat_load_dword v61, v[62:63]
	v_lshl_add_u64 v[62:63], v[56:57], 0, v[86:87]
	v_lshl_add_u64 v[58:59], v[76:77], 2, v[58:59]
	s_waitcnt vmcnt(0) lgkmcnt(0)
	v_mul_f32_e32 v61, s17, v61
	v_min_f32_e32 v60, v61, v60
	global_store_dword v[62:63], v60, off
	flat_load_dword v58, v[58:59]
	s_waitcnt vmcnt(0) lgkmcnt(0)
	v_mul_f32_e32 v58, s17, v58
.LBB66_105:
	v_pk_add_f32 v[52:53], v[0:1], v[52:53]
	s_mov_b64 vcc, s[8:9]
	v_min3_f32 v59, v52, v53, v132
	v_pk_add_f32 v[52:53], v[32:33], v[48:49]
	s_nop 0
	v_min3_f32 v60, v52, v53, v131
	v_pk_add_f32 v[52:53], v[2:3], v[54:55]
	s_nop 0
	v_min_f32_e32 v54, v52, v53
	v_pk_add_f32 v[52:53], v[34:35], v[50:51]
	v_min3_f32 v54, v58, v54, v59
	v_min3_f32 v60, v52, v53, v60
	v_lshl_add_u64 v[52:53], v[76:77], 2, v[56:57]
	global_store_dword v[52:53], v54, off
	v_add_u32_e32 v54, 0x60, v137
	v_mad_i64_i32 v[52:53], s[2:3], v54, s5, 0
	v_lshl_add_u64 v[52:53], v[52:53], 2, s[0:1]
	v_mad_i64_i32 v[54:55], s[2:3], v54, s4, 0
	v_max_f32_e32 v56, v60, v60
	s_cbranch_vccz .LBB66_108
; %bb.106:
	v_min_f32_e32 v57, 0, v56
	v_lshl_add_u64 v[58:59], v[68:69], 2, v[52:53]
	s_mov_b32 s6, 0
	global_store_dword v[58:59], v57, off
	v_lshl_add_u64 v[54:55], v[54:55], 2, s[10:11]
	s_cbranch_execz .LBB66_109
; %bb.107:
	v_mov_b32_e32 v56, s6
	s_branch .LBB66_110
.LBB66_108:
                                        ; implicit-def: $sgpr6
	v_lshl_add_u64 v[54:55], v[54:55], 2, s[10:11]
.LBB66_109:
	v_lshl_add_u64 v[58:59], v[54:55], 0, v[72:73]
	flat_load_dword v57, v[58:59]
	v_lshl_add_u64 v[58:59], v[52:53], 0, v[72:73]
	s_waitcnt vmcnt(0) lgkmcnt(0)
	v_mul_f32_e32 v57, s17, v57
	v_min_f32_e32 v56, v57, v56
	global_store_dword v[58:59], v56, off
	v_lshl_add_u64 v[56:57], v[64:65], 2, v[54:55]
	flat_load_dword v56, v[56:57]
	s_waitcnt vmcnt(0) lgkmcnt(0)
	v_mul_f32_e32 v56, s17, v56
.LBB66_110:
	v_pk_add_f32 v[58:59], v[28:29], v[48:49]
	s_mov_b64 vcc, s[8:9]
	v_min3_f32 v57, v58, v59, v130
	v_pk_add_f32 v[58:59], v[24:25], v[48:49]
	s_nop 0
	v_min3_f32 v60, v58, v59, v129
	v_pk_add_f32 v[58:59], v[30:31], v[50:51]
	s_nop 0
	v_min_f32_e32 v61, v58, v59
	v_pk_add_f32 v[58:59], v[26:27], v[50:51]
	s_nop 0
	v_min3_f32 v58, v58, v59, v60
	v_min3_f32 v59, v56, v61, v57
	v_lshl_add_u64 v[56:57], v[64:65], 2, v[52:53]
	global_store_dword v[56:57], v59, off
	v_max_f32_e32 v56, v58, v58
	s_cbranch_vccz .LBB66_113
; %bb.111:
	v_min_f32_e32 v57, 0, v56
	v_lshl_add_u64 v[58:59], v[74:75], 2, v[52:53]
	s_mov_b32 s6, 0
	global_store_dword v[58:59], v57, off
	s_cbranch_execz .LBB66_114
; %bb.112:
	v_mov_b32_e32 v56, s6
	s_branch .LBB66_115
.LBB66_113:
                                        ; implicit-def: $sgpr6
.LBB66_114:
	v_lshl_add_u64 v[58:59], v[54:55], 0, v[78:79]
	flat_load_dword v57, v[58:59]
	v_lshl_add_u64 v[58:59], v[52:53], 0, v[78:79]
	s_waitcnt vmcnt(0) lgkmcnt(0)
	v_mul_f32_e32 v57, s17, v57
	v_min_f32_e32 v56, v57, v56
	global_store_dword v[58:59], v56, off
	v_lshl_add_u64 v[56:57], v[66:67], 2, v[54:55]
	flat_load_dword v56, v[56:57]
	s_waitcnt vmcnt(0) lgkmcnt(0)
	v_mul_f32_e32 v56, s17, v56
.LBB66_115:
	v_pk_add_f32 v[58:59], v[20:21], v[48:49]
	s_mov_b64 vcc, s[8:9]
	v_min3_f32 v57, v58, v59, v128
	v_pk_add_f32 v[58:59], v[16:17], v[48:49]
	s_nop 0
	v_min3_f32 v60, v58, v59, v127
	v_pk_add_f32 v[58:59], v[22:23], v[50:51]
	s_nop 0
	v_min_f32_e32 v61, v58, v59
	v_pk_add_f32 v[58:59], v[18:19], v[50:51]
	s_nop 0
	v_min3_f32 v58, v58, v59, v60
	v_min3_f32 v59, v56, v61, v57
	v_lshl_add_u64 v[56:57], v[66:67], 2, v[52:53]
	global_store_dword v[56:57], v59, off
	v_max_f32_e32 v56, v58, v58
	s_cbranch_vccz .LBB66_118
; %bb.116:
	v_min_f32_e32 v57, 0, v56
	v_lshl_add_u64 v[58:59], v[80:81], 2, v[52:53]
	s_mov_b32 s6, 0
	global_store_dword v[58:59], v57, off
	s_cbranch_execz .LBB66_119
; %bb.117:
	v_mov_b32_e32 v56, s6
	s_branch .LBB66_120
.LBB66_118:
                                        ; implicit-def: $sgpr6
.LBB66_119:
	v_lshl_add_u64 v[58:59], v[54:55], 0, v[82:83]
	flat_load_dword v57, v[58:59]
	v_lshl_add_u64 v[58:59], v[52:53], 0, v[82:83]
	s_waitcnt vmcnt(0) lgkmcnt(0)
	v_mul_f32_e32 v57, s17, v57
	v_min_f32_e32 v56, v57, v56
	global_store_dword v[58:59], v56, off
	v_lshl_add_u64 v[56:57], v[70:71], 2, v[54:55]
	flat_load_dword v56, v[56:57]
	s_waitcnt vmcnt(0) lgkmcnt(0)
	v_mul_f32_e32 v56, s17, v56
.LBB66_120:
	v_pk_add_f32 v[58:59], v[12:13], v[48:49]
	s_mov_b64 vcc, s[8:9]
	v_min3_f32 v57, v58, v59, v126
	v_pk_add_f32 v[58:59], v[8:9], v[48:49]
	s_nop 0
	v_min3_f32 v60, v58, v59, v125
	v_pk_add_f32 v[58:59], v[14:15], v[50:51]
	s_nop 0
	v_min_f32_e32 v61, v58, v59
	v_pk_add_f32 v[58:59], v[10:11], v[50:51]
	s_nop 0
	v_min3_f32 v58, v58, v59, v60
	v_min3_f32 v59, v56, v61, v57
	v_lshl_add_u64 v[56:57], v[70:71], 2, v[52:53]
	global_store_dword v[56:57], v59, off
	v_max_f32_e32 v56, v58, v58
	s_cbranch_vccz .LBB66_123
; %bb.121:
	v_min_f32_e32 v57, 0, v56
	v_lshl_add_u64 v[58:59], v[84:85], 2, v[52:53]
	s_mov_b32 s6, 0
	global_store_dword v[58:59], v57, off
	s_cbranch_execz .LBB66_124
; %bb.122:
	v_mov_b32_e32 v54, s6
	s_branch .LBB66_125
.LBB66_123:
                                        ; implicit-def: $sgpr6
.LBB66_124:
	v_lshl_add_u64 v[58:59], v[54:55], 0, v[86:87]
	flat_load_dword v57, v[58:59]
	v_lshl_add_u64 v[58:59], v[52:53], 0, v[86:87]
	v_lshl_add_u64 v[54:55], v[76:77], 2, v[54:55]
	s_waitcnt vmcnt(0) lgkmcnt(0)
	v_mul_f32_e32 v57, s17, v57
	v_min_f32_e32 v56, v57, v56
	global_store_dword v[58:59], v56, off
	flat_load_dword v54, v[54:55]
	s_waitcnt vmcnt(0) lgkmcnt(0)
	v_mul_f32_e32 v54, s17, v54
.LBB66_125:
	v_pk_add_f32 v[48:49], v[0:1], v[48:49]
	s_mov_b64 vcc, s[8:9]
	v_min3_f32 v55, v48, v49, v124
	v_pk_add_f32 v[48:49], v[32:33], v[44:45]
	s_nop 0
	v_min3_f32 v56, v48, v49, v123
	v_pk_add_f32 v[48:49], v[2:3], v[50:51]
	s_nop 0
	v_min_f32_e32 v50, v48, v49
	v_pk_add_f32 v[48:49], v[34:35], v[46:47]
	v_min3_f32 v50, v54, v50, v55
	v_min3_f32 v56, v48, v49, v56
	v_lshl_add_u64 v[48:49], v[76:77], 2, v[52:53]
	global_store_dword v[48:49], v50, off
	v_add_u32_e32 v50, 0x80, v137
	v_mad_i64_i32 v[48:49], s[2:3], v50, s5, 0
	v_lshl_add_u64 v[48:49], v[48:49], 2, s[0:1]
	v_mad_i64_i32 v[50:51], s[2:3], v50, s4, 0
	v_max_f32_e32 v52, v56, v56
	s_cbranch_vccz .LBB66_128
; %bb.126:
	v_min_f32_e32 v53, 0, v52
	v_lshl_add_u64 v[54:55], v[68:69], 2, v[48:49]
	s_mov_b32 s6, 0
	global_store_dword v[54:55], v53, off
	v_lshl_add_u64 v[50:51], v[50:51], 2, s[10:11]
	s_cbranch_execz .LBB66_129
; %bb.127:
	v_mov_b32_e32 v52, s6
	s_branch .LBB66_130
.LBB66_128:
                                        ; implicit-def: $sgpr6
	v_lshl_add_u64 v[50:51], v[50:51], 2, s[10:11]
.LBB66_129:
	v_lshl_add_u64 v[54:55], v[50:51], 0, v[72:73]
	flat_load_dword v53, v[54:55]
	v_lshl_add_u64 v[54:55], v[48:49], 0, v[72:73]
	s_waitcnt vmcnt(0) lgkmcnt(0)
	v_mul_f32_e32 v53, s17, v53
	v_min_f32_e32 v52, v53, v52
	global_store_dword v[54:55], v52, off
	v_lshl_add_u64 v[52:53], v[64:65], 2, v[50:51]
	flat_load_dword v52, v[52:53]
	s_waitcnt vmcnt(0) lgkmcnt(0)
	v_mul_f32_e32 v52, s17, v52
.LBB66_130:
	v_pk_add_f32 v[54:55], v[28:29], v[44:45]
	s_mov_b64 vcc, s[8:9]
	v_min3_f32 v53, v54, v55, v122
	v_pk_add_f32 v[54:55], v[24:25], v[44:45]
	s_nop 0
	v_min3_f32 v56, v54, v55, v121
	v_pk_add_f32 v[54:55], v[30:31], v[46:47]
	s_nop 0
	v_min_f32_e32 v57, v54, v55
	v_pk_add_f32 v[54:55], v[26:27], v[46:47]
	s_nop 0
	v_min3_f32 v54, v54, v55, v56
	v_min3_f32 v55, v52, v57, v53
	v_lshl_add_u64 v[52:53], v[64:65], 2, v[48:49]
	global_store_dword v[52:53], v55, off
	v_max_f32_e32 v52, v54, v54
	s_cbranch_vccz .LBB66_133
; %bb.131:
	v_min_f32_e32 v53, 0, v52
	v_lshl_add_u64 v[54:55], v[74:75], 2, v[48:49]
	s_mov_b32 s6, 0
	global_store_dword v[54:55], v53, off
	s_cbranch_execz .LBB66_134
; %bb.132:
	v_mov_b32_e32 v52, s6
	s_branch .LBB66_135
.LBB66_133:
                                        ; implicit-def: $sgpr6
.LBB66_134:
	v_lshl_add_u64 v[54:55], v[50:51], 0, v[78:79]
	flat_load_dword v53, v[54:55]
	v_lshl_add_u64 v[54:55], v[48:49], 0, v[78:79]
	s_waitcnt vmcnt(0) lgkmcnt(0)
	v_mul_f32_e32 v53, s17, v53
	v_min_f32_e32 v52, v53, v52
	global_store_dword v[54:55], v52, off
	v_lshl_add_u64 v[52:53], v[66:67], 2, v[50:51]
	flat_load_dword v52, v[52:53]
	s_waitcnt vmcnt(0) lgkmcnt(0)
	v_mul_f32_e32 v52, s17, v52
.LBB66_135:
	v_pk_add_f32 v[54:55], v[20:21], v[44:45]
	s_mov_b64 vcc, s[8:9]
	v_min3_f32 v53, v54, v55, v120
	v_pk_add_f32 v[54:55], v[16:17], v[44:45]
	s_nop 0
	v_min3_f32 v56, v54, v55, v119
	v_pk_add_f32 v[54:55], v[22:23], v[46:47]
	s_nop 0
	v_min_f32_e32 v57, v54, v55
	v_pk_add_f32 v[54:55], v[18:19], v[46:47]
	s_nop 0
	v_min3_f32 v54, v54, v55, v56
	v_min3_f32 v55, v52, v57, v53
	v_lshl_add_u64 v[52:53], v[66:67], 2, v[48:49]
	global_store_dword v[52:53], v55, off
	v_max_f32_e32 v52, v54, v54
	s_cbranch_vccz .LBB66_138
; %bb.136:
	v_min_f32_e32 v53, 0, v52
	v_lshl_add_u64 v[54:55], v[80:81], 2, v[48:49]
	s_mov_b32 s6, 0
	global_store_dword v[54:55], v53, off
	s_cbranch_execz .LBB66_139
; %bb.137:
	v_mov_b32_e32 v52, s6
	s_branch .LBB66_140
.LBB66_138:
                                        ; implicit-def: $sgpr6
.LBB66_139:
	v_lshl_add_u64 v[54:55], v[50:51], 0, v[82:83]
	flat_load_dword v53, v[54:55]
	v_lshl_add_u64 v[54:55], v[48:49], 0, v[82:83]
	s_waitcnt vmcnt(0) lgkmcnt(0)
	v_mul_f32_e32 v53, s17, v53
	v_min_f32_e32 v52, v53, v52
	global_store_dword v[54:55], v52, off
	v_lshl_add_u64 v[52:53], v[70:71], 2, v[50:51]
	flat_load_dword v52, v[52:53]
	s_waitcnt vmcnt(0) lgkmcnt(0)
	v_mul_f32_e32 v52, s17, v52
.LBB66_140:
	v_pk_add_f32 v[54:55], v[12:13], v[44:45]
	s_mov_b64 vcc, s[8:9]
	v_min3_f32 v53, v54, v55, v118
	v_pk_add_f32 v[54:55], v[8:9], v[44:45]
	s_nop 0
	v_min3_f32 v56, v54, v55, v117
	v_pk_add_f32 v[54:55], v[14:15], v[46:47]
	s_nop 0
	v_min_f32_e32 v57, v54, v55
	v_pk_add_f32 v[54:55], v[10:11], v[46:47]
	s_nop 0
	v_min3_f32 v54, v54, v55, v56
	v_min3_f32 v55, v52, v57, v53
	v_lshl_add_u64 v[52:53], v[70:71], 2, v[48:49]
	global_store_dword v[52:53], v55, off
	v_max_f32_e32 v52, v54, v54
	s_cbranch_vccz .LBB66_143
; %bb.141:
	v_min_f32_e32 v53, 0, v52
	v_lshl_add_u64 v[54:55], v[84:85], 2, v[48:49]
	s_mov_b32 s6, 0
	global_store_dword v[54:55], v53, off
	s_cbranch_execz .LBB66_144
; %bb.142:
	v_mov_b32_e32 v50, s6
	s_branch .LBB66_145
.LBB66_143:
                                        ; implicit-def: $sgpr6
.LBB66_144:
	v_lshl_add_u64 v[54:55], v[50:51], 0, v[86:87]
	flat_load_dword v53, v[54:55]
	v_lshl_add_u64 v[54:55], v[48:49], 0, v[86:87]
	v_lshl_add_u64 v[50:51], v[76:77], 2, v[50:51]
	s_waitcnt vmcnt(0) lgkmcnt(0)
	v_mul_f32_e32 v53, s17, v53
	v_min_f32_e32 v52, v53, v52
	global_store_dword v[54:55], v52, off
	flat_load_dword v50, v[50:51]
	s_waitcnt vmcnt(0) lgkmcnt(0)
	v_mul_f32_e32 v50, s17, v50
.LBB66_145:
	v_pk_add_f32 v[44:45], v[0:1], v[44:45]
	s_mov_b64 vcc, s[8:9]
	v_min3_f32 v51, v44, v45, v115
	v_pk_add_f32 v[44:45], v[32:33], v[40:41]
	s_nop 0
	v_min3_f32 v52, v44, v45, v116
	v_pk_add_f32 v[44:45], v[2:3], v[46:47]
	s_nop 0
	v_min_f32_e32 v46, v44, v45
	v_pk_add_f32 v[44:45], v[34:35], v[42:43]
	v_min3_f32 v46, v50, v46, v51
	v_min3_f32 v52, v44, v45, v52
	v_lshl_add_u64 v[44:45], v[76:77], 2, v[48:49]
	global_store_dword v[44:45], v46, off
	v_add_u32_e32 v46, 0xa0, v137
	v_mad_i64_i32 v[44:45], s[2:3], v46, s5, 0
	v_lshl_add_u64 v[44:45], v[44:45], 2, s[0:1]
	v_mad_i64_i32 v[46:47], s[2:3], v46, s4, 0
	v_max_f32_e32 v48, v52, v52
	s_cbranch_vccz .LBB66_148
; %bb.146:
	v_min_f32_e32 v49, 0, v48
	v_lshl_add_u64 v[50:51], v[68:69], 2, v[44:45]
	s_mov_b32 s6, 0
	global_store_dword v[50:51], v49, off
	v_lshl_add_u64 v[46:47], v[46:47], 2, s[10:11]
	s_cbranch_execz .LBB66_149
; %bb.147:
	v_mov_b32_e32 v48, s6
	s_branch .LBB66_150
.LBB66_148:
                                        ; implicit-def: $sgpr6
	v_lshl_add_u64 v[46:47], v[46:47], 2, s[10:11]
.LBB66_149:
	v_lshl_add_u64 v[50:51], v[46:47], 0, v[72:73]
	flat_load_dword v49, v[50:51]
	v_lshl_add_u64 v[50:51], v[44:45], 0, v[72:73]
	s_waitcnt vmcnt(0) lgkmcnt(0)
	v_mul_f32_e32 v49, s17, v49
	v_min_f32_e32 v48, v49, v48
	global_store_dword v[50:51], v48, off
	v_lshl_add_u64 v[48:49], v[64:65], 2, v[46:47]
	flat_load_dword v48, v[48:49]
	s_waitcnt vmcnt(0) lgkmcnt(0)
	v_mul_f32_e32 v48, s17, v48
.LBB66_150:
	v_pk_add_f32 v[50:51], v[28:29], v[40:41]
	s_mov_b64 vcc, s[8:9]
	v_min3_f32 v49, v50, v51, v113
	v_pk_add_f32 v[50:51], v[24:25], v[40:41]
	s_nop 0
	v_min3_f32 v52, v50, v51, v114
	v_pk_add_f32 v[50:51], v[30:31], v[42:43]
	s_nop 0
	v_min_f32_e32 v53, v50, v51
	v_pk_add_f32 v[50:51], v[26:27], v[42:43]
	s_nop 0
	v_min3_f32 v50, v50, v51, v52
	v_min3_f32 v51, v48, v53, v49
	v_lshl_add_u64 v[48:49], v[64:65], 2, v[44:45]
	global_store_dword v[48:49], v51, off
	v_max_f32_e32 v48, v50, v50
	s_cbranch_vccz .LBB66_153
; %bb.151:
	v_min_f32_e32 v49, 0, v48
	v_lshl_add_u64 v[50:51], v[74:75], 2, v[44:45]
	s_mov_b32 s6, 0
	global_store_dword v[50:51], v49, off
	s_cbranch_execz .LBB66_154
; %bb.152:
	v_mov_b32_e32 v48, s6
	s_branch .LBB66_155
.LBB66_153:
                                        ; implicit-def: $sgpr6
.LBB66_154:
	v_lshl_add_u64 v[50:51], v[46:47], 0, v[78:79]
	flat_load_dword v49, v[50:51]
	v_lshl_add_u64 v[50:51], v[44:45], 0, v[78:79]
	s_waitcnt vmcnt(0) lgkmcnt(0)
	v_mul_f32_e32 v49, s17, v49
	v_min_f32_e32 v48, v49, v48
	global_store_dword v[50:51], v48, off
	v_lshl_add_u64 v[48:49], v[66:67], 2, v[46:47]
	flat_load_dword v48, v[48:49]
	s_waitcnt vmcnt(0) lgkmcnt(0)
	v_mul_f32_e32 v48, s17, v48
.LBB66_155:
	v_pk_add_f32 v[50:51], v[20:21], v[40:41]
	s_mov_b64 vcc, s[8:9]
	v_min3_f32 v49, v50, v51, v111
	v_pk_add_f32 v[50:51], v[16:17], v[40:41]
	s_nop 0
	v_min3_f32 v52, v50, v51, v112
	v_pk_add_f32 v[50:51], v[22:23], v[42:43]
	s_nop 0
	v_min_f32_e32 v53, v50, v51
	v_pk_add_f32 v[50:51], v[18:19], v[42:43]
	s_nop 0
	v_min3_f32 v50, v50, v51, v52
	v_min3_f32 v51, v48, v53, v49
	v_lshl_add_u64 v[48:49], v[66:67], 2, v[44:45]
	global_store_dword v[48:49], v51, off
	v_max_f32_e32 v48, v50, v50
	s_cbranch_vccz .LBB66_158
; %bb.156:
	v_min_f32_e32 v49, 0, v48
	v_lshl_add_u64 v[50:51], v[80:81], 2, v[44:45]
	s_mov_b32 s6, 0
	global_store_dword v[50:51], v49, off
	s_cbranch_execz .LBB66_159
; %bb.157:
	v_mov_b32_e32 v48, s6
	s_branch .LBB66_160
.LBB66_158:
                                        ; implicit-def: $sgpr6
.LBB66_159:
	v_lshl_add_u64 v[50:51], v[46:47], 0, v[82:83]
	flat_load_dword v49, v[50:51]
	v_lshl_add_u64 v[50:51], v[44:45], 0, v[82:83]
	s_waitcnt vmcnt(0) lgkmcnt(0)
	v_mul_f32_e32 v49, s17, v49
	v_min_f32_e32 v48, v49, v48
	global_store_dword v[50:51], v48, off
	v_lshl_add_u64 v[48:49], v[70:71], 2, v[46:47]
	flat_load_dword v48, v[48:49]
	s_waitcnt vmcnt(0) lgkmcnt(0)
	v_mul_f32_e32 v48, s17, v48
.LBB66_160:
	v_pk_add_f32 v[50:51], v[12:13], v[40:41]
	s_mov_b64 vcc, s[8:9]
	v_min3_f32 v49, v50, v51, v109
	v_pk_add_f32 v[50:51], v[8:9], v[40:41]
	s_nop 0
	v_min3_f32 v52, v50, v51, v110
	v_pk_add_f32 v[50:51], v[14:15], v[42:43]
	s_nop 0
	v_min_f32_e32 v53, v50, v51
	v_pk_add_f32 v[50:51], v[10:11], v[42:43]
	s_nop 0
	v_min3_f32 v50, v50, v51, v52
	v_min3_f32 v51, v48, v53, v49
	v_lshl_add_u64 v[48:49], v[70:71], 2, v[44:45]
	global_store_dword v[48:49], v51, off
	v_max_f32_e32 v48, v50, v50
	s_cbranch_vccz .LBB66_163
; %bb.161:
	v_min_f32_e32 v49, 0, v48
	v_lshl_add_u64 v[50:51], v[84:85], 2, v[44:45]
	s_mov_b32 s6, 0
	global_store_dword v[50:51], v49, off
	s_cbranch_execz .LBB66_164
; %bb.162:
	v_mov_b32_e32 v46, s6
	s_branch .LBB66_165
.LBB66_163:
                                        ; implicit-def: $sgpr6
.LBB66_164:
	v_lshl_add_u64 v[50:51], v[46:47], 0, v[86:87]
	flat_load_dword v49, v[50:51]
	v_lshl_add_u64 v[50:51], v[44:45], 0, v[86:87]
	v_lshl_add_u64 v[46:47], v[76:77], 2, v[46:47]
	s_waitcnt vmcnt(0) lgkmcnt(0)
	v_mul_f32_e32 v49, s17, v49
	v_min_f32_e32 v48, v49, v48
	global_store_dword v[50:51], v48, off
	flat_load_dword v46, v[46:47]
	s_waitcnt vmcnt(0) lgkmcnt(0)
	v_mul_f32_e32 v46, s17, v46
.LBB66_165:
	v_pk_add_f32 v[40:41], v[0:1], v[40:41]
	s_mov_b64 vcc, s[8:9]
	v_min3_f32 v47, v40, v41, v107
	v_pk_add_f32 v[40:41], v[32:33], v[36:37]
	s_nop 0
	v_min3_f32 v48, v40, v41, v108
	v_pk_add_f32 v[40:41], v[2:3], v[42:43]
	s_nop 0
	v_min_f32_e32 v42, v40, v41
	v_pk_add_f32 v[40:41], v[34:35], v[38:39]
	v_min3_f32 v42, v46, v42, v47
	v_min3_f32 v48, v40, v41, v48
	v_lshl_add_u64 v[40:41], v[76:77], 2, v[44:45]
	global_store_dword v[40:41], v42, off
	v_add_u32_e32 v42, 0xc0, v137
	v_mad_i64_i32 v[40:41], s[2:3], v42, s5, 0
	v_lshl_add_u64 v[40:41], v[40:41], 2, s[0:1]
	v_mad_i64_i32 v[42:43], s[2:3], v42, s4, 0
	v_max_f32_e32 v44, v48, v48
	s_cbranch_vccz .LBB66_168
; %bb.166:
	v_min_f32_e32 v45, 0, v44
	v_lshl_add_u64 v[46:47], v[68:69], 2, v[40:41]
	s_mov_b32 s6, 0
	global_store_dword v[46:47], v45, off
	v_lshl_add_u64 v[42:43], v[42:43], 2, s[10:11]
	s_cbranch_execz .LBB66_169
; %bb.167:
	v_mov_b32_e32 v44, s6
	s_branch .LBB66_170
.LBB66_168:
                                        ; implicit-def: $sgpr6
	v_lshl_add_u64 v[42:43], v[42:43], 2, s[10:11]
.LBB66_169:
	v_lshl_add_u64 v[46:47], v[42:43], 0, v[72:73]
	flat_load_dword v45, v[46:47]
	v_lshl_add_u64 v[46:47], v[40:41], 0, v[72:73]
	s_waitcnt vmcnt(0) lgkmcnt(0)
	v_mul_f32_e32 v45, s17, v45
	v_min_f32_e32 v44, v45, v44
	global_store_dword v[46:47], v44, off
	v_lshl_add_u64 v[44:45], v[64:65], 2, v[42:43]
	flat_load_dword v44, v[44:45]
	s_waitcnt vmcnt(0) lgkmcnt(0)
	v_mul_f32_e32 v44, s17, v44
.LBB66_170:
	v_pk_add_f32 v[46:47], v[28:29], v[36:37]
	s_mov_b64 vcc, s[8:9]
	v_min3_f32 v45, v46, v47, v105
	v_pk_add_f32 v[46:47], v[24:25], v[36:37]
	s_nop 0
	v_min3_f32 v48, v46, v47, v106
	v_pk_add_f32 v[46:47], v[30:31], v[38:39]
	s_nop 0
	v_min_f32_e32 v49, v46, v47
	v_pk_add_f32 v[46:47], v[26:27], v[38:39]
	s_nop 0
	v_min3_f32 v46, v46, v47, v48
	v_min3_f32 v47, v44, v49, v45
	v_lshl_add_u64 v[44:45], v[64:65], 2, v[40:41]
	global_store_dword v[44:45], v47, off
	v_max_f32_e32 v44, v46, v46
	s_cbranch_vccz .LBB66_173
; %bb.171:
	v_min_f32_e32 v45, 0, v44
	v_lshl_add_u64 v[46:47], v[74:75], 2, v[40:41]
	s_mov_b32 s6, 0
	global_store_dword v[46:47], v45, off
	s_cbranch_execz .LBB66_174
; %bb.172:
	v_mov_b32_e32 v44, s6
	s_branch .LBB66_175
.LBB66_173:
                                        ; implicit-def: $sgpr6
.LBB66_174:
	v_lshl_add_u64 v[46:47], v[42:43], 0, v[78:79]
	flat_load_dword v45, v[46:47]
	v_lshl_add_u64 v[46:47], v[40:41], 0, v[78:79]
	s_waitcnt vmcnt(0) lgkmcnt(0)
	v_mul_f32_e32 v45, s17, v45
	v_min_f32_e32 v44, v45, v44
	global_store_dword v[46:47], v44, off
	v_lshl_add_u64 v[44:45], v[66:67], 2, v[42:43]
	flat_load_dword v44, v[44:45]
	s_waitcnt vmcnt(0) lgkmcnt(0)
	v_mul_f32_e32 v44, s17, v44
.LBB66_175:
	v_pk_add_f32 v[46:47], v[20:21], v[36:37]
	s_mov_b64 vcc, s[8:9]
	v_min3_f32 v45, v46, v47, v103
	v_pk_add_f32 v[46:47], v[16:17], v[36:37]
	s_nop 0
	v_min3_f32 v48, v46, v47, v104
	v_pk_add_f32 v[46:47], v[22:23], v[38:39]
	s_nop 0
	v_min_f32_e32 v49, v46, v47
	v_pk_add_f32 v[46:47], v[18:19], v[38:39]
	s_nop 0
	v_min3_f32 v46, v46, v47, v48
	v_min3_f32 v47, v44, v49, v45
	v_lshl_add_u64 v[44:45], v[66:67], 2, v[40:41]
	global_store_dword v[44:45], v47, off
	v_max_f32_e32 v44, v46, v46
	s_cbranch_vccz .LBB66_178
; %bb.176:
	v_min_f32_e32 v45, 0, v44
	v_lshl_add_u64 v[46:47], v[80:81], 2, v[40:41]
	s_mov_b32 s6, 0
	global_store_dword v[46:47], v45, off
	s_cbranch_execz .LBB66_179
; %bb.177:
	v_mov_b32_e32 v44, s6
	s_branch .LBB66_180
.LBB66_178:
                                        ; implicit-def: $sgpr6
.LBB66_179:
	v_lshl_add_u64 v[46:47], v[42:43], 0, v[82:83]
	flat_load_dword v45, v[46:47]
	v_lshl_add_u64 v[46:47], v[40:41], 0, v[82:83]
	s_waitcnt vmcnt(0) lgkmcnt(0)
	v_mul_f32_e32 v45, s17, v45
	v_min_f32_e32 v44, v45, v44
	global_store_dword v[46:47], v44, off
	v_lshl_add_u64 v[44:45], v[70:71], 2, v[42:43]
	flat_load_dword v44, v[44:45]
	s_waitcnt vmcnt(0) lgkmcnt(0)
	v_mul_f32_e32 v44, s17, v44
.LBB66_180:
	v_pk_add_f32 v[46:47], v[12:13], v[36:37]
	s_mov_b64 vcc, s[8:9]
	v_min3_f32 v45, v46, v47, v101
	v_pk_add_f32 v[46:47], v[8:9], v[36:37]
	s_nop 0
	v_min3_f32 v48, v46, v47, v102
	v_pk_add_f32 v[46:47], v[14:15], v[38:39]
	s_nop 0
	v_min_f32_e32 v49, v46, v47
	v_pk_add_f32 v[46:47], v[10:11], v[38:39]
	s_nop 0
	v_min3_f32 v46, v46, v47, v48
	v_min3_f32 v47, v44, v49, v45
	v_lshl_add_u64 v[44:45], v[70:71], 2, v[40:41]
	global_store_dword v[44:45], v47, off
	v_max_f32_e32 v44, v46, v46
	s_cbranch_vccz .LBB66_183
; %bb.181:
	v_min_f32_e32 v45, 0, v44
	v_lshl_add_u64 v[46:47], v[84:85], 2, v[40:41]
	s_mov_b32 s6, 0
	global_store_dword v[46:47], v45, off
	s_cbranch_execz .LBB66_184
; %bb.182:
	v_mov_b32_e32 v42, s6
	s_branch .LBB66_185
.LBB66_183:
                                        ; implicit-def: $sgpr6
.LBB66_184:
	v_lshl_add_u64 v[46:47], v[42:43], 0, v[86:87]
	flat_load_dword v45, v[46:47]
	v_lshl_add_u64 v[46:47], v[40:41], 0, v[86:87]
	v_lshl_add_u64 v[42:43], v[76:77], 2, v[42:43]
	s_waitcnt vmcnt(0) lgkmcnt(0)
	v_mul_f32_e32 v45, s17, v45
	v_min_f32_e32 v44, v45, v44
	global_store_dword v[46:47], v44, off
	flat_load_dword v42, v[42:43]
	s_waitcnt vmcnt(0) lgkmcnt(0)
	v_mul_f32_e32 v42, s17, v42
.LBB66_185:
	v_pk_add_f32 v[36:37], v[0:1], v[36:37]
	s_waitcnt lgkmcnt(0)
	v_pk_add_f32 v[32:33], v[32:33], v[4:5]
	v_min3_f32 v36, v36, v37, v99
	v_min3_f32 v37, v32, v33, v100
	v_pk_add_f32 v[32:33], v[2:3], v[38:39]
	s_mov_b64 vcc, s[8:9]
	v_min_f32_e32 v38, v32, v33
	v_pk_add_f32 v[32:33], v[34:35], v[6:7]
	v_min3_f32 v34, v42, v38, v36
	v_min3_f32 v37, v32, v33, v37
	v_lshl_add_u64 v[32:33], v[76:77], 2, v[40:41]
	global_store_dword v[32:33], v34, off
	v_add_u32_e32 v34, 0xe0, v137
	v_mad_i64_i32 v[32:33], s[2:3], v34, s5, 0
	v_lshl_add_u64 v[32:33], v[32:33], 2, s[0:1]
	v_mad_i64_i32 v[34:35], s[0:1], v34, s4, 0
	v_max_f32_e32 v36, v37, v37
	s_cbranch_vccz .LBB66_188
; %bb.186:
	v_min_f32_e32 v37, 0, v36
	v_lshl_add_u64 v[38:39], v[68:69], 2, v[32:33]
	s_mov_b32 s2, 0
	global_store_dword v[38:39], v37, off
	v_lshl_add_u64 v[34:35], v[34:35], 2, s[10:11]
	s_cbranch_execz .LBB66_189
; %bb.187:
	v_mov_b32_e32 v36, s2
	s_branch .LBB66_190
.LBB66_188:
                                        ; implicit-def: $sgpr2
	v_lshl_add_u64 v[34:35], v[34:35], 2, s[10:11]
.LBB66_189:
	v_lshl_add_u64 v[38:39], v[34:35], 0, v[72:73]
	flat_load_dword v37, v[38:39]
	v_lshl_add_u64 v[38:39], v[32:33], 0, v[72:73]
	s_waitcnt vmcnt(0) lgkmcnt(0)
	v_mul_f32_e32 v37, s17, v37
	v_min_f32_e32 v36, v37, v36
	global_store_dword v[38:39], v36, off
	v_lshl_add_u64 v[36:37], v[64:65], 2, v[34:35]
	flat_load_dword v36, v[36:37]
	s_waitcnt vmcnt(0) lgkmcnt(0)
	v_mul_f32_e32 v36, s17, v36
.LBB66_190:
	v_pk_add_f32 v[28:29], v[28:29], v[4:5]
	v_pk_add_f32 v[24:25], v[24:25], v[4:5]
	v_min3_f32 v28, v28, v29, v97
	v_min3_f32 v29, v24, v25, v98
	v_pk_add_f32 v[24:25], v[30:31], v[6:7]
	s_mov_b64 vcc, s[8:9]
	v_min_f32_e32 v30, v24, v25
	v_pk_add_f32 v[24:25], v[26:27], v[6:7]
	v_min3_f32 v27, v36, v30, v28
	v_min3_f32 v26, v24, v25, v29
	v_lshl_add_u64 v[24:25], v[64:65], 2, v[32:33]
	global_store_dword v[24:25], v27, off
	v_max_f32_e32 v24, v26, v26
	s_cbranch_vccz .LBB66_193
; %bb.191:
	v_min_f32_e32 v25, 0, v24
	v_lshl_add_u64 v[26:27], v[74:75], 2, v[32:33]
	s_mov_b32 s2, 0
	global_store_dword v[26:27], v25, off
	s_cbranch_execz .LBB66_194
; %bb.192:
	v_mov_b32_e32 v24, s2
	s_branch .LBB66_195
.LBB66_193:
                                        ; implicit-def: $sgpr2
.LBB66_194:
	v_lshl_add_u64 v[26:27], v[34:35], 0, v[78:79]
	flat_load_dword v25, v[26:27]
	v_lshl_add_u64 v[26:27], v[32:33], 0, v[78:79]
	s_waitcnt vmcnt(0) lgkmcnt(0)
	v_mul_f32_e32 v25, s17, v25
	v_min_f32_e32 v24, v25, v24
	global_store_dword v[26:27], v24, off
	v_lshl_add_u64 v[24:25], v[66:67], 2, v[34:35]
	flat_load_dword v24, v[24:25]
	s_waitcnt vmcnt(0) lgkmcnt(0)
	v_mul_f32_e32 v24, s17, v24
.LBB66_195:
	v_pk_add_f32 v[20:21], v[20:21], v[4:5]
	v_pk_add_f32 v[16:17], v[16:17], v[4:5]
	v_min3_f32 v20, v20, v21, v94
	v_min3_f32 v21, v16, v17, v95
	v_pk_add_f32 v[16:17], v[22:23], v[6:7]
	s_mov_b64 vcc, s[8:9]
	v_min_f32_e32 v22, v16, v17
	v_pk_add_f32 v[16:17], v[18:19], v[6:7]
	v_min3_f32 v19, v24, v22, v20
	v_min3_f32 v18, v16, v17, v21
	v_lshl_add_u64 v[16:17], v[66:67], 2, v[32:33]
	global_store_dword v[16:17], v19, off
	v_max_f32_e32 v16, v18, v18
	s_cbranch_vccz .LBB66_198
; %bb.196:
	v_min_f32_e32 v17, 0, v16
	v_lshl_add_u64 v[18:19], v[80:81], 2, v[32:33]
	s_mov_b32 s2, 0
	global_store_dword v[18:19], v17, off
	s_cbranch_execz .LBB66_199
; %bb.197:
	v_mov_b32_e32 v16, s2
	s_branch .LBB66_200
.LBB66_198:
                                        ; implicit-def: $sgpr2
.LBB66_199:
	v_lshl_add_u64 v[18:19], v[34:35], 0, v[82:83]
	flat_load_dword v17, v[18:19]
	v_lshl_add_u64 v[18:19], v[32:33], 0, v[82:83]
	s_waitcnt vmcnt(0) lgkmcnt(0)
	v_mul_f32_e32 v17, s17, v17
	v_min_f32_e32 v16, v17, v16
	global_store_dword v[18:19], v16, off
	v_lshl_add_u64 v[16:17], v[70:71], 2, v[34:35]
	flat_load_dword v16, v[16:17]
	s_waitcnt vmcnt(0) lgkmcnt(0)
	v_mul_f32_e32 v16, s17, v16
.LBB66_200:
	;; [unrolled: 38-line block ×3, first 2 shown]
	v_pk_add_f32 v[2:3], v[2:3], v[6:7]
	v_pk_add_f32 v[0:1], v[0:1], v[4:5]
	v_min_f32_e32 v2, v2, v3
	v_min3_f32 v0, v0, v1, v96
	v_min3_f32 v2, v8, v2, v0
	v_lshl_add_u64 v[0:1], v[76:77], 2, v[32:33]
	global_store_dword v[0:1], v2, off
	s_endpgm
	.section	.rodata,"a",@progbits
	.p2align	6, 0x0
	.amdhsa_kernel _ZN12_GLOBAL__N_120geam_min_plus_kernelIf15HIP_vector_typeIfLj2EEfLi8ELi32ELi64ELi256ELi4ELi64ELi4ELi64ELi4ELc78ELc84ELb0ELb0ELb1EPKfS3_fEEviiiT16_PT17_ilS7_ilS5_S7_ilPT18_ili26rocblas_geam_ex_operation_
		.amdhsa_group_segment_fixed_size 10240
		.amdhsa_private_segment_fixed_size 0
		.amdhsa_kernarg_size 136
		.amdhsa_user_sgpr_count 2
		.amdhsa_user_sgpr_dispatch_ptr 0
		.amdhsa_user_sgpr_queue_ptr 0
		.amdhsa_user_sgpr_kernarg_segment_ptr 1
		.amdhsa_user_sgpr_dispatch_id 0
		.amdhsa_user_sgpr_kernarg_preload_length 0
		.amdhsa_user_sgpr_kernarg_preload_offset 0
		.amdhsa_user_sgpr_private_segment_size 0
		.amdhsa_uses_dynamic_stack 0
		.amdhsa_enable_private_segment 0
		.amdhsa_system_sgpr_workgroup_id_x 1
		.amdhsa_system_sgpr_workgroup_id_y 0
		.amdhsa_system_sgpr_workgroup_id_z 1
		.amdhsa_system_sgpr_workgroup_info 0
		.amdhsa_system_vgpr_workitem_id 1
		.amdhsa_next_free_vgpr 176
		.amdhsa_next_free_sgpr 30
		.amdhsa_accum_offset 176
		.amdhsa_reserve_vcc 1
		.amdhsa_float_round_mode_32 0
		.amdhsa_float_round_mode_16_64 0
		.amdhsa_float_denorm_mode_32 3
		.amdhsa_float_denorm_mode_16_64 3
		.amdhsa_dx10_clamp 1
		.amdhsa_ieee_mode 1
		.amdhsa_fp16_overflow 0
		.amdhsa_tg_split 0
		.amdhsa_exception_fp_ieee_invalid_op 0
		.amdhsa_exception_fp_denorm_src 0
		.amdhsa_exception_fp_ieee_div_zero 0
		.amdhsa_exception_fp_ieee_overflow 0
		.amdhsa_exception_fp_ieee_underflow 0
		.amdhsa_exception_fp_ieee_inexact 0
		.amdhsa_exception_int_div_zero 0
	.end_amdhsa_kernel
	.section	.text._ZN12_GLOBAL__N_120geam_min_plus_kernelIf15HIP_vector_typeIfLj2EEfLi8ELi32ELi64ELi256ELi4ELi64ELi4ELi64ELi4ELc78ELc84ELb0ELb0ELb1EPKfS3_fEEviiiT16_PT17_ilS7_ilS5_S7_ilPT18_ili26rocblas_geam_ex_operation_,"axG",@progbits,_ZN12_GLOBAL__N_120geam_min_plus_kernelIf15HIP_vector_typeIfLj2EEfLi8ELi32ELi64ELi256ELi4ELi64ELi4ELi64ELi4ELc78ELc84ELb0ELb0ELb1EPKfS3_fEEviiiT16_PT17_ilS7_ilS5_S7_ilPT18_ili26rocblas_geam_ex_operation_,comdat
.Lfunc_end66:
	.size	_ZN12_GLOBAL__N_120geam_min_plus_kernelIf15HIP_vector_typeIfLj2EEfLi8ELi32ELi64ELi256ELi4ELi64ELi4ELi64ELi4ELc78ELc84ELb0ELb0ELb1EPKfS3_fEEviiiT16_PT17_ilS7_ilS5_S7_ilPT18_ili26rocblas_geam_ex_operation_, .Lfunc_end66-_ZN12_GLOBAL__N_120geam_min_plus_kernelIf15HIP_vector_typeIfLj2EEfLi8ELi32ELi64ELi256ELi4ELi64ELi4ELi64ELi4ELc78ELc84ELb0ELb0ELb1EPKfS3_fEEviiiT16_PT17_ilS7_ilS5_S7_ilPT18_ili26rocblas_geam_ex_operation_
                                        ; -- End function
	.section	.AMDGPU.csdata,"",@progbits
; Kernel info:
; codeLenInByte = 16588
; NumSgprs: 36
; NumVgprs: 176
; NumAgprs: 0
; TotalNumVgprs: 176
; ScratchSize: 0
; MemoryBound: 0
; FloatMode: 240
; IeeeMode: 1
; LDSByteSize: 10240 bytes/workgroup (compile time only)
; SGPRBlocks: 4
; VGPRBlocks: 21
; NumSGPRsForWavesPerEU: 36
; NumVGPRsForWavesPerEU: 176
; AccumOffset: 176
; Occupancy: 2
; WaveLimiterHint : 1
; COMPUTE_PGM_RSRC2:SCRATCH_EN: 0
; COMPUTE_PGM_RSRC2:USER_SGPR: 2
; COMPUTE_PGM_RSRC2:TRAP_HANDLER: 0
; COMPUTE_PGM_RSRC2:TGID_X_EN: 1
; COMPUTE_PGM_RSRC2:TGID_Y_EN: 0
; COMPUTE_PGM_RSRC2:TGID_Z_EN: 1
; COMPUTE_PGM_RSRC2:TIDIG_COMP_CNT: 1
; COMPUTE_PGM_RSRC3_GFX90A:ACCUM_OFFSET: 43
; COMPUTE_PGM_RSRC3_GFX90A:TG_SPLIT: 0
	.section	.text._ZN12_GLOBAL__N_120geam_min_plus_kernelIf15HIP_vector_typeIfLj2EEfLi8ELi32ELi64ELi256ELi4ELi64ELi4ELi64ELi4ELc78ELc84ELb1ELb0ELb1EfKffEEviiiT16_PT17_ilS6_ilS4_S6_ilPT18_ili26rocblas_geam_ex_operation_,"axG",@progbits,_ZN12_GLOBAL__N_120geam_min_plus_kernelIf15HIP_vector_typeIfLj2EEfLi8ELi32ELi64ELi256ELi4ELi64ELi4ELi64ELi4ELc78ELc84ELb1ELb0ELb1EfKffEEviiiT16_PT17_ilS6_ilS4_S6_ilPT18_ili26rocblas_geam_ex_operation_,comdat
	.globl	_ZN12_GLOBAL__N_120geam_min_plus_kernelIf15HIP_vector_typeIfLj2EEfLi8ELi32ELi64ELi256ELi4ELi64ELi4ELi64ELi4ELc78ELc84ELb1ELb0ELb1EfKffEEviiiT16_PT17_ilS6_ilS4_S6_ilPT18_ili26rocblas_geam_ex_operation_ ; -- Begin function _ZN12_GLOBAL__N_120geam_min_plus_kernelIf15HIP_vector_typeIfLj2EEfLi8ELi32ELi64ELi256ELi4ELi64ELi4ELi64ELi4ELc78ELc84ELb1ELb0ELb1EfKffEEviiiT16_PT17_ilS6_ilS4_S6_ilPT18_ili26rocblas_geam_ex_operation_
	.p2align	8
	.type	_ZN12_GLOBAL__N_120geam_min_plus_kernelIf15HIP_vector_typeIfLj2EEfLi8ELi32ELi64ELi256ELi4ELi64ELi4ELi64ELi4ELc78ELc84ELb1ELb0ELb1EfKffEEviiiT16_PT17_ilS6_ilS4_S6_ilPT18_ili26rocblas_geam_ex_operation_,@function
_ZN12_GLOBAL__N_120geam_min_plus_kernelIf15HIP_vector_typeIfLj2EEfLi8ELi32ELi64ELi256ELi4ELi64ELi4ELi64ELi4ELc78ELc84ELb1ELb0ELb1EfKffEEviiiT16_PT17_ilS6_ilS4_S6_ilPT18_ili26rocblas_geam_ex_operation_: ; @_ZN12_GLOBAL__N_120geam_min_plus_kernelIf15HIP_vector_typeIfLj2EEfLi8ELi32ELi64ELi256ELi4ELi64ELi4ELi64ELi4ELc78ELc84ELb1ELb0ELb1EfKffEEviiiT16_PT17_ilS6_ilS4_S6_ilPT18_ili26rocblas_geam_ex_operation_
; %bb.0:
	s_load_dwordx2 s[14:15], s[0:1], 0x8
	s_load_dwordx4 s[4:7], s[0:1], 0x20
	s_waitcnt lgkmcnt(0)
	v_cmp_eq_f32_e64 s[8:9], s15, 0
	s_and_b64 vcc, exec, s[8:9]
	s_cbranch_vccnz .LBB67_3
; %bb.1:
	s_load_dwordx2 s[10:11], s[0:1], 0x10
	s_mul_i32 s5, s3, s5
	s_mul_hi_u32 s12, s3, s4
	s_add_i32 s5, s12, s5
	s_mul_i32 s4, s3, s4
	s_lshl_b64 s[4:5], s[4:5], 2
	s_waitcnt lgkmcnt(0)
	s_add_u32 s16, s10, s4
	s_addc_u32 s17, s11, s5
	s_andn2_b64 vcc, exec, s[8:9]
	s_cbranch_vccnz .LBB67_4
.LBB67_2:
	s_mov_b32 s13, 0
	s_mov_b64 s[18:19], 0
	s_cbranch_execz .LBB67_5
	s_branch .LBB67_6
.LBB67_3:
	s_mov_b64 s[16:17], 0
	s_andn2_b64 vcc, exec, s[8:9]
	s_cbranch_vccz .LBB67_2
.LBB67_4:
                                        ; implicit-def: $sgpr18_sgpr19
                                        ; implicit-def: $sgpr12_sgpr13
.LBB67_5:
	s_load_dwordx2 s[4:5], s[0:1], 0x38
	s_mov_b32 s13, 0
	s_waitcnt lgkmcnt(0)
	s_mul_i32 s5, s3, s5
	s_mul_hi_u32 s8, s3, s4
	s_add_i32 s5, s8, s5
	s_mul_i32 s4, s3, s4
	s_lshl_b64 s[4:5], s[4:5], 2
	s_add_u32 s18, s6, s4
	s_addc_u32 s19, s7, s5
.LBB67_6:
	s_load_dword s12, s[0:1], 0x40
	s_load_dwordx4 s[8:11], s[0:1], 0x58
	s_waitcnt lgkmcnt(0)
	v_cmp_eq_f32_e64 s[4:5], s12, 0
	s_and_b64 s[4:5], exec, s[4:5]
	s_mov_b64 vcc, s[4:5]
	s_cbranch_vccnz .LBB67_8
; %bb.7:
	s_load_dwordx2 s[6:7], s[0:1], 0x48
	s_mul_i32 s9, s3, s9
	s_mul_hi_u32 s15, s3, s8
	s_add_i32 s9, s15, s9
	s_mul_i32 s15, s13, s8
	s_add_i32 s9, s9, s15
	s_mul_i32 s8, s3, s8
	s_lshl_b64 s[8:9], s[8:9], 2
	s_waitcnt lgkmcnt(0)
	s_add_u32 s6, s6, s8
	s_addc_u32 s7, s7, s9
	s_branch .LBB67_9
.LBB67_8:
	s_mov_b64 s[6:7], 0
.LBB67_9:
	s_load_dword s8, s[0:1], 0x0
	s_load_dword s20, s[0:1], 0x18
	;; [unrolled: 1-line block ×3, first 2 shown]
	v_and_b32_e32 v76, 0x3ff, v0
	v_bfe_u32 v77, v0, 10, 10
	s_waitcnt lgkmcnt(0)
	s_add_i32 s8, s8, -1
	s_ashr_i32 s9, s8, 31
	s_lshr_b32 s9, s9, 26
	s_add_i32 s8, s8, s9
	s_ashr_i32 s15, s8, 6
	s_add_i32 s21, s15, 1
	v_cvt_f32_u32_e32 v1, s21
	v_lshlrev_b32_e32 v79, 4, v76
	v_lshlrev_b32_e32 v78, 4, v77
	v_rcp_iflag_f32_e32 v0, v1
	v_lshl_add_u32 v1, v77, 3, v76
	v_lshrrev_b32_e32 v60, 6, v1
	v_and_b32_e32 v8, 63, v1
	v_mul_f32_e32 v0, 0x4f7ffffe, v0
	v_cvt_u32_f32_e32 v2, v0
	v_mad_i64_i32 v[0:1], s[8:9], s20, v60, 0
	s_not_b32 s8, s15
	v_readfirstlane_b32 s9, v2
	s_mul_i32 s8, s8, s9
	s_mul_hi_u32 s8, s9, s8
	s_add_i32 s9, s9, s8
	s_mul_hi_u32 s8, s2, s9
	s_mul_i32 s9, s8, s21
	s_sub_i32 s9, s2, s9
	s_add_i32 s15, s8, 1
	s_sub_i32 s23, s9, s21
	s_cmp_ge_u32 s9, s21
	s_cselect_b32 s8, s15, s8
	s_cselect_b32 s9, s23, s9
	s_add_i32 s15, s8, 1
	s_cmp_ge_u32 s9, s21
	s_cselect_b32 s8, s15, s8
	s_mul_i32 s9, s8, s21
	s_lshl_b32 s24, s8, 8
	s_sub_i32 s2, s2, s9
	s_lshl_b32 s2, s2, 6
	v_or_b32_e32 v58, s24, v8
	v_or_b32_e32 v56, s2, v8
	v_mad_i64_i32 v[4:5], s[8:9], s22, v60, 0
	v_ashrrev_i32_e32 v59, 31, v58
	v_ashrrev_i32_e32 v57, 31, v56
	v_lshl_add_u64 v[4:5], v[4:5], 2, s[18:19]
	v_lshlrev_b64 v[6:7], 2, v[58:59]
	v_lshl_add_u64 v[0:1], v[0:1], 2, s[16:17]
	v_lshlrev_b64 v[2:3], 2, v[56:57]
	v_lshl_add_u64 v[4:5], v[4:5], 0, v[6:7]
	v_lshl_add_u64 v[0:1], v[0:1], 0, v[2:3]
	flat_load_dword v9, v[4:5]
	flat_load_dword v10, v[4:5] offset:256
	flat_load_dword v11, v[4:5] offset:512
	;; [unrolled: 1-line block ×3, first 2 shown]
	flat_load_dword v13, v[0:1]
	v_add_u32_e32 v4, 4, v60
	v_lshlrev_b32_e32 v0, 2, v60
	v_lshl_add_u32 v80, v8, 4, v0
	v_mad_i64_i32 v[0:1], s[26:27], s20, v4, 0
	v_mad_i64_i32 v[4:5], s[26:27], s22, v4, 0
	v_lshl_add_u64 v[0:1], v[0:1], 2, s[16:17]
	v_lshl_add_u64 v[4:5], v[4:5], 2, s[18:19]
	;; [unrolled: 1-line block ×4, first 2 shown]
	flat_load_dword v61, v[4:5]
	flat_load_dword v63, v[4:5] offset:256
	flat_load_dword v62, v[4:5] offset:512
	;; [unrolled: 1-line block ×3, first 2 shown]
	flat_load_dword v65, v[0:1]
	s_mov_b32 s8, 0x7f7fffff
	s_cmp_lt_i32 s14, 9
	s_waitcnt vmcnt(0) lgkmcnt(0)
	ds_write2st64_b32 v80, v9, v10 offset1:4
	ds_write2st64_b32 v80, v11, v12 offset0:8 offset1:12
	ds_write_b32 v80, v13 offset:8192
	s_waitcnt lgkmcnt(0)
	s_barrier
	ds_read_b128 v[28:31], v79 offset:8192
	ds_read_b128 v[24:27], v79 offset:8320
	;; [unrolled: 1-line block ×8, first 2 shown]
	ds_read_b128 v[52:55], v78
	ds_read_b128 v[48:51], v78 offset:512
	ds_read_b128 v[44:47], v78 offset:1024
	;; [unrolled: 1-line block ×5, first 2 shown]
	s_waitcnt lgkmcnt(5)
	v_pk_add_f32 v[66:67], v[28:29], v[52:53]
	v_pk_add_f32 v[68:69], v[24:25], v[52:53]
	;; [unrolled: 1-line block ×4, first 2 shown]
	s_waitcnt lgkmcnt(4)
	v_pk_add_f32 v[86:87], v[28:29], v[48:49]
	v_pk_add_f32 v[88:89], v[24:25], v[48:49]
	;; [unrolled: 1-line block ×8, first 2 shown]
	v_min3_f32 v66, v66, v67, s8
	v_min3_f32 v67, v68, v69, s8
	;; [unrolled: 1-line block ×5, first 2 shown]
	s_waitcnt lgkmcnt(3)
	v_pk_add_f32 v[48:49], v[20:21], v[44:45]
	v_pk_add_f32 v[70:71], v[20:21], v[52:53]
	;; [unrolled: 1-line block ×3, first 2 shown]
	v_min3_f32 v73, v88, v89, s8
	v_min3_f32 v89, v48, v49, s8
	v_pk_add_f32 v[48:49], v[16:17], v[44:45]
	v_min3_f32 v68, v70, v71, s8
	v_min3_f32 v70, v74, v75, s8
	;; [unrolled: 1-line block ×4, first 2 shown]
	v_pk_add_f32 v[48:49], v[12:13], v[44:45]
	v_pk_add_f32 v[100:101], v[28:29], v[44:45]
	v_min3_f32 v91, v48, v49, s8
	v_pk_add_f32 v[48:49], v[8:9], v[44:45]
	v_pk_add_f32 v[102:103], v[24:25], v[44:45]
	v_min3_f32 v75, v92, v93, s8
	v_min3_f32 v92, v48, v49, s8
	v_pk_add_f32 v[48:49], v[4:5], v[44:45]
	v_pk_add_f32 v[44:45], v[0:1], v[44:45]
	v_min3_f32 v81, v94, v95, s8
	v_min3_f32 v94, v44, v45, s8
	s_waitcnt lgkmcnt(2)
	v_pk_add_f32 v[44:45], v[28:29], v[40:41]
	v_pk_add_f32 v[82:83], v[8:9], v[52:53]
	v_min3_f32 v95, v44, v45, s8
	v_pk_add_f32 v[44:45], v[24:25], v[40:41]
	v_min3_f32 v71, v82, v83, s8
	v_min3_f32 v82, v96, v97, s8
	;; [unrolled: 1-line block ×3, first 2 shown]
	v_pk_add_f32 v[44:45], v[20:21], v[40:41]
	v_min3_f32 v83, v98, v99, s8
	v_min3_f32 v97, v44, v45, s8
	v_pk_add_f32 v[44:45], v[16:17], v[40:41]
	v_min3_f32 v85, v100, v101, s8
	v_min3_f32 v98, v44, v45, s8
	v_pk_add_f32 v[44:45], v[12:13], v[40:41]
	v_pk_add_f32 v[52:53], v[0:1], v[52:53]
	v_min3_f32 v99, v44, v45, s8
	v_pk_add_f32 v[44:45], v[8:9], v[40:41]
	v_min3_f32 v52, v52, v53, s8
	v_min3_f32 v100, v44, v45, s8
	v_pk_add_f32 v[44:45], v[4:5], v[40:41]
	v_pk_add_f32 v[40:41], v[0:1], v[40:41]
	v_min3_f32 v44, v44, v45, s8
	v_min3_f32 v45, v40, v41, s8
	s_waitcnt lgkmcnt(1)
	v_pk_add_f32 v[40:41], v[28:29], v[36:37]
	v_min3_f32 v53, v86, v87, s8
	v_min3_f32 v101, v40, v41, s8
	v_pk_add_f32 v[40:41], v[24:25], v[36:37]
	v_min3_f32 v86, v102, v103, s8
	v_min3_f32 v102, v40, v41, s8
	;; [unrolled: 3-line block ×3, first 2 shown]
	v_pk_add_f32 v[40:41], v[16:17], v[36:37]
	s_nop 0
	v_min3_f32 v104, v40, v41, s8
	v_pk_add_f32 v[40:41], v[12:13], v[36:37]
	s_nop 0
	v_min3_f32 v105, v40, v41, s8
	;; [unrolled: 3-line block ×3, first 2 shown]
	v_pk_add_f32 v[40:41], v[4:5], v[36:37]
	v_pk_add_f32 v[36:37], v[0:1], v[36:37]
	v_min3_f32 v107, v40, v41, s8
	v_min3_f32 v108, v36, v37, s8
	s_waitcnt lgkmcnt(0)
	v_pk_add_f32 v[36:37], v[28:29], v[32:33]
	v_pk_add_f32 v[40:41], v[4:5], v[32:33]
	v_min3_f32 v109, v36, v37, s8
	v_pk_add_f32 v[36:37], v[24:25], v[32:33]
	v_min3_f32 v40, v40, v41, s8
	v_min3_f32 v110, v36, v37, s8
	v_pk_add_f32 v[36:37], v[20:21], v[32:33]
	s_nop 0
	v_min3_f32 v111, v36, v37, s8
	v_pk_add_f32 v[36:37], v[16:17], v[32:33]
	s_nop 0
	;; [unrolled: 3-line block ×10, first 2 shown]
	v_min3_f32 v66, v36, v37, s8
	v_pk_add_f32 v[36:37], v[8:9], v[32:33]
	v_pk_add_f32 v[32:33], v[0:1], v[32:33]
	v_min3_f32 v67, v36, v37, s8
	v_min3_f32 v41, v32, v33, s8
	v_pk_add_f32 v[32:33], v[30:31], v[50:51]
	v_pk_add_f32 v[36:37], v[2:3], v[54:55]
	v_min3_f32 v148, v32, v33, v53
	v_pk_add_f32 v[32:33], v[26:27], v[50:51]
	v_min3_f32 v147, v36, v37, v52
	v_min3_f32 v145, v32, v33, v73
	v_pk_add_f32 v[32:33], v[22:23], v[50:51]
	ds_read_b128 v[52:55], v78 offset:3584
	v_min3_f32 v146, v32, v33, v74
	v_pk_add_f32 v[32:33], v[18:19], v[50:51]
	s_nop 0
	v_min3_f32 v143, v32, v33, v75
	v_pk_add_f32 v[32:33], v[14:15], v[50:51]
	s_nop 0
	;; [unrolled: 3-line block ×4, first 2 shown]
	v_min3_f32 v142, v32, v33, v83
	v_pk_add_f32 v[32:33], v[2:3], v[50:51]
	ds_read_b128 v[48:51], v78 offset:3072
	v_min3_f32 v139, v32, v33, v84
	v_pk_add_f32 v[32:33], v[30:31], v[46:47]
	ds_write_b32 v80, v65 offset:9216
	ds_write2st64_b32 v80, v61, v63 offset0:16 offset1:20
	ds_write2st64_b32 v80, v62, v64 offset0:24 offset1:28
	v_min3_f32 v140, v32, v33, v85
	v_pk_add_f32 v[32:33], v[26:27], v[46:47]
	s_waitcnt lgkmcnt(3)
	v_pk_add_f32 v[36:37], v[20:21], v[48:49]
	v_min3_f32 v137, v32, v33, v86
	v_pk_add_f32 v[32:33], v[22:23], v[46:47]
	v_pk_add_f32 v[20:21], v[20:21], v[52:53]
	v_min3_f32 v138, v32, v33, v89
	v_pk_add_f32 v[32:33], v[18:19], v[46:47]
	v_min3_f32 v20, v20, v21, s8
	v_min3_f32 v133, v32, v33, v90
	v_pk_add_f32 v[32:33], v[14:15], v[46:47]
	s_waitcnt lgkmcnt(0)
	v_min3_f32 v135, v32, v33, v91
	v_pk_add_f32 v[32:33], v[10:11], v[46:47]
	s_barrier
	v_min3_f32 v129, v32, v33, v92
	v_pk_add_f32 v[32:33], v[6:7], v[46:47]
	s_nop 0
	v_min3_f32 v130, v32, v33, v93
	v_pk_add_f32 v[32:33], v[28:29], v[48:49]
	v_pk_add_f32 v[28:29], v[28:29], v[52:53]
	v_min3_f32 v68, v32, v33, s8
	v_pk_add_f32 v[32:33], v[24:25], v[48:49]
	v_min3_f32 v28, v28, v29, s8
	v_min3_f32 v69, v32, v33, s8
	v_pk_add_f32 v[32:33], v[2:3], v[46:47]
	v_min3_f32 v46, v36, v37, s8
	v_min3_f32 v134, v32, v33, v94
	v_pk_add_f32 v[32:33], v[30:31], v[42:43]
	v_pk_add_f32 v[36:37], v[16:17], v[48:49]
	v_min3_f32 v136, v32, v33, v95
	v_pk_add_f32 v[32:33], v[26:27], v[42:43]
	v_min3_f32 v47, v36, v37, s8
	v_min3_f32 v131, v32, v33, v96
	v_pk_add_f32 v[32:33], v[22:23], v[42:43]
	v_pk_add_f32 v[36:37], v[4:5], v[48:49]
	v_min3_f32 v132, v32, v33, v97
	v_pk_add_f32 v[32:33], v[18:19], v[42:43]
	v_pk_add_f32 v[4:5], v[4:5], v[52:53]
	;; [unrolled: 3-line block ×4, first 2 shown]
	v_min3_f32 v125, v32, v33, v100
	v_pk_add_f32 v[32:33], v[6:7], v[42:43]
	v_min3_f32 v4, v4, v5, s8
	v_min3_f32 v126, v32, v33, v44
	v_pk_add_f32 v[32:33], v[12:13], v[48:49]
	v_min3_f32 v29, v24, v25, s8
	;; [unrolled: 3-line block ×4, first 2 shown]
	v_min3_f32 v123, v32, v33, v45
	v_pk_add_f32 v[32:33], v[30:31], v[38:39]
	v_pk_add_f32 v[36:37], v[0:1], v[48:49]
	v_min3_f32 v124, v32, v33, v101
	v_pk_add_f32 v[32:33], v[26:27], v[38:39]
	v_pk_add_f32 v[0:1], v[0:1], v[52:53]
	v_min3_f32 v121, v32, v33, v102
	v_pk_add_f32 v[32:33], v[22:23], v[38:39]
	v_min3_f32 v5, v0, v1, s8
	v_min3_f32 v122, v32, v33, v103
	v_pk_add_f32 v[32:33], v[18:19], v[38:39]
	v_pk_add_f32 v[0:1], v[30:31], v[54:55]
	v_min3_f32 v119, v32, v33, v104
	v_pk_add_f32 v[32:33], v[14:15], v[38:39]
	v_pk_add_f32 v[16:17], v[30:31], v[50:51]
	v_min3_f32 v120, v32, v33, v105
	v_pk_add_f32 v[32:33], v[10:11], v[38:39]
	v_min3_f32 v100, v0, v1, v28
	v_min3_f32 v117, v32, v33, v106
	v_pk_add_f32 v[32:33], v[6:7], v[38:39]
	v_pk_add_f32 v[0:1], v[26:27], v[54:55]
	v_min3_f32 v118, v32, v33, v107
	v_pk_add_f32 v[32:33], v[2:3], v[38:39]
	v_min3_f32 v96, v0, v1, v29
	;; [unrolled: 6-line block ×3, first 2 shown]
	v_pk_add_f32 v[16:17], v[26:27], v[50:51]
	v_min3_f32 v113, v32, v33, v110
	v_pk_add_f32 v[32:33], v[22:23], v[34:35]
	v_min3_f32 v105, v16, v17, v69
	v_pk_add_f32 v[16:17], v[22:23], v[50:51]
	v_pk_add_f32 v[12:13], v[12:13], v[52:53]
	v_min3_f32 v97, v0, v1, v20
	v_pk_add_f32 v[0:1], v[18:19], v[54:55]
	v_min3_f32 v114, v32, v33, v111
	;; [unrolled: 2-line block ×8, first 2 shown]
	v_min3_f32 v95, v0, v1, v12
	v_pk_add_f32 v[0:1], v[10:11], v[54:55]
	v_min3_f32 v112, v32, v33, v66
	v_pk_add_f32 v[32:33], v[10:11], v[34:35]
	;; [unrolled: 2-line block ×4, first 2 shown]
	v_min3_f32 v36, v36, v37, s8
	v_min3_f32 v108, v32, v33, v67
	v_pk_add_f32 v[32:33], v[6:7], v[34:35]
	v_pk_add_f32 v[24:25], v[2:3], v[34:35]
	v_min3_f32 v101, v16, v17, v70
	v_pk_add_f32 v[16:17], v[6:7], v[50:51]
	v_pk_add_f32 v[8:9], v[2:3], v[50:51]
	v_min3_f32 v93, v0, v1, v4
	v_pk_add_f32 v[0:1], v[2:3], v[54:55]
	v_min3_f32 v110, v32, v33, v40
	v_min3_f32 v107, v24, v25, v41
	;; [unrolled: 1-line block ×5, first 2 shown]
	s_cbranch_scc1 .LBB67_12
; %bb.10:
	v_mov_b32_e32 v0, 0x2400
	v_lshl_add_u32 v85, v76, 4, v0
	v_mov_b32_e32 v0, 0x1000
	v_add_u32_e32 v2, 8, v60
	v_lshl_add_u32 v86, v77, 4, v0
	v_mad_i64_i32 v[0:1], s[8:9], v2, s22, 0
	v_add_u32_e32 v3, 12, v60
	s_add_i32 s25, s14, -8
	v_lshlrev_b64 v[68:69], 2, v[0:1]
	v_mad_i64_i32 v[0:1], s[14:15], v3, s20, 0
	v_lshl_add_u64 v[64:65], v[56:57], 2, s[16:17]
	v_lshlrev_b64 v[70:71], 2, v[0:1]
	v_mad_i64_i32 v[0:1], s[16:17], v3, s22, 0
	s_ashr_i32 s21, s20, 31
	s_ashr_i32 s23, s22, 31
	v_lshlrev_b64 v[72:73], 2, v[0:1]
	v_mad_i64_i32 v[0:1], s[16:17], v2, s20, 0
	v_or_b32_e32 v81, 0x2000, v80
	v_add_u32_e32 v82, 0x2000, v79
	v_add_u32_e32 v83, 0x2400, v80
	v_or_b32_e32 v84, 0x1000, v80
	v_lshl_add_u64 v[66:67], v[58:59], 2, s[18:19]
	s_lshl_b64 s[8:9], s[22:23], 5
	s_lshl_b64 s[14:15], s[20:21], 5
	v_lshlrev_b64 v[74:75], 2, v[0:1]
	s_mov_b32 s16, 0
.LBB67_11:                              ; =>This Inner Loop Header: Depth=1
	v_lshl_add_u64 v[0:1], v[64:65], 0, v[74:75]
	flat_load_dword v155, v[0:1]
	v_lshl_add_u64 v[0:1], v[66:67], 0, v[68:69]
	flat_load_dword v89, v[0:1]
	flat_load_dword v90, v[0:1] offset:256
	flat_load_dword v91, v[0:1] offset:512
	;; [unrolled: 1-line block ×3, first 2 shown]
	ds_read_b128 v[28:31], v85
	ds_read_b128 v[24:27], v85 offset:128
	ds_read_b128 v[20:23], v85 offset:256
	;; [unrolled: 1-line block ×7, first 2 shown]
	ds_read_b128 v[60:63], v86
	ds_read_b128 v[56:59], v86 offset:512
	ds_read_b128 v[52:55], v86 offset:1024
	;; [unrolled: 1-line block ×7, first 2 shown]
	s_waitcnt lgkmcnt(0)
	v_pk_add_f32 v[156:157], v[28:29], v[60:61]
	s_add_i32 s16, s16, 8
	v_min3_f32 v88, v156, v157, v88
	v_pk_add_f32 v[156:157], v[24:25], v[60:61]
	s_cmp_ge_i32 s16, s25
	v_min3_f32 v158, v156, v157, v152
	v_pk_add_f32 v[156:157], v[20:21], v[60:61]
	s_waitcnt vmcnt(0)
	ds_write_b32 v81, v155
	ds_write2st64_b32 v80, v89, v90 offset1:4
	ds_write2st64_b32 v80, v91, v154 offset0:8 offset1:12
	v_min3_f32 v156, v156, v157, v153
	v_pk_add_f32 v[152:153], v[16:17], v[60:61]
	s_waitcnt lgkmcnt(0)
	v_min3_f32 v157, v152, v153, v150
	v_pk_add_f32 v[152:153], v[12:13], v[60:61]
	s_barrier
	v_min3_f32 v152, v152, v153, v151
	v_pk_add_f32 v[150:151], v[8:9], v[60:61]
	s_nop 0
	v_min3_f32 v149, v150, v151, v149
	v_pk_add_f32 v[150:151], v[4:5], v[60:61]
	v_pk_add_f32 v[60:61], v[0:1], v[60:61]
	v_min3_f32 v150, v150, v151, v87
	v_min3_f32 v147, v60, v61, v147
	v_pk_add_f32 v[60:61], v[28:29], v[56:57]
	s_nop 0
	v_min3_f32 v148, v60, v61, v148
	v_pk_add_f32 v[60:61], v[24:25], v[56:57]
	s_nop 0
	v_min3_f32 v151, v60, v61, v145
	v_pk_add_f32 v[60:61], v[20:21], v[56:57]
	s_nop 0
	v_min3_f32 v153, v60, v61, v146
	v_pk_add_f32 v[60:61], v[16:17], v[56:57]
	s_nop 0
	v_min3_f32 v159, v60, v61, v143
	v_pk_add_f32 v[60:61], v[12:13], v[56:57]
	s_nop 0
	v_min3_f32 v146, v60, v61, v144
	v_pk_add_f32 v[60:61], v[8:9], v[56:57]
	s_nop 0
	v_min3_f32 v145, v60, v61, v141
	v_pk_add_f32 v[60:61], v[4:5], v[56:57]
	v_pk_add_f32 v[56:57], v[0:1], v[56:57]
	v_min3_f32 v144, v60, v61, v142
	v_min3_f32 v143, v56, v57, v139
	v_pk_add_f32 v[56:57], v[28:29], v[52:53]
	s_nop 0
	v_min3_f32 v142, v56, v57, v140
	v_pk_add_f32 v[56:57], v[24:25], v[52:53]
	s_nop 0
	v_min3_f32 v141, v56, v57, v137
	v_pk_add_f32 v[56:57], v[20:21], v[52:53]
	s_nop 0
	v_min3_f32 v140, v56, v57, v138
	v_pk_add_f32 v[56:57], v[16:17], v[52:53]
	s_nop 0
	v_min3_f32 v139, v56, v57, v133
	v_pk_add_f32 v[56:57], v[12:13], v[52:53]
	s_nop 0
	;; [unrolled: 22-line block ×5, first 2 shown]
	v_min3_f32 v60, v44, v45, v112
	v_pk_add_f32 v[44:45], v[8:9], v[40:41]
	s_nop 0
	v_min3_f32 v57, v44, v45, v108
	v_pk_add_f32 v[44:45], v[4:5], v[40:41]
	v_pk_add_f32 v[40:41], v[0:1], v[40:41]
	v_min3_f32 v56, v44, v45, v110
	v_min3_f32 v53, v40, v41, v107
	v_pk_add_f32 v[40:41], v[28:29], v[36:37]
	v_pk_add_f32 v[28:29], v[28:29], v[32:33]
	v_min3_f32 v52, v40, v41, v109
	v_pk_add_f32 v[40:41], v[24:25], v[36:37]
	v_pk_add_f32 v[24:25], v[24:25], v[32:33]
	;; [unrolled: 3-line block ×6, first 2 shown]
	v_pk_add_f32 v[36:37], v[0:1], v[36:37]
	v_pk_add_f32 v[8:9], v[8:9], v[32:33]
	;; [unrolled: 1-line block ×5, first 2 shown]
	v_min3_f32 v0, v0, v1, v98
	v_min3_f32 v98, v32, v33, v88
	v_pk_add_f32 v[32:33], v[26:27], v[62:63]
	v_min3_f32 v20, v20, v21, v97
	v_min3_f32 v97, v32, v33, v158
	v_pk_add_f32 v[32:33], v[22:23], v[62:63]
	;; [unrolled: 3-line block ×11, first 2 shown]
	s_nop 0
	v_min3_f32 v102, v32, v33, v159
	v_pk_add_f32 v[32:33], v[14:15], v[58:59]
	s_nop 0
	v_min3_f32 v103, v32, v33, v146
	v_pk_add_f32 v[32:33], v[10:11], v[58:59]
	;; [unrolled: 3-line block ×37, first 2 shown]
	v_pk_add_f32 v[30:31], v[30:31], v[34:35]
	v_min3_f32 v152, v32, v33, v52
	v_pk_add_f32 v[32:33], v[26:27], v[38:39]
	v_pk_add_f32 v[26:27], v[26:27], v[34:35]
	v_min3_f32 v153, v32, v33, v49
	v_pk_add_f32 v[32:33], v[22:23], v[38:39]
	;; [unrolled: 3-line block ×7, first 2 shown]
	v_pk_add_f32 v[2:3], v[2:3], v[34:35]
	v_min3_f32 v161, v32, v33, v36
	v_min3_f32 v169, v2, v3, v0
	v_lshl_add_u64 v[0:1], v[64:65], 0, v[70:71]
	flat_load_dword v89, v[0:1]
	v_lshl_add_u64 v[0:1], v[66:67], 0, v[72:73]
	v_min3_f32 v162, v30, v31, v28
	v_min3_f32 v163, v26, v27, v24
	;; [unrolled: 1-line block ×7, first 2 shown]
	flat_load_dword v90, v[0:1]
	flat_load_dword v91, v[0:1] offset:256
	flat_load_dword v154, v[0:1] offset:512
	;; [unrolled: 1-line block ×3, first 2 shown]
	ds_read_b128 v[28:31], v82
	ds_read_b128 v[24:27], v82 offset:128
	ds_read_b128 v[20:23], v82 offset:256
	;; [unrolled: 1-line block ×7, first 2 shown]
	ds_read_b128 v[60:63], v78
	ds_read_b128 v[56:59], v78 offset:512
	ds_read_b128 v[52:55], v78 offset:1024
	;; [unrolled: 1-line block ×7, first 2 shown]
	s_waitcnt lgkmcnt(0)
	v_pk_add_f32 v[118:119], v[28:29], v[60:61]
	v_lshl_add_u64 v[66:67], v[66:67], 0, s[8:9]
	v_min3_f32 v170, v118, v119, v98
	v_pk_add_f32 v[118:119], v[24:25], v[60:61]
	v_lshl_add_u64 v[64:65], v[64:65], 0, s[14:15]
	v_min3_f32 v171, v118, v119, v97
	v_pk_add_f32 v[118:119], v[20:21], v[60:61]
	s_waitcnt vmcnt(0)
	ds_write_b32 v83, v89
	ds_write2st64_b32 v84, v90, v91 offset1:4
	ds_write2st64_b32 v84, v154, v155 offset0:8 offset1:12
	v_min3_f32 v172, v118, v119, v96
	v_pk_add_f32 v[96:97], v[16:17], v[60:61]
	s_waitcnt lgkmcnt(0)
	v_min3_f32 v173, v96, v97, v95
	v_pk_add_f32 v[96:97], v[12:13], v[60:61]
	s_barrier
	v_min3_f32 v174, v96, v97, v94
	v_pk_add_f32 v[94:95], v[8:9], v[60:61]
	s_nop 0
	v_min3_f32 v175, v94, v95, v93
	v_pk_add_f32 v[94:95], v[4:5], v[60:61]
	v_pk_add_f32 v[60:61], v[0:1], v[60:61]
	v_min3_f32 v176, v94, v95, v92
	v_min3_f32 v177, v60, v61, v88
	v_pk_add_f32 v[60:61], v[28:29], v[56:57]
	s_nop 0
	v_min3_f32 v142, v60, v61, v99
	v_pk_add_f32 v[60:61], v[24:25], v[56:57]
	s_nop 0
	v_min3_f32 v140, v60, v61, v100
	v_pk_add_f32 v[60:61], v[20:21], v[56:57]
	s_nop 0
	v_min3_f32 v138, v60, v61, v101
	v_pk_add_f32 v[60:61], v[16:17], v[56:57]
	s_nop 0
	v_min3_f32 v136, v60, v61, v102
	v_pk_add_f32 v[60:61], v[12:13], v[56:57]
	s_nop 0
	v_min3_f32 v134, v60, v61, v103
	v_pk_add_f32 v[60:61], v[8:9], v[56:57]
	s_nop 0
	v_min3_f32 v123, v60, v61, v104
	v_pk_add_f32 v[60:61], v[4:5], v[56:57]
	v_pk_add_f32 v[56:57], v[0:1], v[56:57]
	v_min3_f32 v122, v60, v61, v105
	v_min3_f32 v121, v56, v57, v106
	v_pk_add_f32 v[56:57], v[28:29], v[52:53]
	s_nop 0
	v_min3_f32 v120, v56, v57, v107
	v_pk_add_f32 v[56:57], v[24:25], v[52:53]
	s_nop 0
	v_min3_f32 v119, v56, v57, v108
	v_pk_add_f32 v[56:57], v[20:21], v[52:53]
	s_nop 0
	v_min3_f32 v118, v56, v57, v109
	v_pk_add_f32 v[56:57], v[16:17], v[52:53]
	s_nop 0
	v_min3_f32 v117, v56, v57, v110
	v_pk_add_f32 v[56:57], v[12:13], v[52:53]
	s_nop 0
	;; [unrolled: 22-line block ×3, first 2 shown]
	v_min3_f32 v106, v52, v53, v128
	v_pk_add_f32 v[52:53], v[8:9], v[48:49]
	s_nop 0
	v_min3_f32 v105, v52, v53, v127
	v_pk_add_f32 v[52:53], v[4:5], v[48:49]
	v_pk_add_f32 v[48:49], v[0:1], v[48:49]
	v_min3_f32 v104, v52, v53, v126
	v_min3_f32 v103, v48, v49, v125
	v_pk_add_f32 v[48:49], v[28:29], v[44:45]
	s_nop 0
	v_min3_f32 v102, v48, v49, v124
	v_pk_add_f32 v[48:49], v[24:25], v[44:45]
	v_pk_add_f32 v[124:125], v[4:5], v[36:37]
	v_min3_f32 v101, v48, v49, v133
	v_pk_add_f32 v[48:49], v[20:21], v[44:45]
	s_nop 0
	v_min3_f32 v100, v48, v49, v135
	v_pk_add_f32 v[48:49], v[16:17], v[44:45]
	s_nop 0
	;; [unrolled: 3-line block ×4, first 2 shown]
	v_min3_f32 v97, v48, v49, v141
	v_pk_add_f32 v[48:49], v[4:5], v[44:45]
	v_pk_add_f32 v[44:45], v[0:1], v[44:45]
	v_min3_f32 v96, v48, v49, v143
	v_min3_f32 v95, v44, v45, v144
	v_pk_add_f32 v[44:45], v[28:29], v[40:41]
	s_nop 0
	v_min3_f32 v94, v44, v45, v145
	v_pk_add_f32 v[44:45], v[24:25], v[40:41]
	s_nop 0
	v_min3_f32 v93, v44, v45, v146
	v_pk_add_f32 v[44:45], v[20:21], v[40:41]
	s_nop 0
	v_min3_f32 v92, v44, v45, v87
	v_pk_add_f32 v[44:45], v[16:17], v[40:41]
	s_nop 0
	v_min3_f32 v61, v44, v45, v147
	v_pk_add_f32 v[44:45], v[12:13], v[40:41]
	s_nop 0
	v_min3_f32 v60, v44, v45, v148
	v_pk_add_f32 v[44:45], v[8:9], v[40:41]
	s_nop 0
	v_min3_f32 v57, v44, v45, v149
	v_pk_add_f32 v[44:45], v[4:5], v[40:41]
	v_pk_add_f32 v[40:41], v[0:1], v[40:41]
	v_min3_f32 v56, v44, v45, v150
	v_min3_f32 v53, v40, v41, v151
	v_pk_add_f32 v[40:41], v[28:29], v[36:37]
	v_pk_add_f32 v[28:29], v[28:29], v[32:33]
	v_min3_f32 v52, v40, v41, v152
	v_pk_add_f32 v[40:41], v[24:25], v[36:37]
	v_pk_add_f32 v[24:25], v[24:25], v[32:33]
	;; [unrolled: 3-line block ×6, first 2 shown]
	v_pk_add_f32 v[8:9], v[8:9], v[32:33]
	v_pk_add_f32 v[4:5], v[4:5], v[32:33]
	;; [unrolled: 1-line block ×4, first 2 shown]
	v_min3_f32 v41, v40, v41, v159
	v_min3_f32 v88, v32, v33, v170
	v_pk_add_f32 v[32:33], v[26:27], v[62:63]
	v_min3_f32 v40, v124, v125, v160
	v_min3_f32 v152, v32, v33, v171
	v_pk_add_f32 v[32:33], v[22:23], v[62:63]
	;; [unrolled: 3-line block ×11, first 2 shown]
	s_nop 0
	v_min3_f32 v143, v32, v33, v136
	v_pk_add_f32 v[32:33], v[14:15], v[58:59]
	s_nop 0
	v_min3_f32 v144, v32, v33, v134
	v_pk_add_f32 v[32:33], v[10:11], v[58:59]
	;; [unrolled: 3-line block ×37, first 2 shown]
	v_pk_add_f32 v[30:31], v[30:31], v[34:35]
	v_min3_f32 v109, v32, v33, v52
	v_pk_add_f32 v[32:33], v[26:27], v[38:39]
	v_pk_add_f32 v[26:27], v[26:27], v[34:35]
	v_min3_f32 v105, v32, v33, v49
	v_pk_add_f32 v[32:33], v[22:23], v[38:39]
	;; [unrolled: 3-line block ×7, first 2 shown]
	v_pk_add_f32 v[2:3], v[2:3], v[34:35]
	v_min3_f32 v99, v32, v33, v36
	v_min3_f32 v100, v30, v31, v28
	;; [unrolled: 1-line block ×9, first 2 shown]
	s_cbranch_scc0 .LBB67_11
.LBB67_12:
	s_load_dwordx2 s[14:15], s[0:1], 0x70
	s_load_dword s8, s[0:1], 0x50
	s_load_dword s9, s[0:1], 0x68
	ds_read_b128 v[32:35], v79 offset:9216
	ds_read_b128 v[60:63], v78 offset:4096
	v_add_u32_e32 v68, s2, v76
	s_waitcnt lgkmcnt(0)
	s_mul_i32 s0, s3, s15
	s_mul_hi_u32 s1, s3, s14
	s_mul_i32 s13, s13, s14
	s_add_i32 s0, s1, s0
	s_add_i32 s1, s0, s13
	s_mul_i32 s0, s3, s14
	s_lshl_b64 s[0:1], s[0:1], 2
	v_pk_add_f32 v[0:1], v[32:33], v[60:61]
	s_add_u32 s0, s10, s0
	v_min3_f32 v2, v0, v1, v88
	v_pk_add_f32 v[0:1], v[34:35], v[62:63]
	v_add_u32_e32 v154, s24, v77
	s_addc_u32 s1, s11, s1
	v_min3_f32 v2, v0, v1, v2
	v_add_u32_e32 v64, 8, v68
	v_mad_i64_i32 v[0:1], s[2:3], v154, s9, 0
	v_ashrrev_i32_e32 v69, 31, v68
	v_ashrrev_i32_e32 v65, 31, v64
	v_lshl_add_u64 v[88:89], v[0:1], 2, s[0:1]
	v_mad_i64_i32 v[0:1], s[2:3], v154, s8, 0
	v_max_f32_e32 v2, v2, v2
	s_mov_b64 vcc, s[4:5]
	s_cbranch_vccz .LBB67_14
; %bb.13:
	v_min_f32_e32 v3, 0, v2
	v_lshl_add_u64 v[4:5], v[68:69], 2, v[88:89]
	s_mov_b32 s10, 0
	global_store_dword v[4:5], v3, off
	s_mov_b64 s[2:3], 0
	s_branch .LBB67_15
.LBB67_14:
	s_mov_b64 s[2:3], -1
                                        ; implicit-def: $sgpr10
.LBB67_15:
	ds_read_b128 v[28:31], v79 offset:9344
	ds_read_b128 v[24:27], v79 offset:9472
	v_lshl_add_u64 v[90:91], v[0:1], 2, s[6:7]
	s_andn2_b64 vcc, exec, s[2:3]
	v_lshlrev_b64 v[72:73], 2, v[68:69]
	s_cbranch_vccnz .LBB67_17
; %bb.16:
	v_lshl_add_u64 v[0:1], v[90:91], 0, v[72:73]
	flat_load_dword v3, v[0:1]
	v_lshl_add_u64 v[0:1], v[88:89], 0, v[72:73]
	s_waitcnt vmcnt(0) lgkmcnt(0)
	v_mul_f32_e32 v3, s12, v3
	v_min_f32_e32 v2, v3, v2
	global_store_dword v[0:1], v2, off
	v_lshl_add_u64 v[0:1], v[64:65], 2, v[90:91]
	flat_load_dword v0, v[0:1]
	s_waitcnt vmcnt(0) lgkmcnt(0)
	v_mul_f32_e32 v70, s12, v0
	s_branch .LBB67_18
.LBB67_17:
	v_mov_b32_e32 v70, s10
.LBB67_18:
	ds_read_b128 v[16:19], v79 offset:9728
	ds_read_b128 v[12:15], v79 offset:9856
	;; [unrolled: 1-line block ×12, first 2 shown]
	s_waitcnt lgkmcnt(13)
	v_pk_add_f32 v[66:67], v[28:29], v[60:61]
	s_mov_b64 vcc, s[4:5]
	v_min3_f32 v71, v66, v67, v152
	s_waitcnt lgkmcnt(12)
	v_pk_add_f32 v[66:67], v[24:25], v[60:61]
	s_nop 0
	v_min3_f32 v74, v66, v67, v153
	v_pk_add_f32 v[66:67], v[30:31], v[62:63]
	s_nop 0
	v_min_f32_e32 v76, v66, v67
	v_pk_add_f32 v[66:67], v[26:27], v[62:63]
	v_min3_f32 v76, v70, v76, v71
	v_min3_f32 v77, v66, v67, v74
	v_add_u32_e32 v74, 16, v68
	v_add_u32_e32 v66, 24, v68
	v_lshl_add_u64 v[70:71], v[64:65], 2, v[88:89]
	v_ashrrev_i32_e32 v75, 31, v74
	v_ashrrev_i32_e32 v67, 31, v66
	global_store_dword v[70:71], v76, off
	v_max_f32_e32 v70, v77, v77
	s_cbranch_vccz .LBB67_21
; %bb.19:
	v_min_f32_e32 v71, 0, v70
	v_lshl_add_u64 v[76:77], v[74:75], 2, v[88:89]
	s_mov_b32 s10, 0
	global_store_dword v[76:77], v71, off
	v_lshlrev_b64 v[78:79], 2, v[74:75]
	s_cbranch_execz .LBB67_22
; %bb.20:
	v_mov_b32_e32 v76, s10
	s_branch .LBB67_23
.LBB67_21:
                                        ; implicit-def: $sgpr10
	v_lshlrev_b64 v[78:79], 2, v[74:75]
.LBB67_22:
	v_lshl_add_u64 v[76:77], v[90:91], 0, v[78:79]
	flat_load_dword v71, v[76:77]
	v_lshl_add_u64 v[76:77], v[88:89], 0, v[78:79]
	s_waitcnt vmcnt(0) lgkmcnt(0)
	v_mul_f32_e32 v71, s12, v71
	v_min_f32_e32 v70, v71, v70
	global_store_dword v[76:77], v70, off
	v_lshl_add_u64 v[70:71], v[66:67], 2, v[90:91]
	flat_load_dword v70, v[70:71]
	s_waitcnt vmcnt(0) lgkmcnt(0)
	v_mul_f32_e32 v76, s12, v70
.LBB67_23:
	s_waitcnt lgkmcnt(1)
	v_pk_add_f32 v[70:71], v[20:21], v[60:61]
	s_mov_b64 vcc, s[4:5]
	v_min3_f32 v77, v70, v71, v150
	v_pk_add_f32 v[70:71], v[16:17], v[60:61]
	s_nop 0
	v_min3_f32 v80, v70, v71, v151
	v_pk_add_f32 v[70:71], v[22:23], v[62:63]
	s_nop 0
	v_min_f32_e32 v82, v70, v71
	v_pk_add_f32 v[70:71], v[18:19], v[62:63]
	v_min3_f32 v82, v76, v82, v77
	v_min3_f32 v83, v70, v71, v80
	v_add_u32_e32 v80, 32, v68
	v_add_u32_e32 v70, 40, v68
	v_lshl_add_u64 v[76:77], v[66:67], 2, v[88:89]
	v_ashrrev_i32_e32 v81, 31, v80
	v_ashrrev_i32_e32 v71, 31, v70
	global_store_dword v[76:77], v82, off
	v_max_f32_e32 v76, v83, v83
	s_cbranch_vccz .LBB67_26
; %bb.24:
	v_min_f32_e32 v77, 0, v76
	v_lshl_add_u64 v[82:83], v[80:81], 2, v[88:89]
	s_mov_b32 s10, 0
	global_store_dword v[82:83], v77, off
	v_lshlrev_b64 v[82:83], 2, v[80:81]
	s_cbranch_execz .LBB67_27
; %bb.25:
	v_mov_b32_e32 v86, s10
	s_branch .LBB67_28
.LBB67_26:
                                        ; implicit-def: $sgpr10
	v_lshlrev_b64 v[82:83], 2, v[80:81]
.LBB67_27:
	v_lshl_add_u64 v[84:85], v[90:91], 0, v[82:83]
	flat_load_dword v77, v[84:85]
	v_lshl_add_u64 v[84:85], v[88:89], 0, v[82:83]
	s_waitcnt vmcnt(0) lgkmcnt(0)
	v_mul_f32_e32 v77, s12, v77
	v_min_f32_e32 v76, v77, v76
	global_store_dword v[84:85], v76, off
	v_lshl_add_u64 v[76:77], v[70:71], 2, v[90:91]
	flat_load_dword v76, v[76:77]
	s_waitcnt vmcnt(0) lgkmcnt(0)
	v_mul_f32_e32 v86, s12, v76
.LBB67_28:
	v_pk_add_f32 v[76:77], v[12:13], v[60:61]
	s_mov_b64 vcc, s[4:5]
	v_min3_f32 v149, v76, v77, v149
	v_pk_add_f32 v[76:77], v[8:9], v[60:61]
	s_nop 0
	v_min3_f32 v84, v76, v77, v87
	v_pk_add_f32 v[76:77], v[14:15], v[62:63]
	s_nop 0
	v_min_f32_e32 v87, v76, v77
	v_pk_add_f32 v[76:77], v[10:11], v[62:63]
	v_min3_f32 v149, v86, v87, v149
	v_min3_f32 v150, v76, v77, v84
	v_add_u32_e32 v84, 48, v68
	v_add_u32_e32 v76, 56, v68
	v_lshl_add_u64 v[86:87], v[70:71], 2, v[88:89]
	v_ashrrev_i32_e32 v85, 31, v84
	v_ashrrev_i32_e32 v77, 31, v76
	global_store_dword v[86:87], v149, off
	v_max_f32_e32 v149, v150, v150
	s_cbranch_vccz .LBB67_31
; %bb.29:
	v_min_f32_e32 v150, 0, v149
	v_lshl_add_u64 v[86:87], v[84:85], 2, v[88:89]
	s_mov_b32 s10, 0
	global_store_dword v[86:87], v150, off
	v_lshlrev_b64 v[86:87], 2, v[84:85]
	s_cbranch_execz .LBB67_32
; %bb.30:
	v_mov_b32_e32 v90, s10
	s_branch .LBB67_33
.LBB67_31:
                                        ; implicit-def: $sgpr10
	v_lshlrev_b64 v[86:87], 2, v[84:85]
.LBB67_32:
	v_lshl_add_u64 v[150:151], v[90:91], 0, v[86:87]
	flat_load_dword v152, v[150:151]
	v_lshl_add_u64 v[150:151], v[88:89], 0, v[86:87]
	v_lshl_add_u64 v[90:91], v[76:77], 2, v[90:91]
	s_waitcnt vmcnt(0) lgkmcnt(0)
	v_mul_f32_e32 v152, s12, v152
	v_min_f32_e32 v149, v152, v149
	global_store_dword v[150:151], v149, off
	flat_load_dword v90, v[90:91]
	s_waitcnt vmcnt(0) lgkmcnt(0)
	v_mul_f32_e32 v90, s12, v90
.LBB67_33:
	v_pk_add_f32 v[60:61], v[0:1], v[60:61]
	s_mov_b64 vcc, s[4:5]
	v_min3_f32 v91, v60, v61, v147
	v_pk_add_f32 v[60:61], v[32:33], v[56:57]
	s_nop 0
	v_min3_f32 v147, v60, v61, v148
	v_pk_add_f32 v[60:61], v[2:3], v[62:63]
	s_nop 0
	v_min_f32_e32 v62, v60, v61
	v_pk_add_f32 v[60:61], v[34:35], v[58:59]
	v_min3_f32 v62, v90, v62, v91
	v_min3_f32 v147, v60, v61, v147
	v_lshl_add_u64 v[60:61], v[76:77], 2, v[88:89]
	global_store_dword v[60:61], v62, off
	v_add_u32_e32 v62, 32, v154
	v_mad_i64_i32 v[60:61], s[2:3], v62, s9, 0
	v_lshl_add_u64 v[60:61], v[60:61], 2, s[0:1]
	v_mad_i64_i32 v[62:63], s[2:3], v62, s8, 0
	v_max_f32_e32 v88, v147, v147
	s_cbranch_vccz .LBB67_36
; %bb.34:
	v_min_f32_e32 v89, 0, v88
	v_lshl_add_u64 v[90:91], v[68:69], 2, v[60:61]
	s_mov_b32 s10, 0
	global_store_dword v[90:91], v89, off
	v_lshl_add_u64 v[62:63], v[62:63], 2, s[6:7]
	s_cbranch_execz .LBB67_37
; %bb.35:
	v_mov_b32_e32 v88, s10
	s_branch .LBB67_38
.LBB67_36:
                                        ; implicit-def: $sgpr10
	v_lshl_add_u64 v[62:63], v[62:63], 2, s[6:7]
.LBB67_37:
	v_lshl_add_u64 v[90:91], v[62:63], 0, v[72:73]
	flat_load_dword v89, v[90:91]
	v_lshl_add_u64 v[90:91], v[60:61], 0, v[72:73]
	s_waitcnt vmcnt(0) lgkmcnt(0)
	v_mul_f32_e32 v89, s12, v89
	v_min_f32_e32 v88, v89, v88
	global_store_dword v[90:91], v88, off
	v_lshl_add_u64 v[88:89], v[64:65], 2, v[62:63]
	flat_load_dword v88, v[88:89]
	s_waitcnt vmcnt(0) lgkmcnt(0)
	v_mul_f32_e32 v88, s12, v88
.LBB67_38:
	v_pk_add_f32 v[90:91], v[28:29], v[56:57]
	s_mov_b64 vcc, s[4:5]
	v_min3_f32 v89, v90, v91, v145
	v_pk_add_f32 v[90:91], v[24:25], v[56:57]
	s_nop 0
	v_min3_f32 v145, v90, v91, v146
	v_pk_add_f32 v[90:91], v[30:31], v[58:59]
	s_nop 0
	v_min_f32_e32 v146, v90, v91
	v_pk_add_f32 v[90:91], v[26:27], v[58:59]
	s_nop 0
	v_min3_f32 v90, v90, v91, v145
	v_min3_f32 v91, v88, v146, v89
	v_lshl_add_u64 v[88:89], v[64:65], 2, v[60:61]
	global_store_dword v[88:89], v91, off
	v_max_f32_e32 v88, v90, v90
	s_cbranch_vccz .LBB67_41
; %bb.39:
	v_min_f32_e32 v89, 0, v88
	v_lshl_add_u64 v[90:91], v[74:75], 2, v[60:61]
	s_mov_b32 s10, 0
	global_store_dword v[90:91], v89, off
	s_cbranch_execz .LBB67_42
; %bb.40:
	v_mov_b32_e32 v88, s10
	s_branch .LBB67_43
.LBB67_41:
                                        ; implicit-def: $sgpr10
.LBB67_42:
	v_lshl_add_u64 v[90:91], v[62:63], 0, v[78:79]
	flat_load_dword v89, v[90:91]
	v_lshl_add_u64 v[90:91], v[60:61], 0, v[78:79]
	s_waitcnt vmcnt(0) lgkmcnt(0)
	v_mul_f32_e32 v89, s12, v89
	v_min_f32_e32 v88, v89, v88
	global_store_dword v[90:91], v88, off
	v_lshl_add_u64 v[88:89], v[66:67], 2, v[62:63]
	flat_load_dword v88, v[88:89]
	s_waitcnt vmcnt(0) lgkmcnt(0)
	v_mul_f32_e32 v88, s12, v88
.LBB67_43:
	v_pk_add_f32 v[90:91], v[20:21], v[56:57]
	s_mov_b64 vcc, s[4:5]
	v_min3_f32 v89, v90, v91, v143
	v_pk_add_f32 v[90:91], v[16:17], v[56:57]
	s_nop 0
	v_min3_f32 v143, v90, v91, v144
	v_pk_add_f32 v[90:91], v[22:23], v[58:59]
	s_nop 0
	v_min_f32_e32 v144, v90, v91
	v_pk_add_f32 v[90:91], v[18:19], v[58:59]
	s_nop 0
	v_min3_f32 v90, v90, v91, v143
	v_min3_f32 v91, v88, v144, v89
	v_lshl_add_u64 v[88:89], v[66:67], 2, v[60:61]
	global_store_dword v[88:89], v91, off
	v_max_f32_e32 v88, v90, v90
	s_cbranch_vccz .LBB67_46
; %bb.44:
	v_min_f32_e32 v89, 0, v88
	v_lshl_add_u64 v[90:91], v[80:81], 2, v[60:61]
	s_mov_b32 s10, 0
	global_store_dword v[90:91], v89, off
	s_cbranch_execz .LBB67_47
; %bb.45:
	v_mov_b32_e32 v88, s10
	s_branch .LBB67_48
.LBB67_46:
                                        ; implicit-def: $sgpr10
.LBB67_47:
	v_lshl_add_u64 v[90:91], v[62:63], 0, v[82:83]
	flat_load_dword v89, v[90:91]
	v_lshl_add_u64 v[90:91], v[60:61], 0, v[82:83]
	s_waitcnt vmcnt(0) lgkmcnt(0)
	v_mul_f32_e32 v89, s12, v89
	v_min_f32_e32 v88, v89, v88
	global_store_dword v[90:91], v88, off
	v_lshl_add_u64 v[88:89], v[70:71], 2, v[62:63]
	flat_load_dword v88, v[88:89]
	s_waitcnt vmcnt(0) lgkmcnt(0)
	v_mul_f32_e32 v88, s12, v88
.LBB67_48:
	v_pk_add_f32 v[90:91], v[12:13], v[56:57]
	s_mov_b64 vcc, s[4:5]
	v_min3_f32 v89, v90, v91, v141
	v_pk_add_f32 v[90:91], v[8:9], v[56:57]
	s_nop 0
	v_min3_f32 v141, v90, v91, v142
	v_pk_add_f32 v[90:91], v[14:15], v[58:59]
	s_nop 0
	v_min_f32_e32 v142, v90, v91
	v_pk_add_f32 v[90:91], v[10:11], v[58:59]
	s_nop 0
	v_min3_f32 v90, v90, v91, v141
	v_min3_f32 v91, v88, v142, v89
	v_lshl_add_u64 v[88:89], v[70:71], 2, v[60:61]
	global_store_dword v[88:89], v91, off
	v_max_f32_e32 v88, v90, v90
	s_cbranch_vccz .LBB67_51
; %bb.49:
	v_min_f32_e32 v89, 0, v88
	v_lshl_add_u64 v[90:91], v[84:85], 2, v[60:61]
	s_mov_b32 s10, 0
	global_store_dword v[90:91], v89, off
	s_cbranch_execz .LBB67_52
; %bb.50:
	v_mov_b32_e32 v62, s10
	s_branch .LBB67_53
.LBB67_51:
                                        ; implicit-def: $sgpr10
.LBB67_52:
	v_lshl_add_u64 v[90:91], v[62:63], 0, v[86:87]
	flat_load_dword v89, v[90:91]
	v_lshl_add_u64 v[90:91], v[60:61], 0, v[86:87]
	v_lshl_add_u64 v[62:63], v[76:77], 2, v[62:63]
	s_waitcnt vmcnt(0) lgkmcnt(0)
	v_mul_f32_e32 v89, s12, v89
	v_min_f32_e32 v88, v89, v88
	global_store_dword v[90:91], v88, off
	flat_load_dword v62, v[62:63]
	s_waitcnt vmcnt(0) lgkmcnt(0)
	v_mul_f32_e32 v62, s12, v62
.LBB67_53:
	v_pk_add_f32 v[56:57], v[0:1], v[56:57]
	s_mov_b64 vcc, s[4:5]
	v_min3_f32 v63, v56, v57, v139
	v_pk_add_f32 v[56:57], v[32:33], v[52:53]
	s_nop 0
	v_min3_f32 v88, v56, v57, v140
	v_pk_add_f32 v[56:57], v[2:3], v[58:59]
	s_nop 0
	v_min_f32_e32 v58, v56, v57
	v_pk_add_f32 v[56:57], v[34:35], v[54:55]
	v_min3_f32 v58, v62, v58, v63
	v_min3_f32 v88, v56, v57, v88
	v_lshl_add_u64 v[56:57], v[76:77], 2, v[60:61]
	global_store_dword v[56:57], v58, off
	v_add_u32_e32 v58, 64, v154
	v_mad_i64_i32 v[56:57], s[2:3], v58, s9, 0
	v_lshl_add_u64 v[56:57], v[56:57], 2, s[0:1]
	v_mad_i64_i32 v[58:59], s[2:3], v58, s8, 0
	v_max_f32_e32 v60, v88, v88
	s_cbranch_vccz .LBB67_56
; %bb.54:
	v_min_f32_e32 v61, 0, v60
	v_lshl_add_u64 v[62:63], v[68:69], 2, v[56:57]
	s_mov_b32 s10, 0
	global_store_dword v[62:63], v61, off
	v_lshl_add_u64 v[58:59], v[58:59], 2, s[6:7]
	s_cbranch_execz .LBB67_57
; %bb.55:
	v_mov_b32_e32 v60, s10
	s_branch .LBB67_58
.LBB67_56:
                                        ; implicit-def: $sgpr10
	v_lshl_add_u64 v[58:59], v[58:59], 2, s[6:7]
.LBB67_57:
	v_lshl_add_u64 v[62:63], v[58:59], 0, v[72:73]
	flat_load_dword v61, v[62:63]
	v_lshl_add_u64 v[62:63], v[56:57], 0, v[72:73]
	s_waitcnt vmcnt(0) lgkmcnt(0)
	v_mul_f32_e32 v61, s12, v61
	v_min_f32_e32 v60, v61, v60
	global_store_dword v[62:63], v60, off
	v_lshl_add_u64 v[60:61], v[64:65], 2, v[58:59]
	flat_load_dword v60, v[60:61]
	s_waitcnt vmcnt(0) lgkmcnt(0)
	v_mul_f32_e32 v60, s12, v60
.LBB67_58:
	v_pk_add_f32 v[62:63], v[28:29], v[52:53]
	s_mov_b64 vcc, s[4:5]
	v_min3_f32 v61, v62, v63, v137
	v_pk_add_f32 v[62:63], v[24:25], v[52:53]
	s_nop 0
	v_min3_f32 v88, v62, v63, v138
	v_pk_add_f32 v[62:63], v[30:31], v[54:55]
	s_nop 0
	v_min_f32_e32 v89, v62, v63
	v_pk_add_f32 v[62:63], v[26:27], v[54:55]
	s_nop 0
	v_min3_f32 v62, v62, v63, v88
	v_min3_f32 v63, v60, v89, v61
	v_lshl_add_u64 v[60:61], v[64:65], 2, v[56:57]
	global_store_dword v[60:61], v63, off
	v_max_f32_e32 v60, v62, v62
	s_cbranch_vccz .LBB67_61
; %bb.59:
	v_min_f32_e32 v61, 0, v60
	v_lshl_add_u64 v[62:63], v[74:75], 2, v[56:57]
	s_mov_b32 s10, 0
	global_store_dword v[62:63], v61, off
	s_cbranch_execz .LBB67_62
; %bb.60:
	v_mov_b32_e32 v60, s10
	s_branch .LBB67_63
.LBB67_61:
                                        ; implicit-def: $sgpr10
.LBB67_62:
	v_lshl_add_u64 v[62:63], v[58:59], 0, v[78:79]
	flat_load_dword v61, v[62:63]
	v_lshl_add_u64 v[62:63], v[56:57], 0, v[78:79]
	s_waitcnt vmcnt(0) lgkmcnt(0)
	v_mul_f32_e32 v61, s12, v61
	v_min_f32_e32 v60, v61, v60
	global_store_dword v[62:63], v60, off
	v_lshl_add_u64 v[60:61], v[66:67], 2, v[58:59]
	flat_load_dword v60, v[60:61]
	s_waitcnt vmcnt(0) lgkmcnt(0)
	v_mul_f32_e32 v60, s12, v60
.LBB67_63:
	v_pk_add_f32 v[62:63], v[20:21], v[52:53]
	s_mov_b64 vcc, s[4:5]
	v_min3_f32 v61, v62, v63, v133
	v_pk_add_f32 v[62:63], v[16:17], v[52:53]
	s_nop 0
	v_min3_f32 v88, v62, v63, v135
	v_pk_add_f32 v[62:63], v[22:23], v[54:55]
	s_nop 0
	v_min_f32_e32 v89, v62, v63
	v_pk_add_f32 v[62:63], v[18:19], v[54:55]
	s_nop 0
	v_min3_f32 v62, v62, v63, v88
	v_min3_f32 v63, v60, v89, v61
	v_lshl_add_u64 v[60:61], v[66:67], 2, v[56:57]
	global_store_dword v[60:61], v63, off
	v_max_f32_e32 v60, v62, v62
	s_cbranch_vccz .LBB67_66
; %bb.64:
	v_min_f32_e32 v61, 0, v60
	v_lshl_add_u64 v[62:63], v[80:81], 2, v[56:57]
	s_mov_b32 s10, 0
	global_store_dword v[62:63], v61, off
	s_cbranch_execz .LBB67_67
; %bb.65:
	v_mov_b32_e32 v60, s10
	s_branch .LBB67_68
.LBB67_66:
                                        ; implicit-def: $sgpr10
.LBB67_67:
	v_lshl_add_u64 v[62:63], v[58:59], 0, v[82:83]
	flat_load_dword v61, v[62:63]
	v_lshl_add_u64 v[62:63], v[56:57], 0, v[82:83]
	s_waitcnt vmcnt(0) lgkmcnt(0)
	v_mul_f32_e32 v61, s12, v61
	v_min_f32_e32 v60, v61, v60
	global_store_dword v[62:63], v60, off
	v_lshl_add_u64 v[60:61], v[70:71], 2, v[58:59]
	flat_load_dword v60, v[60:61]
	s_waitcnt vmcnt(0) lgkmcnt(0)
	v_mul_f32_e32 v60, s12, v60
.LBB67_68:
	v_pk_add_f32 v[62:63], v[12:13], v[52:53]
	s_mov_b64 vcc, s[4:5]
	v_min3_f32 v61, v62, v63, v129
	v_pk_add_f32 v[62:63], v[8:9], v[52:53]
	s_nop 0
	v_min3_f32 v88, v62, v63, v130
	v_pk_add_f32 v[62:63], v[14:15], v[54:55]
	s_nop 0
	v_min_f32_e32 v89, v62, v63
	v_pk_add_f32 v[62:63], v[10:11], v[54:55]
	s_nop 0
	v_min3_f32 v62, v62, v63, v88
	v_min3_f32 v63, v60, v89, v61
	v_lshl_add_u64 v[60:61], v[70:71], 2, v[56:57]
	global_store_dword v[60:61], v63, off
	v_max_f32_e32 v60, v62, v62
	s_cbranch_vccz .LBB67_71
; %bb.69:
	v_min_f32_e32 v61, 0, v60
	v_lshl_add_u64 v[62:63], v[84:85], 2, v[56:57]
	s_mov_b32 s10, 0
	global_store_dword v[62:63], v61, off
	s_cbranch_execz .LBB67_72
; %bb.70:
	v_mov_b32_e32 v58, s10
	s_branch .LBB67_73
.LBB67_71:
                                        ; implicit-def: $sgpr10
.LBB67_72:
	v_lshl_add_u64 v[62:63], v[58:59], 0, v[86:87]
	flat_load_dword v61, v[62:63]
	v_lshl_add_u64 v[62:63], v[56:57], 0, v[86:87]
	v_lshl_add_u64 v[58:59], v[76:77], 2, v[58:59]
	s_waitcnt vmcnt(0) lgkmcnt(0)
	v_mul_f32_e32 v61, s12, v61
	v_min_f32_e32 v60, v61, v60
	global_store_dword v[62:63], v60, off
	flat_load_dword v58, v[58:59]
	s_waitcnt vmcnt(0) lgkmcnt(0)
	v_mul_f32_e32 v58, s12, v58
.LBB67_73:
	v_pk_add_f32 v[52:53], v[0:1], v[52:53]
	s_mov_b64 vcc, s[4:5]
	v_min3_f32 v59, v52, v53, v134
	v_pk_add_f32 v[52:53], v[32:33], v[48:49]
	s_nop 0
	v_min3_f32 v60, v52, v53, v136
	v_pk_add_f32 v[52:53], v[2:3], v[54:55]
	s_nop 0
	v_min_f32_e32 v54, v52, v53
	v_pk_add_f32 v[52:53], v[34:35], v[50:51]
	v_min3_f32 v54, v58, v54, v59
	v_min3_f32 v60, v52, v53, v60
	v_lshl_add_u64 v[52:53], v[76:77], 2, v[56:57]
	global_store_dword v[52:53], v54, off
	v_add_u32_e32 v54, 0x60, v154
	v_mad_i64_i32 v[52:53], s[2:3], v54, s9, 0
	v_lshl_add_u64 v[52:53], v[52:53], 2, s[0:1]
	v_mad_i64_i32 v[54:55], s[2:3], v54, s8, 0
	v_max_f32_e32 v56, v60, v60
	s_cbranch_vccz .LBB67_76
; %bb.74:
	v_min_f32_e32 v57, 0, v56
	v_lshl_add_u64 v[58:59], v[68:69], 2, v[52:53]
	s_mov_b32 s10, 0
	global_store_dword v[58:59], v57, off
	v_lshl_add_u64 v[54:55], v[54:55], 2, s[6:7]
	s_cbranch_execz .LBB67_77
; %bb.75:
	v_mov_b32_e32 v56, s10
	s_branch .LBB67_78
.LBB67_76:
                                        ; implicit-def: $sgpr10
	v_lshl_add_u64 v[54:55], v[54:55], 2, s[6:7]
.LBB67_77:
	v_lshl_add_u64 v[58:59], v[54:55], 0, v[72:73]
	flat_load_dword v57, v[58:59]
	v_lshl_add_u64 v[58:59], v[52:53], 0, v[72:73]
	s_waitcnt vmcnt(0) lgkmcnt(0)
	v_mul_f32_e32 v57, s12, v57
	v_min_f32_e32 v56, v57, v56
	global_store_dword v[58:59], v56, off
	v_lshl_add_u64 v[56:57], v[64:65], 2, v[54:55]
	flat_load_dword v56, v[56:57]
	s_waitcnt vmcnt(0) lgkmcnt(0)
	v_mul_f32_e32 v56, s12, v56
.LBB67_78:
	v_pk_add_f32 v[58:59], v[28:29], v[48:49]
	s_mov_b64 vcc, s[4:5]
	v_min3_f32 v57, v58, v59, v131
	v_pk_add_f32 v[58:59], v[24:25], v[48:49]
	s_nop 0
	v_min3_f32 v60, v58, v59, v132
	v_pk_add_f32 v[58:59], v[30:31], v[50:51]
	s_nop 0
	v_min_f32_e32 v61, v58, v59
	v_pk_add_f32 v[58:59], v[26:27], v[50:51]
	s_nop 0
	v_min3_f32 v58, v58, v59, v60
	v_min3_f32 v59, v56, v61, v57
	v_lshl_add_u64 v[56:57], v[64:65], 2, v[52:53]
	global_store_dword v[56:57], v59, off
	v_max_f32_e32 v56, v58, v58
	s_cbranch_vccz .LBB67_81
; %bb.79:
	v_min_f32_e32 v57, 0, v56
	v_lshl_add_u64 v[58:59], v[74:75], 2, v[52:53]
	s_mov_b32 s10, 0
	global_store_dword v[58:59], v57, off
	s_cbranch_execz .LBB67_82
; %bb.80:
	v_mov_b32_e32 v56, s10
	s_branch .LBB67_83
.LBB67_81:
                                        ; implicit-def: $sgpr10
.LBB67_82:
	v_lshl_add_u64 v[58:59], v[54:55], 0, v[78:79]
	flat_load_dword v57, v[58:59]
	v_lshl_add_u64 v[58:59], v[52:53], 0, v[78:79]
	s_waitcnt vmcnt(0) lgkmcnt(0)
	v_mul_f32_e32 v57, s12, v57
	v_min_f32_e32 v56, v57, v56
	global_store_dword v[58:59], v56, off
	v_lshl_add_u64 v[56:57], v[66:67], 2, v[54:55]
	flat_load_dword v56, v[56:57]
	s_waitcnt vmcnt(0) lgkmcnt(0)
	v_mul_f32_e32 v56, s12, v56
.LBB67_83:
	v_pk_add_f32 v[58:59], v[20:21], v[48:49]
	s_mov_b64 vcc, s[4:5]
	v_min3_f32 v57, v58, v59, v127
	v_pk_add_f32 v[58:59], v[16:17], v[48:49]
	s_nop 0
	v_min3_f32 v60, v58, v59, v128
	v_pk_add_f32 v[58:59], v[22:23], v[50:51]
	s_nop 0
	v_min_f32_e32 v61, v58, v59
	v_pk_add_f32 v[58:59], v[18:19], v[50:51]
	s_nop 0
	v_min3_f32 v58, v58, v59, v60
	v_min3_f32 v59, v56, v61, v57
	v_lshl_add_u64 v[56:57], v[66:67], 2, v[52:53]
	global_store_dword v[56:57], v59, off
	v_max_f32_e32 v56, v58, v58
	s_cbranch_vccz .LBB67_86
; %bb.84:
	v_min_f32_e32 v57, 0, v56
	v_lshl_add_u64 v[58:59], v[80:81], 2, v[52:53]
	s_mov_b32 s10, 0
	global_store_dword v[58:59], v57, off
	s_cbranch_execz .LBB67_87
; %bb.85:
	v_mov_b32_e32 v56, s10
	s_branch .LBB67_88
.LBB67_86:
                                        ; implicit-def: $sgpr10
.LBB67_87:
	v_lshl_add_u64 v[58:59], v[54:55], 0, v[82:83]
	flat_load_dword v57, v[58:59]
	v_lshl_add_u64 v[58:59], v[52:53], 0, v[82:83]
	s_waitcnt vmcnt(0) lgkmcnt(0)
	v_mul_f32_e32 v57, s12, v57
	v_min_f32_e32 v56, v57, v56
	global_store_dword v[58:59], v56, off
	v_lshl_add_u64 v[56:57], v[70:71], 2, v[54:55]
	flat_load_dword v56, v[56:57]
	s_waitcnt vmcnt(0) lgkmcnt(0)
	v_mul_f32_e32 v56, s12, v56
.LBB67_88:
	v_pk_add_f32 v[58:59], v[12:13], v[48:49]
	s_mov_b64 vcc, s[4:5]
	v_min3_f32 v57, v58, v59, v125
	v_pk_add_f32 v[58:59], v[8:9], v[48:49]
	s_nop 0
	v_min3_f32 v60, v58, v59, v126
	v_pk_add_f32 v[58:59], v[14:15], v[50:51]
	s_nop 0
	v_min_f32_e32 v61, v58, v59
	v_pk_add_f32 v[58:59], v[10:11], v[50:51]
	s_nop 0
	v_min3_f32 v58, v58, v59, v60
	v_min3_f32 v59, v56, v61, v57
	v_lshl_add_u64 v[56:57], v[70:71], 2, v[52:53]
	global_store_dword v[56:57], v59, off
	v_max_f32_e32 v56, v58, v58
	s_cbranch_vccz .LBB67_91
; %bb.89:
	v_min_f32_e32 v57, 0, v56
	v_lshl_add_u64 v[58:59], v[84:85], 2, v[52:53]
	s_mov_b32 s10, 0
	global_store_dword v[58:59], v57, off
	s_cbranch_execz .LBB67_92
; %bb.90:
	v_mov_b32_e32 v54, s10
	s_branch .LBB67_93
.LBB67_91:
                                        ; implicit-def: $sgpr10
.LBB67_92:
	v_lshl_add_u64 v[58:59], v[54:55], 0, v[86:87]
	flat_load_dword v57, v[58:59]
	v_lshl_add_u64 v[58:59], v[52:53], 0, v[86:87]
	v_lshl_add_u64 v[54:55], v[76:77], 2, v[54:55]
	s_waitcnt vmcnt(0) lgkmcnt(0)
	v_mul_f32_e32 v57, s12, v57
	v_min_f32_e32 v56, v57, v56
	global_store_dword v[58:59], v56, off
	flat_load_dword v54, v[54:55]
	s_waitcnt vmcnt(0) lgkmcnt(0)
	v_mul_f32_e32 v54, s12, v54
.LBB67_93:
	v_pk_add_f32 v[48:49], v[0:1], v[48:49]
	s_mov_b64 vcc, s[4:5]
	v_min3_f32 v55, v48, v49, v123
	v_pk_add_f32 v[48:49], v[32:33], v[44:45]
	s_nop 0
	v_min3_f32 v56, v48, v49, v124
	v_pk_add_f32 v[48:49], v[2:3], v[50:51]
	s_nop 0
	v_min_f32_e32 v50, v48, v49
	v_pk_add_f32 v[48:49], v[34:35], v[46:47]
	v_min3_f32 v50, v54, v50, v55
	v_min3_f32 v56, v48, v49, v56
	v_lshl_add_u64 v[48:49], v[76:77], 2, v[52:53]
	global_store_dword v[48:49], v50, off
	v_add_u32_e32 v50, 0x80, v154
	v_mad_i64_i32 v[48:49], s[2:3], v50, s9, 0
	v_lshl_add_u64 v[48:49], v[48:49], 2, s[0:1]
	v_mad_i64_i32 v[50:51], s[2:3], v50, s8, 0
	v_max_f32_e32 v52, v56, v56
	s_cbranch_vccz .LBB67_96
; %bb.94:
	v_min_f32_e32 v53, 0, v52
	v_lshl_add_u64 v[54:55], v[68:69], 2, v[48:49]
	s_mov_b32 s10, 0
	global_store_dword v[54:55], v53, off
	v_lshl_add_u64 v[50:51], v[50:51], 2, s[6:7]
	s_cbranch_execz .LBB67_97
; %bb.95:
	v_mov_b32_e32 v52, s10
	s_branch .LBB67_98
.LBB67_96:
                                        ; implicit-def: $sgpr10
	v_lshl_add_u64 v[50:51], v[50:51], 2, s[6:7]
.LBB67_97:
	v_lshl_add_u64 v[54:55], v[50:51], 0, v[72:73]
	flat_load_dword v53, v[54:55]
	v_lshl_add_u64 v[54:55], v[48:49], 0, v[72:73]
	s_waitcnt vmcnt(0) lgkmcnt(0)
	v_mul_f32_e32 v53, s12, v53
	v_min_f32_e32 v52, v53, v52
	global_store_dword v[54:55], v52, off
	v_lshl_add_u64 v[52:53], v[64:65], 2, v[50:51]
	flat_load_dword v52, v[52:53]
	s_waitcnt vmcnt(0) lgkmcnt(0)
	v_mul_f32_e32 v52, s12, v52
.LBB67_98:
	v_pk_add_f32 v[54:55], v[28:29], v[44:45]
	s_mov_b64 vcc, s[4:5]
	v_min3_f32 v53, v54, v55, v121
	v_pk_add_f32 v[54:55], v[24:25], v[44:45]
	s_nop 0
	v_min3_f32 v56, v54, v55, v122
	v_pk_add_f32 v[54:55], v[30:31], v[46:47]
	s_nop 0
	v_min_f32_e32 v57, v54, v55
	v_pk_add_f32 v[54:55], v[26:27], v[46:47]
	s_nop 0
	v_min3_f32 v54, v54, v55, v56
	v_min3_f32 v55, v52, v57, v53
	v_lshl_add_u64 v[52:53], v[64:65], 2, v[48:49]
	global_store_dword v[52:53], v55, off
	v_max_f32_e32 v52, v54, v54
	s_cbranch_vccz .LBB67_101
; %bb.99:
	v_min_f32_e32 v53, 0, v52
	v_lshl_add_u64 v[54:55], v[74:75], 2, v[48:49]
	s_mov_b32 s10, 0
	global_store_dword v[54:55], v53, off
	s_cbranch_execz .LBB67_102
; %bb.100:
	v_mov_b32_e32 v52, s10
	s_branch .LBB67_103
.LBB67_101:
                                        ; implicit-def: $sgpr10
.LBB67_102:
	v_lshl_add_u64 v[54:55], v[50:51], 0, v[78:79]
	flat_load_dword v53, v[54:55]
	v_lshl_add_u64 v[54:55], v[48:49], 0, v[78:79]
	s_waitcnt vmcnt(0) lgkmcnt(0)
	v_mul_f32_e32 v53, s12, v53
	v_min_f32_e32 v52, v53, v52
	global_store_dword v[54:55], v52, off
	v_lshl_add_u64 v[52:53], v[66:67], 2, v[50:51]
	flat_load_dword v52, v[52:53]
	s_waitcnt vmcnt(0) lgkmcnt(0)
	v_mul_f32_e32 v52, s12, v52
.LBB67_103:
	v_pk_add_f32 v[54:55], v[20:21], v[44:45]
	s_mov_b64 vcc, s[4:5]
	v_min3_f32 v53, v54, v55, v119
	v_pk_add_f32 v[54:55], v[16:17], v[44:45]
	s_nop 0
	v_min3_f32 v56, v54, v55, v120
	v_pk_add_f32 v[54:55], v[22:23], v[46:47]
	s_nop 0
	v_min_f32_e32 v57, v54, v55
	v_pk_add_f32 v[54:55], v[18:19], v[46:47]
	s_nop 0
	v_min3_f32 v54, v54, v55, v56
	v_min3_f32 v55, v52, v57, v53
	v_lshl_add_u64 v[52:53], v[66:67], 2, v[48:49]
	global_store_dword v[52:53], v55, off
	v_max_f32_e32 v52, v54, v54
	s_cbranch_vccz .LBB67_106
; %bb.104:
	v_min_f32_e32 v53, 0, v52
	v_lshl_add_u64 v[54:55], v[80:81], 2, v[48:49]
	s_mov_b32 s10, 0
	global_store_dword v[54:55], v53, off
	s_cbranch_execz .LBB67_107
; %bb.105:
	v_mov_b32_e32 v52, s10
	s_branch .LBB67_108
.LBB67_106:
                                        ; implicit-def: $sgpr10
.LBB67_107:
	v_lshl_add_u64 v[54:55], v[50:51], 0, v[82:83]
	flat_load_dword v53, v[54:55]
	v_lshl_add_u64 v[54:55], v[48:49], 0, v[82:83]
	s_waitcnt vmcnt(0) lgkmcnt(0)
	v_mul_f32_e32 v53, s12, v53
	v_min_f32_e32 v52, v53, v52
	global_store_dword v[54:55], v52, off
	v_lshl_add_u64 v[52:53], v[70:71], 2, v[50:51]
	flat_load_dword v52, v[52:53]
	s_waitcnt vmcnt(0) lgkmcnt(0)
	v_mul_f32_e32 v52, s12, v52
.LBB67_108:
	v_pk_add_f32 v[54:55], v[12:13], v[44:45]
	s_mov_b64 vcc, s[4:5]
	v_min3_f32 v53, v54, v55, v117
	v_pk_add_f32 v[54:55], v[8:9], v[44:45]
	s_nop 0
	v_min3_f32 v56, v54, v55, v118
	v_pk_add_f32 v[54:55], v[14:15], v[46:47]
	s_nop 0
	v_min_f32_e32 v57, v54, v55
	v_pk_add_f32 v[54:55], v[10:11], v[46:47]
	s_nop 0
	v_min3_f32 v54, v54, v55, v56
	v_min3_f32 v55, v52, v57, v53
	v_lshl_add_u64 v[52:53], v[70:71], 2, v[48:49]
	global_store_dword v[52:53], v55, off
	v_max_f32_e32 v52, v54, v54
	s_cbranch_vccz .LBB67_111
; %bb.109:
	v_min_f32_e32 v53, 0, v52
	v_lshl_add_u64 v[54:55], v[84:85], 2, v[48:49]
	s_mov_b32 s10, 0
	global_store_dword v[54:55], v53, off
	s_cbranch_execz .LBB67_112
; %bb.110:
	v_mov_b32_e32 v50, s10
	s_branch .LBB67_113
.LBB67_111:
                                        ; implicit-def: $sgpr10
.LBB67_112:
	v_lshl_add_u64 v[54:55], v[50:51], 0, v[86:87]
	flat_load_dword v53, v[54:55]
	v_lshl_add_u64 v[54:55], v[48:49], 0, v[86:87]
	v_lshl_add_u64 v[50:51], v[76:77], 2, v[50:51]
	s_waitcnt vmcnt(0) lgkmcnt(0)
	v_mul_f32_e32 v53, s12, v53
	v_min_f32_e32 v52, v53, v52
	global_store_dword v[54:55], v52, off
	flat_load_dword v50, v[50:51]
	s_waitcnt vmcnt(0) lgkmcnt(0)
	v_mul_f32_e32 v50, s12, v50
.LBB67_113:
	v_pk_add_f32 v[44:45], v[0:1], v[44:45]
	s_mov_b64 vcc, s[4:5]
	v_min3_f32 v51, v44, v45, v115
	v_pk_add_f32 v[44:45], v[32:33], v[40:41]
	s_nop 0
	v_min3_f32 v52, v44, v45, v116
	v_pk_add_f32 v[44:45], v[2:3], v[46:47]
	s_nop 0
	v_min_f32_e32 v46, v44, v45
	v_pk_add_f32 v[44:45], v[34:35], v[42:43]
	v_min3_f32 v46, v50, v46, v51
	v_min3_f32 v52, v44, v45, v52
	v_lshl_add_u64 v[44:45], v[76:77], 2, v[48:49]
	global_store_dword v[44:45], v46, off
	v_add_u32_e32 v46, 0xa0, v154
	v_mad_i64_i32 v[44:45], s[2:3], v46, s9, 0
	v_lshl_add_u64 v[44:45], v[44:45], 2, s[0:1]
	v_mad_i64_i32 v[46:47], s[2:3], v46, s8, 0
	v_max_f32_e32 v48, v52, v52
	s_cbranch_vccz .LBB67_116
; %bb.114:
	v_min_f32_e32 v49, 0, v48
	v_lshl_add_u64 v[50:51], v[68:69], 2, v[44:45]
	s_mov_b32 s10, 0
	global_store_dword v[50:51], v49, off
	v_lshl_add_u64 v[46:47], v[46:47], 2, s[6:7]
	s_cbranch_execz .LBB67_117
; %bb.115:
	v_mov_b32_e32 v48, s10
	s_branch .LBB67_118
.LBB67_116:
                                        ; implicit-def: $sgpr10
	v_lshl_add_u64 v[46:47], v[46:47], 2, s[6:7]
.LBB67_117:
	v_lshl_add_u64 v[50:51], v[46:47], 0, v[72:73]
	flat_load_dword v49, v[50:51]
	v_lshl_add_u64 v[50:51], v[44:45], 0, v[72:73]
	s_waitcnt vmcnt(0) lgkmcnt(0)
	v_mul_f32_e32 v49, s12, v49
	v_min_f32_e32 v48, v49, v48
	global_store_dword v[50:51], v48, off
	v_lshl_add_u64 v[48:49], v[64:65], 2, v[46:47]
	flat_load_dword v48, v[48:49]
	s_waitcnt vmcnt(0) lgkmcnt(0)
	v_mul_f32_e32 v48, s12, v48
.LBB67_118:
	v_pk_add_f32 v[50:51], v[28:29], v[40:41]
	s_mov_b64 vcc, s[4:5]
	v_min3_f32 v49, v50, v51, v113
	v_pk_add_f32 v[50:51], v[24:25], v[40:41]
	s_nop 0
	v_min3_f32 v52, v50, v51, v114
	v_pk_add_f32 v[50:51], v[30:31], v[42:43]
	s_nop 0
	v_min_f32_e32 v53, v50, v51
	v_pk_add_f32 v[50:51], v[26:27], v[42:43]
	s_nop 0
	v_min3_f32 v50, v50, v51, v52
	v_min3_f32 v51, v48, v53, v49
	v_lshl_add_u64 v[48:49], v[64:65], 2, v[44:45]
	global_store_dword v[48:49], v51, off
	v_max_f32_e32 v48, v50, v50
	s_cbranch_vccz .LBB67_121
; %bb.119:
	v_min_f32_e32 v49, 0, v48
	v_lshl_add_u64 v[50:51], v[74:75], 2, v[44:45]
	s_mov_b32 s10, 0
	global_store_dword v[50:51], v49, off
	s_cbranch_execz .LBB67_122
; %bb.120:
	v_mov_b32_e32 v48, s10
	s_branch .LBB67_123
.LBB67_121:
                                        ; implicit-def: $sgpr10
.LBB67_122:
	v_lshl_add_u64 v[50:51], v[46:47], 0, v[78:79]
	flat_load_dword v49, v[50:51]
	v_lshl_add_u64 v[50:51], v[44:45], 0, v[78:79]
	s_waitcnt vmcnt(0) lgkmcnt(0)
	v_mul_f32_e32 v49, s12, v49
	v_min_f32_e32 v48, v49, v48
	global_store_dword v[50:51], v48, off
	v_lshl_add_u64 v[48:49], v[66:67], 2, v[46:47]
	flat_load_dword v48, v[48:49]
	s_waitcnt vmcnt(0) lgkmcnt(0)
	v_mul_f32_e32 v48, s12, v48
.LBB67_123:
	v_pk_add_f32 v[50:51], v[20:21], v[40:41]
	s_mov_b64 vcc, s[4:5]
	v_min3_f32 v49, v50, v51, v111
	v_pk_add_f32 v[50:51], v[16:17], v[40:41]
	s_nop 0
	v_min3_f32 v52, v50, v51, v112
	v_pk_add_f32 v[50:51], v[22:23], v[42:43]
	s_nop 0
	v_min_f32_e32 v53, v50, v51
	v_pk_add_f32 v[50:51], v[18:19], v[42:43]
	s_nop 0
	v_min3_f32 v50, v50, v51, v52
	v_min3_f32 v51, v48, v53, v49
	v_lshl_add_u64 v[48:49], v[66:67], 2, v[44:45]
	global_store_dword v[48:49], v51, off
	v_max_f32_e32 v48, v50, v50
	s_cbranch_vccz .LBB67_126
; %bb.124:
	v_min_f32_e32 v49, 0, v48
	v_lshl_add_u64 v[50:51], v[80:81], 2, v[44:45]
	s_mov_b32 s10, 0
	global_store_dword v[50:51], v49, off
	s_cbranch_execz .LBB67_127
; %bb.125:
	v_mov_b32_e32 v48, s10
	s_branch .LBB67_128
.LBB67_126:
                                        ; implicit-def: $sgpr10
.LBB67_127:
	v_lshl_add_u64 v[50:51], v[46:47], 0, v[82:83]
	flat_load_dword v49, v[50:51]
	v_lshl_add_u64 v[50:51], v[44:45], 0, v[82:83]
	s_waitcnt vmcnt(0) lgkmcnt(0)
	v_mul_f32_e32 v49, s12, v49
	v_min_f32_e32 v48, v49, v48
	global_store_dword v[50:51], v48, off
	v_lshl_add_u64 v[48:49], v[70:71], 2, v[46:47]
	flat_load_dword v48, v[48:49]
	s_waitcnt vmcnt(0) lgkmcnt(0)
	v_mul_f32_e32 v48, s12, v48
.LBB67_128:
	v_pk_add_f32 v[50:51], v[12:13], v[40:41]
	s_mov_b64 vcc, s[4:5]
	v_min3_f32 v49, v50, v51, v108
	v_pk_add_f32 v[50:51], v[8:9], v[40:41]
	s_nop 0
	v_min3_f32 v52, v50, v51, v110
	v_pk_add_f32 v[50:51], v[14:15], v[42:43]
	s_nop 0
	v_min_f32_e32 v53, v50, v51
	v_pk_add_f32 v[50:51], v[10:11], v[42:43]
	s_nop 0
	v_min3_f32 v50, v50, v51, v52
	v_min3_f32 v51, v48, v53, v49
	v_lshl_add_u64 v[48:49], v[70:71], 2, v[44:45]
	global_store_dword v[48:49], v51, off
	v_max_f32_e32 v48, v50, v50
	s_cbranch_vccz .LBB67_131
; %bb.129:
	v_min_f32_e32 v49, 0, v48
	v_lshl_add_u64 v[50:51], v[84:85], 2, v[44:45]
	s_mov_b32 s10, 0
	global_store_dword v[50:51], v49, off
	s_cbranch_execz .LBB67_132
; %bb.130:
	v_mov_b32_e32 v46, s10
	s_branch .LBB67_133
.LBB67_131:
                                        ; implicit-def: $sgpr10
.LBB67_132:
	v_lshl_add_u64 v[50:51], v[46:47], 0, v[86:87]
	flat_load_dword v49, v[50:51]
	v_lshl_add_u64 v[50:51], v[44:45], 0, v[86:87]
	v_lshl_add_u64 v[46:47], v[76:77], 2, v[46:47]
	s_waitcnt vmcnt(0) lgkmcnt(0)
	v_mul_f32_e32 v49, s12, v49
	v_min_f32_e32 v48, v49, v48
	global_store_dword v[50:51], v48, off
	flat_load_dword v46, v[46:47]
	s_waitcnt vmcnt(0) lgkmcnt(0)
	v_mul_f32_e32 v46, s12, v46
.LBB67_133:
	v_pk_add_f32 v[40:41], v[0:1], v[40:41]
	s_mov_b64 vcc, s[4:5]
	v_min3_f32 v47, v40, v41, v107
	v_pk_add_f32 v[40:41], v[32:33], v[36:37]
	s_nop 0
	v_min3_f32 v48, v40, v41, v109
	v_pk_add_f32 v[40:41], v[2:3], v[42:43]
	s_nop 0
	v_min_f32_e32 v42, v40, v41
	v_pk_add_f32 v[40:41], v[34:35], v[38:39]
	v_min3_f32 v42, v46, v42, v47
	v_min3_f32 v48, v40, v41, v48
	v_lshl_add_u64 v[40:41], v[76:77], 2, v[44:45]
	global_store_dword v[40:41], v42, off
	v_add_u32_e32 v42, 0xc0, v154
	v_mad_i64_i32 v[40:41], s[2:3], v42, s9, 0
	v_lshl_add_u64 v[40:41], v[40:41], 2, s[0:1]
	v_mad_i64_i32 v[42:43], s[2:3], v42, s8, 0
	v_max_f32_e32 v44, v48, v48
	s_cbranch_vccz .LBB67_136
; %bb.134:
	v_min_f32_e32 v45, 0, v44
	v_lshl_add_u64 v[46:47], v[68:69], 2, v[40:41]
	s_mov_b32 s10, 0
	global_store_dword v[46:47], v45, off
	v_lshl_add_u64 v[42:43], v[42:43], 2, s[6:7]
	s_cbranch_execz .LBB67_137
; %bb.135:
	v_mov_b32_e32 v44, s10
	s_branch .LBB67_138
.LBB67_136:
                                        ; implicit-def: $sgpr10
	v_lshl_add_u64 v[42:43], v[42:43], 2, s[6:7]
.LBB67_137:
	v_lshl_add_u64 v[46:47], v[42:43], 0, v[72:73]
	flat_load_dword v45, v[46:47]
	v_lshl_add_u64 v[46:47], v[40:41], 0, v[72:73]
	s_waitcnt vmcnt(0) lgkmcnt(0)
	v_mul_f32_e32 v45, s12, v45
	v_min_f32_e32 v44, v45, v44
	global_store_dword v[46:47], v44, off
	v_lshl_add_u64 v[44:45], v[64:65], 2, v[42:43]
	flat_load_dword v44, v[44:45]
	s_waitcnt vmcnt(0) lgkmcnt(0)
	v_mul_f32_e32 v44, s12, v44
.LBB67_138:
	v_pk_add_f32 v[46:47], v[28:29], v[36:37]
	s_mov_b64 vcc, s[4:5]
	v_min3_f32 v45, v46, v47, v105
	v_pk_add_f32 v[46:47], v[24:25], v[36:37]
	s_nop 0
	v_min3_f32 v48, v46, v47, v106
	v_pk_add_f32 v[46:47], v[30:31], v[38:39]
	s_nop 0
	v_min_f32_e32 v49, v46, v47
	v_pk_add_f32 v[46:47], v[26:27], v[38:39]
	s_nop 0
	v_min3_f32 v46, v46, v47, v48
	v_min3_f32 v47, v44, v49, v45
	v_lshl_add_u64 v[44:45], v[64:65], 2, v[40:41]
	global_store_dword v[44:45], v47, off
	v_max_f32_e32 v44, v46, v46
	s_cbranch_vccz .LBB67_141
; %bb.139:
	v_min_f32_e32 v45, 0, v44
	v_lshl_add_u64 v[46:47], v[74:75], 2, v[40:41]
	s_mov_b32 s10, 0
	global_store_dword v[46:47], v45, off
	s_cbranch_execz .LBB67_142
; %bb.140:
	v_mov_b32_e32 v44, s10
	s_branch .LBB67_143
.LBB67_141:
                                        ; implicit-def: $sgpr10
.LBB67_142:
	v_lshl_add_u64 v[46:47], v[42:43], 0, v[78:79]
	flat_load_dword v45, v[46:47]
	v_lshl_add_u64 v[46:47], v[40:41], 0, v[78:79]
	s_waitcnt vmcnt(0) lgkmcnt(0)
	v_mul_f32_e32 v45, s12, v45
	v_min_f32_e32 v44, v45, v44
	global_store_dword v[46:47], v44, off
	v_lshl_add_u64 v[44:45], v[66:67], 2, v[42:43]
	flat_load_dword v44, v[44:45]
	s_waitcnt vmcnt(0) lgkmcnt(0)
	v_mul_f32_e32 v44, s12, v44
.LBB67_143:
	v_pk_add_f32 v[46:47], v[20:21], v[36:37]
	s_mov_b64 vcc, s[4:5]
	v_min3_f32 v45, v46, v47, v103
	v_pk_add_f32 v[46:47], v[16:17], v[36:37]
	s_nop 0
	v_min3_f32 v48, v46, v47, v104
	v_pk_add_f32 v[46:47], v[22:23], v[38:39]
	s_nop 0
	v_min_f32_e32 v49, v46, v47
	v_pk_add_f32 v[46:47], v[18:19], v[38:39]
	s_nop 0
	v_min3_f32 v46, v46, v47, v48
	v_min3_f32 v47, v44, v49, v45
	v_lshl_add_u64 v[44:45], v[66:67], 2, v[40:41]
	global_store_dword v[44:45], v47, off
	v_max_f32_e32 v44, v46, v46
	s_cbranch_vccz .LBB67_146
; %bb.144:
	v_min_f32_e32 v45, 0, v44
	v_lshl_add_u64 v[46:47], v[80:81], 2, v[40:41]
	s_mov_b32 s10, 0
	global_store_dword v[46:47], v45, off
	s_cbranch_execz .LBB67_147
; %bb.145:
	v_mov_b32_e32 v44, s10
	s_branch .LBB67_148
.LBB67_146:
                                        ; implicit-def: $sgpr10
.LBB67_147:
	v_lshl_add_u64 v[46:47], v[42:43], 0, v[82:83]
	flat_load_dword v45, v[46:47]
	v_lshl_add_u64 v[46:47], v[40:41], 0, v[82:83]
	s_waitcnt vmcnt(0) lgkmcnt(0)
	v_mul_f32_e32 v45, s12, v45
	v_min_f32_e32 v44, v45, v44
	global_store_dword v[46:47], v44, off
	v_lshl_add_u64 v[44:45], v[70:71], 2, v[42:43]
	flat_load_dword v44, v[44:45]
	s_waitcnt vmcnt(0) lgkmcnt(0)
	v_mul_f32_e32 v44, s12, v44
.LBB67_148:
	v_pk_add_f32 v[46:47], v[12:13], v[36:37]
	s_mov_b64 vcc, s[4:5]
	v_min3_f32 v45, v46, v47, v101
	v_pk_add_f32 v[46:47], v[8:9], v[36:37]
	s_nop 0
	v_min3_f32 v48, v46, v47, v102
	v_pk_add_f32 v[46:47], v[14:15], v[38:39]
	s_nop 0
	v_min_f32_e32 v49, v46, v47
	v_pk_add_f32 v[46:47], v[10:11], v[38:39]
	s_nop 0
	v_min3_f32 v46, v46, v47, v48
	v_min3_f32 v47, v44, v49, v45
	v_lshl_add_u64 v[44:45], v[70:71], 2, v[40:41]
	global_store_dword v[44:45], v47, off
	v_max_f32_e32 v44, v46, v46
	s_cbranch_vccz .LBB67_151
; %bb.149:
	v_min_f32_e32 v45, 0, v44
	v_lshl_add_u64 v[46:47], v[84:85], 2, v[40:41]
	s_mov_b32 s10, 0
	global_store_dword v[46:47], v45, off
	s_cbranch_execz .LBB67_152
; %bb.150:
	v_mov_b32_e32 v42, s10
	s_branch .LBB67_153
.LBB67_151:
                                        ; implicit-def: $sgpr10
.LBB67_152:
	v_lshl_add_u64 v[46:47], v[42:43], 0, v[86:87]
	flat_load_dword v45, v[46:47]
	v_lshl_add_u64 v[46:47], v[40:41], 0, v[86:87]
	v_lshl_add_u64 v[42:43], v[76:77], 2, v[42:43]
	s_waitcnt vmcnt(0) lgkmcnt(0)
	v_mul_f32_e32 v45, s12, v45
	v_min_f32_e32 v44, v45, v44
	global_store_dword v[46:47], v44, off
	flat_load_dword v42, v[42:43]
	s_waitcnt vmcnt(0) lgkmcnt(0)
	v_mul_f32_e32 v42, s12, v42
.LBB67_153:
	v_pk_add_f32 v[36:37], v[0:1], v[36:37]
	s_waitcnt lgkmcnt(0)
	v_pk_add_f32 v[32:33], v[32:33], v[4:5]
	v_min3_f32 v36, v36, v37, v99
	v_min3_f32 v37, v32, v33, v100
	v_pk_add_f32 v[32:33], v[2:3], v[38:39]
	s_mov_b64 vcc, s[4:5]
	v_min_f32_e32 v38, v32, v33
	v_pk_add_f32 v[32:33], v[34:35], v[6:7]
	v_min3_f32 v34, v42, v38, v36
	v_min3_f32 v37, v32, v33, v37
	v_lshl_add_u64 v[32:33], v[76:77], 2, v[40:41]
	global_store_dword v[32:33], v34, off
	v_add_u32_e32 v34, 0xe0, v154
	v_mad_i64_i32 v[32:33], s[2:3], v34, s9, 0
	v_lshl_add_u64 v[32:33], v[32:33], 2, s[0:1]
	v_mad_i64_i32 v[34:35], s[0:1], v34, s8, 0
	v_max_f32_e32 v36, v37, v37
	s_cbranch_vccz .LBB67_156
; %bb.154:
	v_min_f32_e32 v37, 0, v36
	v_lshl_add_u64 v[38:39], v[68:69], 2, v[32:33]
	s_mov_b32 s2, 0
	global_store_dword v[38:39], v37, off
	v_lshl_add_u64 v[34:35], v[34:35], 2, s[6:7]
	s_cbranch_execz .LBB67_157
; %bb.155:
	v_mov_b32_e32 v36, s2
	s_branch .LBB67_158
.LBB67_156:
                                        ; implicit-def: $sgpr2
	v_lshl_add_u64 v[34:35], v[34:35], 2, s[6:7]
.LBB67_157:
	v_lshl_add_u64 v[38:39], v[34:35], 0, v[72:73]
	flat_load_dword v37, v[38:39]
	v_lshl_add_u64 v[38:39], v[32:33], 0, v[72:73]
	s_waitcnt vmcnt(0) lgkmcnt(0)
	v_mul_f32_e32 v37, s12, v37
	v_min_f32_e32 v36, v37, v36
	global_store_dword v[38:39], v36, off
	v_lshl_add_u64 v[36:37], v[64:65], 2, v[34:35]
	flat_load_dword v36, v[36:37]
	s_waitcnt vmcnt(0) lgkmcnt(0)
	v_mul_f32_e32 v36, s12, v36
.LBB67_158:
	v_pk_add_f32 v[28:29], v[28:29], v[4:5]
	v_pk_add_f32 v[24:25], v[24:25], v[4:5]
	v_min3_f32 v28, v28, v29, v96
	v_min3_f32 v29, v24, v25, v97
	v_pk_add_f32 v[24:25], v[30:31], v[6:7]
	s_mov_b64 vcc, s[4:5]
	v_min_f32_e32 v30, v24, v25
	v_pk_add_f32 v[24:25], v[26:27], v[6:7]
	v_min3_f32 v27, v36, v30, v28
	v_min3_f32 v26, v24, v25, v29
	v_lshl_add_u64 v[24:25], v[64:65], 2, v[32:33]
	global_store_dword v[24:25], v27, off
	v_max_f32_e32 v24, v26, v26
	s_cbranch_vccz .LBB67_161
; %bb.159:
	v_min_f32_e32 v25, 0, v24
	v_lshl_add_u64 v[26:27], v[74:75], 2, v[32:33]
	s_mov_b32 s2, 0
	global_store_dword v[26:27], v25, off
	s_cbranch_execz .LBB67_162
; %bb.160:
	v_mov_b32_e32 v24, s2
	s_branch .LBB67_163
.LBB67_161:
                                        ; implicit-def: $sgpr2
.LBB67_162:
	v_lshl_add_u64 v[26:27], v[34:35], 0, v[78:79]
	flat_load_dword v25, v[26:27]
	v_lshl_add_u64 v[26:27], v[32:33], 0, v[78:79]
	s_waitcnt vmcnt(0) lgkmcnt(0)
	v_mul_f32_e32 v25, s12, v25
	v_min_f32_e32 v24, v25, v24
	global_store_dword v[26:27], v24, off
	v_lshl_add_u64 v[24:25], v[66:67], 2, v[34:35]
	flat_load_dword v24, v[24:25]
	s_waitcnt vmcnt(0) lgkmcnt(0)
	v_mul_f32_e32 v24, s12, v24
.LBB67_163:
	v_pk_add_f32 v[20:21], v[20:21], v[4:5]
	v_pk_add_f32 v[16:17], v[16:17], v[4:5]
	v_min3_f32 v20, v20, v21, v94
	v_min3_f32 v21, v16, v17, v95
	v_pk_add_f32 v[16:17], v[22:23], v[6:7]
	s_mov_b64 vcc, s[4:5]
	v_min_f32_e32 v22, v16, v17
	v_pk_add_f32 v[16:17], v[18:19], v[6:7]
	v_min3_f32 v19, v24, v22, v20
	v_min3_f32 v18, v16, v17, v21
	v_lshl_add_u64 v[16:17], v[66:67], 2, v[32:33]
	global_store_dword v[16:17], v19, off
	v_max_f32_e32 v16, v18, v18
	s_cbranch_vccz .LBB67_166
; %bb.164:
	v_min_f32_e32 v17, 0, v16
	v_lshl_add_u64 v[18:19], v[80:81], 2, v[32:33]
	s_mov_b32 s2, 0
	global_store_dword v[18:19], v17, off
	s_cbranch_execz .LBB67_167
; %bb.165:
	v_mov_b32_e32 v16, s2
	s_branch .LBB67_168
.LBB67_166:
                                        ; implicit-def: $sgpr2
.LBB67_167:
	v_lshl_add_u64 v[18:19], v[34:35], 0, v[82:83]
	flat_load_dword v17, v[18:19]
	v_lshl_add_u64 v[18:19], v[32:33], 0, v[82:83]
	s_waitcnt vmcnt(0) lgkmcnt(0)
	v_mul_f32_e32 v17, s12, v17
	v_min_f32_e32 v16, v17, v16
	global_store_dword v[18:19], v16, off
	v_lshl_add_u64 v[16:17], v[70:71], 2, v[34:35]
	flat_load_dword v16, v[16:17]
	s_waitcnt vmcnt(0) lgkmcnt(0)
	v_mul_f32_e32 v16, s12, v16
.LBB67_168:
	;; [unrolled: 38-line block ×3, first 2 shown]
	v_pk_add_f32 v[2:3], v[2:3], v[6:7]
	v_pk_add_f32 v[0:1], v[0:1], v[4:5]
	v_min_f32_e32 v2, v2, v3
	v_min3_f32 v0, v0, v1, v98
	v_min3_f32 v2, v8, v2, v0
	v_lshl_add_u64 v[0:1], v[76:77], 2, v[32:33]
	global_store_dword v[0:1], v2, off
	s_endpgm
	.section	.rodata,"a",@progbits
	.p2align	6, 0x0
	.amdhsa_kernel _ZN12_GLOBAL__N_120geam_min_plus_kernelIf15HIP_vector_typeIfLj2EEfLi8ELi32ELi64ELi256ELi4ELi64ELi4ELi64ELi4ELc78ELc84ELb1ELb0ELb1EfKffEEviiiT16_PT17_ilS6_ilS4_S6_ilPT18_ili26rocblas_geam_ex_operation_
		.amdhsa_group_segment_fixed_size 10240
		.amdhsa_private_segment_fixed_size 0
		.amdhsa_kernarg_size 128
		.amdhsa_user_sgpr_count 2
		.amdhsa_user_sgpr_dispatch_ptr 0
		.amdhsa_user_sgpr_queue_ptr 0
		.amdhsa_user_sgpr_kernarg_segment_ptr 1
		.amdhsa_user_sgpr_dispatch_id 0
		.amdhsa_user_sgpr_kernarg_preload_length 0
		.amdhsa_user_sgpr_kernarg_preload_offset 0
		.amdhsa_user_sgpr_private_segment_size 0
		.amdhsa_uses_dynamic_stack 0
		.amdhsa_enable_private_segment 0
		.amdhsa_system_sgpr_workgroup_id_x 1
		.amdhsa_system_sgpr_workgroup_id_y 0
		.amdhsa_system_sgpr_workgroup_id_z 1
		.amdhsa_system_sgpr_workgroup_info 0
		.amdhsa_system_vgpr_workitem_id 1
		.amdhsa_next_free_vgpr 178
		.amdhsa_next_free_sgpr 28
		.amdhsa_accum_offset 180
		.amdhsa_reserve_vcc 1
		.amdhsa_float_round_mode_32 0
		.amdhsa_float_round_mode_16_64 0
		.amdhsa_float_denorm_mode_32 3
		.amdhsa_float_denorm_mode_16_64 3
		.amdhsa_dx10_clamp 1
		.amdhsa_ieee_mode 1
		.amdhsa_fp16_overflow 0
		.amdhsa_tg_split 0
		.amdhsa_exception_fp_ieee_invalid_op 0
		.amdhsa_exception_fp_denorm_src 0
		.amdhsa_exception_fp_ieee_div_zero 0
		.amdhsa_exception_fp_ieee_overflow 0
		.amdhsa_exception_fp_ieee_underflow 0
		.amdhsa_exception_fp_ieee_inexact 0
		.amdhsa_exception_int_div_zero 0
	.end_amdhsa_kernel
	.section	.text._ZN12_GLOBAL__N_120geam_min_plus_kernelIf15HIP_vector_typeIfLj2EEfLi8ELi32ELi64ELi256ELi4ELi64ELi4ELi64ELi4ELc78ELc84ELb1ELb0ELb1EfKffEEviiiT16_PT17_ilS6_ilS4_S6_ilPT18_ili26rocblas_geam_ex_operation_,"axG",@progbits,_ZN12_GLOBAL__N_120geam_min_plus_kernelIf15HIP_vector_typeIfLj2EEfLi8ELi32ELi64ELi256ELi4ELi64ELi4ELi64ELi4ELc78ELc84ELb1ELb0ELb1EfKffEEviiiT16_PT17_ilS6_ilS4_S6_ilPT18_ili26rocblas_geam_ex_operation_,comdat
.Lfunc_end67:
	.size	_ZN12_GLOBAL__N_120geam_min_plus_kernelIf15HIP_vector_typeIfLj2EEfLi8ELi32ELi64ELi256ELi4ELi64ELi4ELi64ELi4ELc78ELc84ELb1ELb0ELb1EfKffEEviiiT16_PT17_ilS6_ilS4_S6_ilPT18_ili26rocblas_geam_ex_operation_, .Lfunc_end67-_ZN12_GLOBAL__N_120geam_min_plus_kernelIf15HIP_vector_typeIfLj2EEfLi8ELi32ELi64ELi256ELi4ELi64ELi4ELi64ELi4ELc78ELc84ELb1ELb0ELb1EfKffEEviiiT16_PT17_ilS6_ilS4_S6_ilPT18_ili26rocblas_geam_ex_operation_
                                        ; -- End function
	.section	.AMDGPU.csdata,"",@progbits
; Kernel info:
; codeLenInByte = 15716
; NumSgprs: 34
; NumVgprs: 178
; NumAgprs: 0
; TotalNumVgprs: 178
; ScratchSize: 0
; MemoryBound: 0
; FloatMode: 240
; IeeeMode: 1
; LDSByteSize: 10240 bytes/workgroup (compile time only)
; SGPRBlocks: 4
; VGPRBlocks: 22
; NumSGPRsForWavesPerEU: 34
; NumVGPRsForWavesPerEU: 178
; AccumOffset: 180
; Occupancy: 2
; WaveLimiterHint : 1
; COMPUTE_PGM_RSRC2:SCRATCH_EN: 0
; COMPUTE_PGM_RSRC2:USER_SGPR: 2
; COMPUTE_PGM_RSRC2:TRAP_HANDLER: 0
; COMPUTE_PGM_RSRC2:TGID_X_EN: 1
; COMPUTE_PGM_RSRC2:TGID_Y_EN: 0
; COMPUTE_PGM_RSRC2:TGID_Z_EN: 1
; COMPUTE_PGM_RSRC2:TIDIG_COMP_CNT: 1
; COMPUTE_PGM_RSRC3_GFX90A:ACCUM_OFFSET: 44
; COMPUTE_PGM_RSRC3_GFX90A:TG_SPLIT: 0
	.section	.text._ZN12_GLOBAL__N_120geam_min_plus_kernelIf15HIP_vector_typeIfLj2EEfLi8ELi32ELi64ELi256ELi4ELi64ELi4ELi64ELi4ELc78ELc84ELb0ELb0ELb1EfKffEEviiiT16_PT17_ilS6_ilS4_S6_ilPT18_ili26rocblas_geam_ex_operation_,"axG",@progbits,_ZN12_GLOBAL__N_120geam_min_plus_kernelIf15HIP_vector_typeIfLj2EEfLi8ELi32ELi64ELi256ELi4ELi64ELi4ELi64ELi4ELc78ELc84ELb0ELb0ELb1EfKffEEviiiT16_PT17_ilS6_ilS4_S6_ilPT18_ili26rocblas_geam_ex_operation_,comdat
	.globl	_ZN12_GLOBAL__N_120geam_min_plus_kernelIf15HIP_vector_typeIfLj2EEfLi8ELi32ELi64ELi256ELi4ELi64ELi4ELi64ELi4ELc78ELc84ELb0ELb0ELb1EfKffEEviiiT16_PT17_ilS6_ilS4_S6_ilPT18_ili26rocblas_geam_ex_operation_ ; -- Begin function _ZN12_GLOBAL__N_120geam_min_plus_kernelIf15HIP_vector_typeIfLj2EEfLi8ELi32ELi64ELi256ELi4ELi64ELi4ELi64ELi4ELc78ELc84ELb0ELb0ELb1EfKffEEviiiT16_PT17_ilS6_ilS4_S6_ilPT18_ili26rocblas_geam_ex_operation_
	.p2align	8
	.type	_ZN12_GLOBAL__N_120geam_min_plus_kernelIf15HIP_vector_typeIfLj2EEfLi8ELi32ELi64ELi256ELi4ELi64ELi4ELi64ELi4ELc78ELc84ELb0ELb0ELb1EfKffEEviiiT16_PT17_ilS6_ilS4_S6_ilPT18_ili26rocblas_geam_ex_operation_,@function
_ZN12_GLOBAL__N_120geam_min_plus_kernelIf15HIP_vector_typeIfLj2EEfLi8ELi32ELi64ELi256ELi4ELi64ELi4ELi64ELi4ELc78ELc84ELb0ELb0ELb1EfKffEEviiiT16_PT17_ilS6_ilS4_S6_ilPT18_ili26rocblas_geam_ex_operation_: ; @_ZN12_GLOBAL__N_120geam_min_plus_kernelIf15HIP_vector_typeIfLj2EEfLi8ELi32ELi64ELi256ELi4ELi64ELi4ELi64ELi4ELc78ELc84ELb0ELb0ELb1EfKffEEviiiT16_PT17_ilS6_ilS4_S6_ilPT18_ili26rocblas_geam_ex_operation_
; %bb.0:
	s_load_dwordx2 s[18:19], s[0:1], 0x8
	s_load_dwordx4 s[8:11], s[0:1], 0x20
	s_waitcnt lgkmcnt(0)
	v_cmp_eq_f32_e64 s[4:5], s19, 0
	s_and_b64 vcc, exec, s[4:5]
	s_cbranch_vccnz .LBB68_3
; %bb.1:
	s_load_dwordx2 s[6:7], s[0:1], 0x10
	s_mul_i32 s9, s3, s9
	s_mul_hi_u32 s12, s3, s8
	s_add_i32 s9, s12, s9
	s_mul_i32 s8, s3, s8
	s_lshl_b64 s[8:9], s[8:9], 2
	s_waitcnt lgkmcnt(0)
	s_add_u32 s20, s6, s8
	s_addc_u32 s21, s7, s9
	v_cndmask_b32_e64 v1, 0, 1, s[4:5]
	v_cmp_ne_u32_e64 s[6:7], 1, v1
	s_andn2_b64 vcc, exec, s[4:5]
	s_cbranch_vccnz .LBB68_4
.LBB68_2:
	s_mov_b32 s17, 0
	s_mov_b64 s[22:23], 0
	s_cbranch_execz .LBB68_5
	s_branch .LBB68_6
.LBB68_3:
	s_mov_b64 s[20:21], 0
	v_cndmask_b32_e64 v1, 0, 1, s[4:5]
	v_cmp_ne_u32_e64 s[6:7], 1, v1
	s_andn2_b64 vcc, exec, s[4:5]
	s_cbranch_vccz .LBB68_2
.LBB68_4:
                                        ; implicit-def: $sgpr22_sgpr23
                                        ; implicit-def: $sgpr16_sgpr17
.LBB68_5:
	s_load_dwordx2 s[4:5], s[0:1], 0x38
	s_mov_b32 s17, 0
	s_waitcnt lgkmcnt(0)
	s_mul_i32 s5, s3, s5
	s_mul_hi_u32 s8, s3, s4
	s_add_i32 s5, s8, s5
	s_mul_i32 s4, s3, s4
	s_lshl_b64 s[4:5], s[4:5], 2
	s_add_u32 s22, s10, s4
	s_addc_u32 s23, s11, s5
.LBB68_6:
	s_load_dword s16, s[0:1], 0x40
	s_load_dwordx4 s[12:15], s[0:1], 0x58
	s_waitcnt lgkmcnt(0)
	v_cmp_eq_f32_e64 s[4:5], s16, 0
	s_and_b64 s[8:9], exec, s[4:5]
	s_mov_b64 vcc, s[8:9]
	s_cbranch_vccnz .LBB68_8
; %bb.7:
	s_load_dwordx2 s[4:5], s[0:1], 0x48
	s_mul_i32 s10, s3, s13
	s_mul_hi_u32 s11, s3, s12
	s_add_i32 s10, s11, s10
	s_mul_i32 s11, s17, s12
	s_add_i32 s11, s10, s11
	s_mul_i32 s10, s3, s12
	s_lshl_b64 s[10:11], s[10:11], 2
	s_waitcnt lgkmcnt(0)
	s_add_u32 s10, s4, s10
	s_addc_u32 s11, s5, s11
	s_branch .LBB68_9
.LBB68_8:
	s_mov_b64 s[10:11], 0
.LBB68_9:
	s_load_dword s4, s[0:1], 0x0
	s_load_dword s12, s[0:1], 0x18
	v_and_b32_e32 v80, 0x3ff, v0
	v_bfe_u32 v81, v0, 10, 10
	v_lshl_add_u32 v0, v81, 3, v80
	s_waitcnt lgkmcnt(0)
	s_add_i32 s4, s4, -1
	s_ashr_i32 s5, s4, 31
	s_lshr_b32 s5, s5, 26
	s_add_i32 s4, s4, s5
	s_ashr_i32 s4, s4, 6
	s_add_i32 s5, s4, 1
	v_cvt_f32_u32_e32 v1, s5
	s_not_b32 s4, s4
	s_ashr_i32 s13, s12, 31
	v_and_b32_e32 v57, 63, v0
	v_rcp_iflag_f32_e32 v1, v1
	v_lshrrev_b32_e32 v56, 6, v0
	v_mul_f32_e32 v1, 0x4f7ffffe, v1
	v_cvt_u32_f32_e32 v1, v1
	s_nop 0
	v_readfirstlane_b32 s24, v1
	s_mul_i32 s4, s4, s24
	s_mul_hi_u32 s4, s24, s4
	s_add_i32 s24, s24, s4
	s_mul_hi_u32 s4, s2, s24
	s_mul_i32 s24, s4, s5
	s_sub_i32 s24, s2, s24
	s_add_i32 s25, s4, 1
	s_sub_i32 s26, s24, s5
	s_cmp_ge_u32 s24, s5
	s_cselect_b32 s4, s25, s4
	s_cselect_b32 s24, s26, s24
	s_add_i32 s25, s4, 1
	s_cmp_ge_u32 s24, s5
	s_cselect_b32 s25, s25, s4
	s_mul_i32 s30, s25, s5
	s_sub_i32 s4, s2, s30
	s_and_b64 vcc, exec, s[6:7]
	s_lshl_b32 s28, s4, 6
	s_cbranch_vccnz .LBB68_11
; %bb.10:
	v_mov_b32_e32 v1, 0
	s_mov_b64 s[4:5], 0
	s_mov_b32 s24, 0
	s_branch .LBB68_12
.LBB68_11:
	s_mov_b64 s[4:5], -1
                                        ; implicit-def: $sgpr24
                                        ; implicit-def: $vgpr0_vgpr1
.LBB68_12:
	v_or_b32_e32 v4, s28, v57
	v_cmp_neq_f32_e64 s[26:27], s19, 0
	s_andn2_b64 vcc, exec, s[4:5]
	v_ashrrev_i32_e32 v5, 31, v4
	s_cbranch_vccnz .LBB68_14
; %bb.13:
	v_mad_i64_i32 v[0:1], s[4:5], s12, v56, 0
	v_lshl_add_u64 v[0:1], v[0:1], 2, s[20:21]
	v_lshl_add_u64 v[0:1], v[4:5], 2, v[0:1]
	flat_load_dword v0, v[0:1]
	v_mov_b32_e32 v1, 0
	s_waitcnt vmcnt(0) lgkmcnt(0)
	v_mul_f32_e32 v9, s19, v0
	s_branch .LBB68_15
.LBB68_14:
	v_mov_b32_e32 v9, s24
.LBB68_15:
	s_load_dword s24, s[0:1], 0x30
	s_lshl_b32 s29, s25, 8
	v_or_b32_e32 v0, s29, v57
	s_andn2_b64 vcc, exec, s[26:27]
	s_waitcnt lgkmcnt(0)
	s_ashr_i32 s25, s24, 31
	v_mul_lo_u32 v1, v1, s24
	v_mul_lo_u32 v6, v56, s25
	v_mad_u64_u32 v[2:3], s[4:5], v56, s24, 0
	v_add3_u32 v3, v3, v6, v1
	v_cndmask_b32_e64 v1, 0, 1, s[26:27]
	v_lshl_add_u64 v[6:7], v[2:3], 2, s[22:23]
	v_cmp_ne_u32_e64 s[4:5], 1, v1
	v_ashrrev_i32_e32 v1, 31, v0
	s_cbranch_vccnz .LBB68_20
; %bb.16:
	v_lshl_add_u64 v[2:3], v[0:1], 2, v[6:7]
	flat_load_dword v10, v[2:3]
	flat_load_dword v11, v[2:3] offset:256
	s_mov_b32 s26, s19
	s_waitcnt vmcnt(0) lgkmcnt(0)
	v_pk_mul_f32 v[2:3], v[10:11], s[26:27] op_sel_hi:[1,0]
	s_and_b64 vcc, exec, s[4:5]
	s_cbranch_vccnz .LBB68_21
.LBB68_17:
	v_lshl_add_u64 v[6:7], v[0:1], 2, v[6:7]
	flat_load_dword v10, v[6:7] offset:512
	flat_load_dword v11, v[6:7] offset:768
	s_mov_b32 s26, s19
	s_waitcnt vmcnt(0) lgkmcnt(0)
	v_pk_mul_f32 v[6:7], v[10:11], s[26:27] op_sel_hi:[1,0]
	s_and_b64 vcc, exec, s[6:7]
	v_add_u32_e32 v8, 4, v56
	s_cbranch_vccnz .LBB68_22
.LBB68_18:
	v_mov_b32_e32 v11, 0
	s_mov_b32 s26, 0
	s_cbranch_execz .LBB68_23
; %bb.19:
	v_mov_b32_e32 v62, s26
	s_branch .LBB68_24
.LBB68_20:
	v_mov_b32_e32 v2, 0
	v_mov_b32_e32 v3, 0
	s_and_b64 vcc, exec, s[4:5]
	s_cbranch_vccz .LBB68_17
.LBB68_21:
	v_mov_b32_e32 v6, 0
	v_mov_b32_e32 v7, 0
	s_and_b64 vcc, exec, s[6:7]
	v_add_u32_e32 v8, 4, v56
	s_cbranch_vccz .LBB68_18
.LBB68_22:
                                        ; implicit-def: $sgpr26
                                        ; implicit-def: $vgpr10_vgpr11
.LBB68_23:
	v_mad_i64_i32 v[10:11], s[6:7], s12, v8, 0
	v_lshl_add_u64 v[10:11], v[10:11], 2, s[20:21]
	v_lshl_add_u64 v[4:5], v[4:5], 2, v[10:11]
	flat_load_dword v4, v[4:5]
	v_mov_b32_e32 v11, 0
	s_waitcnt vmcnt(0) lgkmcnt(0)
	v_mul_f32_e32 v62, s19, v4
.LBB68_24:
	v_mul_lo_u32 v10, v11, s24
	v_mul_lo_u32 v11, v8, s25
	v_mad_u64_u32 v[4:5], s[6:7], v8, s24, 0
	v_add3_u32 v5, v5, v11, v10
	s_and_b64 vcc, exec, s[4:5]
	v_lshl_add_u64 v[4:5], v[4:5], 2, s[22:23]
	s_cbranch_vccnz .LBB68_27
; %bb.25:
	v_lshl_add_u64 v[10:11], v[0:1], 2, v[4:5]
	flat_load_dword v12, v[10:11]
	flat_load_dword v13, v[10:11] offset:256
	s_mov_b32 s6, s19
	s_waitcnt vmcnt(0) lgkmcnt(0)
	v_pk_mul_f32 v[58:59], v[12:13], s[6:7] op_sel_hi:[1,0]
	s_and_b64 vcc, exec, s[4:5]
	s_cbranch_vccnz .LBB68_28
.LBB68_26:
	v_lshl_add_u64 v[0:1], v[0:1], 2, v[4:5]
	flat_load_dword v4, v[0:1] offset:512
	flat_load_dword v5, v[0:1] offset:768
	s_mov_b32 s6, s19
	s_waitcnt vmcnt(0) lgkmcnt(0)
	v_pk_mul_f32 v[60:61], v[4:5], s[6:7] op_sel_hi:[1,0]
	s_branch .LBB68_29
.LBB68_27:
	v_mov_b32_e32 v58, 0
	v_mov_b32_e32 v59, 0
	s_and_b64 vcc, exec, s[4:5]
	s_cbranch_vccz .LBB68_26
.LBB68_28:
	v_mov_b32_e32 v60, 0
	v_mov_b32_e32 v61, 0
.LBB68_29:
	v_lshlrev_b32_e32 v0, 2, v56
	v_lshl_add_u32 v84, v57, 4, v0
	v_lshlrev_b32_e32 v82, 4, v80
	v_lshlrev_b32_e32 v83, 4, v81
	ds_write_b32 v84, v9 offset:8192
	ds_write2st64_b32 v84, v2, v3 offset1:4
	ds_write2st64_b32 v84, v6, v7 offset0:8 offset1:12
	s_waitcnt lgkmcnt(0)
	s_barrier
	ds_read_b128 v[12:15], v82 offset:8192
	ds_read_b128 v[20:23], v82 offset:8320
	;; [unrolled: 1-line block ×8, first 2 shown]
	ds_read_b128 v[52:55], v83
	ds_read_b128 v[48:51], v83 offset:512
	ds_read_b128 v[44:47], v83 offset:1024
	;; [unrolled: 1-line block ×5, first 2 shown]
	s_waitcnt lgkmcnt(5)
	v_pk_add_f32 v[64:65], v[12:13], v[52:53]
	s_mov_b32 s6, 0x7f7fffff
	v_min3_f32 v63, v64, v65, s6
	v_pk_add_f32 v[64:65], v[20:21], v[52:53]
	s_cmp_lt_i32 s18, 9
	v_min3_f32 v66, v64, v65, s6
	v_pk_add_f32 v[64:65], v[24:25], v[52:53]
	s_nop 0
	v_min3_f32 v67, v64, v65, s6
	v_pk_add_f32 v[64:65], v[28:29], v[52:53]
	s_nop 0
	v_min3_f32 v68, v64, v65, s6
	v_pk_add_f32 v[64:65], v[16:17], v[52:53]
	s_nop 0
	v_min3_f32 v69, v64, v65, s6
	v_pk_add_f32 v[64:65], v[8:9], v[52:53]
	s_nop 0
	v_min3_f32 v70, v64, v65, s6
	v_pk_add_f32 v[64:65], v[4:5], v[52:53]
	v_pk_add_f32 v[52:53], v[0:1], v[52:53]
	v_min3_f32 v64, v64, v65, s6
	v_min3_f32 v65, v52, v53, s6
	s_waitcnt lgkmcnt(4)
	v_pk_add_f32 v[52:53], v[12:13], v[48:49]
	s_nop 0
	v_min3_f32 v71, v52, v53, s6
	v_pk_add_f32 v[52:53], v[20:21], v[48:49]
	s_nop 0
	v_min3_f32 v72, v52, v53, s6
	v_pk_add_f32 v[52:53], v[24:25], v[48:49]
	s_nop 0
	v_min3_f32 v73, v52, v53, s6
	v_pk_add_f32 v[52:53], v[28:29], v[48:49]
	s_nop 0
	v_min3_f32 v74, v52, v53, s6
	v_pk_add_f32 v[52:53], v[16:17], v[48:49]
	s_nop 0
	v_min3_f32 v75, v52, v53, s6
	v_pk_add_f32 v[52:53], v[8:9], v[48:49]
	s_nop 0
	v_min3_f32 v76, v52, v53, s6
	v_pk_add_f32 v[52:53], v[4:5], v[48:49]
	v_pk_add_f32 v[48:49], v[0:1], v[48:49]
	v_min3_f32 v77, v52, v53, s6
	v_min3_f32 v78, v48, v49, s6
	s_waitcnt lgkmcnt(3)
	v_pk_add_f32 v[48:49], v[12:13], v[44:45]
	s_nop 0
	v_min3_f32 v79, v48, v49, s6
	v_pk_add_f32 v[48:49], v[20:21], v[44:45]
	s_nop 0
	;; [unrolled: 23-line block ×5, first 2 shown]
	v_min3_f32 v109, v36, v37, s6
	v_pk_add_f32 v[36:37], v[24:25], v[32:33]
	s_nop 0
	v_min3_f32 v110, v36, v37, s6
	v_pk_add_f32 v[36:37], v[28:29], v[32:33]
	s_nop 0
	;; [unrolled: 3-line block ×11, first 2 shown]
	v_min3_f32 v86, v36, v37, v64
	v_pk_add_f32 v[36:37], v[4:5], v[32:33]
	v_pk_add_f32 v[32:33], v[0:1], v[32:33]
	v_min3_f32 v63, v36, v37, s6
	v_min3_f32 v64, v32, v33, s6
	v_pk_add_f32 v[32:33], v[2:3], v[54:55]
	ds_read_b128 v[52:55], v83 offset:3072
	v_min3_f32 v148, v32, v33, v65
	v_pk_add_f32 v[32:33], v[14:15], v[50:51]
	s_nop 0
	v_min3_f32 v149, v32, v33, v71
	v_pk_add_f32 v[32:33], v[22:23], v[50:51]
	s_nop 0
	;; [unrolled: 3-line block ×7, first 2 shown]
	v_min3_f32 v141, v32, v33, v77
	v_pk_add_f32 v[32:33], v[2:3], v[50:51]
	ds_read_b128 v[48:51], v83 offset:3584
	v_min3_f32 v145, v32, v33, v78
	v_pk_add_f32 v[32:33], v[14:15], v[46:47]
	s_waitcnt lgkmcnt(1)
	v_pk_add_f32 v[36:37], v[12:13], v[52:53]
	v_min3_f32 v144, v32, v33, v79
	v_pk_add_f32 v[32:33], v[22:23], v[46:47]
	v_min3_f32 v65, v36, v37, s6
	v_min3_f32 v140, v32, v33, v89
	v_pk_add_f32 v[32:33], v[26:27], v[46:47]
	v_pk_add_f32 v[36:37], v[20:21], v[52:53]
	v_min3_f32 v139, v32, v33, v90
	v_pk_add_f32 v[32:33], v[30:31], v[46:47]
	v_min3_f32 v66, v36, v37, s6
	v_min3_f32 v136, v32, v33, v91
	v_pk_add_f32 v[32:33], v[18:19], v[46:47]
	v_pk_add_f32 v[36:37], v[16:17], v[52:53]
	v_min3_f32 v135, v32, v33, v92
	v_pk_add_f32 v[32:33], v[10:11], v[46:47]
	s_waitcnt lgkmcnt(0)
	v_pk_add_f32 v[12:13], v[12:13], v[48:49]
	v_min3_f32 v134, v32, v33, v93
	v_pk_add_f32 v[32:33], v[6:7], v[46:47]
	v_pk_add_f32 v[16:17], v[16:17], v[48:49]
	v_min3_f32 v133, v32, v33, v94
	v_pk_add_f32 v[32:33], v[24:25], v[52:53]
	v_min3_f32 v16, v16, v17, s6
	v_min3_f32 v67, v32, v33, s6
	v_pk_add_f32 v[32:33], v[28:29], v[52:53]
	ds_write_b32 v84, v62 offset:9216
	ds_write2st64_b32 v84, v58, v59 offset0:16 offset1:20
	ds_write2st64_b32 v84, v60, v61 offset0:24 offset1:28
	v_min3_f32 v68, v32, v33, s6
	v_pk_add_f32 v[32:33], v[2:3], v[46:47]
	v_min3_f32 v46, v36, v37, s6
	v_min3_f32 v132, v32, v33, v95
	v_pk_add_f32 v[32:33], v[14:15], v[42:43]
	v_pk_add_f32 v[36:37], v[8:9], v[52:53]
	v_min3_f32 v131, v32, v33, v96
	v_pk_add_f32 v[32:33], v[22:23], v[42:43]
	v_min3_f32 v36, v36, v37, s6
	v_min3_f32 v130, v32, v33, v97
	v_pk_add_f32 v[32:33], v[26:27], v[42:43]
	v_pk_add_f32 v[8:9], v[8:9], v[48:49]
	;; [unrolled: 6-line block ×3, first 2 shown]
	v_min3_f32 v127, v32, v33, v100
	v_pk_add_f32 v[32:33], v[10:11], v[42:43]
	s_waitcnt lgkmcnt(0)
	v_min3_f32 v126, v32, v33, v101
	v_pk_add_f32 v[32:33], v[6:7], v[42:43]
	s_barrier
	v_min3_f32 v125, v32, v33, v44
	v_pk_add_f32 v[32:33], v[4:5], v[52:53]
	v_pk_add_f32 v[4:5], v[4:5], v[48:49]
	v_min3_f32 v37, v32, v33, s6
	v_pk_add_f32 v[32:33], v[0:1], v[52:53]
	v_pk_add_f32 v[0:1], v[0:1], v[48:49]
	v_min3_f32 v44, v32, v33, s6
	v_pk_add_f32 v[32:33], v[2:3], v[42:43]
	v_min3_f32 v4, v4, v5, s6
	v_min3_f32 v124, v32, v33, v45
	v_pk_add_f32 v[32:33], v[14:15], v[38:39]
	v_min3_f32 v5, v0, v1, s6
	v_min3_f32 v123, v32, v33, v102
	v_pk_add_f32 v[32:33], v[22:23], v[38:39]
	v_pk_add_f32 v[0:1], v[2:3], v[54:55]
	v_min3_f32 v122, v32, v33, v103
	v_pk_add_f32 v[32:33], v[26:27], v[38:39]
	v_min3_f32 v99, v0, v1, v44
	v_min3_f32 v121, v32, v33, v104
	v_pk_add_f32 v[32:33], v[30:31], v[38:39]
	v_pk_add_f32 v[0:1], v[14:15], v[50:51]
	v_min3_f32 v120, v32, v33, v105
	v_pk_add_f32 v[32:33], v[18:19], v[38:39]
	s_nop 0
	v_min3_f32 v119, v32, v33, v106
	v_pk_add_f32 v[32:33], v[10:11], v[38:39]
	s_nop 0
	;; [unrolled: 3-line block ×3, first 2 shown]
	v_min3_f32 v117, v32, v33, v40
	v_pk_add_f32 v[32:33], v[2:3], v[38:39]
	v_min3_f32 v38, v12, v13, s6
	v_pk_add_f32 v[12:13], v[20:21], v[48:49]
	v_min3_f32 v100, v0, v1, v38
	v_min3_f32 v20, v12, v13, s6
	v_pk_add_f32 v[12:13], v[14:15], v[34:35]
	v_pk_add_f32 v[0:1], v[22:23], v[50:51]
	v_min3_f32 v116, v12, v13, v108
	v_pk_add_f32 v[12:13], v[22:23], v[34:35]
	v_min3_f32 v108, v8, v9, v65
	v_min3_f32 v113, v12, v13, v109
	v_pk_add_f32 v[12:13], v[26:27], v[34:35]
	;; [unrolled: 6-line block ×5, first 2 shown]
	v_min3_f32 v98, v0, v1, v21
	v_min3_f32 v24, v12, v13, s6
	v_pk_add_f32 v[0:1], v[30:31], v[50:51]
	v_pk_add_f32 v[8:9], v[30:31], v[54:55]
	v_min3_f32 v94, v0, v1, v24
	v_pk_add_f32 v[0:1], v[18:19], v[50:51]
	v_min3_f32 v103, v8, v9, v68
	;; [unrolled: 2-line block ×5, first 2 shown]
	v_pk_add_f32 v[0:1], v[6:7], v[50:51]
	v_pk_add_f32 v[12:13], v[2:3], v[34:35]
	v_min3_f32 v101, v8, v9, v36
	v_pk_add_f32 v[8:9], v[6:7], v[54:55]
	v_min3_f32 v93, v0, v1, v4
	;; [unrolled: 2-line block ×3, first 2 shown]
	v_min3_f32 v107, v12, v13, v64
	v_min3_f32 v102, v8, v9, v37
	;; [unrolled: 1-line block ×3, first 2 shown]
	s_cbranch_scc1 .LBB68_47
; %bb.30:
	v_mov_b32_e32 v0, 0x2400
	v_lshl_add_u32 v153, v80, 4, v0
	v_mov_b32_e32 v0, 0x1000
	v_add_u32_e32 v2, 12, v56
	v_lshl_add_u32 v154, v81, 4, v0
	v_mad_i64_i32 v[0:1], s[6:7], v2, s12, 0
	v_lshlrev_b64 v[64:65], 2, v[0:1]
	v_lshl_or_b32 v0, s2, 6, v57
	s_lshl_b32 s2, s30, 6
	v_subrev_u32_e32 v0, s2, v0
	v_ashrrev_i32_e32 v1, 31, v0
	v_lshl_add_u64 v[66:67], v[0:1], 2, s[20:21]
	v_mad_i64_i32 v[0:1], s[20:21], v2, s24, 0
	v_lshlrev_b64 v[68:69], 2, v[0:1]
	v_add_u32_e32 v0, s29, v57
	v_ashrrev_i32_e32 v1, 31, v0
	v_add_u32_e32 v2, 8, v56
	v_lshl_add_u64 v[70:71], v[0:1], 2, s[22:23]
	v_mad_i64_i32 v[0:1], s[22:23], v2, s24, 0
	s_lshl_b64 s[6:7], s[12:13], 5
	v_lshlrev_b64 v[72:73], 2, v[0:1]
	v_mad_i64_i32 v[0:1], s[12:13], v2, s12, 0
	v_or_b32_e32 v89, 0x2000, v84
	v_add_u32_e32 v90, 0x2000, v82
	v_add_u32_e32 v91, 0x2400, v84
	v_or_b32_e32 v137, 0x1000, v84
	s_add_i32 s26, s18, -8
	s_mov_b32 s18, s19
	s_lshl_b64 s[20:21], s[24:25], 5
	v_lshlrev_b64 v[74:75], 2, v[0:1]
	s_mov_b32 s2, 0
	s_branch .LBB68_33
.LBB68_31:                              ;   in Loop: Header=BB68_33 Depth=1
	flat_load_dword v0, v[78:79] offset:512
	flat_load_dword v1, v[78:79] offset:768
	s_waitcnt vmcnt(0) lgkmcnt(0)
	v_pk_mul_f32 v[36:37], v[0:1], s[18:19]
.LBB68_32:                              ;   in Loop: Header=BB68_33 Depth=1
	ds_read_b128 v[0:3], v90
	ds_read_b128 v[4:7], v90 offset:128
	ds_read_b128 v[8:11], v90 offset:256
	ds_read_b128 v[12:15], v90 offset:384
	ds_read_b128 v[16:19], v90 offset:512
	ds_read_b128 v[20:23], v90 offset:640
	ds_read_b128 v[24:27], v90 offset:768
	ds_read_b128 v[28:31], v90 offset:896
	ds_read_b128 v[126:129], v83
	ds_read_b128 v[130:133], v83 offset:512
	ds_read_b128 v[156:159], v83 offset:1024
	;; [unrolled: 1-line block ×7, first 2 shown]
	s_waitcnt lgkmcnt(7)
	v_pk_add_f32 v[78:79], v[0:1], v[126:127]
	s_add_i32 s2, s2, 8
	v_min3_f32 v134, v78, v79, v40
	v_pk_add_f32 v[78:79], v[4:5], v[126:127]
	v_lshl_add_u64 v[66:67], v[66:67], 0, s[6:7]
	v_min3_f32 v78, v78, v79, v41
	v_pk_add_f32 v[40:41], v[8:9], v[126:127]
	s_cmp_ge_i32 s2, s26
	v_min3_f32 v44, v40, v41, v44
	v_pk_add_f32 v[40:41], v[12:13], v[126:127]
	v_lshl_add_u64 v[70:71], v[70:71], 0, s[20:21]
	v_min3_f32 v45, v40, v41, v45
	v_pk_add_f32 v[40:41], v[16:17], v[126:127]
	ds_write_b32 v91, v155
	ds_write2st64_b32 v137, v76, v77 offset1:4
	ds_write2st64_b32 v137, v36, v37 offset0:8 offset1:12
	v_min3_f32 v48, v40, v41, v48
	v_pk_add_f32 v[40:41], v[20:21], v[126:127]
	s_waitcnt lgkmcnt(0)
	v_min3_f32 v49, v40, v41, v49
	v_pk_add_f32 v[40:41], v[24:25], v[126:127]
	s_barrier
	v_min3_f32 v52, v40, v41, v52
	v_pk_add_f32 v[40:41], v[28:29], v[126:127]
	s_nop 0
	v_min3_f32 v53, v40, v41, v53
	v_pk_add_f32 v[40:41], v[0:1], v[130:131]
	s_nop 0
	;; [unrolled: 3-line block ×41, first 2 shown]
	v_min3_f32 v42, v40, v41, v42
	v_pk_add_f32 v[40:41], v[0:1], v[172:173]
	v_pk_add_f32 v[0:1], v[0:1], v[32:33]
	v_min3_f32 v43, v40, v41, v43
	v_min3_f32 v39, v0, v1, v39
	v_pk_add_f32 v[0:1], v[4:5], v[32:33]
	v_pk_add_f32 v[40:41], v[4:5], v[172:173]
	v_min3_f32 v4, v0, v1, v119
	v_pk_add_f32 v[0:1], v[8:9], v[32:33]
	v_min3_f32 v160, v40, v41, v113
	v_min3_f32 v5, v0, v1, v120
	v_pk_add_f32 v[0:1], v[12:13], v[32:33]
	v_pk_add_f32 v[40:41], v[8:9], v[172:173]
	v_min3_f32 v8, v0, v1, v121
	;; [unrolled: 6-line block ×7, first 2 shown]
	v_pk_add_f32 v[0:1], v[26:27], v[128:129]
	v_min3_f32 v38, v40, v41, v38
	v_min3_f32 v86, v0, v1, v52
	v_pk_add_f32 v[0:1], v[30:31], v[128:129]
	s_nop 0
	v_min3_f32 v148, v0, v1, v53
	v_pk_add_f32 v[0:1], v[2:3], v[132:133]
	s_nop 0
	v_min3_f32 v149, v0, v1, v56
	v_pk_add_f32 v[0:1], v[6:7], v[132:133]
	s_nop 0
	v_min3_f32 v146, v0, v1, v57
	v_pk_add_f32 v[0:1], v[10:11], v[132:133]
	s_nop 0
	v_min3_f32 v147, v0, v1, v60
	v_pk_add_f32 v[0:1], v[14:15], v[132:133]
	s_nop 0
	v_min3_f32 v142, v0, v1, v61
	v_pk_add_f32 v[0:1], v[18:19], v[132:133]
	s_nop 0
	v_min3_f32 v143, v0, v1, v62
	v_pk_add_f32 v[0:1], v[22:23], v[132:133]
	s_nop 0
	v_min3_f32 v138, v0, v1, v63
	v_pk_add_f32 v[0:1], v[26:27], v[132:133]
	s_nop 0
	v_min3_f32 v141, v0, v1, v79
	v_pk_add_f32 v[0:1], v[30:31], v[132:133]
	s_nop 0
	v_min3_f32 v145, v0, v1, v58
	v_pk_add_f32 v[0:1], v[2:3], v[158:159]
	s_nop 0
	v_min3_f32 v144, v0, v1, v59
	v_pk_add_f32 v[0:1], v[6:7], v[158:159]
	s_nop 0
	v_min3_f32 v140, v0, v1, v126
	v_pk_add_f32 v[0:1], v[10:11], v[158:159]
	s_nop 0
	v_min3_f32 v139, v0, v1, v127
	v_pk_add_f32 v[0:1], v[14:15], v[158:159]
	s_nop 0
	v_min3_f32 v136, v0, v1, v130
	v_pk_add_f32 v[0:1], v[18:19], v[158:159]
	s_nop 0
	v_min3_f32 v135, v0, v1, v92
	v_pk_add_f32 v[0:1], v[22:23], v[158:159]
	s_nop 0
	v_min3_f32 v134, v0, v1, v93
	v_pk_add_f32 v[0:1], v[26:27], v[158:159]
	s_nop 0
	v_min3_f32 v133, v0, v1, v94
	v_pk_add_f32 v[0:1], v[30:31], v[158:159]
	s_nop 0
	v_min3_f32 v132, v0, v1, v54
	v_pk_add_f32 v[0:1], v[2:3], v[162:163]
	s_nop 0
	v_min3_f32 v131, v0, v1, v55
	v_pk_add_f32 v[0:1], v[6:7], v[162:163]
	s_nop 0
	v_min3_f32 v130, v0, v1, v95
	v_pk_add_f32 v[0:1], v[10:11], v[162:163]
	s_nop 0
	v_min3_f32 v129, v0, v1, v96
	v_pk_add_f32 v[0:1], v[14:15], v[162:163]
	s_nop 0
	v_min3_f32 v128, v0, v1, v97
	v_pk_add_f32 v[0:1], v[18:19], v[162:163]
	s_nop 0
	v_min3_f32 v127, v0, v1, v98
	v_pk_add_f32 v[0:1], v[22:23], v[162:163]
	s_nop 0
	v_min3_f32 v126, v0, v1, v99
	v_pk_add_f32 v[0:1], v[26:27], v[162:163]
	s_nop 0
	v_min3_f32 v125, v0, v1, v100
	v_pk_add_f32 v[0:1], v[30:31], v[162:163]
	s_nop 0
	v_min3_f32 v124, v0, v1, v50
	v_pk_add_f32 v[0:1], v[2:3], v[166:167]
	s_nop 0
	v_min3_f32 v123, v0, v1, v51
	v_pk_add_f32 v[0:1], v[6:7], v[166:167]
	s_nop 0
	v_min3_f32 v122, v0, v1, v101
	v_pk_add_f32 v[0:1], v[10:11], v[166:167]
	s_nop 0
	v_min3_f32 v121, v0, v1, v102
	v_pk_add_f32 v[0:1], v[14:15], v[166:167]
	s_nop 0
	v_min3_f32 v120, v0, v1, v103
	v_pk_add_f32 v[0:1], v[18:19], v[166:167]
	s_nop 0
	v_min3_f32 v119, v0, v1, v104
	v_pk_add_f32 v[0:1], v[22:23], v[166:167]
	s_nop 0
	v_min3_f32 v118, v0, v1, v105
	v_pk_add_f32 v[0:1], v[26:27], v[166:167]
	s_nop 0
	v_min3_f32 v117, v0, v1, v106
	v_pk_add_f32 v[0:1], v[30:31], v[166:167]
	s_nop 0
	v_min3_f32 v115, v0, v1, v46
	v_pk_add_f32 v[0:1], v[2:3], v[170:171]
	s_nop 0
	v_min3_f32 v116, v0, v1, v47
	v_pk_add_f32 v[0:1], v[6:7], v[170:171]
	s_nop 0
	v_min3_f32 v113, v0, v1, v107
	v_pk_add_f32 v[0:1], v[10:11], v[170:171]
	s_nop 0
	v_min3_f32 v114, v0, v1, v108
	v_pk_add_f32 v[0:1], v[14:15], v[170:171]
	s_nop 0
	v_min3_f32 v111, v0, v1, v109
	v_pk_add_f32 v[0:1], v[18:19], v[170:171]
	s_nop 0
	v_min3_f32 v112, v0, v1, v110
	v_pk_add_f32 v[0:1], v[22:23], v[170:171]
	s_nop 0
	v_min3_f32 v109, v0, v1, v156
	v_pk_add_f32 v[0:1], v[26:27], v[170:171]
	s_nop 0
	v_min3_f32 v110, v0, v1, v157
	v_pk_add_f32 v[0:1], v[30:31], v[170:171]
	s_nop 0
	v_min3_f32 v107, v0, v1, v42
	v_pk_add_f32 v[0:1], v[2:3], v[174:175]
	s_nop 0
	v_min3_f32 v108, v0, v1, v43
	v_pk_add_f32 v[0:1], v[6:7], v[174:175]
	s_nop 0
	v_min3_f32 v105, v0, v1, v160
	v_pk_add_f32 v[0:1], v[10:11], v[174:175]
	s_nop 0
	v_min3_f32 v106, v0, v1, v161
	v_pk_add_f32 v[0:1], v[14:15], v[174:175]
	s_nop 0
	v_min3_f32 v103, v0, v1, v164
	v_pk_add_f32 v[0:1], v[18:19], v[174:175]
	s_nop 0
	v_min3_f32 v104, v0, v1, v165
	v_pk_add_f32 v[0:1], v[22:23], v[174:175]
	s_nop 0
	v_min3_f32 v101, v0, v1, v168
	v_pk_add_f32 v[0:1], v[26:27], v[174:175]
	s_nop 0
	v_min3_f32 v102, v0, v1, v169
	v_pk_add_f32 v[0:1], v[30:31], v[174:175]
	s_nop 0
	v_min3_f32 v99, v0, v1, v38
	v_pk_add_f32 v[0:1], v[2:3], v[34:35]
	s_nop 0
	v_min3_f32 v100, v0, v1, v39
	v_pk_add_f32 v[0:1], v[6:7], v[34:35]
	s_nop 0
	v_min3_f32 v97, v0, v1, v4
	v_pk_add_f32 v[0:1], v[10:11], v[34:35]
	s_nop 0
	v_min3_f32 v98, v0, v1, v5
	v_pk_add_f32 v[0:1], v[14:15], v[34:35]
	s_nop 0
	v_min3_f32 v94, v0, v1, v8
	v_pk_add_f32 v[0:1], v[18:19], v[34:35]
	s_nop 0
	v_min3_f32 v95, v0, v1, v9
	v_pk_add_f32 v[0:1], v[22:23], v[34:35]
	s_nop 0
	v_min3_f32 v92, v0, v1, v12
	v_pk_add_f32 v[0:1], v[26:27], v[34:35]
	s_nop 0
	v_min3_f32 v93, v0, v1, v13
	v_pk_add_f32 v[0:1], v[30:31], v[34:35]
	s_nop 0
	v_min3_f32 v96, v0, v1, v16
	s_cbranch_scc1 .LBB68_47
.LBB68_33:                              ; =>This Inner Loop Header: Depth=1
	s_and_b64 vcc, exec, s[4:5]
	s_cbranch_vccnz .LBB68_37
; %bb.34:                               ;   in Loop: Header=BB68_33 Depth=1
	v_lshl_add_u64 v[0:1], v[66:67], 0, v[74:75]
	flat_load_dword v0, v[0:1]
	s_waitcnt vmcnt(0) lgkmcnt(0)
	v_mul_f32_e32 v155, s19, v0
	s_and_b64 vcc, exec, s[4:5]
	v_lshl_add_u64 v[0:1], v[70:71], 0, v[72:73]
	s_cbranch_vccnz .LBB68_38
.LBB68_35:                              ;   in Loop: Header=BB68_33 Depth=1
	flat_load_dword v2, v[0:1]
	flat_load_dword v3, v[0:1] offset:256
	s_waitcnt vmcnt(0) lgkmcnt(0)
	v_pk_mul_f32 v[76:77], v[2:3], s[18:19]
	s_and_b64 vcc, exec, s[4:5]
	s_cbranch_vccnz .LBB68_39
.LBB68_36:                              ;   in Loop: Header=BB68_33 Depth=1
	flat_load_dword v2, v[0:1] offset:512
	flat_load_dword v3, v[0:1] offset:768
	s_waitcnt vmcnt(0) lgkmcnt(0)
	v_pk_mul_f32 v[78:79], v[2:3], s[18:19]
	s_branch .LBB68_40
.LBB68_37:                              ;   in Loop: Header=BB68_33 Depth=1
	v_mov_b32_e32 v155, 0
	s_and_b64 vcc, exec, s[4:5]
	v_lshl_add_u64 v[0:1], v[70:71], 0, v[72:73]
	s_cbranch_vccz .LBB68_35
.LBB68_38:                              ;   in Loop: Header=BB68_33 Depth=1
	v_mov_b32_e32 v76, 0
	v_mov_b32_e32 v77, 0
	s_and_b64 vcc, exec, s[4:5]
	s_cbranch_vccz .LBB68_36
.LBB68_39:                              ;   in Loop: Header=BB68_33 Depth=1
	v_mov_b32_e32 v78, 0
	v_mov_b32_e32 v79, 0
.LBB68_40:                              ;   in Loop: Header=BB68_33 Depth=1
	ds_read_b128 v[28:31], v153
	ds_read_b128 v[24:27], v153 offset:128
	ds_read_b128 v[20:23], v153 offset:256
	;; [unrolled: 1-line block ×7, first 2 shown]
	ds_read_b128 v[60:63], v154
	ds_read_b128 v[56:59], v154 offset:512
	ds_read_b128 v[52:55], v154 offset:1024
	;; [unrolled: 1-line block ×7, first 2 shown]
	s_and_b64 vcc, exec, s[4:5]
	ds_write_b32 v89, v155
	ds_write2st64_b32 v84, v76, v77 offset1:4
	ds_write2st64_b32 v84, v78, v79 offset0:8 offset1:12
	s_waitcnt lgkmcnt(0)
	s_barrier
	s_cbranch_vccnz .LBB68_43
; %bb.41:                               ;   in Loop: Header=BB68_33 Depth=1
	v_lshl_add_u64 v[76:77], v[66:67], 0, v[64:65]
	flat_load_dword v76, v[76:77]
	s_waitcnt vmcnt(0) lgkmcnt(0)
	v_mul_f32_e32 v155, s19, v76
	s_and_b64 vcc, exec, s[4:5]
	v_lshl_add_u64 v[78:79], v[70:71], 0, v[68:69]
	s_cbranch_vccnz .LBB68_44
.LBB68_42:                              ;   in Loop: Header=BB68_33 Depth=1
	flat_load_dword v76, v[78:79]
	flat_load_dword v77, v[78:79] offset:256
	s_waitcnt vmcnt(0) lgkmcnt(0)
	v_pk_mul_f32 v[76:77], v[76:77], s[18:19]
	s_branch .LBB68_45
.LBB68_43:                              ;   in Loop: Header=BB68_33 Depth=1
	v_mov_b32_e32 v155, 0
	s_and_b64 vcc, exec, s[4:5]
	v_lshl_add_u64 v[78:79], v[70:71], 0, v[68:69]
	s_cbranch_vccz .LBB68_42
.LBB68_44:                              ;   in Loop: Header=BB68_33 Depth=1
	v_mov_b32_e32 v76, 0
	v_mov_b32_e32 v77, 0
.LBB68_45:                              ;   in Loop: Header=BB68_33 Depth=1
	v_pk_add_f32 v[156:157], v[28:29], v[60:61]
	s_and_b64 vcc, exec, s[4:5]
	v_min3_f32 v88, v156, v157, v88
	v_pk_add_f32 v[156:157], v[24:25], v[60:61]
	s_nop 0
	v_min3_f32 v158, v156, v157, v151
	v_pk_add_f32 v[156:157], v[20:21], v[60:61]
	s_nop 0
	v_min3_f32 v152, v156, v157, v152
	v_pk_add_f32 v[156:157], v[16:17], v[60:61]
	s_nop 0
	v_min3_f32 v87, v156, v157, v87
	v_pk_add_f32 v[156:157], v[12:13], v[60:61]
	s_nop 0
	v_min3_f32 v156, v156, v157, v150
	v_pk_add_f32 v[150:151], v[8:9], v[60:61]
	s_nop 0
	v_min3_f32 v85, v150, v151, v85
	v_pk_add_f32 v[150:151], v[4:5], v[60:61]
	v_pk_add_f32 v[60:61], v[0:1], v[60:61]
	v_min3_f32 v86, v150, v151, v86
	v_min3_f32 v148, v60, v61, v148
	v_pk_add_f32 v[60:61], v[28:29], v[56:57]
	s_nop 0
	v_min3_f32 v149, v60, v61, v149
	v_pk_add_f32 v[60:61], v[24:25], v[56:57]
	s_nop 0
	v_min3_f32 v146, v60, v61, v146
	v_pk_add_f32 v[60:61], v[20:21], v[56:57]
	s_nop 0
	v_min3_f32 v147, v60, v61, v147
	v_pk_add_f32 v[60:61], v[16:17], v[56:57]
	s_nop 0
	v_min3_f32 v142, v60, v61, v142
	v_pk_add_f32 v[60:61], v[12:13], v[56:57]
	s_nop 0
	v_min3_f32 v143, v60, v61, v143
	v_pk_add_f32 v[60:61], v[8:9], v[56:57]
	s_nop 0
	v_min3_f32 v138, v60, v61, v138
	v_pk_add_f32 v[60:61], v[4:5], v[56:57]
	v_pk_add_f32 v[56:57], v[0:1], v[56:57]
	v_min3_f32 v141, v60, v61, v141
	v_min3_f32 v145, v56, v57, v145
	v_pk_add_f32 v[56:57], v[28:29], v[52:53]
	s_nop 0
	v_min3_f32 v144, v56, v57, v144
	v_pk_add_f32 v[56:57], v[24:25], v[52:53]
	s_nop 0
	v_min3_f32 v140, v56, v57, v140
	v_pk_add_f32 v[56:57], v[20:21], v[52:53]
	s_nop 0
	v_min3_f32 v139, v56, v57, v139
	v_pk_add_f32 v[56:57], v[16:17], v[52:53]
	s_nop 0
	v_min3_f32 v136, v56, v57, v136
	v_pk_add_f32 v[56:57], v[12:13], v[52:53]
	s_nop 0
	v_min3_f32 v135, v56, v57, v135
	v_pk_add_f32 v[56:57], v[8:9], v[52:53]
	s_nop 0
	v_min3_f32 v134, v56, v57, v134
	v_pk_add_f32 v[56:57], v[4:5], v[52:53]
	v_pk_add_f32 v[52:53], v[0:1], v[52:53]
	v_min3_f32 v133, v56, v57, v133
	v_min3_f32 v132, v52, v53, v132
	v_pk_add_f32 v[52:53], v[28:29], v[48:49]
	s_nop 0
	v_min3_f32 v131, v52, v53, v131
	v_pk_add_f32 v[52:53], v[24:25], v[48:49]
	s_nop 0
	v_min3_f32 v130, v52, v53, v130
	v_pk_add_f32 v[52:53], v[20:21], v[48:49]
	s_nop 0
	v_min3_f32 v129, v52, v53, v129
	v_pk_add_f32 v[52:53], v[16:17], v[48:49]
	s_nop 0
	v_min3_f32 v128, v52, v53, v128
	v_pk_add_f32 v[52:53], v[12:13], v[48:49]
	s_nop 0
	v_min3_f32 v127, v52, v53, v127
	v_pk_add_f32 v[52:53], v[8:9], v[48:49]
	s_nop 0
	v_min3_f32 v126, v52, v53, v126
	v_pk_add_f32 v[52:53], v[4:5], v[48:49]
	v_pk_add_f32 v[48:49], v[0:1], v[48:49]
	v_min3_f32 v125, v52, v53, v125
	v_min3_f32 v124, v48, v49, v124
	v_pk_add_f32 v[48:49], v[28:29], v[44:45]
	s_nop 0
	v_min3_f32 v123, v48, v49, v123
	v_pk_add_f32 v[48:49], v[24:25], v[44:45]
	s_nop 0
	v_min3_f32 v122, v48, v49, v122
	v_pk_add_f32 v[48:49], v[20:21], v[44:45]
	s_nop 0
	v_min3_f32 v121, v48, v49, v121
	v_pk_add_f32 v[48:49], v[16:17], v[44:45]
	s_nop 0
	v_min3_f32 v120, v48, v49, v120
	v_pk_add_f32 v[48:49], v[12:13], v[44:45]
	s_nop 0
	v_min3_f32 v119, v48, v49, v119
	v_pk_add_f32 v[48:49], v[8:9], v[44:45]
	s_nop 0
	v_min3_f32 v118, v48, v49, v118
	v_pk_add_f32 v[48:49], v[4:5], v[44:45]
	v_pk_add_f32 v[44:45], v[0:1], v[44:45]
	v_min3_f32 v117, v48, v49, v117
	v_min3_f32 v115, v44, v45, v115
	v_pk_add_f32 v[44:45], v[28:29], v[40:41]
	s_nop 0
	v_min3_f32 v116, v44, v45, v116
	v_pk_add_f32 v[44:45], v[24:25], v[40:41]
	s_nop 0
	v_min3_f32 v113, v44, v45, v113
	v_pk_add_f32 v[44:45], v[20:21], v[40:41]
	s_nop 0
	;; [unrolled: 3-line block ×5, first 2 shown]
	v_min3_f32 v150, v44, v45, v109
	v_pk_add_f32 v[44:45], v[4:5], v[40:41]
	v_pk_add_f32 v[40:41], v[0:1], v[40:41]
	v_min3_f32 v151, v44, v45, v110
	v_min3_f32 v157, v40, v41, v107
	v_pk_add_f32 v[40:41], v[28:29], v[36:37]
	v_pk_add_f32 v[28:29], v[28:29], v[32:33]
	v_min3_f32 v159, v40, v41, v108
	v_pk_add_f32 v[40:41], v[24:25], v[36:37]
	v_pk_add_f32 v[24:25], v[24:25], v[32:33]
	v_min3_f32 v160, v40, v41, v105
	v_pk_add_f32 v[40:41], v[20:21], v[36:37]
	v_min3_f32 v24, v24, v25, v97
	v_min3_f32 v161, v40, v41, v106
	v_pk_add_f32 v[40:41], v[16:17], v[36:37]
	v_pk_add_f32 v[16:17], v[16:17], v[32:33]
	v_min3_f32 v162, v40, v41, v103
	v_pk_add_f32 v[40:41], v[12:13], v[36:37]
	v_min3_f32 v16, v16, v17, v94
	v_min3_f32 v163, v40, v41, v104
	v_pk_add_f32 v[40:41], v[8:9], v[36:37]
	v_pk_add_f32 v[8:9], v[8:9], v[32:33]
	v_min3_f32 v164, v40, v41, v101
	v_pk_add_f32 v[40:41], v[4:5], v[36:37]
	v_pk_add_f32 v[36:37], v[0:1], v[36:37]
	;; [unrolled: 1-line block ×4, first 2 shown]
	v_min3_f32 v4, v4, v5, v93
	v_min3_f32 v5, v0, v1, v96
	v_pk_add_f32 v[0:1], v[30:31], v[62:63]
	v_min3_f32 v165, v40, v41, v102
	v_min3_f32 v40, v0, v1, v88
	v_pk_add_f32 v[0:1], v[26:27], v[62:63]
	;; [unrolled: 3-line block ×3, first 2 shown]
	v_pk_add_f32 v[12:13], v[12:13], v[32:33]
	v_min3_f32 v44, v0, v1, v152
	v_pk_add_f32 v[0:1], v[18:19], v[62:63]
	v_min3_f32 v12, v12, v13, v95
	v_min3_f32 v45, v0, v1, v87
	v_pk_add_f32 v[0:1], v[14:15], v[62:63]
	v_pk_add_f32 v[20:21], v[20:21], v[32:33]
	v_min3_f32 v48, v0, v1, v156
	v_pk_add_f32 v[0:1], v[10:11], v[62:63]
	v_min3_f32 v20, v20, v21, v98
	v_min3_f32 v49, v0, v1, v85
	v_pk_add_f32 v[0:1], v[6:7], v[62:63]
	v_min3_f32 v36, v36, v37, v99
	;; [unrolled: 3-line block ×3, first 2 shown]
	v_min3_f32 v53, v0, v1, v148
	v_pk_add_f32 v[0:1], v[30:31], v[58:59]
	s_nop 0
	v_min3_f32 v56, v0, v1, v149
	v_pk_add_f32 v[0:1], v[26:27], v[58:59]
	s_nop 0
	;; [unrolled: 3-line block ×56, first 2 shown]
	v_min3_f32 v125, v0, v1, v5
	s_cbranch_vccz .LBB68_31
; %bb.46:                               ;   in Loop: Header=BB68_33 Depth=1
	v_mov_b32_e32 v36, 0
	v_mov_b32_e32 v37, 0
	s_branch .LBB68_32
.LBB68_47:
	s_load_dwordx2 s[6:7], s[0:1], 0x70
	s_load_dword s4, s[0:1], 0x50
	s_load_dword s5, s[0:1], 0x68
	ds_read_b128 v[32:35], v82 offset:9216
	ds_read_b128 v[60:63], v83 offset:4096
	v_add_u32_e32 v68, s28, v80
	s_waitcnt lgkmcnt(0)
	s_mul_i32 s0, s3, s7
	s_mul_hi_u32 s1, s3, s6
	s_mul_i32 s2, s17, s6
	s_add_i32 s0, s1, s0
	s_add_i32 s1, s0, s2
	s_mul_i32 s0, s3, s6
	s_lshl_b64 s[0:1], s[0:1], 2
	v_pk_add_f32 v[0:1], v[32:33], v[60:61]
	s_add_u32 s0, s14, s0
	v_min3_f32 v2, v0, v1, v88
	v_pk_add_f32 v[0:1], v[34:35], v[62:63]
	v_add_u32_e32 v137, s29, v81
	s_addc_u32 s1, s15, s1
	v_min3_f32 v2, v0, v1, v2
	v_add_u32_e32 v64, 8, v68
	v_mad_i64_i32 v[0:1], s[2:3], v137, s5, 0
	v_ashrrev_i32_e32 v69, 31, v68
	v_ashrrev_i32_e32 v65, 31, v64
	v_lshl_add_u64 v[88:89], v[0:1], 2, s[0:1]
	v_mad_i64_i32 v[0:1], s[2:3], v137, s4, 0
	v_max_f32_e32 v2, v2, v2
	s_mov_b64 vcc, s[8:9]
	s_cbranch_vccz .LBB68_49
; %bb.48:
	v_min_f32_e32 v3, 0, v2
	v_lshl_add_u64 v[4:5], v[68:69], 2, v[88:89]
	s_mov_b32 s6, 0
	global_store_dword v[4:5], v3, off
	s_mov_b64 s[2:3], 0
	s_branch .LBB68_50
.LBB68_49:
	s_mov_b64 s[2:3], -1
                                        ; implicit-def: $sgpr6
.LBB68_50:
	ds_read_b128 v[28:31], v82 offset:9344
	ds_read_b128 v[24:27], v82 offset:9472
	v_lshl_add_u64 v[90:91], v[0:1], 2, s[10:11]
	s_andn2_b64 vcc, exec, s[2:3]
	v_lshlrev_b64 v[72:73], 2, v[68:69]
	s_cbranch_vccnz .LBB68_52
; %bb.51:
	v_lshl_add_u64 v[0:1], v[90:91], 0, v[72:73]
	flat_load_dword v3, v[0:1]
	v_lshl_add_u64 v[0:1], v[88:89], 0, v[72:73]
	s_waitcnt vmcnt(0) lgkmcnt(0)
	v_mul_f32_e32 v3, s16, v3
	v_min_f32_e32 v2, v3, v2
	global_store_dword v[0:1], v2, off
	v_lshl_add_u64 v[0:1], v[64:65], 2, v[90:91]
	flat_load_dword v0, v[0:1]
	s_waitcnt vmcnt(0) lgkmcnt(0)
	v_mul_f32_e32 v70, s16, v0
	s_branch .LBB68_53
.LBB68_52:
	v_mov_b32_e32 v70, s6
.LBB68_53:
	ds_read_b128 v[16:19], v82 offset:9728
	ds_read_b128 v[12:15], v82 offset:9856
	;; [unrolled: 1-line block ×12, first 2 shown]
	s_waitcnt lgkmcnt(13)
	v_pk_add_f32 v[66:67], v[28:29], v[60:61]
	s_mov_b64 vcc, s[8:9]
	v_min3_f32 v71, v66, v67, v151
	s_waitcnt lgkmcnt(12)
	v_pk_add_f32 v[66:67], v[24:25], v[60:61]
	s_nop 0
	v_min3_f32 v74, v66, v67, v152
	v_pk_add_f32 v[66:67], v[30:31], v[62:63]
	s_nop 0
	v_min_f32_e32 v76, v66, v67
	v_pk_add_f32 v[66:67], v[26:27], v[62:63]
	v_min3_f32 v76, v70, v76, v71
	v_min3_f32 v77, v66, v67, v74
	v_add_u32_e32 v74, 16, v68
	v_add_u32_e32 v66, 24, v68
	v_lshl_add_u64 v[70:71], v[64:65], 2, v[88:89]
	v_ashrrev_i32_e32 v75, 31, v74
	v_ashrrev_i32_e32 v67, 31, v66
	global_store_dword v[70:71], v76, off
	v_max_f32_e32 v70, v77, v77
	s_cbranch_vccz .LBB68_56
; %bb.54:
	v_min_f32_e32 v71, 0, v70
	v_lshl_add_u64 v[76:77], v[74:75], 2, v[88:89]
	s_mov_b32 s6, 0
	global_store_dword v[76:77], v71, off
	v_lshlrev_b64 v[78:79], 2, v[74:75]
	s_cbranch_execz .LBB68_57
; %bb.55:
	v_mov_b32_e32 v76, s6
	s_branch .LBB68_58
.LBB68_56:
                                        ; implicit-def: $sgpr6
	v_lshlrev_b64 v[78:79], 2, v[74:75]
.LBB68_57:
	v_lshl_add_u64 v[76:77], v[90:91], 0, v[78:79]
	flat_load_dword v71, v[76:77]
	v_lshl_add_u64 v[76:77], v[88:89], 0, v[78:79]
	s_waitcnt vmcnt(0) lgkmcnt(0)
	v_mul_f32_e32 v71, s16, v71
	v_min_f32_e32 v70, v71, v70
	global_store_dword v[76:77], v70, off
	v_lshl_add_u64 v[70:71], v[66:67], 2, v[90:91]
	flat_load_dword v70, v[70:71]
	s_waitcnt vmcnt(0) lgkmcnt(0)
	v_mul_f32_e32 v76, s16, v70
.LBB68_58:
	s_waitcnt lgkmcnt(1)
	v_pk_add_f32 v[70:71], v[20:21], v[60:61]
	s_mov_b64 vcc, s[8:9]
	v_min3_f32 v77, v70, v71, v87
	v_pk_add_f32 v[70:71], v[16:17], v[60:61]
	s_nop 0
	v_min3_f32 v80, v70, v71, v150
	v_pk_add_f32 v[70:71], v[22:23], v[62:63]
	s_nop 0
	v_min_f32_e32 v82, v70, v71
	v_pk_add_f32 v[70:71], v[18:19], v[62:63]
	v_min3_f32 v82, v76, v82, v77
	v_min3_f32 v83, v70, v71, v80
	v_add_u32_e32 v80, 32, v68
	v_add_u32_e32 v70, 40, v68
	v_lshl_add_u64 v[76:77], v[66:67], 2, v[88:89]
	v_ashrrev_i32_e32 v81, 31, v80
	v_ashrrev_i32_e32 v71, 31, v70
	global_store_dword v[76:77], v82, off
	v_max_f32_e32 v76, v83, v83
	s_cbranch_vccz .LBB68_61
; %bb.59:
	v_min_f32_e32 v77, 0, v76
	v_lshl_add_u64 v[82:83], v[80:81], 2, v[88:89]
	s_mov_b32 s6, 0
	global_store_dword v[82:83], v77, off
	v_lshlrev_b64 v[82:83], 2, v[80:81]
	s_cbranch_execz .LBB68_62
; %bb.60:
	v_mov_b32_e32 v87, s6
	s_branch .LBB68_63
.LBB68_61:
                                        ; implicit-def: $sgpr6
	v_lshlrev_b64 v[82:83], 2, v[80:81]
.LBB68_62:
	v_lshl_add_u64 v[150:151], v[90:91], 0, v[82:83]
	flat_load_dword v77, v[150:151]
	v_lshl_add_u64 v[150:151], v[88:89], 0, v[82:83]
	s_waitcnt vmcnt(0) lgkmcnt(0)
	v_mul_f32_e32 v77, s16, v77
	v_min_f32_e32 v76, v77, v76
	global_store_dword v[150:151], v76, off
	v_lshl_add_u64 v[76:77], v[70:71], 2, v[90:91]
	flat_load_dword v76, v[76:77]
	s_waitcnt vmcnt(0) lgkmcnt(0)
	v_mul_f32_e32 v87, s16, v76
.LBB68_63:
	v_pk_add_f32 v[76:77], v[12:13], v[60:61]
	s_mov_b64 vcc, s[8:9]
	v_min3_f32 v150, v76, v77, v85
	v_pk_add_f32 v[76:77], v[8:9], v[60:61]
	s_nop 0
	v_min3_f32 v84, v76, v77, v86
	v_pk_add_f32 v[76:77], v[14:15], v[62:63]
	s_nop 0
	v_min_f32_e32 v86, v76, v77
	v_pk_add_f32 v[76:77], v[10:11], v[62:63]
	v_min3_f32 v150, v87, v86, v150
	v_min3_f32 v151, v76, v77, v84
	v_add_u32_e32 v84, 48, v68
	v_add_u32_e32 v76, 56, v68
	v_lshl_add_u64 v[86:87], v[70:71], 2, v[88:89]
	v_ashrrev_i32_e32 v85, 31, v84
	v_ashrrev_i32_e32 v77, 31, v76
	global_store_dword v[86:87], v150, off
	v_max_f32_e32 v150, v151, v151
	s_cbranch_vccz .LBB68_66
; %bb.64:
	v_min_f32_e32 v151, 0, v150
	v_lshl_add_u64 v[86:87], v[84:85], 2, v[88:89]
	s_mov_b32 s6, 0
	global_store_dword v[86:87], v151, off
	v_lshlrev_b64 v[86:87], 2, v[84:85]
	s_cbranch_execz .LBB68_67
; %bb.65:
	v_mov_b32_e32 v90, s6
	s_branch .LBB68_68
.LBB68_66:
                                        ; implicit-def: $sgpr6
	v_lshlrev_b64 v[86:87], 2, v[84:85]
.LBB68_67:
	v_lshl_add_u64 v[152:153], v[90:91], 0, v[86:87]
	flat_load_dword v151, v[152:153]
	v_lshl_add_u64 v[152:153], v[88:89], 0, v[86:87]
	v_lshl_add_u64 v[90:91], v[76:77], 2, v[90:91]
	s_waitcnt vmcnt(0) lgkmcnt(0)
	v_mul_f32_e32 v151, s16, v151
	v_min_f32_e32 v150, v151, v150
	global_store_dword v[152:153], v150, off
	flat_load_dword v90, v[90:91]
	s_waitcnt vmcnt(0) lgkmcnt(0)
	v_mul_f32_e32 v90, s16, v90
.LBB68_68:
	v_pk_add_f32 v[60:61], v[0:1], v[60:61]
	s_mov_b64 vcc, s[8:9]
	v_min3_f32 v91, v60, v61, v148
	v_pk_add_f32 v[60:61], v[32:33], v[56:57]
	s_nop 0
	v_min3_f32 v148, v60, v61, v149
	v_pk_add_f32 v[60:61], v[2:3], v[62:63]
	s_nop 0
	v_min_f32_e32 v62, v60, v61
	v_pk_add_f32 v[60:61], v[34:35], v[58:59]
	v_min3_f32 v62, v90, v62, v91
	v_min3_f32 v148, v60, v61, v148
	v_lshl_add_u64 v[60:61], v[76:77], 2, v[88:89]
	global_store_dword v[60:61], v62, off
	v_add_u32_e32 v62, 32, v137
	v_mad_i64_i32 v[60:61], s[2:3], v62, s5, 0
	v_lshl_add_u64 v[60:61], v[60:61], 2, s[0:1]
	v_mad_i64_i32 v[62:63], s[2:3], v62, s4, 0
	v_max_f32_e32 v88, v148, v148
	s_cbranch_vccz .LBB68_71
; %bb.69:
	v_min_f32_e32 v89, 0, v88
	v_lshl_add_u64 v[90:91], v[68:69], 2, v[60:61]
	s_mov_b32 s6, 0
	global_store_dword v[90:91], v89, off
	v_lshl_add_u64 v[62:63], v[62:63], 2, s[10:11]
	s_cbranch_execz .LBB68_72
; %bb.70:
	v_mov_b32_e32 v88, s6
	s_branch .LBB68_73
.LBB68_71:
                                        ; implicit-def: $sgpr6
	v_lshl_add_u64 v[62:63], v[62:63], 2, s[10:11]
.LBB68_72:
	v_lshl_add_u64 v[90:91], v[62:63], 0, v[72:73]
	flat_load_dword v89, v[90:91]
	v_lshl_add_u64 v[90:91], v[60:61], 0, v[72:73]
	s_waitcnt vmcnt(0) lgkmcnt(0)
	v_mul_f32_e32 v89, s16, v89
	v_min_f32_e32 v88, v89, v88
	global_store_dword v[90:91], v88, off
	v_lshl_add_u64 v[88:89], v[64:65], 2, v[62:63]
	flat_load_dword v88, v[88:89]
	s_waitcnt vmcnt(0) lgkmcnt(0)
	v_mul_f32_e32 v88, s16, v88
.LBB68_73:
	v_pk_add_f32 v[90:91], v[28:29], v[56:57]
	s_mov_b64 vcc, s[8:9]
	v_min3_f32 v89, v90, v91, v146
	v_pk_add_f32 v[90:91], v[24:25], v[56:57]
	s_nop 0
	v_min3_f32 v146, v90, v91, v147
	v_pk_add_f32 v[90:91], v[30:31], v[58:59]
	s_nop 0
	v_min_f32_e32 v147, v90, v91
	v_pk_add_f32 v[90:91], v[26:27], v[58:59]
	s_nop 0
	v_min3_f32 v90, v90, v91, v146
	v_min3_f32 v91, v88, v147, v89
	v_lshl_add_u64 v[88:89], v[64:65], 2, v[60:61]
	global_store_dword v[88:89], v91, off
	v_max_f32_e32 v88, v90, v90
	s_cbranch_vccz .LBB68_76
; %bb.74:
	v_min_f32_e32 v89, 0, v88
	v_lshl_add_u64 v[90:91], v[74:75], 2, v[60:61]
	s_mov_b32 s6, 0
	global_store_dword v[90:91], v89, off
	s_cbranch_execz .LBB68_77
; %bb.75:
	v_mov_b32_e32 v88, s6
	s_branch .LBB68_78
.LBB68_76:
                                        ; implicit-def: $sgpr6
.LBB68_77:
	v_lshl_add_u64 v[90:91], v[62:63], 0, v[78:79]
	flat_load_dword v89, v[90:91]
	v_lshl_add_u64 v[90:91], v[60:61], 0, v[78:79]
	s_waitcnt vmcnt(0) lgkmcnt(0)
	v_mul_f32_e32 v89, s16, v89
	v_min_f32_e32 v88, v89, v88
	global_store_dword v[90:91], v88, off
	v_lshl_add_u64 v[88:89], v[66:67], 2, v[62:63]
	flat_load_dword v88, v[88:89]
	s_waitcnt vmcnt(0) lgkmcnt(0)
	v_mul_f32_e32 v88, s16, v88
.LBB68_78:
	v_pk_add_f32 v[90:91], v[20:21], v[56:57]
	s_mov_b64 vcc, s[8:9]
	v_min3_f32 v89, v90, v91, v142
	v_pk_add_f32 v[90:91], v[16:17], v[56:57]
	s_nop 0
	v_min3_f32 v142, v90, v91, v143
	v_pk_add_f32 v[90:91], v[22:23], v[58:59]
	s_nop 0
	v_min_f32_e32 v143, v90, v91
	v_pk_add_f32 v[90:91], v[18:19], v[58:59]
	s_nop 0
	v_min3_f32 v90, v90, v91, v142
	v_min3_f32 v91, v88, v143, v89
	v_lshl_add_u64 v[88:89], v[66:67], 2, v[60:61]
	global_store_dword v[88:89], v91, off
	v_max_f32_e32 v88, v90, v90
	s_cbranch_vccz .LBB68_81
; %bb.79:
	v_min_f32_e32 v89, 0, v88
	v_lshl_add_u64 v[90:91], v[80:81], 2, v[60:61]
	s_mov_b32 s6, 0
	global_store_dword v[90:91], v89, off
	s_cbranch_execz .LBB68_82
; %bb.80:
	v_mov_b32_e32 v88, s6
	s_branch .LBB68_83
.LBB68_81:
                                        ; implicit-def: $sgpr6
.LBB68_82:
	v_lshl_add_u64 v[90:91], v[62:63], 0, v[82:83]
	flat_load_dword v89, v[90:91]
	v_lshl_add_u64 v[90:91], v[60:61], 0, v[82:83]
	s_waitcnt vmcnt(0) lgkmcnt(0)
	v_mul_f32_e32 v89, s16, v89
	v_min_f32_e32 v88, v89, v88
	global_store_dword v[90:91], v88, off
	v_lshl_add_u64 v[88:89], v[70:71], 2, v[62:63]
	flat_load_dword v88, v[88:89]
	s_waitcnt vmcnt(0) lgkmcnt(0)
	v_mul_f32_e32 v88, s16, v88
.LBB68_83:
	v_pk_add_f32 v[90:91], v[12:13], v[56:57]
	s_mov_b64 vcc, s[8:9]
	v_min3_f32 v89, v90, v91, v138
	v_pk_add_f32 v[90:91], v[8:9], v[56:57]
	s_nop 0
	v_min3_f32 v138, v90, v91, v141
	v_pk_add_f32 v[90:91], v[14:15], v[58:59]
	s_nop 0
	v_min_f32_e32 v141, v90, v91
	v_pk_add_f32 v[90:91], v[10:11], v[58:59]
	s_nop 0
	v_min3_f32 v90, v90, v91, v138
	v_min3_f32 v91, v88, v141, v89
	v_lshl_add_u64 v[88:89], v[70:71], 2, v[60:61]
	global_store_dword v[88:89], v91, off
	v_max_f32_e32 v88, v90, v90
	s_cbranch_vccz .LBB68_86
; %bb.84:
	v_min_f32_e32 v89, 0, v88
	v_lshl_add_u64 v[90:91], v[84:85], 2, v[60:61]
	s_mov_b32 s6, 0
	global_store_dword v[90:91], v89, off
	s_cbranch_execz .LBB68_87
; %bb.85:
	v_mov_b32_e32 v62, s6
	s_branch .LBB68_88
.LBB68_86:
                                        ; implicit-def: $sgpr6
.LBB68_87:
	v_lshl_add_u64 v[90:91], v[62:63], 0, v[86:87]
	flat_load_dword v89, v[90:91]
	v_lshl_add_u64 v[90:91], v[60:61], 0, v[86:87]
	v_lshl_add_u64 v[62:63], v[76:77], 2, v[62:63]
	s_waitcnt vmcnt(0) lgkmcnt(0)
	v_mul_f32_e32 v89, s16, v89
	v_min_f32_e32 v88, v89, v88
	global_store_dword v[90:91], v88, off
	flat_load_dword v62, v[62:63]
	s_waitcnt vmcnt(0) lgkmcnt(0)
	v_mul_f32_e32 v62, s16, v62
.LBB68_88:
	v_pk_add_f32 v[56:57], v[0:1], v[56:57]
	s_mov_b64 vcc, s[8:9]
	v_min3_f32 v63, v56, v57, v145
	v_pk_add_f32 v[56:57], v[32:33], v[52:53]
	s_nop 0
	v_min3_f32 v88, v56, v57, v144
	v_pk_add_f32 v[56:57], v[2:3], v[58:59]
	s_nop 0
	v_min_f32_e32 v58, v56, v57
	v_pk_add_f32 v[56:57], v[34:35], v[54:55]
	v_min3_f32 v58, v62, v58, v63
	v_min3_f32 v88, v56, v57, v88
	v_lshl_add_u64 v[56:57], v[76:77], 2, v[60:61]
	global_store_dword v[56:57], v58, off
	v_add_u32_e32 v58, 64, v137
	v_mad_i64_i32 v[56:57], s[2:3], v58, s5, 0
	v_lshl_add_u64 v[56:57], v[56:57], 2, s[0:1]
	v_mad_i64_i32 v[58:59], s[2:3], v58, s4, 0
	v_max_f32_e32 v60, v88, v88
	s_cbranch_vccz .LBB68_91
; %bb.89:
	v_min_f32_e32 v61, 0, v60
	v_lshl_add_u64 v[62:63], v[68:69], 2, v[56:57]
	s_mov_b32 s6, 0
	global_store_dword v[62:63], v61, off
	v_lshl_add_u64 v[58:59], v[58:59], 2, s[10:11]
	s_cbranch_execz .LBB68_92
; %bb.90:
	v_mov_b32_e32 v60, s6
	s_branch .LBB68_93
.LBB68_91:
                                        ; implicit-def: $sgpr6
	v_lshl_add_u64 v[58:59], v[58:59], 2, s[10:11]
.LBB68_92:
	v_lshl_add_u64 v[62:63], v[58:59], 0, v[72:73]
	flat_load_dword v61, v[62:63]
	v_lshl_add_u64 v[62:63], v[56:57], 0, v[72:73]
	s_waitcnt vmcnt(0) lgkmcnt(0)
	v_mul_f32_e32 v61, s16, v61
	v_min_f32_e32 v60, v61, v60
	global_store_dword v[62:63], v60, off
	v_lshl_add_u64 v[60:61], v[64:65], 2, v[58:59]
	flat_load_dword v60, v[60:61]
	s_waitcnt vmcnt(0) lgkmcnt(0)
	v_mul_f32_e32 v60, s16, v60
.LBB68_93:
	v_pk_add_f32 v[62:63], v[28:29], v[52:53]
	s_mov_b64 vcc, s[8:9]
	v_min3_f32 v61, v62, v63, v140
	v_pk_add_f32 v[62:63], v[24:25], v[52:53]
	s_nop 0
	v_min3_f32 v88, v62, v63, v139
	v_pk_add_f32 v[62:63], v[30:31], v[54:55]
	s_nop 0
	v_min_f32_e32 v89, v62, v63
	v_pk_add_f32 v[62:63], v[26:27], v[54:55]
	s_nop 0
	v_min3_f32 v62, v62, v63, v88
	v_min3_f32 v63, v60, v89, v61
	v_lshl_add_u64 v[60:61], v[64:65], 2, v[56:57]
	global_store_dword v[60:61], v63, off
	v_max_f32_e32 v60, v62, v62
	s_cbranch_vccz .LBB68_96
; %bb.94:
	v_min_f32_e32 v61, 0, v60
	v_lshl_add_u64 v[62:63], v[74:75], 2, v[56:57]
	s_mov_b32 s6, 0
	global_store_dword v[62:63], v61, off
	s_cbranch_execz .LBB68_97
; %bb.95:
	v_mov_b32_e32 v60, s6
	s_branch .LBB68_98
.LBB68_96:
                                        ; implicit-def: $sgpr6
.LBB68_97:
	v_lshl_add_u64 v[62:63], v[58:59], 0, v[78:79]
	flat_load_dword v61, v[62:63]
	v_lshl_add_u64 v[62:63], v[56:57], 0, v[78:79]
	s_waitcnt vmcnt(0) lgkmcnt(0)
	v_mul_f32_e32 v61, s16, v61
	v_min_f32_e32 v60, v61, v60
	global_store_dword v[62:63], v60, off
	v_lshl_add_u64 v[60:61], v[66:67], 2, v[58:59]
	flat_load_dword v60, v[60:61]
	s_waitcnt vmcnt(0) lgkmcnt(0)
	v_mul_f32_e32 v60, s16, v60
.LBB68_98:
	v_pk_add_f32 v[62:63], v[20:21], v[52:53]
	s_mov_b64 vcc, s[8:9]
	v_min3_f32 v61, v62, v63, v136
	v_pk_add_f32 v[62:63], v[16:17], v[52:53]
	s_nop 0
	v_min3_f32 v88, v62, v63, v135
	v_pk_add_f32 v[62:63], v[22:23], v[54:55]
	s_nop 0
	v_min_f32_e32 v89, v62, v63
	v_pk_add_f32 v[62:63], v[18:19], v[54:55]
	s_nop 0
	v_min3_f32 v62, v62, v63, v88
	v_min3_f32 v63, v60, v89, v61
	v_lshl_add_u64 v[60:61], v[66:67], 2, v[56:57]
	global_store_dword v[60:61], v63, off
	v_max_f32_e32 v60, v62, v62
	s_cbranch_vccz .LBB68_101
; %bb.99:
	v_min_f32_e32 v61, 0, v60
	v_lshl_add_u64 v[62:63], v[80:81], 2, v[56:57]
	s_mov_b32 s6, 0
	global_store_dword v[62:63], v61, off
	s_cbranch_execz .LBB68_102
; %bb.100:
	v_mov_b32_e32 v60, s6
	s_branch .LBB68_103
.LBB68_101:
                                        ; implicit-def: $sgpr6
.LBB68_102:
	v_lshl_add_u64 v[62:63], v[58:59], 0, v[82:83]
	flat_load_dword v61, v[62:63]
	v_lshl_add_u64 v[62:63], v[56:57], 0, v[82:83]
	s_waitcnt vmcnt(0) lgkmcnt(0)
	v_mul_f32_e32 v61, s16, v61
	v_min_f32_e32 v60, v61, v60
	global_store_dword v[62:63], v60, off
	v_lshl_add_u64 v[60:61], v[70:71], 2, v[58:59]
	flat_load_dword v60, v[60:61]
	s_waitcnt vmcnt(0) lgkmcnt(0)
	v_mul_f32_e32 v60, s16, v60
.LBB68_103:
	v_pk_add_f32 v[62:63], v[12:13], v[52:53]
	s_mov_b64 vcc, s[8:9]
	v_min3_f32 v61, v62, v63, v134
	v_pk_add_f32 v[62:63], v[8:9], v[52:53]
	s_nop 0
	v_min3_f32 v88, v62, v63, v133
	v_pk_add_f32 v[62:63], v[14:15], v[54:55]
	s_nop 0
	v_min_f32_e32 v89, v62, v63
	v_pk_add_f32 v[62:63], v[10:11], v[54:55]
	s_nop 0
	v_min3_f32 v62, v62, v63, v88
	v_min3_f32 v63, v60, v89, v61
	v_lshl_add_u64 v[60:61], v[70:71], 2, v[56:57]
	global_store_dword v[60:61], v63, off
	v_max_f32_e32 v60, v62, v62
	s_cbranch_vccz .LBB68_106
; %bb.104:
	v_min_f32_e32 v61, 0, v60
	v_lshl_add_u64 v[62:63], v[84:85], 2, v[56:57]
	s_mov_b32 s6, 0
	global_store_dword v[62:63], v61, off
	s_cbranch_execz .LBB68_107
; %bb.105:
	v_mov_b32_e32 v58, s6
	s_branch .LBB68_108
.LBB68_106:
                                        ; implicit-def: $sgpr6
.LBB68_107:
	v_lshl_add_u64 v[62:63], v[58:59], 0, v[86:87]
	flat_load_dword v61, v[62:63]
	v_lshl_add_u64 v[62:63], v[56:57], 0, v[86:87]
	v_lshl_add_u64 v[58:59], v[76:77], 2, v[58:59]
	s_waitcnt vmcnt(0) lgkmcnt(0)
	v_mul_f32_e32 v61, s16, v61
	v_min_f32_e32 v60, v61, v60
	global_store_dword v[62:63], v60, off
	flat_load_dword v58, v[58:59]
	s_waitcnt vmcnt(0) lgkmcnt(0)
	v_mul_f32_e32 v58, s16, v58
.LBB68_108:
	v_pk_add_f32 v[52:53], v[0:1], v[52:53]
	s_mov_b64 vcc, s[8:9]
	v_min3_f32 v59, v52, v53, v132
	v_pk_add_f32 v[52:53], v[32:33], v[48:49]
	s_nop 0
	v_min3_f32 v60, v52, v53, v131
	v_pk_add_f32 v[52:53], v[2:3], v[54:55]
	s_nop 0
	v_min_f32_e32 v54, v52, v53
	v_pk_add_f32 v[52:53], v[34:35], v[50:51]
	v_min3_f32 v54, v58, v54, v59
	v_min3_f32 v60, v52, v53, v60
	v_lshl_add_u64 v[52:53], v[76:77], 2, v[56:57]
	global_store_dword v[52:53], v54, off
	v_add_u32_e32 v54, 0x60, v137
	v_mad_i64_i32 v[52:53], s[2:3], v54, s5, 0
	v_lshl_add_u64 v[52:53], v[52:53], 2, s[0:1]
	v_mad_i64_i32 v[54:55], s[2:3], v54, s4, 0
	v_max_f32_e32 v56, v60, v60
	s_cbranch_vccz .LBB68_111
; %bb.109:
	v_min_f32_e32 v57, 0, v56
	v_lshl_add_u64 v[58:59], v[68:69], 2, v[52:53]
	s_mov_b32 s6, 0
	global_store_dword v[58:59], v57, off
	v_lshl_add_u64 v[54:55], v[54:55], 2, s[10:11]
	s_cbranch_execz .LBB68_112
; %bb.110:
	v_mov_b32_e32 v56, s6
	s_branch .LBB68_113
.LBB68_111:
                                        ; implicit-def: $sgpr6
	v_lshl_add_u64 v[54:55], v[54:55], 2, s[10:11]
.LBB68_112:
	v_lshl_add_u64 v[58:59], v[54:55], 0, v[72:73]
	flat_load_dword v57, v[58:59]
	v_lshl_add_u64 v[58:59], v[52:53], 0, v[72:73]
	s_waitcnt vmcnt(0) lgkmcnt(0)
	v_mul_f32_e32 v57, s16, v57
	v_min_f32_e32 v56, v57, v56
	global_store_dword v[58:59], v56, off
	v_lshl_add_u64 v[56:57], v[64:65], 2, v[54:55]
	flat_load_dword v56, v[56:57]
	s_waitcnt vmcnt(0) lgkmcnt(0)
	v_mul_f32_e32 v56, s16, v56
.LBB68_113:
	v_pk_add_f32 v[58:59], v[28:29], v[48:49]
	s_mov_b64 vcc, s[8:9]
	v_min3_f32 v57, v58, v59, v130
	v_pk_add_f32 v[58:59], v[24:25], v[48:49]
	s_nop 0
	v_min3_f32 v60, v58, v59, v129
	v_pk_add_f32 v[58:59], v[30:31], v[50:51]
	s_nop 0
	v_min_f32_e32 v61, v58, v59
	v_pk_add_f32 v[58:59], v[26:27], v[50:51]
	s_nop 0
	v_min3_f32 v58, v58, v59, v60
	v_min3_f32 v59, v56, v61, v57
	v_lshl_add_u64 v[56:57], v[64:65], 2, v[52:53]
	global_store_dword v[56:57], v59, off
	v_max_f32_e32 v56, v58, v58
	s_cbranch_vccz .LBB68_116
; %bb.114:
	v_min_f32_e32 v57, 0, v56
	v_lshl_add_u64 v[58:59], v[74:75], 2, v[52:53]
	s_mov_b32 s6, 0
	global_store_dword v[58:59], v57, off
	s_cbranch_execz .LBB68_117
; %bb.115:
	v_mov_b32_e32 v56, s6
	s_branch .LBB68_118
.LBB68_116:
                                        ; implicit-def: $sgpr6
.LBB68_117:
	v_lshl_add_u64 v[58:59], v[54:55], 0, v[78:79]
	flat_load_dword v57, v[58:59]
	v_lshl_add_u64 v[58:59], v[52:53], 0, v[78:79]
	s_waitcnt vmcnt(0) lgkmcnt(0)
	v_mul_f32_e32 v57, s16, v57
	v_min_f32_e32 v56, v57, v56
	global_store_dword v[58:59], v56, off
	v_lshl_add_u64 v[56:57], v[66:67], 2, v[54:55]
	flat_load_dword v56, v[56:57]
	s_waitcnt vmcnt(0) lgkmcnt(0)
	v_mul_f32_e32 v56, s16, v56
.LBB68_118:
	v_pk_add_f32 v[58:59], v[20:21], v[48:49]
	s_mov_b64 vcc, s[8:9]
	v_min3_f32 v57, v58, v59, v128
	v_pk_add_f32 v[58:59], v[16:17], v[48:49]
	s_nop 0
	v_min3_f32 v60, v58, v59, v127
	v_pk_add_f32 v[58:59], v[22:23], v[50:51]
	s_nop 0
	v_min_f32_e32 v61, v58, v59
	v_pk_add_f32 v[58:59], v[18:19], v[50:51]
	s_nop 0
	v_min3_f32 v58, v58, v59, v60
	v_min3_f32 v59, v56, v61, v57
	v_lshl_add_u64 v[56:57], v[66:67], 2, v[52:53]
	global_store_dword v[56:57], v59, off
	v_max_f32_e32 v56, v58, v58
	s_cbranch_vccz .LBB68_121
; %bb.119:
	v_min_f32_e32 v57, 0, v56
	v_lshl_add_u64 v[58:59], v[80:81], 2, v[52:53]
	s_mov_b32 s6, 0
	global_store_dword v[58:59], v57, off
	s_cbranch_execz .LBB68_122
; %bb.120:
	v_mov_b32_e32 v56, s6
	s_branch .LBB68_123
.LBB68_121:
                                        ; implicit-def: $sgpr6
.LBB68_122:
	v_lshl_add_u64 v[58:59], v[54:55], 0, v[82:83]
	flat_load_dword v57, v[58:59]
	v_lshl_add_u64 v[58:59], v[52:53], 0, v[82:83]
	s_waitcnt vmcnt(0) lgkmcnt(0)
	v_mul_f32_e32 v57, s16, v57
	v_min_f32_e32 v56, v57, v56
	global_store_dword v[58:59], v56, off
	v_lshl_add_u64 v[56:57], v[70:71], 2, v[54:55]
	flat_load_dword v56, v[56:57]
	s_waitcnt vmcnt(0) lgkmcnt(0)
	v_mul_f32_e32 v56, s16, v56
.LBB68_123:
	v_pk_add_f32 v[58:59], v[12:13], v[48:49]
	s_mov_b64 vcc, s[8:9]
	v_min3_f32 v57, v58, v59, v126
	v_pk_add_f32 v[58:59], v[8:9], v[48:49]
	s_nop 0
	v_min3_f32 v60, v58, v59, v125
	v_pk_add_f32 v[58:59], v[14:15], v[50:51]
	s_nop 0
	v_min_f32_e32 v61, v58, v59
	v_pk_add_f32 v[58:59], v[10:11], v[50:51]
	s_nop 0
	v_min3_f32 v58, v58, v59, v60
	v_min3_f32 v59, v56, v61, v57
	v_lshl_add_u64 v[56:57], v[70:71], 2, v[52:53]
	global_store_dword v[56:57], v59, off
	v_max_f32_e32 v56, v58, v58
	s_cbranch_vccz .LBB68_126
; %bb.124:
	v_min_f32_e32 v57, 0, v56
	v_lshl_add_u64 v[58:59], v[84:85], 2, v[52:53]
	s_mov_b32 s6, 0
	global_store_dword v[58:59], v57, off
	s_cbranch_execz .LBB68_127
; %bb.125:
	v_mov_b32_e32 v54, s6
	s_branch .LBB68_128
.LBB68_126:
                                        ; implicit-def: $sgpr6
.LBB68_127:
	v_lshl_add_u64 v[58:59], v[54:55], 0, v[86:87]
	flat_load_dword v57, v[58:59]
	v_lshl_add_u64 v[58:59], v[52:53], 0, v[86:87]
	v_lshl_add_u64 v[54:55], v[76:77], 2, v[54:55]
	s_waitcnt vmcnt(0) lgkmcnt(0)
	v_mul_f32_e32 v57, s16, v57
	v_min_f32_e32 v56, v57, v56
	global_store_dword v[58:59], v56, off
	flat_load_dword v54, v[54:55]
	s_waitcnt vmcnt(0) lgkmcnt(0)
	v_mul_f32_e32 v54, s16, v54
.LBB68_128:
	v_pk_add_f32 v[48:49], v[0:1], v[48:49]
	s_mov_b64 vcc, s[8:9]
	v_min3_f32 v55, v48, v49, v124
	v_pk_add_f32 v[48:49], v[32:33], v[44:45]
	s_nop 0
	v_min3_f32 v56, v48, v49, v123
	v_pk_add_f32 v[48:49], v[2:3], v[50:51]
	s_nop 0
	v_min_f32_e32 v50, v48, v49
	v_pk_add_f32 v[48:49], v[34:35], v[46:47]
	v_min3_f32 v50, v54, v50, v55
	v_min3_f32 v56, v48, v49, v56
	v_lshl_add_u64 v[48:49], v[76:77], 2, v[52:53]
	global_store_dword v[48:49], v50, off
	v_add_u32_e32 v50, 0x80, v137
	v_mad_i64_i32 v[48:49], s[2:3], v50, s5, 0
	v_lshl_add_u64 v[48:49], v[48:49], 2, s[0:1]
	v_mad_i64_i32 v[50:51], s[2:3], v50, s4, 0
	v_max_f32_e32 v52, v56, v56
	s_cbranch_vccz .LBB68_131
; %bb.129:
	v_min_f32_e32 v53, 0, v52
	v_lshl_add_u64 v[54:55], v[68:69], 2, v[48:49]
	s_mov_b32 s6, 0
	global_store_dword v[54:55], v53, off
	v_lshl_add_u64 v[50:51], v[50:51], 2, s[10:11]
	s_cbranch_execz .LBB68_132
; %bb.130:
	v_mov_b32_e32 v52, s6
	s_branch .LBB68_133
.LBB68_131:
                                        ; implicit-def: $sgpr6
	v_lshl_add_u64 v[50:51], v[50:51], 2, s[10:11]
.LBB68_132:
	v_lshl_add_u64 v[54:55], v[50:51], 0, v[72:73]
	flat_load_dword v53, v[54:55]
	v_lshl_add_u64 v[54:55], v[48:49], 0, v[72:73]
	s_waitcnt vmcnt(0) lgkmcnt(0)
	v_mul_f32_e32 v53, s16, v53
	v_min_f32_e32 v52, v53, v52
	global_store_dword v[54:55], v52, off
	v_lshl_add_u64 v[52:53], v[64:65], 2, v[50:51]
	flat_load_dword v52, v[52:53]
	s_waitcnt vmcnt(0) lgkmcnt(0)
	v_mul_f32_e32 v52, s16, v52
.LBB68_133:
	v_pk_add_f32 v[54:55], v[28:29], v[44:45]
	s_mov_b64 vcc, s[8:9]
	v_min3_f32 v53, v54, v55, v122
	v_pk_add_f32 v[54:55], v[24:25], v[44:45]
	s_nop 0
	v_min3_f32 v56, v54, v55, v121
	v_pk_add_f32 v[54:55], v[30:31], v[46:47]
	s_nop 0
	v_min_f32_e32 v57, v54, v55
	v_pk_add_f32 v[54:55], v[26:27], v[46:47]
	s_nop 0
	v_min3_f32 v54, v54, v55, v56
	v_min3_f32 v55, v52, v57, v53
	v_lshl_add_u64 v[52:53], v[64:65], 2, v[48:49]
	global_store_dword v[52:53], v55, off
	v_max_f32_e32 v52, v54, v54
	s_cbranch_vccz .LBB68_136
; %bb.134:
	v_min_f32_e32 v53, 0, v52
	v_lshl_add_u64 v[54:55], v[74:75], 2, v[48:49]
	s_mov_b32 s6, 0
	global_store_dword v[54:55], v53, off
	s_cbranch_execz .LBB68_137
; %bb.135:
	v_mov_b32_e32 v52, s6
	s_branch .LBB68_138
.LBB68_136:
                                        ; implicit-def: $sgpr6
.LBB68_137:
	v_lshl_add_u64 v[54:55], v[50:51], 0, v[78:79]
	flat_load_dword v53, v[54:55]
	v_lshl_add_u64 v[54:55], v[48:49], 0, v[78:79]
	s_waitcnt vmcnt(0) lgkmcnt(0)
	v_mul_f32_e32 v53, s16, v53
	v_min_f32_e32 v52, v53, v52
	global_store_dword v[54:55], v52, off
	v_lshl_add_u64 v[52:53], v[66:67], 2, v[50:51]
	flat_load_dword v52, v[52:53]
	s_waitcnt vmcnt(0) lgkmcnt(0)
	v_mul_f32_e32 v52, s16, v52
.LBB68_138:
	v_pk_add_f32 v[54:55], v[20:21], v[44:45]
	s_mov_b64 vcc, s[8:9]
	v_min3_f32 v53, v54, v55, v120
	v_pk_add_f32 v[54:55], v[16:17], v[44:45]
	s_nop 0
	v_min3_f32 v56, v54, v55, v119
	v_pk_add_f32 v[54:55], v[22:23], v[46:47]
	s_nop 0
	v_min_f32_e32 v57, v54, v55
	v_pk_add_f32 v[54:55], v[18:19], v[46:47]
	s_nop 0
	v_min3_f32 v54, v54, v55, v56
	v_min3_f32 v55, v52, v57, v53
	v_lshl_add_u64 v[52:53], v[66:67], 2, v[48:49]
	global_store_dword v[52:53], v55, off
	v_max_f32_e32 v52, v54, v54
	s_cbranch_vccz .LBB68_141
; %bb.139:
	v_min_f32_e32 v53, 0, v52
	v_lshl_add_u64 v[54:55], v[80:81], 2, v[48:49]
	s_mov_b32 s6, 0
	global_store_dword v[54:55], v53, off
	s_cbranch_execz .LBB68_142
; %bb.140:
	v_mov_b32_e32 v52, s6
	s_branch .LBB68_143
.LBB68_141:
                                        ; implicit-def: $sgpr6
.LBB68_142:
	v_lshl_add_u64 v[54:55], v[50:51], 0, v[82:83]
	flat_load_dword v53, v[54:55]
	v_lshl_add_u64 v[54:55], v[48:49], 0, v[82:83]
	s_waitcnt vmcnt(0) lgkmcnt(0)
	v_mul_f32_e32 v53, s16, v53
	v_min_f32_e32 v52, v53, v52
	global_store_dword v[54:55], v52, off
	v_lshl_add_u64 v[52:53], v[70:71], 2, v[50:51]
	flat_load_dword v52, v[52:53]
	s_waitcnt vmcnt(0) lgkmcnt(0)
	v_mul_f32_e32 v52, s16, v52
.LBB68_143:
	v_pk_add_f32 v[54:55], v[12:13], v[44:45]
	s_mov_b64 vcc, s[8:9]
	v_min3_f32 v53, v54, v55, v118
	v_pk_add_f32 v[54:55], v[8:9], v[44:45]
	s_nop 0
	v_min3_f32 v56, v54, v55, v117
	v_pk_add_f32 v[54:55], v[14:15], v[46:47]
	s_nop 0
	v_min_f32_e32 v57, v54, v55
	v_pk_add_f32 v[54:55], v[10:11], v[46:47]
	s_nop 0
	v_min3_f32 v54, v54, v55, v56
	v_min3_f32 v55, v52, v57, v53
	v_lshl_add_u64 v[52:53], v[70:71], 2, v[48:49]
	global_store_dword v[52:53], v55, off
	v_max_f32_e32 v52, v54, v54
	s_cbranch_vccz .LBB68_146
; %bb.144:
	v_min_f32_e32 v53, 0, v52
	v_lshl_add_u64 v[54:55], v[84:85], 2, v[48:49]
	s_mov_b32 s6, 0
	global_store_dword v[54:55], v53, off
	s_cbranch_execz .LBB68_147
; %bb.145:
	v_mov_b32_e32 v50, s6
	s_branch .LBB68_148
.LBB68_146:
                                        ; implicit-def: $sgpr6
.LBB68_147:
	v_lshl_add_u64 v[54:55], v[50:51], 0, v[86:87]
	flat_load_dword v53, v[54:55]
	v_lshl_add_u64 v[54:55], v[48:49], 0, v[86:87]
	v_lshl_add_u64 v[50:51], v[76:77], 2, v[50:51]
	s_waitcnt vmcnt(0) lgkmcnt(0)
	v_mul_f32_e32 v53, s16, v53
	v_min_f32_e32 v52, v53, v52
	global_store_dword v[54:55], v52, off
	flat_load_dword v50, v[50:51]
	s_waitcnt vmcnt(0) lgkmcnt(0)
	v_mul_f32_e32 v50, s16, v50
.LBB68_148:
	v_pk_add_f32 v[44:45], v[0:1], v[44:45]
	s_mov_b64 vcc, s[8:9]
	v_min3_f32 v51, v44, v45, v115
	v_pk_add_f32 v[44:45], v[32:33], v[40:41]
	s_nop 0
	v_min3_f32 v52, v44, v45, v116
	v_pk_add_f32 v[44:45], v[2:3], v[46:47]
	s_nop 0
	v_min_f32_e32 v46, v44, v45
	v_pk_add_f32 v[44:45], v[34:35], v[42:43]
	v_min3_f32 v46, v50, v46, v51
	v_min3_f32 v52, v44, v45, v52
	v_lshl_add_u64 v[44:45], v[76:77], 2, v[48:49]
	global_store_dword v[44:45], v46, off
	v_add_u32_e32 v46, 0xa0, v137
	v_mad_i64_i32 v[44:45], s[2:3], v46, s5, 0
	v_lshl_add_u64 v[44:45], v[44:45], 2, s[0:1]
	v_mad_i64_i32 v[46:47], s[2:3], v46, s4, 0
	v_max_f32_e32 v48, v52, v52
	s_cbranch_vccz .LBB68_151
; %bb.149:
	v_min_f32_e32 v49, 0, v48
	v_lshl_add_u64 v[50:51], v[68:69], 2, v[44:45]
	s_mov_b32 s6, 0
	global_store_dword v[50:51], v49, off
	v_lshl_add_u64 v[46:47], v[46:47], 2, s[10:11]
	s_cbranch_execz .LBB68_152
; %bb.150:
	v_mov_b32_e32 v48, s6
	s_branch .LBB68_153
.LBB68_151:
                                        ; implicit-def: $sgpr6
	v_lshl_add_u64 v[46:47], v[46:47], 2, s[10:11]
.LBB68_152:
	v_lshl_add_u64 v[50:51], v[46:47], 0, v[72:73]
	flat_load_dword v49, v[50:51]
	v_lshl_add_u64 v[50:51], v[44:45], 0, v[72:73]
	s_waitcnt vmcnt(0) lgkmcnt(0)
	v_mul_f32_e32 v49, s16, v49
	v_min_f32_e32 v48, v49, v48
	global_store_dword v[50:51], v48, off
	v_lshl_add_u64 v[48:49], v[64:65], 2, v[46:47]
	flat_load_dword v48, v[48:49]
	s_waitcnt vmcnt(0) lgkmcnt(0)
	v_mul_f32_e32 v48, s16, v48
.LBB68_153:
	v_pk_add_f32 v[50:51], v[28:29], v[40:41]
	s_mov_b64 vcc, s[8:9]
	v_min3_f32 v49, v50, v51, v113
	v_pk_add_f32 v[50:51], v[24:25], v[40:41]
	s_nop 0
	v_min3_f32 v52, v50, v51, v114
	v_pk_add_f32 v[50:51], v[30:31], v[42:43]
	s_nop 0
	v_min_f32_e32 v53, v50, v51
	v_pk_add_f32 v[50:51], v[26:27], v[42:43]
	s_nop 0
	v_min3_f32 v50, v50, v51, v52
	v_min3_f32 v51, v48, v53, v49
	v_lshl_add_u64 v[48:49], v[64:65], 2, v[44:45]
	global_store_dword v[48:49], v51, off
	v_max_f32_e32 v48, v50, v50
	s_cbranch_vccz .LBB68_156
; %bb.154:
	v_min_f32_e32 v49, 0, v48
	v_lshl_add_u64 v[50:51], v[74:75], 2, v[44:45]
	s_mov_b32 s6, 0
	global_store_dword v[50:51], v49, off
	s_cbranch_execz .LBB68_157
; %bb.155:
	v_mov_b32_e32 v48, s6
	s_branch .LBB68_158
.LBB68_156:
                                        ; implicit-def: $sgpr6
.LBB68_157:
	v_lshl_add_u64 v[50:51], v[46:47], 0, v[78:79]
	flat_load_dword v49, v[50:51]
	v_lshl_add_u64 v[50:51], v[44:45], 0, v[78:79]
	s_waitcnt vmcnt(0) lgkmcnt(0)
	v_mul_f32_e32 v49, s16, v49
	v_min_f32_e32 v48, v49, v48
	global_store_dword v[50:51], v48, off
	v_lshl_add_u64 v[48:49], v[66:67], 2, v[46:47]
	flat_load_dword v48, v[48:49]
	s_waitcnt vmcnt(0) lgkmcnt(0)
	v_mul_f32_e32 v48, s16, v48
.LBB68_158:
	v_pk_add_f32 v[50:51], v[20:21], v[40:41]
	s_mov_b64 vcc, s[8:9]
	v_min3_f32 v49, v50, v51, v111
	v_pk_add_f32 v[50:51], v[16:17], v[40:41]
	s_nop 0
	v_min3_f32 v52, v50, v51, v112
	v_pk_add_f32 v[50:51], v[22:23], v[42:43]
	s_nop 0
	v_min_f32_e32 v53, v50, v51
	v_pk_add_f32 v[50:51], v[18:19], v[42:43]
	s_nop 0
	v_min3_f32 v50, v50, v51, v52
	v_min3_f32 v51, v48, v53, v49
	v_lshl_add_u64 v[48:49], v[66:67], 2, v[44:45]
	global_store_dword v[48:49], v51, off
	v_max_f32_e32 v48, v50, v50
	s_cbranch_vccz .LBB68_161
; %bb.159:
	v_min_f32_e32 v49, 0, v48
	v_lshl_add_u64 v[50:51], v[80:81], 2, v[44:45]
	s_mov_b32 s6, 0
	global_store_dword v[50:51], v49, off
	s_cbranch_execz .LBB68_162
; %bb.160:
	v_mov_b32_e32 v48, s6
	s_branch .LBB68_163
.LBB68_161:
                                        ; implicit-def: $sgpr6
.LBB68_162:
	v_lshl_add_u64 v[50:51], v[46:47], 0, v[82:83]
	flat_load_dword v49, v[50:51]
	v_lshl_add_u64 v[50:51], v[44:45], 0, v[82:83]
	s_waitcnt vmcnt(0) lgkmcnt(0)
	v_mul_f32_e32 v49, s16, v49
	v_min_f32_e32 v48, v49, v48
	global_store_dword v[50:51], v48, off
	v_lshl_add_u64 v[48:49], v[70:71], 2, v[46:47]
	flat_load_dword v48, v[48:49]
	s_waitcnt vmcnt(0) lgkmcnt(0)
	v_mul_f32_e32 v48, s16, v48
.LBB68_163:
	v_pk_add_f32 v[50:51], v[12:13], v[40:41]
	s_mov_b64 vcc, s[8:9]
	v_min3_f32 v49, v50, v51, v109
	v_pk_add_f32 v[50:51], v[8:9], v[40:41]
	s_nop 0
	v_min3_f32 v52, v50, v51, v110
	v_pk_add_f32 v[50:51], v[14:15], v[42:43]
	s_nop 0
	v_min_f32_e32 v53, v50, v51
	v_pk_add_f32 v[50:51], v[10:11], v[42:43]
	s_nop 0
	v_min3_f32 v50, v50, v51, v52
	v_min3_f32 v51, v48, v53, v49
	v_lshl_add_u64 v[48:49], v[70:71], 2, v[44:45]
	global_store_dword v[48:49], v51, off
	v_max_f32_e32 v48, v50, v50
	s_cbranch_vccz .LBB68_166
; %bb.164:
	v_min_f32_e32 v49, 0, v48
	v_lshl_add_u64 v[50:51], v[84:85], 2, v[44:45]
	s_mov_b32 s6, 0
	global_store_dword v[50:51], v49, off
	s_cbranch_execz .LBB68_167
; %bb.165:
	v_mov_b32_e32 v46, s6
	s_branch .LBB68_168
.LBB68_166:
                                        ; implicit-def: $sgpr6
.LBB68_167:
	v_lshl_add_u64 v[50:51], v[46:47], 0, v[86:87]
	flat_load_dword v49, v[50:51]
	v_lshl_add_u64 v[50:51], v[44:45], 0, v[86:87]
	v_lshl_add_u64 v[46:47], v[76:77], 2, v[46:47]
	s_waitcnt vmcnt(0) lgkmcnt(0)
	v_mul_f32_e32 v49, s16, v49
	v_min_f32_e32 v48, v49, v48
	global_store_dword v[50:51], v48, off
	flat_load_dword v46, v[46:47]
	s_waitcnt vmcnt(0) lgkmcnt(0)
	v_mul_f32_e32 v46, s16, v46
.LBB68_168:
	v_pk_add_f32 v[40:41], v[0:1], v[40:41]
	s_mov_b64 vcc, s[8:9]
	v_min3_f32 v47, v40, v41, v107
	v_pk_add_f32 v[40:41], v[32:33], v[36:37]
	s_nop 0
	v_min3_f32 v48, v40, v41, v108
	v_pk_add_f32 v[40:41], v[2:3], v[42:43]
	s_nop 0
	v_min_f32_e32 v42, v40, v41
	v_pk_add_f32 v[40:41], v[34:35], v[38:39]
	v_min3_f32 v42, v46, v42, v47
	v_min3_f32 v48, v40, v41, v48
	v_lshl_add_u64 v[40:41], v[76:77], 2, v[44:45]
	global_store_dword v[40:41], v42, off
	v_add_u32_e32 v42, 0xc0, v137
	v_mad_i64_i32 v[40:41], s[2:3], v42, s5, 0
	v_lshl_add_u64 v[40:41], v[40:41], 2, s[0:1]
	v_mad_i64_i32 v[42:43], s[2:3], v42, s4, 0
	v_max_f32_e32 v44, v48, v48
	s_cbranch_vccz .LBB68_171
; %bb.169:
	v_min_f32_e32 v45, 0, v44
	v_lshl_add_u64 v[46:47], v[68:69], 2, v[40:41]
	s_mov_b32 s6, 0
	global_store_dword v[46:47], v45, off
	v_lshl_add_u64 v[42:43], v[42:43], 2, s[10:11]
	s_cbranch_execz .LBB68_172
; %bb.170:
	v_mov_b32_e32 v44, s6
	s_branch .LBB68_173
.LBB68_171:
                                        ; implicit-def: $sgpr6
	v_lshl_add_u64 v[42:43], v[42:43], 2, s[10:11]
.LBB68_172:
	v_lshl_add_u64 v[46:47], v[42:43], 0, v[72:73]
	flat_load_dword v45, v[46:47]
	v_lshl_add_u64 v[46:47], v[40:41], 0, v[72:73]
	s_waitcnt vmcnt(0) lgkmcnt(0)
	v_mul_f32_e32 v45, s16, v45
	v_min_f32_e32 v44, v45, v44
	global_store_dword v[46:47], v44, off
	v_lshl_add_u64 v[44:45], v[64:65], 2, v[42:43]
	flat_load_dword v44, v[44:45]
	s_waitcnt vmcnt(0) lgkmcnt(0)
	v_mul_f32_e32 v44, s16, v44
.LBB68_173:
	v_pk_add_f32 v[46:47], v[28:29], v[36:37]
	s_mov_b64 vcc, s[8:9]
	v_min3_f32 v45, v46, v47, v105
	v_pk_add_f32 v[46:47], v[24:25], v[36:37]
	s_nop 0
	v_min3_f32 v48, v46, v47, v106
	v_pk_add_f32 v[46:47], v[30:31], v[38:39]
	s_nop 0
	v_min_f32_e32 v49, v46, v47
	v_pk_add_f32 v[46:47], v[26:27], v[38:39]
	s_nop 0
	v_min3_f32 v46, v46, v47, v48
	v_min3_f32 v47, v44, v49, v45
	v_lshl_add_u64 v[44:45], v[64:65], 2, v[40:41]
	global_store_dword v[44:45], v47, off
	v_max_f32_e32 v44, v46, v46
	s_cbranch_vccz .LBB68_176
; %bb.174:
	v_min_f32_e32 v45, 0, v44
	v_lshl_add_u64 v[46:47], v[74:75], 2, v[40:41]
	s_mov_b32 s6, 0
	global_store_dword v[46:47], v45, off
	s_cbranch_execz .LBB68_177
; %bb.175:
	v_mov_b32_e32 v44, s6
	s_branch .LBB68_178
.LBB68_176:
                                        ; implicit-def: $sgpr6
.LBB68_177:
	v_lshl_add_u64 v[46:47], v[42:43], 0, v[78:79]
	flat_load_dword v45, v[46:47]
	v_lshl_add_u64 v[46:47], v[40:41], 0, v[78:79]
	s_waitcnt vmcnt(0) lgkmcnt(0)
	v_mul_f32_e32 v45, s16, v45
	v_min_f32_e32 v44, v45, v44
	global_store_dword v[46:47], v44, off
	v_lshl_add_u64 v[44:45], v[66:67], 2, v[42:43]
	flat_load_dword v44, v[44:45]
	s_waitcnt vmcnt(0) lgkmcnt(0)
	v_mul_f32_e32 v44, s16, v44
.LBB68_178:
	v_pk_add_f32 v[46:47], v[20:21], v[36:37]
	s_mov_b64 vcc, s[8:9]
	v_min3_f32 v45, v46, v47, v103
	v_pk_add_f32 v[46:47], v[16:17], v[36:37]
	s_nop 0
	v_min3_f32 v48, v46, v47, v104
	v_pk_add_f32 v[46:47], v[22:23], v[38:39]
	s_nop 0
	v_min_f32_e32 v49, v46, v47
	v_pk_add_f32 v[46:47], v[18:19], v[38:39]
	s_nop 0
	v_min3_f32 v46, v46, v47, v48
	v_min3_f32 v47, v44, v49, v45
	v_lshl_add_u64 v[44:45], v[66:67], 2, v[40:41]
	global_store_dword v[44:45], v47, off
	v_max_f32_e32 v44, v46, v46
	s_cbranch_vccz .LBB68_181
; %bb.179:
	v_min_f32_e32 v45, 0, v44
	v_lshl_add_u64 v[46:47], v[80:81], 2, v[40:41]
	s_mov_b32 s6, 0
	global_store_dword v[46:47], v45, off
	s_cbranch_execz .LBB68_182
; %bb.180:
	v_mov_b32_e32 v44, s6
	s_branch .LBB68_183
.LBB68_181:
                                        ; implicit-def: $sgpr6
.LBB68_182:
	v_lshl_add_u64 v[46:47], v[42:43], 0, v[82:83]
	flat_load_dword v45, v[46:47]
	v_lshl_add_u64 v[46:47], v[40:41], 0, v[82:83]
	s_waitcnt vmcnt(0) lgkmcnt(0)
	v_mul_f32_e32 v45, s16, v45
	v_min_f32_e32 v44, v45, v44
	global_store_dword v[46:47], v44, off
	v_lshl_add_u64 v[44:45], v[70:71], 2, v[42:43]
	flat_load_dword v44, v[44:45]
	s_waitcnt vmcnt(0) lgkmcnt(0)
	v_mul_f32_e32 v44, s16, v44
.LBB68_183:
	v_pk_add_f32 v[46:47], v[12:13], v[36:37]
	s_mov_b64 vcc, s[8:9]
	v_min3_f32 v45, v46, v47, v101
	v_pk_add_f32 v[46:47], v[8:9], v[36:37]
	s_nop 0
	v_min3_f32 v48, v46, v47, v102
	v_pk_add_f32 v[46:47], v[14:15], v[38:39]
	s_nop 0
	v_min_f32_e32 v49, v46, v47
	v_pk_add_f32 v[46:47], v[10:11], v[38:39]
	s_nop 0
	v_min3_f32 v46, v46, v47, v48
	v_min3_f32 v47, v44, v49, v45
	v_lshl_add_u64 v[44:45], v[70:71], 2, v[40:41]
	global_store_dword v[44:45], v47, off
	v_max_f32_e32 v44, v46, v46
	s_cbranch_vccz .LBB68_186
; %bb.184:
	v_min_f32_e32 v45, 0, v44
	v_lshl_add_u64 v[46:47], v[84:85], 2, v[40:41]
	s_mov_b32 s6, 0
	global_store_dword v[46:47], v45, off
	s_cbranch_execz .LBB68_187
; %bb.185:
	v_mov_b32_e32 v42, s6
	s_branch .LBB68_188
.LBB68_186:
                                        ; implicit-def: $sgpr6
.LBB68_187:
	v_lshl_add_u64 v[46:47], v[42:43], 0, v[86:87]
	flat_load_dword v45, v[46:47]
	v_lshl_add_u64 v[46:47], v[40:41], 0, v[86:87]
	v_lshl_add_u64 v[42:43], v[76:77], 2, v[42:43]
	s_waitcnt vmcnt(0) lgkmcnt(0)
	v_mul_f32_e32 v45, s16, v45
	v_min_f32_e32 v44, v45, v44
	global_store_dword v[46:47], v44, off
	flat_load_dword v42, v[42:43]
	s_waitcnt vmcnt(0) lgkmcnt(0)
	v_mul_f32_e32 v42, s16, v42
.LBB68_188:
	v_pk_add_f32 v[36:37], v[0:1], v[36:37]
	s_waitcnt lgkmcnt(0)
	v_pk_add_f32 v[32:33], v[32:33], v[4:5]
	v_min3_f32 v36, v36, v37, v99
	v_min3_f32 v37, v32, v33, v100
	v_pk_add_f32 v[32:33], v[2:3], v[38:39]
	s_mov_b64 vcc, s[8:9]
	v_min_f32_e32 v38, v32, v33
	v_pk_add_f32 v[32:33], v[34:35], v[6:7]
	v_min3_f32 v34, v42, v38, v36
	v_min3_f32 v37, v32, v33, v37
	v_lshl_add_u64 v[32:33], v[76:77], 2, v[40:41]
	global_store_dword v[32:33], v34, off
	v_add_u32_e32 v34, 0xe0, v137
	v_mad_i64_i32 v[32:33], s[2:3], v34, s5, 0
	v_lshl_add_u64 v[32:33], v[32:33], 2, s[0:1]
	v_mad_i64_i32 v[34:35], s[0:1], v34, s4, 0
	v_max_f32_e32 v36, v37, v37
	s_cbranch_vccz .LBB68_191
; %bb.189:
	v_min_f32_e32 v37, 0, v36
	v_lshl_add_u64 v[38:39], v[68:69], 2, v[32:33]
	s_mov_b32 s2, 0
	global_store_dword v[38:39], v37, off
	v_lshl_add_u64 v[34:35], v[34:35], 2, s[10:11]
	s_cbranch_execz .LBB68_192
; %bb.190:
	v_mov_b32_e32 v36, s2
	s_branch .LBB68_193
.LBB68_191:
                                        ; implicit-def: $sgpr2
	v_lshl_add_u64 v[34:35], v[34:35], 2, s[10:11]
.LBB68_192:
	v_lshl_add_u64 v[38:39], v[34:35], 0, v[72:73]
	flat_load_dword v37, v[38:39]
	v_lshl_add_u64 v[38:39], v[32:33], 0, v[72:73]
	s_waitcnt vmcnt(0) lgkmcnt(0)
	v_mul_f32_e32 v37, s16, v37
	v_min_f32_e32 v36, v37, v36
	global_store_dword v[38:39], v36, off
	v_lshl_add_u64 v[36:37], v[64:65], 2, v[34:35]
	flat_load_dword v36, v[36:37]
	s_waitcnt vmcnt(0) lgkmcnt(0)
	v_mul_f32_e32 v36, s16, v36
.LBB68_193:
	v_pk_add_f32 v[28:29], v[28:29], v[4:5]
	v_pk_add_f32 v[24:25], v[24:25], v[4:5]
	v_min3_f32 v28, v28, v29, v97
	v_min3_f32 v29, v24, v25, v98
	v_pk_add_f32 v[24:25], v[30:31], v[6:7]
	s_mov_b64 vcc, s[8:9]
	v_min_f32_e32 v30, v24, v25
	v_pk_add_f32 v[24:25], v[26:27], v[6:7]
	v_min3_f32 v27, v36, v30, v28
	v_min3_f32 v26, v24, v25, v29
	v_lshl_add_u64 v[24:25], v[64:65], 2, v[32:33]
	global_store_dword v[24:25], v27, off
	v_max_f32_e32 v24, v26, v26
	s_cbranch_vccz .LBB68_196
; %bb.194:
	v_min_f32_e32 v25, 0, v24
	v_lshl_add_u64 v[26:27], v[74:75], 2, v[32:33]
	s_mov_b32 s2, 0
	global_store_dword v[26:27], v25, off
	s_cbranch_execz .LBB68_197
; %bb.195:
	v_mov_b32_e32 v24, s2
	s_branch .LBB68_198
.LBB68_196:
                                        ; implicit-def: $sgpr2
.LBB68_197:
	v_lshl_add_u64 v[26:27], v[34:35], 0, v[78:79]
	flat_load_dword v25, v[26:27]
	v_lshl_add_u64 v[26:27], v[32:33], 0, v[78:79]
	s_waitcnt vmcnt(0) lgkmcnt(0)
	v_mul_f32_e32 v25, s16, v25
	v_min_f32_e32 v24, v25, v24
	global_store_dword v[26:27], v24, off
	v_lshl_add_u64 v[24:25], v[66:67], 2, v[34:35]
	flat_load_dword v24, v[24:25]
	s_waitcnt vmcnt(0) lgkmcnt(0)
	v_mul_f32_e32 v24, s16, v24
.LBB68_198:
	v_pk_add_f32 v[20:21], v[20:21], v[4:5]
	v_pk_add_f32 v[16:17], v[16:17], v[4:5]
	v_min3_f32 v20, v20, v21, v94
	v_min3_f32 v21, v16, v17, v95
	v_pk_add_f32 v[16:17], v[22:23], v[6:7]
	s_mov_b64 vcc, s[8:9]
	v_min_f32_e32 v22, v16, v17
	v_pk_add_f32 v[16:17], v[18:19], v[6:7]
	v_min3_f32 v19, v24, v22, v20
	v_min3_f32 v18, v16, v17, v21
	v_lshl_add_u64 v[16:17], v[66:67], 2, v[32:33]
	global_store_dword v[16:17], v19, off
	v_max_f32_e32 v16, v18, v18
	s_cbranch_vccz .LBB68_201
; %bb.199:
	v_min_f32_e32 v17, 0, v16
	v_lshl_add_u64 v[18:19], v[80:81], 2, v[32:33]
	s_mov_b32 s2, 0
	global_store_dword v[18:19], v17, off
	s_cbranch_execz .LBB68_202
; %bb.200:
	v_mov_b32_e32 v16, s2
	s_branch .LBB68_203
.LBB68_201:
                                        ; implicit-def: $sgpr2
.LBB68_202:
	v_lshl_add_u64 v[18:19], v[34:35], 0, v[82:83]
	flat_load_dword v17, v[18:19]
	v_lshl_add_u64 v[18:19], v[32:33], 0, v[82:83]
	s_waitcnt vmcnt(0) lgkmcnt(0)
	v_mul_f32_e32 v17, s16, v17
	v_min_f32_e32 v16, v17, v16
	global_store_dword v[18:19], v16, off
	v_lshl_add_u64 v[16:17], v[70:71], 2, v[34:35]
	flat_load_dword v16, v[16:17]
	s_waitcnt vmcnt(0) lgkmcnt(0)
	v_mul_f32_e32 v16, s16, v16
.LBB68_203:
	;; [unrolled: 38-line block ×3, first 2 shown]
	v_pk_add_f32 v[2:3], v[2:3], v[6:7]
	v_pk_add_f32 v[0:1], v[0:1], v[4:5]
	v_min_f32_e32 v2, v2, v3
	v_min3_f32 v0, v0, v1, v96
	v_min3_f32 v2, v8, v2, v0
	v_lshl_add_u64 v[0:1], v[76:77], 2, v[32:33]
	global_store_dword v[0:1], v2, off
	s_endpgm
	.section	.rodata,"a",@progbits
	.p2align	6, 0x0
	.amdhsa_kernel _ZN12_GLOBAL__N_120geam_min_plus_kernelIf15HIP_vector_typeIfLj2EEfLi8ELi32ELi64ELi256ELi4ELi64ELi4ELi64ELi4ELc78ELc84ELb0ELb0ELb1EfKffEEviiiT16_PT17_ilS6_ilS4_S6_ilPT18_ili26rocblas_geam_ex_operation_
		.amdhsa_group_segment_fixed_size 10240
		.amdhsa_private_segment_fixed_size 0
		.amdhsa_kernarg_size 128
		.amdhsa_user_sgpr_count 2
		.amdhsa_user_sgpr_dispatch_ptr 0
		.amdhsa_user_sgpr_queue_ptr 0
		.amdhsa_user_sgpr_kernarg_segment_ptr 1
		.amdhsa_user_sgpr_dispatch_id 0
		.amdhsa_user_sgpr_kernarg_preload_length 0
		.amdhsa_user_sgpr_kernarg_preload_offset 0
		.amdhsa_user_sgpr_private_segment_size 0
		.amdhsa_uses_dynamic_stack 0
		.amdhsa_enable_private_segment 0
		.amdhsa_system_sgpr_workgroup_id_x 1
		.amdhsa_system_sgpr_workgroup_id_y 0
		.amdhsa_system_sgpr_workgroup_id_z 1
		.amdhsa_system_sgpr_workgroup_info 0
		.amdhsa_system_vgpr_workitem_id 1
		.amdhsa_next_free_vgpr 176
		.amdhsa_next_free_sgpr 31
		.amdhsa_accum_offset 176
		.amdhsa_reserve_vcc 1
		.amdhsa_float_round_mode_32 0
		.amdhsa_float_round_mode_16_64 0
		.amdhsa_float_denorm_mode_32 3
		.amdhsa_float_denorm_mode_16_64 3
		.amdhsa_dx10_clamp 1
		.amdhsa_ieee_mode 1
		.amdhsa_fp16_overflow 0
		.amdhsa_tg_split 0
		.amdhsa_exception_fp_ieee_invalid_op 0
		.amdhsa_exception_fp_denorm_src 0
		.amdhsa_exception_fp_ieee_div_zero 0
		.amdhsa_exception_fp_ieee_overflow 0
		.amdhsa_exception_fp_ieee_underflow 0
		.amdhsa_exception_fp_ieee_inexact 0
		.amdhsa_exception_int_div_zero 0
	.end_amdhsa_kernel
	.section	.text._ZN12_GLOBAL__N_120geam_min_plus_kernelIf15HIP_vector_typeIfLj2EEfLi8ELi32ELi64ELi256ELi4ELi64ELi4ELi64ELi4ELc78ELc84ELb0ELb0ELb1EfKffEEviiiT16_PT17_ilS6_ilS4_S6_ilPT18_ili26rocblas_geam_ex_operation_,"axG",@progbits,_ZN12_GLOBAL__N_120geam_min_plus_kernelIf15HIP_vector_typeIfLj2EEfLi8ELi32ELi64ELi256ELi4ELi64ELi4ELi64ELi4ELc78ELc84ELb0ELb0ELb1EfKffEEviiiT16_PT17_ilS6_ilS4_S6_ilPT18_ili26rocblas_geam_ex_operation_,comdat
.Lfunc_end68:
	.size	_ZN12_GLOBAL__N_120geam_min_plus_kernelIf15HIP_vector_typeIfLj2EEfLi8ELi32ELi64ELi256ELi4ELi64ELi4ELi64ELi4ELc78ELc84ELb0ELb0ELb1EfKffEEviiiT16_PT17_ilS6_ilS4_S6_ilPT18_ili26rocblas_geam_ex_operation_, .Lfunc_end68-_ZN12_GLOBAL__N_120geam_min_plus_kernelIf15HIP_vector_typeIfLj2EEfLi8ELi32ELi64ELi256ELi4ELi64ELi4ELi64ELi4ELc78ELc84ELb0ELb0ELb1EfKffEEviiiT16_PT17_ilS6_ilS4_S6_ilPT18_ili26rocblas_geam_ex_operation_
                                        ; -- End function
	.section	.AMDGPU.csdata,"",@progbits
; Kernel info:
; codeLenInByte = 16660
; NumSgprs: 37
; NumVgprs: 176
; NumAgprs: 0
; TotalNumVgprs: 176
; ScratchSize: 0
; MemoryBound: 0
; FloatMode: 240
; IeeeMode: 1
; LDSByteSize: 10240 bytes/workgroup (compile time only)
; SGPRBlocks: 4
; VGPRBlocks: 21
; NumSGPRsForWavesPerEU: 37
; NumVGPRsForWavesPerEU: 176
; AccumOffset: 176
; Occupancy: 2
; WaveLimiterHint : 1
; COMPUTE_PGM_RSRC2:SCRATCH_EN: 0
; COMPUTE_PGM_RSRC2:USER_SGPR: 2
; COMPUTE_PGM_RSRC2:TRAP_HANDLER: 0
; COMPUTE_PGM_RSRC2:TGID_X_EN: 1
; COMPUTE_PGM_RSRC2:TGID_Y_EN: 0
; COMPUTE_PGM_RSRC2:TGID_Z_EN: 1
; COMPUTE_PGM_RSRC2:TIDIG_COMP_CNT: 1
; COMPUTE_PGM_RSRC3_GFX90A:ACCUM_OFFSET: 43
; COMPUTE_PGM_RSRC3_GFX90A:TG_SPLIT: 0
	.section	.text._ZN12_GLOBAL__N_120geam_min_plus_kernelIf15HIP_vector_typeIfLj2EEfLi8ELi32ELi64ELi256ELi4ELi64ELi4ELi64ELi4ELc78ELc84ELb0ELb1ELb1EPKfS3_fEEviiiT16_PT17_ilS7_ilS5_S7_ilPT18_ili26rocblas_geam_ex_operation_,"axG",@progbits,_ZN12_GLOBAL__N_120geam_min_plus_kernelIf15HIP_vector_typeIfLj2EEfLi8ELi32ELi64ELi256ELi4ELi64ELi4ELi64ELi4ELc78ELc84ELb0ELb1ELb1EPKfS3_fEEviiiT16_PT17_ilS7_ilS5_S7_ilPT18_ili26rocblas_geam_ex_operation_,comdat
	.globl	_ZN12_GLOBAL__N_120geam_min_plus_kernelIf15HIP_vector_typeIfLj2EEfLi8ELi32ELi64ELi256ELi4ELi64ELi4ELi64ELi4ELc78ELc84ELb0ELb1ELb1EPKfS3_fEEviiiT16_PT17_ilS7_ilS5_S7_ilPT18_ili26rocblas_geam_ex_operation_ ; -- Begin function _ZN12_GLOBAL__N_120geam_min_plus_kernelIf15HIP_vector_typeIfLj2EEfLi8ELi32ELi64ELi256ELi4ELi64ELi4ELi64ELi4ELc78ELc84ELb0ELb1ELb1EPKfS3_fEEviiiT16_PT17_ilS7_ilS5_S7_ilPT18_ili26rocblas_geam_ex_operation_
	.p2align	8
	.type	_ZN12_GLOBAL__N_120geam_min_plus_kernelIf15HIP_vector_typeIfLj2EEfLi8ELi32ELi64ELi256ELi4ELi64ELi4ELi64ELi4ELc78ELc84ELb0ELb1ELb1EPKfS3_fEEviiiT16_PT17_ilS7_ilS5_S7_ilPT18_ili26rocblas_geam_ex_operation_,@function
_ZN12_GLOBAL__N_120geam_min_plus_kernelIf15HIP_vector_typeIfLj2EEfLi8ELi32ELi64ELi256ELi4ELi64ELi4ELi64ELi4ELc78ELc84ELb0ELb1ELb1EPKfS3_fEEviiiT16_PT17_ilS7_ilS5_S7_ilPT18_ili26rocblas_geam_ex_operation_: ; @_ZN12_GLOBAL__N_120geam_min_plus_kernelIf15HIP_vector_typeIfLj2EEfLi8ELi32ELi64ELi256ELi4ELi64ELi4ELi64ELi4ELc78ELc84ELb0ELb1ELb1EPKfS3_fEEviiiT16_PT17_ilS7_ilS5_S7_ilPT18_ili26rocblas_geam_ex_operation_
; %bb.0:
	s_load_dwordx4 s[12:15], s[0:1], 0x10
	s_load_dwordx4 s[4:7], s[0:1], 0x28
	s_mov_b32 s16, s3
	s_mov_b32 s17, 0
	s_lshl_b64 s[18:19], s[16:17], 2
	s_waitcnt lgkmcnt(0)
	s_add_u32 s12, s12, s18
	s_load_dwordx4 s[8:11], s[0:1], 0x40
	s_addc_u32 s13, s13, s19
	s_load_dword s39, s[12:13], 0x0
	s_load_dwordx2 s[20:21], s[0:1], 0x50
	s_mov_b64 s[28:29], 0
	s_mov_b64 s[30:31], 0
	s_waitcnt lgkmcnt(0)
	s_add_u32 s10, s10, s18
	s_addc_u32 s11, s11, s19
	v_cmp_eq_f32_e64 s[18:19], s39, 0
	v_cmp_neq_f32_e64 s[12:13], s39, 0
	s_and_b64 vcc, exec, s[18:19]
	s_cbranch_vccnz .LBB69_2
; %bb.1:
	s_mul_i32 s3, s16, s5
	s_mul_hi_u32 s5, s16, s4
	s_add_i32 s5, s5, s3
	s_mul_i32 s4, s16, s4
	s_lshl_b64 s[4:5], s[4:5], 2
	s_add_u32 s30, s14, s4
	s_addc_u32 s31, s15, s5
.LBB69_2:
	s_load_dword s33, s[10:11], 0x0
	s_andn2_b64 vcc, exec, s[12:13]
	s_cbranch_vccnz .LBB69_4
; %bb.3:
	s_mul_i32 s3, s16, s9
	s_mul_hi_u32 s4, s16, s8
	s_add_i32 s5, s4, s3
	s_mul_i32 s4, s16, s8
	s_lshl_b64 s[4:5], s[4:5], 2
	s_add_u32 s28, s6, s4
	s_addc_u32 s29, s7, s5
.LBB69_4:
	s_load_dwordx4 s[12:15], s[0:1], 0x60
	s_waitcnt lgkmcnt(0)
	v_cmp_eq_f32_e64 s[4:5], s33, 0
	v_cmp_neq_f32_e64 s[26:27], s33, 0
	s_and_b64 vcc, exec, s[4:5]
	s_cbranch_vccnz .LBB69_6
; %bb.5:
	s_mul_i32 s3, s16, s13
	s_mul_hi_u32 s4, s16, s12
	s_add_i32 s5, s4, s3
	s_mul_i32 s4, s16, s12
	s_lshl_b64 s[4:5], s[4:5], 2
	s_add_u32 s24, s20, s4
	s_addc_u32 s25, s21, s5
	s_branch .LBB69_7
.LBB69_6:
	s_mov_b64 s[24:25], 0
.LBB69_7:
	s_load_dwordx4 s[20:23], s[0:1], 0x0
	s_load_dword s34, s[0:1], 0x20
	v_and_b32_e32 v74, 0x3ff, v0
	v_bfe_u32 v75, v0, 10, 10
                                        ; implicit-def: $vgpr3
	s_waitcnt lgkmcnt(0)
	s_add_i32 s3, s20, -1
	s_ashr_i32 s4, s3, 31
	s_lshr_b32 s4, s4, 26
	s_add_i32 s4, s3, s4
	s_ashr_i32 s4, s4, 6
	s_add_i32 s5, s4, 1
	v_cvt_f32_u32_e32 v1, s5
	s_not_b32 s4, s4
	s_ashr_i32 s35, s34, 31
	v_rcp_iflag_f32_e32 v0, v1
	v_lshl_add_u32 v1, v75, 3, v74
	v_and_b32_e32 v2, 63, v1
	v_lshrrev_b32_e32 v76, 6, v1
	v_mul_f32_e32 v0, 0x4f7ffffe, v0
	v_cvt_u32_f32_e32 v0, v0
	v_cmp_le_i32_e64 s[10:11], s22, v76
	v_readfirstlane_b32 s6, v0
	s_mul_i32 s4, s4, s6
	s_mul_hi_u32 s4, s6, s4
	s_add_i32 s6, s6, s4
	s_mul_hi_u32 s4, s2, s6
	s_mul_i32 s6, s4, s5
	s_sub_i32 s6, s2, s6
	s_add_i32 s7, s4, 1
	s_sub_i32 s8, s6, s5
	s_cmp_ge_u32 s6, s5
	s_cselect_b32 s4, s7, s4
	s_cselect_b32 s6, s8, s6
	s_add_i32 s7, s4, 1
	s_cmp_ge_u32 s6, s5
	s_cselect_b32 s6, s7, s4
	s_mul_i32 s4, s6, s5
	s_sub_i32 s2, s2, s4
	s_lshl_b32 s17, s2, 6
	v_or_b32_e32 v0, s17, v2
	v_cmp_le_i32_e32 vcc, s20, v0
	s_add_i32 s23, s22, -1
	v_min_i32_e32 v56, s3, v0
	s_or_b64 s[2:3], s[10:11], vcc
	v_min_i32_e32 v0, s23, v76
	s_or_b64 s[4:5], s[18:19], s[2:3]
	s_xor_b64 s[4:5], s[4:5], -1
	v_ashrrev_i32_e32 v1, 31, v0
	v_ashrrev_i32_e32 v57, 31, v56
	s_and_saveexec_b64 s[8:9], s[4:5]
	s_xor_b64 s[4:5], exec, s[8:9]
	s_cbranch_execz .LBB69_9
; %bb.8:
	v_mad_i64_i32 v[4:5], s[8:9], s34, v0, 0
	v_lshl_add_u64 v[4:5], v[4:5], 2, s[30:31]
	v_lshl_add_u64 v[4:5], v[56:57], 2, v[4:5]
	flat_load_dword v3, v[4:5]
	s_waitcnt vmcnt(0) lgkmcnt(0)
	v_mul_f32_e32 v3, s39, v3
.LBB69_9:
	s_andn2_saveexec_b64 s[4:5], s[4:5]
; %bb.10:
	v_mov_b32_e32 v3, 0x7f7fffff
	v_cndmask_b32_e64 v3, 0, v3, s[2:3]
; %bb.11:
	s_or_b64 exec, exec, s[4:5]
	s_load_dword s40, s[0:1], 0x38
	s_lshl_b32 s38, s6, 8
	v_or_b32_e32 v64, s38, v2
	v_ashrrev_i32_e32 v65, 31, v64
	s_waitcnt lgkmcnt(0)
	s_ashr_i32 s41, s40, 31
	v_mul_lo_u32 v4, v1, s40
	v_mul_lo_u32 v5, v0, s41
	v_mad_u64_u32 v[0:1], s[2:3], v0, s40, 0
	v_cmp_le_i32_e64 s[2:3], s21, v64
	v_add3_u32 v1, v1, v5, v4
	v_mov_b32_e32 v5, 0x7f7fffff
	s_or_b64 s[4:5], s[10:11], s[2:3]
	v_cndmask_b32_e64 v4, 0, v5, s[4:5]
	s_or_b64 s[4:5], s[18:19], s[4:5]
	v_lshl_add_u64 v[0:1], v[0:1], 2, s[28:29]
	s_xor_b64 s[6:7], s[4:5], -1
	s_and_saveexec_b64 s[4:5], s[6:7]
	s_cbranch_execz .LBB69_13
; %bb.12:
	v_lshl_add_u64 v[6:7], v[64:65], 2, v[0:1]
	flat_load_dword v4, v[6:7]
	s_waitcnt vmcnt(0) lgkmcnt(0)
	v_mul_f32_e32 v4, s39, v4
.LBB69_13:
	s_or_b64 exec, exec, s[4:5]
	v_or_b32_e32 v6, 64, v64
	v_cmp_le_i32_e64 s[4:5], s21, v6
	s_or_b64 s[6:7], s[10:11], s[4:5]
	v_cndmask_b32_e64 v5, 0, v5, s[6:7]
	s_or_b64 s[6:7], s[18:19], s[6:7]
	s_xor_b64 s[8:9], s[6:7], -1
	s_and_saveexec_b64 s[6:7], s[8:9]
	s_cbranch_execz .LBB69_15
; %bb.14:
	v_lshl_add_u64 v[6:7], v[64:65], 2, v[0:1]
	flat_load_dword v5, v[6:7] offset:256
	s_waitcnt vmcnt(0) lgkmcnt(0)
	v_mul_f32_e32 v5, s39, v5
.LBB69_15:
	s_or_b64 exec, exec, s[6:7]
	v_or_b32_e32 v6, 0x80, v64
	v_cmp_le_i32_e64 s[6:7], s21, v6
	v_mov_b32_e32 v7, 0x7f7fffff
	s_or_b64 s[8:9], s[10:11], s[6:7]
	v_cndmask_b32_e64 v6, 0, v7, s[8:9]
	s_or_b64 s[8:9], s[18:19], s[8:9]
	s_xor_b64 s[12:13], s[8:9], -1
	s_and_saveexec_b64 s[8:9], s[12:13]
	s_cbranch_execz .LBB69_17
; %bb.16:
	v_lshl_add_u64 v[8:9], v[64:65], 2, v[0:1]
	flat_load_dword v6, v[8:9] offset:512
	s_waitcnt vmcnt(0) lgkmcnt(0)
	v_mul_f32_e32 v6, s39, v6
.LBB69_17:
	s_or_b64 exec, exec, s[8:9]
	v_or_b32_e32 v8, 0xc0, v64
	v_cmp_le_i32_e64 s[8:9], s21, v8
	s_or_b64 s[10:11], s[10:11], s[8:9]
	v_cndmask_b32_e64 v7, 0, v7, s[10:11]
	s_or_b64 s[10:11], s[18:19], s[10:11]
	s_xor_b64 s[12:13], s[10:11], -1
	s_and_saveexec_b64 s[10:11], s[12:13]
	s_cbranch_execz .LBB69_19
; %bb.18:
	v_lshl_add_u64 v[0:1], v[64:65], 2, v[0:1]
	flat_load_dword v0, v[0:1] offset:768
	s_waitcnt vmcnt(0) lgkmcnt(0)
	v_mul_f32_e32 v7, s39, v0
.LBB69_19:
	s_or_b64 exec, exec, s[10:11]
	v_add_u32_e32 v0, 4, v76
	v_cmp_le_i32_e64 s[10:11], s22, v0
	s_or_b64 s[12:13], vcc, s[10:11]
	v_min_i32_e32 v0, s23, v0
	s_or_b64 s[36:37], s[18:19], s[12:13]
	s_xor_b64 s[36:37], s[36:37], -1
	v_ashrrev_i32_e32 v1, 31, v0
                                        ; implicit-def: $vgpr58
	s_and_saveexec_b64 s[42:43], s[36:37]
	s_xor_b64 s[36:37], exec, s[42:43]
	s_cbranch_execz .LBB69_21
; %bb.20:
	v_mad_i64_i32 v[8:9], s[42:43], s34, v0, 0
	v_lshl_add_u64 v[8:9], v[8:9], 2, s[30:31]
	v_lshl_add_u64 v[8:9], v[56:57], 2, v[8:9]
	flat_load_dword v8, v[8:9]
	s_waitcnt vmcnt(0) lgkmcnt(0)
	v_mul_f32_e32 v58, s39, v8
.LBB69_21:
	s_andn2_saveexec_b64 s[36:37], s[36:37]
; %bb.22:
	v_mov_b32_e32 v8, 0x7f7fffff
	v_cndmask_b32_e64 v58, 0, v8, s[12:13]
; %bb.23:
	s_or_b64 exec, exec, s[36:37]
	v_mul_lo_u32 v8, v1, s40
	v_mul_lo_u32 v9, v0, s41
	v_mad_u64_u32 v[0:1], s[12:13], v0, s40, 0
	v_add3_u32 v1, v1, v9, v8
	v_mov_b32_e32 v8, 0x7f7fffff
	s_or_b64 s[12:13], s[2:3], s[10:11]
	v_cndmask_b32_e64 v59, 0, v8, s[12:13]
	s_or_b64 s[12:13], s[18:19], s[12:13]
	v_lshl_add_u64 v[0:1], v[0:1], 2, s[28:29]
	s_xor_b64 s[36:37], s[12:13], -1
	s_and_saveexec_b64 s[12:13], s[36:37]
	s_cbranch_execz .LBB69_25
; %bb.24:
	v_lshl_add_u64 v[10:11], v[64:65], 2, v[0:1]
	flat_load_dword v9, v[10:11]
	s_waitcnt vmcnt(0) lgkmcnt(0)
	v_mul_f32_e32 v59, s39, v9
.LBB69_25:
	s_or_b64 exec, exec, s[12:13]
	s_or_b64 s[12:13], s[4:5], s[10:11]
	v_cndmask_b32_e64 v60, 0, v8, s[12:13]
	s_or_b64 s[12:13], s[18:19], s[12:13]
	s_xor_b64 s[36:37], s[12:13], -1
	s_and_saveexec_b64 s[12:13], s[36:37]
	s_cbranch_execz .LBB69_27
; %bb.26:
	v_lshl_add_u64 v[8:9], v[64:65], 2, v[0:1]
	flat_load_dword v8, v[8:9] offset:256
	s_waitcnt vmcnt(0) lgkmcnt(0)
	v_mul_f32_e32 v60, s39, v8
.LBB69_27:
	s_or_b64 exec, exec, s[12:13]
	v_mov_b32_e32 v8, 0x7f7fffff
	s_or_b64 s[12:13], s[6:7], s[10:11]
	v_cndmask_b32_e64 v61, 0, v8, s[12:13]
	s_or_b64 s[12:13], s[18:19], s[12:13]
	s_xor_b64 s[36:37], s[12:13], -1
	s_and_saveexec_b64 s[12:13], s[36:37]
	s_cbranch_execz .LBB69_29
; %bb.28:
	v_lshl_add_u64 v[10:11], v[64:65], 2, v[0:1]
	flat_load_dword v9, v[10:11] offset:512
	s_waitcnt vmcnt(0) lgkmcnt(0)
	v_mul_f32_e32 v61, s39, v9
.LBB69_29:
	s_or_b64 exec, exec, s[12:13]
	s_or_b64 s[10:11], s[8:9], s[10:11]
	v_cndmask_b32_e64 v62, 0, v8, s[10:11]
	s_or_b64 s[10:11], s[18:19], s[10:11]
	s_xor_b64 s[36:37], s[10:11], -1
	s_mov_b32 s12, 0x7f7fffff
	s_and_saveexec_b64 s[10:11], s[36:37]
	s_cbranch_execz .LBB69_31
; %bb.30:
	v_lshl_add_u64 v[0:1], v[64:65], 2, v[0:1]
	flat_load_dword v0, v[0:1] offset:768
	s_waitcnt vmcnt(0) lgkmcnt(0)
	v_mul_f32_e32 v62, s39, v0
.LBB69_31:
	s_or_b64 exec, exec, s[10:11]
	v_lshlrev_b32_e32 v0, 2, v76
	v_lshl_add_u32 v79, v2, 4, v0
	v_lshlrev_b32_e32 v77, 4, v74
	v_lshlrev_b32_e32 v78, 4, v75
	ds_write_b32 v79, v3 offset:8192
	ds_write2st64_b32 v79, v4, v5 offset1:4
	ds_write2st64_b32 v79, v6, v7 offset0:8 offset1:12
	s_waitcnt lgkmcnt(0)
	s_barrier
	ds_read_b128 v[12:15], v77 offset:8192
	ds_read_b128 v[20:23], v77 offset:8320
	;; [unrolled: 1-line block ×8, first 2 shown]
	ds_read_b128 v[52:55], v78
	ds_read_b128 v[48:51], v78 offset:512
	ds_read_b128 v[44:47], v78 offset:1024
	ds_read_b128 v[40:43], v78 offset:1536
	ds_read_b128 v[36:39], v78 offset:2048
	ds_read_b128 v[32:35], v78 offset:2560
	s_waitcnt lgkmcnt(5)
	v_pk_add_f32 v[66:67], v[12:13], v[52:53]
	s_cmp_lt_i32 s22, 9
	v_min3_f32 v63, v66, v67, s12
	v_pk_add_f32 v[66:67], v[20:21], v[52:53]
	s_nop 0
	v_min3_f32 v68, v66, v67, s12
	v_pk_add_f32 v[66:67], v[24:25], v[52:53]
	s_nop 0
	v_min3_f32 v69, v66, v67, s12
	v_pk_add_f32 v[66:67], v[28:29], v[52:53]
	s_nop 0
	v_min3_f32 v70, v66, v67, s12
	v_pk_add_f32 v[66:67], v[16:17], v[52:53]
	s_nop 0
	v_min3_f32 v71, v66, v67, s12
	v_pk_add_f32 v[66:67], v[8:9], v[52:53]
	s_nop 0
	v_min3_f32 v72, v66, v67, s12
	v_pk_add_f32 v[66:67], v[4:5], v[52:53]
	v_pk_add_f32 v[52:53], v[0:1], v[52:53]
	v_min3_f32 v66, v66, v67, s12
	v_min3_f32 v67, v52, v53, s12
	s_waitcnt lgkmcnt(4)
	v_pk_add_f32 v[52:53], v[12:13], v[48:49]
	s_nop 0
	v_min3_f32 v73, v52, v53, s12
	v_pk_add_f32 v[52:53], v[20:21], v[48:49]
	s_nop 0
	v_min3_f32 v80, v52, v53, s12
	v_pk_add_f32 v[52:53], v[24:25], v[48:49]
	s_nop 0
	v_min3_f32 v81, v52, v53, s12
	v_pk_add_f32 v[52:53], v[28:29], v[48:49]
	s_nop 0
	v_min3_f32 v82, v52, v53, s12
	v_pk_add_f32 v[52:53], v[16:17], v[48:49]
	s_nop 0
	v_min3_f32 v83, v52, v53, s12
	v_pk_add_f32 v[52:53], v[8:9], v[48:49]
	s_nop 0
	v_min3_f32 v84, v52, v53, s12
	v_pk_add_f32 v[52:53], v[4:5], v[48:49]
	v_pk_add_f32 v[48:49], v[0:1], v[48:49]
	v_min3_f32 v85, v52, v53, s12
	v_min3_f32 v86, v48, v49, s12
	s_waitcnt lgkmcnt(3)
	v_pk_add_f32 v[48:49], v[12:13], v[44:45]
	s_nop 0
	;; [unrolled: 23-line block ×5, first 2 shown]
	v_min3_f32 v105, v36, v37, s12
	v_pk_add_f32 v[36:37], v[20:21], v[32:33]
	s_nop 0
	v_min3_f32 v106, v36, v37, s12
	v_pk_add_f32 v[36:37], v[24:25], v[32:33]
	s_nop 0
	;; [unrolled: 3-line block ×5, first 2 shown]
	v_min3_f32 v151, v36, v37, s12
	v_pk_add_f32 v[36:37], v[4:5], v[32:33]
	v_pk_add_f32 v[32:33], v[0:1], v[32:33]
	v_min3_f32 v152, v36, v37, s12
	v_min3_f32 v153, v32, v33, s12
	v_pk_add_f32 v[32:33], v[14:15], v[54:55]
	s_nop 0
	v_min3_f32 v148, v32, v33, v63
	v_pk_add_f32 v[32:33], v[22:23], v[54:55]
	s_nop 0
	;; [unrolled: 3-line block ×7, first 2 shown]
	v_min3_f32 v142, v32, v33, v66
	v_pk_add_f32 v[32:33], v[2:3], v[54:55]
	ds_read_b128 v[52:55], v78 offset:3072
	v_min3_f32 v141, v32, v33, v67
	ds_read_b128 v[66:69], v78 offset:3584
	v_pk_add_f32 v[32:33], v[14:15], v[50:51]
	ds_write_b32 v79, v58 offset:9216
	ds_write2st64_b32 v79, v59, v60 offset0:16 offset1:20
	ds_write2st64_b32 v79, v61, v62 offset0:24 offset1:28
	v_min3_f32 v140, v32, v33, v73
	v_pk_add_f32 v[32:33], v[22:23], v[50:51]
	s_waitcnt lgkmcnt(4)
	v_pk_add_f32 v[36:37], v[24:25], v[52:53]
	v_min3_f32 v139, v32, v33, v80
	v_pk_add_f32 v[32:33], v[26:27], v[50:51]
	s_waitcnt lgkmcnt(0)
	v_min3_f32 v138, v32, v33, v81
	v_pk_add_f32 v[32:33], v[30:31], v[50:51]
	s_barrier
	v_min3_f32 v137, v32, v33, v82
	v_pk_add_f32 v[32:33], v[18:19], v[50:51]
	s_nop 0
	v_min3_f32 v136, v32, v33, v83
	v_pk_add_f32 v[32:33], v[10:11], v[50:51]
	s_nop 0
	;; [unrolled: 3-line block ×3, first 2 shown]
	v_min3_f32 v132, v32, v33, v85
	v_pk_add_f32 v[32:33], v[12:13], v[52:53]
	v_pk_add_f32 v[12:13], v[12:13], v[66:67]
	v_min3_f32 v63, v32, v33, s12
	v_pk_add_f32 v[32:33], v[20:21], v[52:53]
	s_nop 0
	v_min3_f32 v70, v32, v33, s12
	v_pk_add_f32 v[32:33], v[2:3], v[50:51]
	v_min3_f32 v50, v36, v37, s12
	v_min3_f32 v135, v32, v33, v86
	v_pk_add_f32 v[32:33], v[14:15], v[46:47]
	v_pk_add_f32 v[36:37], v[28:29], v[52:53]
	v_min3_f32 v133, v32, v33, v87
	v_pk_add_f32 v[32:33], v[22:23], v[46:47]
	v_min3_f32 v51, v36, v37, s12
	v_min3_f32 v131, v32, v33, v88
	v_pk_add_f32 v[32:33], v[26:27], v[46:47]
	v_pk_add_f32 v[36:37], v[4:5], v[52:53]
	v_min3_f32 v130, v32, v33, v89
	v_pk_add_f32 v[32:33], v[30:31], v[46:47]
	v_pk_add_f32 v[4:5], v[4:5], v[66:67]
	v_min3_f32 v129, v32, v33, v90
	v_pk_add_f32 v[32:33], v[18:19], v[46:47]
	v_min3_f32 v4, v4, v5, s12
	v_min3_f32 v128, v32, v33, v91
	v_pk_add_f32 v[32:33], v[10:11], v[46:47]
	s_nop 0
	v_min3_f32 v127, v32, v33, v92
	v_pk_add_f32 v[32:33], v[6:7], v[46:47]
	s_nop 0
	;; [unrolled: 3-line block ×3, first 2 shown]
	v_min3_f32 v48, v32, v33, s12
	v_pk_add_f32 v[32:33], v[8:9], v[52:53]
	v_pk_add_f32 v[8:9], v[8:9], v[66:67]
	v_min3_f32 v71, v32, v33, s12
	v_pk_add_f32 v[32:33], v[2:3], v[46:47]
	v_min3_f32 v46, v36, v37, s12
	v_min3_f32 v125, v32, v33, v49
	v_pk_add_f32 v[32:33], v[14:15], v[42:43]
	v_pk_add_f32 v[36:37], v[0:1], v[52:53]
	v_min3_f32 v123, v32, v33, v93
	v_pk_add_f32 v[32:33], v[22:23], v[42:43]
	v_pk_add_f32 v[0:1], v[0:1], v[66:67]
	v_min3_f32 v122, v32, v33, v94
	v_pk_add_f32 v[32:33], v[26:27], v[42:43]
	v_min3_f32 v5, v0, v1, s12
	v_min3_f32 v121, v32, v33, v95
	v_pk_add_f32 v[32:33], v[30:31], v[42:43]
	v_pk_add_f32 v[0:1], v[14:15], v[54:55]
	v_min3_f32 v120, v32, v33, v96
	v_pk_add_f32 v[32:33], v[18:19], v[42:43]
	v_min3_f32 v36, v36, v37, s12
	v_min3_f32 v119, v32, v33, v97
	v_pk_add_f32 v[32:33], v[10:11], v[42:43]
	s_nop 0
	v_min3_f32 v118, v32, v33, v98
	v_pk_add_f32 v[32:33], v[6:7], v[42:43]
	s_nop 0
	;; [unrolled: 3-line block ×4, first 2 shown]
	v_min3_f32 v115, v32, v33, v99
	v_pk_add_f32 v[32:33], v[22:23], v[38:39]
	v_min3_f32 v99, v0, v1, v63
	v_min3_f32 v114, v32, v33, v100
	v_pk_add_f32 v[32:33], v[26:27], v[38:39]
	v_pk_add_f32 v[0:1], v[22:23], v[54:55]
	v_min3_f32 v113, v32, v33, v101
	v_pk_add_f32 v[32:33], v[30:31], v[38:39]
	v_min3_f32 v98, v0, v1, v70
	v_min3_f32 v112, v32, v33, v102
	v_pk_add_f32 v[32:33], v[18:19], v[38:39]
	v_pk_add_f32 v[0:1], v[26:27], v[54:55]
	;; [unrolled: 6-line block ×3, first 2 shown]
	v_min3_f32 v109, v32, v33, v40
	v_min3_f32 v32, v12, v13, s12
	v_pk_add_f32 v[12:13], v[20:21], v[66:67]
	v_min3_f32 v96, v0, v1, v51
	v_min3_f32 v33, v12, v13, s12
	v_pk_add_f32 v[12:13], v[2:3], v[38:39]
	v_pk_add_f32 v[0:1], v[18:19], v[54:55]
	v_min3_f32 v108, v12, v13, v41
	v_pk_add_f32 v[12:13], v[14:15], v[34:35]
	v_min3_f32 v95, v0, v1, v48
	v_min3_f32 v107, v12, v13, v105
	v_pk_add_f32 v[12:13], v[22:23], v[34:35]
	v_pk_add_f32 v[0:1], v[10:11], v[54:55]
	v_min3_f32 v106, v12, v13, v106
	v_pk_add_f32 v[12:13], v[26:27], v[34:35]
	v_min3_f32 v94, v0, v1, v71
	;; [unrolled: 2-line block ×6, first 2 shown]
	v_pk_add_f32 v[0:1], v[14:15], v[68:69]
	v_pk_add_f32 v[20:21], v[24:25], v[66:67]
	v_min3_f32 v103, v12, v13, v150
	v_pk_add_f32 v[12:13], v[10:11], v[34:35]
	v_min3_f32 v91, v0, v1, v32
	;; [unrolled: 2-line block ×6, first 2 shown]
	v_min3_f32 v101, v12, v13, v152
	v_pk_add_f32 v[12:13], v[16:17], v[66:67]
	v_min3_f32 v89, v0, v1, v24
	v_pk_add_f32 v[0:1], v[30:31], v[68:69]
	v_min3_f32 v12, v12, v13, s12
	v_min3_f32 v87, v0, v1, v20
	v_pk_add_f32 v[0:1], v[18:19], v[68:69]
	v_min3_f32 v13, v8, v9, s12
	v_min3_f32 v86, v0, v1, v12
	v_pk_add_f32 v[0:1], v[10:11], v[68:69]
	v_pk_add_f32 v[8:9], v[2:3], v[34:35]
	v_min3_f32 v85, v0, v1, v13
	v_pk_add_f32 v[0:1], v[6:7], v[68:69]
	v_min3_f32 v100, v8, v9, v153
	v_min3_f32 v84, v0, v1, v4
	v_pk_add_f32 v[0:1], v[2:3], v[68:69]
	s_nop 0
	v_min3_f32 v88, v0, v1, v5
	s_cbranch_scc1 .LBB69_54
; %bb.32:
	v_mov_b32_e32 v0, 0x2400
	v_lshl_add_u32 v124, v74, 4, v0
	v_mov_b32_e32 v0, 0x1000
	v_lshl_add_u32 v149, v75, 4, v0
	v_add_u32_e32 v0, 12, v76
	v_mad_i64_i32 v[0:1], s[10:11], v0, s34, 0
	v_lshlrev_b64 v[68:69], 2, v[0:1]
	v_add_u32_e32 v0, 8, v76
	v_mad_i64_i32 v[0:1], s[10:11], v0, s34, 0
	v_or_b32_e32 v80, 0x2000, v79
	v_add_u32_e32 v81, 0x2000, v77
	v_add_u32_e32 v82, 0x2400, v79
	v_or_b32_e32 v83, 0x1000, v79
	s_add_i32 s36, s22, -8
	v_lshl_add_u64 v[66:67], v[56:57], 2, s[30:31]
	s_lshl_b64 s[30:31], s[34:35], 5
	v_lshlrev_b64 v[70:71], 2, v[0:1]
	s_mov_b32 s34, 0
	v_mov_b32_e32 v150, 0x7f7fffff
	s_branch .LBB69_34
.LBB69_33:                              ;   in Loop: Header=BB69_34 Depth=1
	s_or_b64 exec, exec, s[10:11]
	ds_read_b128 v[0:3], v81
	ds_read_b128 v[4:7], v81 offset:128
	ds_read_b128 v[8:11], v81 offset:256
	;; [unrolled: 1-line block ×7, first 2 shown]
	ds_read_b128 v[126:129], v78
	ds_read_b128 v[156:159], v78 offset:512
	ds_read_b128 v[160:163], v78 offset:1024
	;; [unrolled: 1-line block ×7, first 2 shown]
	s_waitcnt lgkmcnt(7)
	v_pk_add_f32 v[72:73], v[0:1], v[126:127]
	s_add_i32 s34, s34, 8
	v_min3_f32 v37, v72, v73, v37
	v_pk_add_f32 v[72:73], v[4:5], v[126:127]
	s_cmp_ge_i32 s34, s36
	v_min3_f32 v121, v72, v73, v40
	v_pk_add_f32 v[72:73], v[8:9], v[126:127]
	v_lshl_add_u64 v[66:67], v[66:67], 0, s[30:31]
	v_min3_f32 v72, v72, v73, v41
	v_pk_add_f32 v[40:41], v[12:13], v[126:127]
	ds_write_b32 v82, v151
	ds_write2st64_b32 v83, v152, v153 offset1:4
	ds_write2st64_b32 v83, v154, v36 offset0:8 offset1:12
	v_min3_f32 v44, v40, v41, v44
	v_pk_add_f32 v[40:41], v[16:17], v[126:127]
	s_waitcnt lgkmcnt(0)
	v_min3_f32 v45, v40, v41, v45
	v_pk_add_f32 v[40:41], v[20:21], v[126:127]
	s_barrier
	v_min3_f32 v48, v40, v41, v48
	v_pk_add_f32 v[40:41], v[24:25], v[126:127]
	s_nop 0
	v_min3_f32 v49, v40, v41, v49
	v_pk_add_f32 v[40:41], v[28:29], v[126:127]
	s_nop 0
	v_min3_f32 v52, v40, v41, v52
	v_pk_add_f32 v[40:41], v[0:1], v[156:157]
	s_nop 0
	v_min3_f32 v53, v40, v41, v53
	v_pk_add_f32 v[40:41], v[4:5], v[156:157]
	s_nop 0
	v_min3_f32 v56, v40, v41, v56
	v_pk_add_f32 v[40:41], v[8:9], v[156:157]
	s_nop 0
	v_min3_f32 v57, v40, v41, v57
	v_pk_add_f32 v[40:41], v[12:13], v[156:157]
	s_nop 0
	v_min3_f32 v60, v40, v41, v60
	v_pk_add_f32 v[40:41], v[16:17], v[156:157]
	s_nop 0
	v_min3_f32 v61, v40, v41, v61
	v_pk_add_f32 v[40:41], v[20:21], v[156:157]
	s_nop 0
	v_min3_f32 v62, v40, v41, v62
	v_pk_add_f32 v[40:41], v[24:25], v[156:157]
	s_nop 0
	v_min3_f32 v63, v40, v41, v63
	v_pk_add_f32 v[40:41], v[28:29], v[156:157]
	s_nop 0
	v_min3_f32 v58, v40, v41, v58
	v_pk_add_f32 v[40:41], v[0:1], v[160:161]
	s_nop 0
	v_min3_f32 v59, v40, v41, v59
	v_pk_add_f32 v[40:41], v[4:5], v[160:161]
	s_nop 0
	v_min3_f32 v73, v40, v41, v84
	v_pk_add_f32 v[40:41], v[8:9], v[160:161]
	s_nop 0
	v_min3_f32 v84, v40, v41, v85
	v_pk_add_f32 v[40:41], v[12:13], v[160:161]
	s_nop 0
	v_min3_f32 v85, v40, v41, v86
	v_pk_add_f32 v[40:41], v[16:17], v[160:161]
	s_nop 0
	v_min3_f32 v86, v40, v41, v87
	v_pk_add_f32 v[40:41], v[20:21], v[160:161]
	s_nop 0
	v_min3_f32 v87, v40, v41, v88
	v_pk_add_f32 v[40:41], v[24:25], v[160:161]
	s_nop 0
	v_min3_f32 v88, v40, v41, v89
	v_pk_add_f32 v[40:41], v[28:29], v[160:161]
	s_nop 0
	v_min3_f32 v54, v40, v41, v54
	v_pk_add_f32 v[40:41], v[0:1], v[164:165]
	s_nop 0
	v_min3_f32 v55, v40, v41, v55
	v_pk_add_f32 v[40:41], v[4:5], v[164:165]
	s_nop 0
	v_min3_f32 v89, v40, v41, v90
	v_pk_add_f32 v[40:41], v[8:9], v[164:165]
	s_nop 0
	v_min3_f32 v90, v40, v41, v91
	v_pk_add_f32 v[40:41], v[12:13], v[164:165]
	s_nop 0
	v_min3_f32 v91, v40, v41, v92
	v_pk_add_f32 v[40:41], v[16:17], v[164:165]
	s_nop 0
	v_min3_f32 v92, v40, v41, v93
	v_pk_add_f32 v[40:41], v[20:21], v[164:165]
	s_nop 0
	v_min3_f32 v93, v40, v41, v94
	v_pk_add_f32 v[40:41], v[24:25], v[164:165]
	s_nop 0
	v_min3_f32 v94, v40, v41, v95
	v_pk_add_f32 v[40:41], v[28:29], v[164:165]
	s_nop 0
	v_min3_f32 v50, v40, v41, v50
	v_pk_add_f32 v[40:41], v[0:1], v[168:169]
	s_nop 0
	v_min3_f32 v51, v40, v41, v51
	v_pk_add_f32 v[40:41], v[4:5], v[168:169]
	s_nop 0
	v_min3_f32 v95, v40, v41, v96
	v_pk_add_f32 v[40:41], v[8:9], v[168:169]
	s_nop 0
	v_min3_f32 v96, v40, v41, v97
	v_pk_add_f32 v[40:41], v[12:13], v[168:169]
	s_nop 0
	v_min3_f32 v97, v40, v41, v98
	v_pk_add_f32 v[40:41], v[16:17], v[168:169]
	s_nop 0
	v_min3_f32 v98, v40, v41, v99
	v_pk_add_f32 v[40:41], v[20:21], v[168:169]
	s_nop 0
	v_min3_f32 v99, v40, v41, v100
	v_pk_add_f32 v[40:41], v[24:25], v[168:169]
	s_nop 0
	v_min3_f32 v100, v40, v41, v101
	v_pk_add_f32 v[40:41], v[28:29], v[168:169]
	s_nop 0
	v_min3_f32 v46, v40, v41, v46
	v_pk_add_f32 v[40:41], v[0:1], v[172:173]
	s_nop 0
	v_min3_f32 v47, v40, v41, v47
	v_pk_add_f32 v[40:41], v[4:5], v[172:173]
	s_nop 0
	v_min3_f32 v101, v40, v41, v102
	v_pk_add_f32 v[40:41], v[8:9], v[172:173]
	s_nop 0
	v_min3_f32 v102, v40, v41, v103
	v_pk_add_f32 v[40:41], v[12:13], v[172:173]
	s_nop 0
	v_min3_f32 v103, v40, v41, v104
	v_pk_add_f32 v[40:41], v[16:17], v[172:173]
	s_nop 0
	v_min3_f32 v155, v40, v41, v105
	v_pk_add_f32 v[40:41], v[20:21], v[172:173]
	s_nop 0
	v_min3_f32 v156, v40, v41, v106
	v_pk_add_f32 v[40:41], v[24:25], v[172:173]
	s_nop 0
	v_min3_f32 v157, v40, v41, v107
	v_pk_add_f32 v[40:41], v[28:29], v[172:173]
	s_nop 0
	v_min3_f32 v42, v40, v41, v42
	v_pk_add_f32 v[40:41], v[0:1], v[176:177]
	v_pk_add_f32 v[0:1], v[0:1], v[32:33]
	v_min3_f32 v43, v40, v41, v43
	v_min3_f32 v39, v0, v1, v39
	v_pk_add_f32 v[0:1], v[4:5], v[32:33]
	v_pk_add_f32 v[40:41], v[4:5], v[176:177]
	v_min3_f32 v4, v0, v1, v114
	v_pk_add_f32 v[0:1], v[8:9], v[32:33]
	v_min3_f32 v160, v40, v41, v108
	v_min3_f32 v5, v0, v1, v115
	v_pk_add_f32 v[0:1], v[12:13], v[32:33]
	v_pk_add_f32 v[40:41], v[8:9], v[176:177]
	v_min3_f32 v8, v0, v1, v116
	;; [unrolled: 6-line block ×7, first 2 shown]
	v_pk_add_f32 v[0:1], v[26:27], v[128:129]
	v_min3_f32 v38, v40, v41, v38
	v_min3_f32 v142, v0, v1, v49
	v_pk_add_f32 v[0:1], v[30:31], v[128:129]
	s_nop 0
	v_min3_f32 v141, v0, v1, v52
	v_pk_add_f32 v[0:1], v[2:3], v[158:159]
	s_nop 0
	;; [unrolled: 3-line block ×57, first 2 shown]
	v_min3_f32 v88, v0, v1, v16
	s_cbranch_scc1 .LBB69_54
.LBB69_34:                              ; =>This Inner Loop Header: Depth=1
	v_add_u32_e32 v72, s34, v76
	v_add_u32_e32 v0, 8, v72
	v_cmp_le_i32_e64 s[10:11], s22, v0
	s_or_b64 s[12:13], vcc, s[10:11]
	v_cndmask_b32_e64 v73, 0, v150, s[12:13]
	s_or_b64 s[12:13], s[18:19], s[12:13]
	s_xor_b64 s[42:43], s[12:13], -1
	s_and_saveexec_b64 s[12:13], s[42:43]
	s_cbranch_execz .LBB69_36
; %bb.35:                               ;   in Loop: Header=BB69_34 Depth=1
	v_lshl_add_u64 v[2:3], v[66:67], 0, v[70:71]
	flat_load_dword v1, v[2:3]
	s_waitcnt vmcnt(0) lgkmcnt(0)
	v_mul_f32_e32 v73, s39, v1
.LBB69_36:                              ;   in Loop: Header=BB69_34 Depth=1
	s_or_b64 exec, exec, s[12:13]
	v_min_i32_e32 v0, s23, v0
	v_mad_i64_i32 v[0:1], s[12:13], v0, s40, 0
	s_or_b64 s[12:13], s[2:3], s[10:11]
	v_lshl_add_u64 v[0:1], v[0:1], 2, s[28:29]
	v_cndmask_b32_e64 v151, 0, v150, s[12:13]
	s_or_b64 s[12:13], s[18:19], s[12:13]
	s_xor_b64 s[42:43], s[12:13], -1
	v_lshl_add_u64 v[0:1], v[64:65], 2, v[0:1]
	s_and_saveexec_b64 s[12:13], s[42:43]
	s_cbranch_execz .LBB69_38
; %bb.37:                               ;   in Loop: Header=BB69_34 Depth=1
	flat_load_dword v2, v[0:1]
	s_waitcnt vmcnt(0) lgkmcnt(0)
	v_mul_f32_e32 v151, s39, v2
.LBB69_38:                              ;   in Loop: Header=BB69_34 Depth=1
	s_or_b64 exec, exec, s[12:13]
	s_or_b64 s[12:13], s[4:5], s[10:11]
	v_cndmask_b32_e64 v152, 0, v150, s[12:13]
	s_or_b64 s[12:13], s[18:19], s[12:13]
	s_xor_b64 s[42:43], s[12:13], -1
	s_and_saveexec_b64 s[12:13], s[42:43]
	s_cbranch_execz .LBB69_40
; %bb.39:                               ;   in Loop: Header=BB69_34 Depth=1
	flat_load_dword v2, v[0:1] offset:256
	s_waitcnt vmcnt(0) lgkmcnt(0)
	v_mul_f32_e32 v152, s39, v2
.LBB69_40:                              ;   in Loop: Header=BB69_34 Depth=1
	s_or_b64 exec, exec, s[12:13]
	s_or_b64 s[12:13], s[6:7], s[10:11]
	v_cndmask_b32_e64 v153, 0, v150, s[12:13]
	s_or_b64 s[12:13], s[18:19], s[12:13]
	s_xor_b64 s[42:43], s[12:13], -1
	s_and_saveexec_b64 s[12:13], s[42:43]
	s_cbranch_execz .LBB69_42
; %bb.41:                               ;   in Loop: Header=BB69_34 Depth=1
	flat_load_dword v2, v[0:1] offset:512
	s_waitcnt vmcnt(0) lgkmcnt(0)
	v_mul_f32_e32 v153, s39, v2
.LBB69_42:                              ;   in Loop: Header=BB69_34 Depth=1
	;; [unrolled: 12-line block ×3, first 2 shown]
	s_or_b64 exec, exec, s[10:11]
	ds_read_b128 v[28:31], v124
	ds_read_b128 v[24:27], v124 offset:128
	ds_read_b128 v[20:23], v124 offset:256
	;; [unrolled: 1-line block ×7, first 2 shown]
	ds_read_b128 v[60:63], v149
	ds_read_b128 v[56:59], v149 offset:512
	ds_read_b128 v[52:55], v149 offset:1024
	;; [unrolled: 1-line block ×7, first 2 shown]
	v_add_u32_e32 v72, 12, v72
	v_cmp_le_i32_e64 s[10:11], s22, v72
	s_or_b64 s[12:13], vcc, s[10:11]
	ds_write_b32 v80, v73
	ds_write2st64_b32 v79, v151, v152 offset1:4
	ds_write2st64_b32 v79, v153, v154 offset0:8 offset1:12
	v_cndmask_b32_e64 v151, 0, v150, s[12:13]
	s_or_b64 s[12:13], s[18:19], s[12:13]
	s_xor_b64 s[42:43], s[12:13], -1
	s_waitcnt lgkmcnt(0)
	s_barrier
	s_and_saveexec_b64 s[12:13], s[42:43]
	s_cbranch_execz .LBB69_46
; %bb.45:                               ;   in Loop: Header=BB69_34 Depth=1
	v_lshl_add_u64 v[152:153], v[66:67], 0, v[68:69]
	flat_load_dword v73, v[152:153]
	s_waitcnt vmcnt(0) lgkmcnt(0)
	v_mul_f32_e32 v151, s39, v73
.LBB69_46:                              ;   in Loop: Header=BB69_34 Depth=1
	s_or_b64 exec, exec, s[12:13]
	v_min_i32_e32 v72, s23, v72
	v_mad_i64_i32 v[72:73], s[12:13], v72, s40, 0
	s_or_b64 s[12:13], s[2:3], s[10:11]
	v_lshl_add_u64 v[72:73], v[72:73], 2, s[28:29]
	v_cndmask_b32_e64 v152, 0, v150, s[12:13]
	s_or_b64 s[12:13], s[18:19], s[12:13]
	s_xor_b64 s[42:43], s[12:13], -1
	v_lshl_add_u64 v[72:73], v[64:65], 2, v[72:73]
	s_and_saveexec_b64 s[12:13], s[42:43]
	s_cbranch_execz .LBB69_48
; %bb.47:                               ;   in Loop: Header=BB69_34 Depth=1
	flat_load_dword v152, v[72:73]
	s_waitcnt vmcnt(0) lgkmcnt(0)
	v_mul_f32_e32 v152, s39, v152
.LBB69_48:                              ;   in Loop: Header=BB69_34 Depth=1
	s_or_b64 exec, exec, s[12:13]
	s_or_b64 s[12:13], s[4:5], s[10:11]
	v_cndmask_b32_e64 v153, 0, v150, s[12:13]
	s_or_b64 s[12:13], s[18:19], s[12:13]
	s_xor_b64 s[42:43], s[12:13], -1
	s_and_saveexec_b64 s[12:13], s[42:43]
	s_cbranch_execz .LBB69_50
; %bb.49:                               ;   in Loop: Header=BB69_34 Depth=1
	flat_load_dword v153, v[72:73] offset:256
	s_waitcnt vmcnt(0) lgkmcnt(0)
	v_mul_f32_e32 v153, s39, v153
.LBB69_50:                              ;   in Loop: Header=BB69_34 Depth=1
	s_or_b64 exec, exec, s[12:13]
	s_or_b64 s[12:13], s[6:7], s[10:11]
	v_cndmask_b32_e64 v154, 0, v150, s[12:13]
	s_or_b64 s[12:13], s[18:19], s[12:13]
	s_xor_b64 s[42:43], s[12:13], -1
	s_and_saveexec_b64 s[12:13], s[42:43]
	s_cbranch_execz .LBB69_52
; %bb.51:                               ;   in Loop: Header=BB69_34 Depth=1
	flat_load_dword v154, v[72:73] offset:512
	s_waitcnt vmcnt(0) lgkmcnt(0)
	v_mul_f32_e32 v154, s39, v154
.LBB69_52:                              ;   in Loop: Header=BB69_34 Depth=1
	s_or_b64 exec, exec, s[12:13]
	v_pk_add_f32 v[156:157], v[28:29], v[60:61]
	s_or_b64 s[10:11], s[8:9], s[10:11]
	v_min3_f32 v148, v156, v157, v148
	v_pk_add_f32 v[156:157], v[24:25], v[60:61]
	s_nop 0
	v_min3_f32 v155, v156, v157, v147
	v_pk_add_f32 v[156:157], v[20:21], v[60:61]
	s_nop 0
	v_min3_f32 v156, v156, v157, v146
	v_pk_add_f32 v[146:147], v[16:17], v[60:61]
	s_nop 0
	v_min3_f32 v157, v146, v147, v145
	v_pk_add_f32 v[146:147], v[12:13], v[60:61]
	s_nop 0
	v_min3_f32 v146, v146, v147, v144
	v_pk_add_f32 v[144:145], v[8:9], v[60:61]
	s_nop 0
	v_min3_f32 v143, v144, v145, v143
	v_pk_add_f32 v[144:145], v[4:5], v[60:61]
	v_pk_add_f32 v[60:61], v[0:1], v[60:61]
	v_min3_f32 v142, v144, v145, v142
	v_min3_f32 v141, v60, v61, v141
	v_pk_add_f32 v[60:61], v[28:29], v[56:57]
	s_nop 0
	v_min3_f32 v140, v60, v61, v140
	v_pk_add_f32 v[60:61], v[24:25], v[56:57]
	s_nop 0
	v_min3_f32 v139, v60, v61, v139
	v_pk_add_f32 v[60:61], v[20:21], v[56:57]
	s_nop 0
	v_min3_f32 v138, v60, v61, v138
	v_pk_add_f32 v[60:61], v[16:17], v[56:57]
	s_nop 0
	v_min3_f32 v137, v60, v61, v137
	v_pk_add_f32 v[60:61], v[12:13], v[56:57]
	s_nop 0
	v_min3_f32 v136, v60, v61, v136
	v_pk_add_f32 v[60:61], v[8:9], v[56:57]
	s_nop 0
	v_min3_f32 v134, v60, v61, v134
	v_pk_add_f32 v[60:61], v[4:5], v[56:57]
	v_pk_add_f32 v[56:57], v[0:1], v[56:57]
	v_min3_f32 v132, v60, v61, v132
	v_min3_f32 v135, v56, v57, v135
	v_pk_add_f32 v[56:57], v[28:29], v[52:53]
	s_nop 0
	;; [unrolled: 22-line block ×5, first 2 shown]
	v_min3_f32 v107, v44, v45, v107
	v_pk_add_f32 v[44:45], v[24:25], v[40:41]
	s_nop 0
	v_min3_f32 v106, v44, v45, v106
	v_pk_add_f32 v[44:45], v[20:21], v[40:41]
	s_nop 0
	;; [unrolled: 3-line block ×5, first 2 shown]
	v_min3_f32 v145, v44, v45, v102
	v_pk_add_f32 v[44:45], v[4:5], v[40:41]
	v_pk_add_f32 v[40:41], v[0:1], v[40:41]
	v_min3_f32 v147, v44, v45, v101
	v_min3_f32 v158, v40, v41, v100
	v_pk_add_f32 v[40:41], v[28:29], v[36:37]
	v_pk_add_f32 v[28:29], v[28:29], v[32:33]
	v_min3_f32 v159, v40, v41, v99
	v_pk_add_f32 v[40:41], v[24:25], v[36:37]
	v_pk_add_f32 v[24:25], v[24:25], v[32:33]
	;; [unrolled: 3-line block ×7, first 2 shown]
	v_pk_add_f32 v[4:5], v[4:5], v[32:33]
	v_pk_add_f32 v[0:1], v[0:1], v[32:33]
	v_min3_f32 v4, v4, v5, v84
	v_min3_f32 v5, v0, v1, v88
	v_pk_add_f32 v[0:1], v[30:31], v[62:63]
	v_min3_f32 v36, v36, v37, v92
	v_min3_f32 v37, v0, v1, v148
	;; [unrolled: 3-line block ×9, first 2 shown]
	v_pk_add_f32 v[0:1], v[30:31], v[58:59]
	s_nop 0
	v_min3_f32 v53, v0, v1, v140
	v_pk_add_f32 v[0:1], v[26:27], v[58:59]
	s_nop 0
	v_min3_f32 v56, v0, v1, v139
	;; [unrolled: 3-line block ×48, first 2 shown]
	v_pk_add_f32 v[0:1], v[30:31], v[34:35]
	v_cndmask_b32_e64 v36, 0, v150, s[10:11]
	v_min3_f32 v39, v0, v1, v28
	v_pk_add_f32 v[0:1], v[26:27], v[34:35]
	s_or_b64 s[10:11], s[18:19], s[10:11]
	v_min3_f32 v114, v0, v1, v24
	v_pk_add_f32 v[0:1], v[22:23], v[34:35]
	s_xor_b64 s[12:13], s[10:11], -1
	v_min3_f32 v115, v0, v1, v20
	v_pk_add_f32 v[0:1], v[18:19], v[34:35]
	s_nop 0
	v_min3_f32 v116, v0, v1, v16
	v_pk_add_f32 v[0:1], v[14:15], v[34:35]
	s_nop 0
	;; [unrolled: 3-line block ×5, first 2 shown]
	v_min3_f32 v120, v0, v1, v5
	s_and_saveexec_b64 s[10:11], s[12:13]
	s_cbranch_execz .LBB69_33
; %bb.53:                               ;   in Loop: Header=BB69_34 Depth=1
	flat_load_dword v0, v[72:73] offset:768
	s_waitcnt vmcnt(0) lgkmcnt(0)
	v_mul_f32_e32 v36, s39, v0
	s_branch .LBB69_33
.LBB69_54:
	s_load_dwordx2 s[2:3], s[0:1], 0x78
	s_load_dword s29, s[0:1], 0x58
	s_load_dword s28, s[0:1], 0x70
	ds_read_b128 v[32:35], v77 offset:9216
	ds_read_b128 v[28:31], v77 offset:9344
	;; [unrolled: 1-line block ×16, first 2 shown]
	v_add_u32_e32 v124, s38, v75
	s_waitcnt lgkmcnt(0)
	s_mul_i32 s1, s16, s3
	s_mul_hi_u32 s3, s16, s2
	s_mul_i32 s0, s16, s2
	s_add_i32 s1, s3, s1
	s_lshl_b64 s[0:1], s[0:1], 2
	s_add_u32 s22, s14, s0
	s_addc_u32 s23, s15, s1
	v_mad_i64_i32 v[66:67], s[0:1], v124, s29, 0
	v_add_u32_e32 v64, s17, v74
	v_lshl_add_u64 v[82:83], v[66:67], 2, s[24:25]
	v_mad_i64_i32 v[66:67], s[0:1], v124, s28, 0
	v_cmp_gt_i32_e64 s[18:19], s21, v124
	v_lshl_add_u64 v[80:81], v[66:67], 2, s[22:23]
	v_cmp_gt_i32_e64 s[2:3], s20, v64
	v_cndmask_b32_e64 v66, 0, 1, s[26:27]
	s_and_b64 s[6:7], s[2:3], s[18:19]
	v_ashrrev_i32_e32 v65, 31, v64
	v_cmp_ne_u32_e64 s[0:1], 1, v66
	s_and_saveexec_b64 s[4:5], s[6:7]
	s_cbranch_execz .LBB69_59
; %bb.55:
	s_and_b64 vcc, exec, s[0:1]
	s_cbranch_vccnz .LBB69_57
; %bb.56:
	v_lshl_add_u64 v[66:67], v[64:65], 2, v[82:83]
	flat_load_dword v66, v[66:67]
	s_waitcnt vmcnt(0) lgkmcnt(0)
	v_mul_f32_e32 v66, s33, v66
	s_branch .LBB69_58
.LBB69_57:
	v_mov_b32_e32 v66, 0
.LBB69_58:
	v_pk_add_f32 v[68:69], v[32:33], v[60:61]
	s_nop 0
	v_min3_f32 v67, v68, v69, v148
	v_pk_add_f32 v[68:69], v[34:35], v[62:63]
	s_nop 0
	v_min_f32_e32 v68, v68, v69
	v_min3_f32 v68, v66, v68, v67
	v_lshl_add_u64 v[66:67], v[64:65], 2, v[80:81]
	global_store_dword v[66:67], v68, off
.LBB69_59:
	s_or_b64 exec, exec, s[4:5]
	v_add_u32_e32 v66, 8, v64
	v_cmp_gt_i32_e64 s[4:5], s20, v66
	s_and_b64 s[8:9], s[4:5], s[18:19]
	v_ashrrev_i32_e32 v67, 31, v66
	s_and_saveexec_b64 s[6:7], s[8:9]
	s_cbranch_execz .LBB69_64
; %bb.60:
	s_and_b64 vcc, exec, s[0:1]
	s_cbranch_vccnz .LBB69_62
; %bb.61:
	v_lshl_add_u64 v[68:69], v[66:67], 2, v[82:83]
	flat_load_dword v68, v[68:69]
	s_waitcnt vmcnt(0) lgkmcnt(0)
	v_mul_f32_e32 v68, s33, v68
	s_branch .LBB69_63
.LBB69_62:
	v_mov_b32_e32 v68, 0
.LBB69_63:
	v_pk_add_f32 v[70:71], v[28:29], v[60:61]
	s_nop 0
	v_min3_f32 v69, v70, v71, v147
	v_pk_add_f32 v[70:71], v[30:31], v[62:63]
	s_nop 0
	v_min_f32_e32 v70, v70, v71
	v_min3_f32 v70, v68, v70, v69
	v_lshl_add_u64 v[68:69], v[66:67], 2, v[80:81]
	global_store_dword v[68:69], v70, off
.LBB69_64:
	s_or_b64 exec, exec, s[6:7]
	v_add_u32_e32 v68, 16, v64
	v_cmp_gt_i32_e64 s[6:7], s20, v68
	s_and_b64 s[10:11], s[6:7], s[18:19]
	v_ashrrev_i32_e32 v69, 31, v68
	;; [unrolled: 29-line block ×7, first 2 shown]
	s_and_saveexec_b64 s[18:19], s[26:27]
	s_cbranch_execz .LBB69_94
; %bb.90:
	s_and_b64 vcc, exec, s[0:1]
	s_cbranch_vccnz .LBB69_92
; %bb.91:
	v_lshl_add_u64 v[82:83], v[78:79], 2, v[82:83]
	flat_load_dword v82, v[82:83]
	s_waitcnt vmcnt(0) lgkmcnt(0)
	v_mul_f32_e32 v82, s33, v82
	s_branch .LBB69_93
.LBB69_92:
	v_mov_b32_e32 v82, 0
.LBB69_93:
	v_pk_add_f32 v[60:61], v[0:1], v[60:61]
	s_nop 0
	v_min3_f32 v83, v60, v61, v141
	v_pk_add_f32 v[60:61], v[2:3], v[62:63]
	s_nop 0
	v_min_f32_e32 v60, v60, v61
	v_min3_f32 v62, v82, v60, v83
	v_lshl_add_u64 v[60:61], v[78:79], 2, v[80:81]
	global_store_dword v[60:61], v62, off
.LBB69_94:
	s_or_b64 exec, exec, s[18:19]
	v_add_u32_e32 v80, 32, v124
	v_mad_i64_i32 v[60:61], s[26:27], v80, s29, 0
	v_cmp_gt_i32_e64 s[18:19], s21, v80
	v_lshl_add_u64 v[62:63], v[60:61], 2, s[24:25]
	v_mad_i64_i32 v[60:61], s[26:27], v80, s28, 0
	v_lshl_add_u64 v[60:61], v[60:61], 2, s[22:23]
	s_and_b64 s[30:31], s[2:3], s[18:19]
	s_and_saveexec_b64 s[26:27], s[30:31]
	s_cbranch_execnz .LBB69_102
; %bb.95:
	s_or_b64 exec, exec, s[26:27]
	s_and_b64 s[30:31], s[4:5], s[18:19]
	s_and_saveexec_b64 s[26:27], s[30:31]
	s_cbranch_execnz .LBB69_106
.LBB69_96:
	s_or_b64 exec, exec, s[26:27]
	s_and_b64 s[30:31], s[6:7], s[18:19]
	s_and_saveexec_b64 s[26:27], s[30:31]
	s_cbranch_execnz .LBB69_110
.LBB69_97:
	s_or_b64 exec, exec, s[26:27]
	s_and_b64 s[30:31], s[8:9], s[18:19]
	s_and_saveexec_b64 s[26:27], s[30:31]
	s_cbranch_execnz .LBB69_114
.LBB69_98:
	s_or_b64 exec, exec, s[26:27]
	s_and_b64 s[30:31], s[10:11], s[18:19]
	s_and_saveexec_b64 s[26:27], s[30:31]
	s_cbranch_execnz .LBB69_118
.LBB69_99:
	s_or_b64 exec, exec, s[26:27]
	s_and_b64 s[30:31], s[12:13], s[18:19]
	s_and_saveexec_b64 s[26:27], s[30:31]
	s_cbranch_execnz .LBB69_122
.LBB69_100:
	s_or_b64 exec, exec, s[26:27]
	s_and_b64 s[30:31], s[14:15], s[18:19]
	s_and_saveexec_b64 s[26:27], s[30:31]
	s_cbranch_execnz .LBB69_126
.LBB69_101:
	s_or_b64 exec, exec, s[26:27]
	s_and_b64 s[26:27], s[16:17], s[18:19]
	s_and_saveexec_b64 s[18:19], s[26:27]
	s_cbranch_execnz .LBB69_130
	s_branch .LBB69_134
.LBB69_102:
	s_and_b64 vcc, exec, s[0:1]
	s_cbranch_vccnz .LBB69_104
; %bb.103:
	v_lshl_add_u64 v[80:81], v[64:65], 2, v[62:63]
	flat_load_dword v80, v[80:81]
	s_waitcnt vmcnt(0) lgkmcnt(0)
	v_mul_f32_e32 v80, s33, v80
	s_branch .LBB69_105
.LBB69_104:
	v_mov_b32_e32 v80, 0
.LBB69_105:
	v_pk_add_f32 v[82:83], v[32:33], v[56:57]
	s_nop 0
	v_min3_f32 v81, v82, v83, v140
	v_pk_add_f32 v[82:83], v[34:35], v[58:59]
	s_nop 0
	v_min_f32_e32 v82, v82, v83
	v_min3_f32 v82, v80, v82, v81
	v_lshl_add_u64 v[80:81], v[64:65], 2, v[60:61]
	global_store_dword v[80:81], v82, off
	s_or_b64 exec, exec, s[26:27]
	s_and_b64 s[30:31], s[4:5], s[18:19]
	s_and_saveexec_b64 s[26:27], s[30:31]
	s_cbranch_execz .LBB69_96
.LBB69_106:
	s_and_b64 vcc, exec, s[0:1]
	s_cbranch_vccnz .LBB69_108
; %bb.107:
	v_lshl_add_u64 v[80:81], v[66:67], 2, v[62:63]
	flat_load_dword v80, v[80:81]
	s_waitcnt vmcnt(0) lgkmcnt(0)
	v_mul_f32_e32 v80, s33, v80
	s_branch .LBB69_109
.LBB69_108:
	v_mov_b32_e32 v80, 0
.LBB69_109:
	v_pk_add_f32 v[82:83], v[28:29], v[56:57]
	s_nop 0
	v_min3_f32 v81, v82, v83, v139
	v_pk_add_f32 v[82:83], v[30:31], v[58:59]
	s_nop 0
	v_min_f32_e32 v82, v82, v83
	v_min3_f32 v82, v80, v82, v81
	v_lshl_add_u64 v[80:81], v[66:67], 2, v[60:61]
	global_store_dword v[80:81], v82, off
	s_or_b64 exec, exec, s[26:27]
	s_and_b64 s[30:31], s[6:7], s[18:19]
	s_and_saveexec_b64 s[26:27], s[30:31]
	s_cbranch_execz .LBB69_97
.LBB69_110:
	s_and_b64 vcc, exec, s[0:1]
	s_cbranch_vccnz .LBB69_112
; %bb.111:
	v_lshl_add_u64 v[80:81], v[68:69], 2, v[62:63]
	flat_load_dword v80, v[80:81]
	s_waitcnt vmcnt(0) lgkmcnt(0)
	v_mul_f32_e32 v80, s33, v80
	s_branch .LBB69_113
.LBB69_112:
	v_mov_b32_e32 v80, 0
.LBB69_113:
	v_pk_add_f32 v[82:83], v[24:25], v[56:57]
	s_nop 0
	v_min3_f32 v81, v82, v83, v138
	v_pk_add_f32 v[82:83], v[26:27], v[58:59]
	s_nop 0
	v_min_f32_e32 v82, v82, v83
	v_min3_f32 v82, v80, v82, v81
	v_lshl_add_u64 v[80:81], v[68:69], 2, v[60:61]
	global_store_dword v[80:81], v82, off
	s_or_b64 exec, exec, s[26:27]
	s_and_b64 s[30:31], s[8:9], s[18:19]
	s_and_saveexec_b64 s[26:27], s[30:31]
	s_cbranch_execz .LBB69_98
.LBB69_114:
	s_and_b64 vcc, exec, s[0:1]
	s_cbranch_vccnz .LBB69_116
; %bb.115:
	v_lshl_add_u64 v[80:81], v[70:71], 2, v[62:63]
	flat_load_dword v80, v[80:81]
	s_waitcnt vmcnt(0) lgkmcnt(0)
	v_mul_f32_e32 v80, s33, v80
	s_branch .LBB69_117
.LBB69_116:
	v_mov_b32_e32 v80, 0
.LBB69_117:
	v_pk_add_f32 v[82:83], v[20:21], v[56:57]
	s_nop 0
	v_min3_f32 v81, v82, v83, v137
	v_pk_add_f32 v[82:83], v[22:23], v[58:59]
	s_nop 0
	v_min_f32_e32 v82, v82, v83
	v_min3_f32 v82, v80, v82, v81
	v_lshl_add_u64 v[80:81], v[70:71], 2, v[60:61]
	global_store_dword v[80:81], v82, off
	s_or_b64 exec, exec, s[26:27]
	s_and_b64 s[30:31], s[10:11], s[18:19]
	s_and_saveexec_b64 s[26:27], s[30:31]
	s_cbranch_execz .LBB69_99
.LBB69_118:
	s_and_b64 vcc, exec, s[0:1]
	s_cbranch_vccnz .LBB69_120
; %bb.119:
	v_lshl_add_u64 v[80:81], v[72:73], 2, v[62:63]
	flat_load_dword v80, v[80:81]
	s_waitcnt vmcnt(0) lgkmcnt(0)
	v_mul_f32_e32 v80, s33, v80
	s_branch .LBB69_121
.LBB69_120:
	v_mov_b32_e32 v80, 0
.LBB69_121:
	v_pk_add_f32 v[82:83], v[16:17], v[56:57]
	s_nop 0
	v_min3_f32 v81, v82, v83, v136
	v_pk_add_f32 v[82:83], v[18:19], v[58:59]
	s_nop 0
	v_min_f32_e32 v82, v82, v83
	v_min3_f32 v82, v80, v82, v81
	v_lshl_add_u64 v[80:81], v[72:73], 2, v[60:61]
	global_store_dword v[80:81], v82, off
	s_or_b64 exec, exec, s[26:27]
	s_and_b64 s[30:31], s[12:13], s[18:19]
	s_and_saveexec_b64 s[26:27], s[30:31]
	s_cbranch_execz .LBB69_100
.LBB69_122:
	s_and_b64 vcc, exec, s[0:1]
	s_cbranch_vccnz .LBB69_124
; %bb.123:
	v_lshl_add_u64 v[80:81], v[74:75], 2, v[62:63]
	flat_load_dword v80, v[80:81]
	s_waitcnt vmcnt(0) lgkmcnt(0)
	v_mul_f32_e32 v80, s33, v80
	s_branch .LBB69_125
.LBB69_124:
	v_mov_b32_e32 v80, 0
.LBB69_125:
	v_pk_add_f32 v[82:83], v[12:13], v[56:57]
	s_nop 0
	v_min3_f32 v81, v82, v83, v134
	v_pk_add_f32 v[82:83], v[14:15], v[58:59]
	s_nop 0
	v_min_f32_e32 v82, v82, v83
	v_min3_f32 v82, v80, v82, v81
	v_lshl_add_u64 v[80:81], v[74:75], 2, v[60:61]
	global_store_dword v[80:81], v82, off
	s_or_b64 exec, exec, s[26:27]
	s_and_b64 s[30:31], s[14:15], s[18:19]
	s_and_saveexec_b64 s[26:27], s[30:31]
	s_cbranch_execz .LBB69_101
.LBB69_126:
	s_and_b64 vcc, exec, s[0:1]
	s_cbranch_vccnz .LBB69_128
; %bb.127:
	v_lshl_add_u64 v[80:81], v[76:77], 2, v[62:63]
	flat_load_dword v80, v[80:81]
	s_waitcnt vmcnt(0) lgkmcnt(0)
	v_mul_f32_e32 v80, s33, v80
	s_branch .LBB69_129
.LBB69_128:
	v_mov_b32_e32 v80, 0
.LBB69_129:
	v_pk_add_f32 v[82:83], v[8:9], v[56:57]
	s_nop 0
	v_min3_f32 v81, v82, v83, v132
	v_pk_add_f32 v[82:83], v[10:11], v[58:59]
	s_nop 0
	v_min_f32_e32 v82, v82, v83
	v_min3_f32 v82, v80, v82, v81
	v_lshl_add_u64 v[80:81], v[76:77], 2, v[60:61]
	global_store_dword v[80:81], v82, off
	s_or_b64 exec, exec, s[26:27]
	s_and_b64 s[26:27], s[16:17], s[18:19]
	s_and_saveexec_b64 s[18:19], s[26:27]
	s_cbranch_execz .LBB69_134
.LBB69_130:
	s_and_b64 vcc, exec, s[0:1]
	s_cbranch_vccnz .LBB69_132
; %bb.131:
	v_lshl_add_u64 v[62:63], v[78:79], 2, v[62:63]
	flat_load_dword v62, v[62:63]
	s_waitcnt vmcnt(0) lgkmcnt(0)
	v_mul_f32_e32 v62, s33, v62
	s_branch .LBB69_133
.LBB69_132:
	v_mov_b32_e32 v62, 0
.LBB69_133:
	v_pk_add_f32 v[56:57], v[0:1], v[56:57]
	s_nop 0
	v_min3_f32 v63, v56, v57, v135
	v_pk_add_f32 v[56:57], v[2:3], v[58:59]
	s_nop 0
	v_min_f32_e32 v56, v56, v57
	v_min3_f32 v58, v62, v56, v63
	v_lshl_add_u64 v[56:57], v[78:79], 2, v[60:61]
	global_store_dword v[56:57], v58, off
.LBB69_134:
	s_or_b64 exec, exec, s[18:19]
	v_add_u32_e32 v60, 64, v124
	v_mad_i64_i32 v[56:57], s[26:27], v60, s29, 0
	v_cmp_gt_i32_e64 s[18:19], s21, v60
	v_lshl_add_u64 v[58:59], v[56:57], 2, s[24:25]
	v_mad_i64_i32 v[56:57], s[26:27], v60, s28, 0
	v_lshl_add_u64 v[56:57], v[56:57], 2, s[22:23]
	s_and_b64 s[30:31], s[2:3], s[18:19]
	s_and_saveexec_b64 s[26:27], s[30:31]
	s_cbranch_execnz .LBB69_142
; %bb.135:
	s_or_b64 exec, exec, s[26:27]
	s_and_b64 s[30:31], s[4:5], s[18:19]
	s_and_saveexec_b64 s[26:27], s[30:31]
	s_cbranch_execnz .LBB69_146
.LBB69_136:
	s_or_b64 exec, exec, s[26:27]
	s_and_b64 s[30:31], s[6:7], s[18:19]
	s_and_saveexec_b64 s[26:27], s[30:31]
	s_cbranch_execnz .LBB69_150
.LBB69_137:
	s_or_b64 exec, exec, s[26:27]
	s_and_b64 s[30:31], s[8:9], s[18:19]
	s_and_saveexec_b64 s[26:27], s[30:31]
	s_cbranch_execnz .LBB69_154
.LBB69_138:
	s_or_b64 exec, exec, s[26:27]
	s_and_b64 s[30:31], s[10:11], s[18:19]
	s_and_saveexec_b64 s[26:27], s[30:31]
	s_cbranch_execnz .LBB69_158
.LBB69_139:
	s_or_b64 exec, exec, s[26:27]
	s_and_b64 s[30:31], s[12:13], s[18:19]
	s_and_saveexec_b64 s[26:27], s[30:31]
	s_cbranch_execnz .LBB69_162
.LBB69_140:
	s_or_b64 exec, exec, s[26:27]
	s_and_b64 s[30:31], s[14:15], s[18:19]
	s_and_saveexec_b64 s[26:27], s[30:31]
	s_cbranch_execnz .LBB69_166
.LBB69_141:
	s_or_b64 exec, exec, s[26:27]
	s_and_b64 s[26:27], s[16:17], s[18:19]
	s_and_saveexec_b64 s[18:19], s[26:27]
	s_cbranch_execnz .LBB69_170
	s_branch .LBB69_174
.LBB69_142:
	s_and_b64 vcc, exec, s[0:1]
	s_cbranch_vccnz .LBB69_144
; %bb.143:
	v_lshl_add_u64 v[60:61], v[64:65], 2, v[58:59]
	flat_load_dword v60, v[60:61]
	s_waitcnt vmcnt(0) lgkmcnt(0)
	v_mul_f32_e32 v60, s33, v60
	s_branch .LBB69_145
.LBB69_144:
	v_mov_b32_e32 v60, 0
.LBB69_145:
	v_pk_add_f32 v[62:63], v[32:33], v[52:53]
	s_nop 0
	v_min3_f32 v61, v62, v63, v133
	v_pk_add_f32 v[62:63], v[34:35], v[54:55]
	s_nop 0
	v_min_f32_e32 v62, v62, v63
	v_min3_f32 v62, v60, v62, v61
	v_lshl_add_u64 v[60:61], v[64:65], 2, v[56:57]
	global_store_dword v[60:61], v62, off
	s_or_b64 exec, exec, s[26:27]
	s_and_b64 s[30:31], s[4:5], s[18:19]
	s_and_saveexec_b64 s[26:27], s[30:31]
	s_cbranch_execz .LBB69_136
.LBB69_146:
	s_and_b64 vcc, exec, s[0:1]
	s_cbranch_vccnz .LBB69_148
; %bb.147:
	v_lshl_add_u64 v[60:61], v[66:67], 2, v[58:59]
	flat_load_dword v60, v[60:61]
	s_waitcnt vmcnt(0) lgkmcnt(0)
	v_mul_f32_e32 v60, s33, v60
	s_branch .LBB69_149
.LBB69_148:
	v_mov_b32_e32 v60, 0
.LBB69_149:
	v_pk_add_f32 v[62:63], v[28:29], v[52:53]
	s_nop 0
	v_min3_f32 v61, v62, v63, v131
	v_pk_add_f32 v[62:63], v[30:31], v[54:55]
	s_nop 0
	v_min_f32_e32 v62, v62, v63
	v_min3_f32 v62, v60, v62, v61
	v_lshl_add_u64 v[60:61], v[66:67], 2, v[56:57]
	global_store_dword v[60:61], v62, off
	s_or_b64 exec, exec, s[26:27]
	s_and_b64 s[30:31], s[6:7], s[18:19]
	s_and_saveexec_b64 s[26:27], s[30:31]
	s_cbranch_execz .LBB69_137
.LBB69_150:
	s_and_b64 vcc, exec, s[0:1]
	s_cbranch_vccnz .LBB69_152
; %bb.151:
	v_lshl_add_u64 v[60:61], v[68:69], 2, v[58:59]
	flat_load_dword v60, v[60:61]
	s_waitcnt vmcnt(0) lgkmcnt(0)
	v_mul_f32_e32 v60, s33, v60
	s_branch .LBB69_153
.LBB69_152:
	v_mov_b32_e32 v60, 0
.LBB69_153:
	v_pk_add_f32 v[62:63], v[24:25], v[52:53]
	s_nop 0
	v_min3_f32 v61, v62, v63, v130
	v_pk_add_f32 v[62:63], v[26:27], v[54:55]
	s_nop 0
	v_min_f32_e32 v62, v62, v63
	v_min3_f32 v62, v60, v62, v61
	v_lshl_add_u64 v[60:61], v[68:69], 2, v[56:57]
	global_store_dword v[60:61], v62, off
	s_or_b64 exec, exec, s[26:27]
	s_and_b64 s[30:31], s[8:9], s[18:19]
	s_and_saveexec_b64 s[26:27], s[30:31]
	s_cbranch_execz .LBB69_138
.LBB69_154:
	s_and_b64 vcc, exec, s[0:1]
	s_cbranch_vccnz .LBB69_156
; %bb.155:
	v_lshl_add_u64 v[60:61], v[70:71], 2, v[58:59]
	flat_load_dword v60, v[60:61]
	s_waitcnt vmcnt(0) lgkmcnt(0)
	v_mul_f32_e32 v60, s33, v60
	s_branch .LBB69_157
.LBB69_156:
	v_mov_b32_e32 v60, 0
.LBB69_157:
	v_pk_add_f32 v[62:63], v[20:21], v[52:53]
	s_nop 0
	v_min3_f32 v61, v62, v63, v129
	v_pk_add_f32 v[62:63], v[22:23], v[54:55]
	s_nop 0
	v_min_f32_e32 v62, v62, v63
	v_min3_f32 v62, v60, v62, v61
	v_lshl_add_u64 v[60:61], v[70:71], 2, v[56:57]
	global_store_dword v[60:61], v62, off
	s_or_b64 exec, exec, s[26:27]
	s_and_b64 s[30:31], s[10:11], s[18:19]
	s_and_saveexec_b64 s[26:27], s[30:31]
	s_cbranch_execz .LBB69_139
.LBB69_158:
	s_and_b64 vcc, exec, s[0:1]
	s_cbranch_vccnz .LBB69_160
; %bb.159:
	v_lshl_add_u64 v[60:61], v[72:73], 2, v[58:59]
	flat_load_dword v60, v[60:61]
	s_waitcnt vmcnt(0) lgkmcnt(0)
	v_mul_f32_e32 v60, s33, v60
	s_branch .LBB69_161
.LBB69_160:
	v_mov_b32_e32 v60, 0
.LBB69_161:
	v_pk_add_f32 v[62:63], v[16:17], v[52:53]
	s_nop 0
	v_min3_f32 v61, v62, v63, v128
	v_pk_add_f32 v[62:63], v[18:19], v[54:55]
	s_nop 0
	v_min_f32_e32 v62, v62, v63
	v_min3_f32 v62, v60, v62, v61
	v_lshl_add_u64 v[60:61], v[72:73], 2, v[56:57]
	global_store_dword v[60:61], v62, off
	s_or_b64 exec, exec, s[26:27]
	s_and_b64 s[30:31], s[12:13], s[18:19]
	s_and_saveexec_b64 s[26:27], s[30:31]
	s_cbranch_execz .LBB69_140
.LBB69_162:
	s_and_b64 vcc, exec, s[0:1]
	s_cbranch_vccnz .LBB69_164
; %bb.163:
	v_lshl_add_u64 v[60:61], v[74:75], 2, v[58:59]
	flat_load_dword v60, v[60:61]
	s_waitcnt vmcnt(0) lgkmcnt(0)
	v_mul_f32_e32 v60, s33, v60
	s_branch .LBB69_165
.LBB69_164:
	v_mov_b32_e32 v60, 0
.LBB69_165:
	v_pk_add_f32 v[62:63], v[12:13], v[52:53]
	s_nop 0
	v_min3_f32 v61, v62, v63, v127
	v_pk_add_f32 v[62:63], v[14:15], v[54:55]
	s_nop 0
	v_min_f32_e32 v62, v62, v63
	v_min3_f32 v62, v60, v62, v61
	v_lshl_add_u64 v[60:61], v[74:75], 2, v[56:57]
	global_store_dword v[60:61], v62, off
	s_or_b64 exec, exec, s[26:27]
	s_and_b64 s[30:31], s[14:15], s[18:19]
	s_and_saveexec_b64 s[26:27], s[30:31]
	s_cbranch_execz .LBB69_141
.LBB69_166:
	s_and_b64 vcc, exec, s[0:1]
	s_cbranch_vccnz .LBB69_168
; %bb.167:
	v_lshl_add_u64 v[60:61], v[76:77], 2, v[58:59]
	flat_load_dword v60, v[60:61]
	s_waitcnt vmcnt(0) lgkmcnt(0)
	v_mul_f32_e32 v60, s33, v60
	s_branch .LBB69_169
.LBB69_168:
	v_mov_b32_e32 v60, 0
.LBB69_169:
	v_pk_add_f32 v[62:63], v[8:9], v[52:53]
	s_nop 0
	v_min3_f32 v61, v62, v63, v126
	v_pk_add_f32 v[62:63], v[10:11], v[54:55]
	s_nop 0
	v_min_f32_e32 v62, v62, v63
	v_min3_f32 v62, v60, v62, v61
	v_lshl_add_u64 v[60:61], v[76:77], 2, v[56:57]
	global_store_dword v[60:61], v62, off
	s_or_b64 exec, exec, s[26:27]
	s_and_b64 s[26:27], s[16:17], s[18:19]
	s_and_saveexec_b64 s[18:19], s[26:27]
	s_cbranch_execz .LBB69_174
.LBB69_170:
	s_and_b64 vcc, exec, s[0:1]
	s_cbranch_vccnz .LBB69_172
; %bb.171:
	v_lshl_add_u64 v[58:59], v[78:79], 2, v[58:59]
	flat_load_dword v58, v[58:59]
	s_waitcnt vmcnt(0) lgkmcnt(0)
	v_mul_f32_e32 v58, s33, v58
	s_branch .LBB69_173
.LBB69_172:
	v_mov_b32_e32 v58, 0
.LBB69_173:
	v_pk_add_f32 v[52:53], v[0:1], v[52:53]
	s_nop 0
	v_min3_f32 v59, v52, v53, v125
	v_pk_add_f32 v[52:53], v[2:3], v[54:55]
	s_nop 0
	v_min_f32_e32 v52, v52, v53
	v_min3_f32 v54, v58, v52, v59
	v_lshl_add_u64 v[52:53], v[78:79], 2, v[56:57]
	global_store_dword v[52:53], v54, off
.LBB69_174:
	s_or_b64 exec, exec, s[18:19]
	v_add_u32_e32 v56, 0x60, v124
	v_mad_i64_i32 v[52:53], s[26:27], v56, s29, 0
	v_cmp_gt_i32_e64 s[18:19], s21, v56
	v_lshl_add_u64 v[54:55], v[52:53], 2, s[24:25]
	v_mad_i64_i32 v[52:53], s[26:27], v56, s28, 0
	v_lshl_add_u64 v[52:53], v[52:53], 2, s[22:23]
	s_and_b64 s[30:31], s[2:3], s[18:19]
	s_and_saveexec_b64 s[26:27], s[30:31]
	s_cbranch_execnz .LBB69_182
; %bb.175:
	s_or_b64 exec, exec, s[26:27]
	s_and_b64 s[30:31], s[4:5], s[18:19]
	s_and_saveexec_b64 s[26:27], s[30:31]
	s_cbranch_execnz .LBB69_186
.LBB69_176:
	s_or_b64 exec, exec, s[26:27]
	s_and_b64 s[30:31], s[6:7], s[18:19]
	s_and_saveexec_b64 s[26:27], s[30:31]
	s_cbranch_execnz .LBB69_190
.LBB69_177:
	s_or_b64 exec, exec, s[26:27]
	s_and_b64 s[30:31], s[8:9], s[18:19]
	s_and_saveexec_b64 s[26:27], s[30:31]
	s_cbranch_execnz .LBB69_194
.LBB69_178:
	s_or_b64 exec, exec, s[26:27]
	s_and_b64 s[30:31], s[10:11], s[18:19]
	s_and_saveexec_b64 s[26:27], s[30:31]
	s_cbranch_execnz .LBB69_198
.LBB69_179:
	s_or_b64 exec, exec, s[26:27]
	s_and_b64 s[30:31], s[12:13], s[18:19]
	s_and_saveexec_b64 s[26:27], s[30:31]
	s_cbranch_execnz .LBB69_202
.LBB69_180:
	s_or_b64 exec, exec, s[26:27]
	s_and_b64 s[30:31], s[14:15], s[18:19]
	s_and_saveexec_b64 s[26:27], s[30:31]
	s_cbranch_execnz .LBB69_206
.LBB69_181:
	s_or_b64 exec, exec, s[26:27]
	s_and_b64 s[26:27], s[16:17], s[18:19]
	s_and_saveexec_b64 s[18:19], s[26:27]
	s_cbranch_execnz .LBB69_210
	s_branch .LBB69_214
.LBB69_182:
	s_and_b64 vcc, exec, s[0:1]
	s_cbranch_vccnz .LBB69_184
; %bb.183:
	v_lshl_add_u64 v[56:57], v[64:65], 2, v[54:55]
	flat_load_dword v56, v[56:57]
	s_waitcnt vmcnt(0) lgkmcnt(0)
	v_mul_f32_e32 v56, s33, v56
	s_branch .LBB69_185
.LBB69_184:
	v_mov_b32_e32 v56, 0
.LBB69_185:
	v_pk_add_f32 v[58:59], v[32:33], v[48:49]
	s_nop 0
	v_min3_f32 v57, v58, v59, v123
	v_pk_add_f32 v[58:59], v[34:35], v[50:51]
	s_nop 0
	v_min_f32_e32 v58, v58, v59
	v_min3_f32 v58, v56, v58, v57
	v_lshl_add_u64 v[56:57], v[64:65], 2, v[52:53]
	global_store_dword v[56:57], v58, off
	s_or_b64 exec, exec, s[26:27]
	s_and_b64 s[30:31], s[4:5], s[18:19]
	s_and_saveexec_b64 s[26:27], s[30:31]
	s_cbranch_execz .LBB69_176
.LBB69_186:
	s_and_b64 vcc, exec, s[0:1]
	s_cbranch_vccnz .LBB69_188
; %bb.187:
	v_lshl_add_u64 v[56:57], v[66:67], 2, v[54:55]
	flat_load_dword v56, v[56:57]
	s_waitcnt vmcnt(0) lgkmcnt(0)
	v_mul_f32_e32 v56, s33, v56
	s_branch .LBB69_189
.LBB69_188:
	v_mov_b32_e32 v56, 0
.LBB69_189:
	v_pk_add_f32 v[58:59], v[28:29], v[48:49]
	s_nop 0
	v_min3_f32 v57, v58, v59, v122
	v_pk_add_f32 v[58:59], v[30:31], v[50:51]
	s_nop 0
	v_min_f32_e32 v58, v58, v59
	v_min3_f32 v58, v56, v58, v57
	v_lshl_add_u64 v[56:57], v[66:67], 2, v[52:53]
	global_store_dword v[56:57], v58, off
	s_or_b64 exec, exec, s[26:27]
	s_and_b64 s[30:31], s[6:7], s[18:19]
	s_and_saveexec_b64 s[26:27], s[30:31]
	s_cbranch_execz .LBB69_177
.LBB69_190:
	s_and_b64 vcc, exec, s[0:1]
	s_cbranch_vccnz .LBB69_192
; %bb.191:
	v_lshl_add_u64 v[56:57], v[68:69], 2, v[54:55]
	flat_load_dword v56, v[56:57]
	s_waitcnt vmcnt(0) lgkmcnt(0)
	v_mul_f32_e32 v56, s33, v56
	s_branch .LBB69_193
.LBB69_192:
	v_mov_b32_e32 v56, 0
.LBB69_193:
	v_pk_add_f32 v[58:59], v[24:25], v[48:49]
	s_nop 0
	v_min3_f32 v57, v58, v59, v121
	v_pk_add_f32 v[58:59], v[26:27], v[50:51]
	s_nop 0
	v_min_f32_e32 v58, v58, v59
	v_min3_f32 v58, v56, v58, v57
	v_lshl_add_u64 v[56:57], v[68:69], 2, v[52:53]
	global_store_dword v[56:57], v58, off
	s_or_b64 exec, exec, s[26:27]
	s_and_b64 s[30:31], s[8:9], s[18:19]
	s_and_saveexec_b64 s[26:27], s[30:31]
	s_cbranch_execz .LBB69_178
.LBB69_194:
	s_and_b64 vcc, exec, s[0:1]
	s_cbranch_vccnz .LBB69_196
; %bb.195:
	v_lshl_add_u64 v[56:57], v[70:71], 2, v[54:55]
	flat_load_dword v56, v[56:57]
	s_waitcnt vmcnt(0) lgkmcnt(0)
	v_mul_f32_e32 v56, s33, v56
	s_branch .LBB69_197
.LBB69_196:
	v_mov_b32_e32 v56, 0
.LBB69_197:
	v_pk_add_f32 v[58:59], v[20:21], v[48:49]
	s_nop 0
	v_min3_f32 v57, v58, v59, v120
	v_pk_add_f32 v[58:59], v[22:23], v[50:51]
	s_nop 0
	v_min_f32_e32 v58, v58, v59
	v_min3_f32 v58, v56, v58, v57
	v_lshl_add_u64 v[56:57], v[70:71], 2, v[52:53]
	global_store_dword v[56:57], v58, off
	s_or_b64 exec, exec, s[26:27]
	s_and_b64 s[30:31], s[10:11], s[18:19]
	s_and_saveexec_b64 s[26:27], s[30:31]
	s_cbranch_execz .LBB69_179
.LBB69_198:
	s_and_b64 vcc, exec, s[0:1]
	s_cbranch_vccnz .LBB69_200
; %bb.199:
	v_lshl_add_u64 v[56:57], v[72:73], 2, v[54:55]
	flat_load_dword v56, v[56:57]
	s_waitcnt vmcnt(0) lgkmcnt(0)
	v_mul_f32_e32 v56, s33, v56
	s_branch .LBB69_201
.LBB69_200:
	v_mov_b32_e32 v56, 0
.LBB69_201:
	v_pk_add_f32 v[58:59], v[16:17], v[48:49]
	s_nop 0
	v_min3_f32 v57, v58, v59, v119
	v_pk_add_f32 v[58:59], v[18:19], v[50:51]
	s_nop 0
	v_min_f32_e32 v58, v58, v59
	v_min3_f32 v58, v56, v58, v57
	v_lshl_add_u64 v[56:57], v[72:73], 2, v[52:53]
	global_store_dword v[56:57], v58, off
	s_or_b64 exec, exec, s[26:27]
	s_and_b64 s[30:31], s[12:13], s[18:19]
	s_and_saveexec_b64 s[26:27], s[30:31]
	s_cbranch_execz .LBB69_180
.LBB69_202:
	s_and_b64 vcc, exec, s[0:1]
	s_cbranch_vccnz .LBB69_204
; %bb.203:
	v_lshl_add_u64 v[56:57], v[74:75], 2, v[54:55]
	flat_load_dword v56, v[56:57]
	s_waitcnt vmcnt(0) lgkmcnt(0)
	v_mul_f32_e32 v56, s33, v56
	s_branch .LBB69_205
.LBB69_204:
	v_mov_b32_e32 v56, 0
.LBB69_205:
	v_pk_add_f32 v[58:59], v[12:13], v[48:49]
	s_nop 0
	v_min3_f32 v57, v58, v59, v118
	v_pk_add_f32 v[58:59], v[14:15], v[50:51]
	s_nop 0
	v_min_f32_e32 v58, v58, v59
	v_min3_f32 v58, v56, v58, v57
	v_lshl_add_u64 v[56:57], v[74:75], 2, v[52:53]
	global_store_dword v[56:57], v58, off
	s_or_b64 exec, exec, s[26:27]
	s_and_b64 s[30:31], s[14:15], s[18:19]
	s_and_saveexec_b64 s[26:27], s[30:31]
	s_cbranch_execz .LBB69_181
.LBB69_206:
	s_and_b64 vcc, exec, s[0:1]
	s_cbranch_vccnz .LBB69_208
; %bb.207:
	v_lshl_add_u64 v[56:57], v[76:77], 2, v[54:55]
	flat_load_dword v56, v[56:57]
	s_waitcnt vmcnt(0) lgkmcnt(0)
	v_mul_f32_e32 v56, s33, v56
	s_branch .LBB69_209
.LBB69_208:
	v_mov_b32_e32 v56, 0
.LBB69_209:
	v_pk_add_f32 v[58:59], v[8:9], v[48:49]
	s_nop 0
	v_min3_f32 v57, v58, v59, v117
	v_pk_add_f32 v[58:59], v[10:11], v[50:51]
	s_nop 0
	v_min_f32_e32 v58, v58, v59
	v_min3_f32 v58, v56, v58, v57
	v_lshl_add_u64 v[56:57], v[76:77], 2, v[52:53]
	global_store_dword v[56:57], v58, off
	s_or_b64 exec, exec, s[26:27]
	s_and_b64 s[26:27], s[16:17], s[18:19]
	s_and_saveexec_b64 s[18:19], s[26:27]
	s_cbranch_execz .LBB69_214
.LBB69_210:
	s_and_b64 vcc, exec, s[0:1]
	s_cbranch_vccnz .LBB69_212
; %bb.211:
	v_lshl_add_u64 v[54:55], v[78:79], 2, v[54:55]
	flat_load_dword v54, v[54:55]
	s_waitcnt vmcnt(0) lgkmcnt(0)
	v_mul_f32_e32 v54, s33, v54
	s_branch .LBB69_213
.LBB69_212:
	v_mov_b32_e32 v54, 0
.LBB69_213:
	v_pk_add_f32 v[48:49], v[0:1], v[48:49]
	s_nop 0
	v_min3_f32 v55, v48, v49, v116
	v_pk_add_f32 v[48:49], v[2:3], v[50:51]
	s_nop 0
	v_min_f32_e32 v48, v48, v49
	v_min3_f32 v50, v54, v48, v55
	v_lshl_add_u64 v[48:49], v[78:79], 2, v[52:53]
	global_store_dword v[48:49], v50, off
.LBB69_214:
	s_or_b64 exec, exec, s[18:19]
	v_add_u32_e32 v52, 0x80, v124
	v_mad_i64_i32 v[48:49], s[26:27], v52, s29, 0
	v_cmp_gt_i32_e64 s[18:19], s21, v52
	v_lshl_add_u64 v[50:51], v[48:49], 2, s[24:25]
	v_mad_i64_i32 v[48:49], s[26:27], v52, s28, 0
	v_lshl_add_u64 v[48:49], v[48:49], 2, s[22:23]
	s_and_b64 s[30:31], s[2:3], s[18:19]
	s_and_saveexec_b64 s[26:27], s[30:31]
	s_cbranch_execnz .LBB69_222
; %bb.215:
	s_or_b64 exec, exec, s[26:27]
	s_and_b64 s[30:31], s[4:5], s[18:19]
	s_and_saveexec_b64 s[26:27], s[30:31]
	s_cbranch_execnz .LBB69_226
.LBB69_216:
	s_or_b64 exec, exec, s[26:27]
	s_and_b64 s[30:31], s[6:7], s[18:19]
	s_and_saveexec_b64 s[26:27], s[30:31]
	s_cbranch_execnz .LBB69_230
.LBB69_217:
	s_or_b64 exec, exec, s[26:27]
	s_and_b64 s[30:31], s[8:9], s[18:19]
	s_and_saveexec_b64 s[26:27], s[30:31]
	s_cbranch_execnz .LBB69_234
.LBB69_218:
	s_or_b64 exec, exec, s[26:27]
	s_and_b64 s[30:31], s[10:11], s[18:19]
	s_and_saveexec_b64 s[26:27], s[30:31]
	s_cbranch_execnz .LBB69_238
.LBB69_219:
	s_or_b64 exec, exec, s[26:27]
	s_and_b64 s[30:31], s[12:13], s[18:19]
	s_and_saveexec_b64 s[26:27], s[30:31]
	s_cbranch_execnz .LBB69_242
.LBB69_220:
	s_or_b64 exec, exec, s[26:27]
	s_and_b64 s[30:31], s[14:15], s[18:19]
	s_and_saveexec_b64 s[26:27], s[30:31]
	s_cbranch_execnz .LBB69_246
.LBB69_221:
	s_or_b64 exec, exec, s[26:27]
	s_and_b64 s[26:27], s[16:17], s[18:19]
	s_and_saveexec_b64 s[18:19], s[26:27]
	s_cbranch_execnz .LBB69_250
	s_branch .LBB69_254
.LBB69_222:
	s_and_b64 vcc, exec, s[0:1]
	s_cbranch_vccnz .LBB69_224
; %bb.223:
	v_lshl_add_u64 v[52:53], v[64:65], 2, v[50:51]
	flat_load_dword v52, v[52:53]
	s_waitcnt vmcnt(0) lgkmcnt(0)
	v_mul_f32_e32 v52, s33, v52
	s_branch .LBB69_225
.LBB69_224:
	v_mov_b32_e32 v52, 0
.LBB69_225:
	v_pk_add_f32 v[54:55], v[32:33], v[44:45]
	s_nop 0
	v_min3_f32 v53, v54, v55, v115
	v_pk_add_f32 v[54:55], v[34:35], v[46:47]
	s_nop 0
	v_min_f32_e32 v54, v54, v55
	v_min3_f32 v54, v52, v54, v53
	v_lshl_add_u64 v[52:53], v[64:65], 2, v[48:49]
	global_store_dword v[52:53], v54, off
	s_or_b64 exec, exec, s[26:27]
	s_and_b64 s[30:31], s[4:5], s[18:19]
	s_and_saveexec_b64 s[26:27], s[30:31]
	s_cbranch_execz .LBB69_216
.LBB69_226:
	s_and_b64 vcc, exec, s[0:1]
	s_cbranch_vccnz .LBB69_228
; %bb.227:
	v_lshl_add_u64 v[52:53], v[66:67], 2, v[50:51]
	flat_load_dword v52, v[52:53]
	s_waitcnt vmcnt(0) lgkmcnt(0)
	v_mul_f32_e32 v52, s33, v52
	s_branch .LBB69_229
.LBB69_228:
	v_mov_b32_e32 v52, 0
.LBB69_229:
	v_pk_add_f32 v[54:55], v[28:29], v[44:45]
	s_nop 0
	v_min3_f32 v53, v54, v55, v114
	v_pk_add_f32 v[54:55], v[30:31], v[46:47]
	s_nop 0
	v_min_f32_e32 v54, v54, v55
	v_min3_f32 v54, v52, v54, v53
	v_lshl_add_u64 v[52:53], v[66:67], 2, v[48:49]
	global_store_dword v[52:53], v54, off
	s_or_b64 exec, exec, s[26:27]
	s_and_b64 s[30:31], s[6:7], s[18:19]
	s_and_saveexec_b64 s[26:27], s[30:31]
	s_cbranch_execz .LBB69_217
.LBB69_230:
	s_and_b64 vcc, exec, s[0:1]
	s_cbranch_vccnz .LBB69_232
; %bb.231:
	v_lshl_add_u64 v[52:53], v[68:69], 2, v[50:51]
	flat_load_dword v52, v[52:53]
	s_waitcnt vmcnt(0) lgkmcnt(0)
	v_mul_f32_e32 v52, s33, v52
	s_branch .LBB69_233
.LBB69_232:
	v_mov_b32_e32 v52, 0
.LBB69_233:
	v_pk_add_f32 v[54:55], v[24:25], v[44:45]
	s_nop 0
	v_min3_f32 v53, v54, v55, v113
	v_pk_add_f32 v[54:55], v[26:27], v[46:47]
	s_nop 0
	v_min_f32_e32 v54, v54, v55
	v_min3_f32 v54, v52, v54, v53
	v_lshl_add_u64 v[52:53], v[68:69], 2, v[48:49]
	global_store_dword v[52:53], v54, off
	s_or_b64 exec, exec, s[26:27]
	s_and_b64 s[30:31], s[8:9], s[18:19]
	s_and_saveexec_b64 s[26:27], s[30:31]
	s_cbranch_execz .LBB69_218
.LBB69_234:
	s_and_b64 vcc, exec, s[0:1]
	s_cbranch_vccnz .LBB69_236
; %bb.235:
	v_lshl_add_u64 v[52:53], v[70:71], 2, v[50:51]
	flat_load_dword v52, v[52:53]
	s_waitcnt vmcnt(0) lgkmcnt(0)
	v_mul_f32_e32 v52, s33, v52
	s_branch .LBB69_237
.LBB69_236:
	v_mov_b32_e32 v52, 0
.LBB69_237:
	v_pk_add_f32 v[54:55], v[20:21], v[44:45]
	s_nop 0
	v_min3_f32 v53, v54, v55, v112
	v_pk_add_f32 v[54:55], v[22:23], v[46:47]
	s_nop 0
	v_min_f32_e32 v54, v54, v55
	v_min3_f32 v54, v52, v54, v53
	v_lshl_add_u64 v[52:53], v[70:71], 2, v[48:49]
	global_store_dword v[52:53], v54, off
	s_or_b64 exec, exec, s[26:27]
	s_and_b64 s[30:31], s[10:11], s[18:19]
	s_and_saveexec_b64 s[26:27], s[30:31]
	s_cbranch_execz .LBB69_219
.LBB69_238:
	s_and_b64 vcc, exec, s[0:1]
	s_cbranch_vccnz .LBB69_240
; %bb.239:
	v_lshl_add_u64 v[52:53], v[72:73], 2, v[50:51]
	flat_load_dword v52, v[52:53]
	s_waitcnt vmcnt(0) lgkmcnt(0)
	v_mul_f32_e32 v52, s33, v52
	s_branch .LBB69_241
.LBB69_240:
	v_mov_b32_e32 v52, 0
.LBB69_241:
	v_pk_add_f32 v[54:55], v[16:17], v[44:45]
	s_nop 0
	v_min3_f32 v53, v54, v55, v111
	v_pk_add_f32 v[54:55], v[18:19], v[46:47]
	s_nop 0
	v_min_f32_e32 v54, v54, v55
	v_min3_f32 v54, v52, v54, v53
	v_lshl_add_u64 v[52:53], v[72:73], 2, v[48:49]
	global_store_dword v[52:53], v54, off
	s_or_b64 exec, exec, s[26:27]
	s_and_b64 s[30:31], s[12:13], s[18:19]
	s_and_saveexec_b64 s[26:27], s[30:31]
	s_cbranch_execz .LBB69_220
.LBB69_242:
	s_and_b64 vcc, exec, s[0:1]
	s_cbranch_vccnz .LBB69_244
; %bb.243:
	v_lshl_add_u64 v[52:53], v[74:75], 2, v[50:51]
	flat_load_dword v52, v[52:53]
	s_waitcnt vmcnt(0) lgkmcnt(0)
	v_mul_f32_e32 v52, s33, v52
	s_branch .LBB69_245
.LBB69_244:
	v_mov_b32_e32 v52, 0
.LBB69_245:
	v_pk_add_f32 v[54:55], v[12:13], v[44:45]
	s_nop 0
	v_min3_f32 v53, v54, v55, v110
	v_pk_add_f32 v[54:55], v[14:15], v[46:47]
	s_nop 0
	v_min_f32_e32 v54, v54, v55
	v_min3_f32 v54, v52, v54, v53
	v_lshl_add_u64 v[52:53], v[74:75], 2, v[48:49]
	global_store_dword v[52:53], v54, off
	s_or_b64 exec, exec, s[26:27]
	s_and_b64 s[30:31], s[14:15], s[18:19]
	s_and_saveexec_b64 s[26:27], s[30:31]
	s_cbranch_execz .LBB69_221
.LBB69_246:
	s_and_b64 vcc, exec, s[0:1]
	s_cbranch_vccnz .LBB69_248
; %bb.247:
	v_lshl_add_u64 v[52:53], v[76:77], 2, v[50:51]
	flat_load_dword v52, v[52:53]
	s_waitcnt vmcnt(0) lgkmcnt(0)
	v_mul_f32_e32 v52, s33, v52
	s_branch .LBB69_249
.LBB69_248:
	v_mov_b32_e32 v52, 0
.LBB69_249:
	v_pk_add_f32 v[54:55], v[8:9], v[44:45]
	s_nop 0
	v_min3_f32 v53, v54, v55, v109
	v_pk_add_f32 v[54:55], v[10:11], v[46:47]
	s_nop 0
	v_min_f32_e32 v54, v54, v55
	v_min3_f32 v54, v52, v54, v53
	v_lshl_add_u64 v[52:53], v[76:77], 2, v[48:49]
	global_store_dword v[52:53], v54, off
	s_or_b64 exec, exec, s[26:27]
	s_and_b64 s[26:27], s[16:17], s[18:19]
	s_and_saveexec_b64 s[18:19], s[26:27]
	s_cbranch_execz .LBB69_254
.LBB69_250:
	s_and_b64 vcc, exec, s[0:1]
	s_cbranch_vccnz .LBB69_252
; %bb.251:
	v_lshl_add_u64 v[50:51], v[78:79], 2, v[50:51]
	flat_load_dword v50, v[50:51]
	s_waitcnt vmcnt(0) lgkmcnt(0)
	v_mul_f32_e32 v50, s33, v50
	s_branch .LBB69_253
.LBB69_252:
	v_mov_b32_e32 v50, 0
.LBB69_253:
	v_pk_add_f32 v[44:45], v[0:1], v[44:45]
	s_nop 0
	v_min3_f32 v51, v44, v45, v108
	v_pk_add_f32 v[44:45], v[2:3], v[46:47]
	s_nop 0
	v_min_f32_e32 v44, v44, v45
	v_min3_f32 v46, v50, v44, v51
	v_lshl_add_u64 v[44:45], v[78:79], 2, v[48:49]
	global_store_dword v[44:45], v46, off
.LBB69_254:
	s_or_b64 exec, exec, s[18:19]
	v_add_u32_e32 v48, 0xa0, v124
	v_mad_i64_i32 v[44:45], s[26:27], v48, s29, 0
	v_cmp_gt_i32_e64 s[18:19], s21, v48
	v_lshl_add_u64 v[46:47], v[44:45], 2, s[24:25]
	v_mad_i64_i32 v[44:45], s[26:27], v48, s28, 0
	v_lshl_add_u64 v[44:45], v[44:45], 2, s[22:23]
	s_and_b64 s[30:31], s[2:3], s[18:19]
	s_and_saveexec_b64 s[26:27], s[30:31]
	s_cbranch_execnz .LBB69_262
; %bb.255:
	s_or_b64 exec, exec, s[26:27]
	s_and_b64 s[30:31], s[4:5], s[18:19]
	s_and_saveexec_b64 s[26:27], s[30:31]
	s_cbranch_execnz .LBB69_266
.LBB69_256:
	s_or_b64 exec, exec, s[26:27]
	s_and_b64 s[30:31], s[6:7], s[18:19]
	s_and_saveexec_b64 s[26:27], s[30:31]
	s_cbranch_execnz .LBB69_270
.LBB69_257:
	s_or_b64 exec, exec, s[26:27]
	s_and_b64 s[30:31], s[8:9], s[18:19]
	s_and_saveexec_b64 s[26:27], s[30:31]
	s_cbranch_execnz .LBB69_274
.LBB69_258:
	s_or_b64 exec, exec, s[26:27]
	s_and_b64 s[30:31], s[10:11], s[18:19]
	s_and_saveexec_b64 s[26:27], s[30:31]
	s_cbranch_execnz .LBB69_278
.LBB69_259:
	s_or_b64 exec, exec, s[26:27]
	s_and_b64 s[30:31], s[12:13], s[18:19]
	s_and_saveexec_b64 s[26:27], s[30:31]
	s_cbranch_execnz .LBB69_282
.LBB69_260:
	s_or_b64 exec, exec, s[26:27]
	s_and_b64 s[30:31], s[14:15], s[18:19]
	s_and_saveexec_b64 s[26:27], s[30:31]
	s_cbranch_execnz .LBB69_286
.LBB69_261:
	s_or_b64 exec, exec, s[26:27]
	s_and_b64 s[26:27], s[16:17], s[18:19]
	s_and_saveexec_b64 s[18:19], s[26:27]
	s_cbranch_execnz .LBB69_290
	s_branch .LBB69_294
.LBB69_262:
	s_and_b64 vcc, exec, s[0:1]
	s_cbranch_vccnz .LBB69_264
; %bb.263:
	v_lshl_add_u64 v[48:49], v[64:65], 2, v[46:47]
	flat_load_dword v48, v[48:49]
	s_waitcnt vmcnt(0) lgkmcnt(0)
	v_mul_f32_e32 v48, s33, v48
	s_branch .LBB69_265
.LBB69_264:
	v_mov_b32_e32 v48, 0
.LBB69_265:
	v_pk_add_f32 v[50:51], v[32:33], v[40:41]
	s_nop 0
	v_min3_f32 v49, v50, v51, v107
	v_pk_add_f32 v[50:51], v[34:35], v[42:43]
	s_nop 0
	v_min_f32_e32 v50, v50, v51
	v_min3_f32 v50, v48, v50, v49
	v_lshl_add_u64 v[48:49], v[64:65], 2, v[44:45]
	global_store_dword v[48:49], v50, off
	s_or_b64 exec, exec, s[26:27]
	s_and_b64 s[30:31], s[4:5], s[18:19]
	s_and_saveexec_b64 s[26:27], s[30:31]
	s_cbranch_execz .LBB69_256
.LBB69_266:
	s_and_b64 vcc, exec, s[0:1]
	s_cbranch_vccnz .LBB69_268
; %bb.267:
	v_lshl_add_u64 v[48:49], v[66:67], 2, v[46:47]
	flat_load_dword v48, v[48:49]
	s_waitcnt vmcnt(0) lgkmcnt(0)
	v_mul_f32_e32 v48, s33, v48
	s_branch .LBB69_269
.LBB69_268:
	v_mov_b32_e32 v48, 0
.LBB69_269:
	v_pk_add_f32 v[50:51], v[28:29], v[40:41]
	s_nop 0
	v_min3_f32 v49, v50, v51, v106
	v_pk_add_f32 v[50:51], v[30:31], v[42:43]
	s_nop 0
	v_min_f32_e32 v50, v50, v51
	v_min3_f32 v50, v48, v50, v49
	v_lshl_add_u64 v[48:49], v[66:67], 2, v[44:45]
	global_store_dword v[48:49], v50, off
	s_or_b64 exec, exec, s[26:27]
	s_and_b64 s[30:31], s[6:7], s[18:19]
	s_and_saveexec_b64 s[26:27], s[30:31]
	s_cbranch_execz .LBB69_257
.LBB69_270:
	s_and_b64 vcc, exec, s[0:1]
	s_cbranch_vccnz .LBB69_272
; %bb.271:
	v_lshl_add_u64 v[48:49], v[68:69], 2, v[46:47]
	flat_load_dword v48, v[48:49]
	s_waitcnt vmcnt(0) lgkmcnt(0)
	v_mul_f32_e32 v48, s33, v48
	s_branch .LBB69_273
.LBB69_272:
	v_mov_b32_e32 v48, 0
.LBB69_273:
	v_pk_add_f32 v[50:51], v[24:25], v[40:41]
	s_nop 0
	v_min3_f32 v49, v50, v51, v105
	v_pk_add_f32 v[50:51], v[26:27], v[42:43]
	s_nop 0
	v_min_f32_e32 v50, v50, v51
	v_min3_f32 v50, v48, v50, v49
	v_lshl_add_u64 v[48:49], v[68:69], 2, v[44:45]
	global_store_dword v[48:49], v50, off
	s_or_b64 exec, exec, s[26:27]
	s_and_b64 s[30:31], s[8:9], s[18:19]
	s_and_saveexec_b64 s[26:27], s[30:31]
	s_cbranch_execz .LBB69_258
.LBB69_274:
	s_and_b64 vcc, exec, s[0:1]
	s_cbranch_vccnz .LBB69_276
; %bb.275:
	v_lshl_add_u64 v[48:49], v[70:71], 2, v[46:47]
	flat_load_dword v48, v[48:49]
	s_waitcnt vmcnt(0) lgkmcnt(0)
	v_mul_f32_e32 v48, s33, v48
	s_branch .LBB69_277
.LBB69_276:
	v_mov_b32_e32 v48, 0
.LBB69_277:
	v_pk_add_f32 v[50:51], v[20:21], v[40:41]
	s_nop 0
	v_min3_f32 v49, v50, v51, v104
	v_pk_add_f32 v[50:51], v[22:23], v[42:43]
	s_nop 0
	v_min_f32_e32 v50, v50, v51
	v_min3_f32 v50, v48, v50, v49
	v_lshl_add_u64 v[48:49], v[70:71], 2, v[44:45]
	global_store_dword v[48:49], v50, off
	s_or_b64 exec, exec, s[26:27]
	s_and_b64 s[30:31], s[10:11], s[18:19]
	s_and_saveexec_b64 s[26:27], s[30:31]
	s_cbranch_execz .LBB69_259
.LBB69_278:
	s_and_b64 vcc, exec, s[0:1]
	s_cbranch_vccnz .LBB69_280
; %bb.279:
	v_lshl_add_u64 v[48:49], v[72:73], 2, v[46:47]
	flat_load_dword v48, v[48:49]
	s_waitcnt vmcnt(0) lgkmcnt(0)
	v_mul_f32_e32 v48, s33, v48
	s_branch .LBB69_281
.LBB69_280:
	v_mov_b32_e32 v48, 0
.LBB69_281:
	v_pk_add_f32 v[50:51], v[16:17], v[40:41]
	s_nop 0
	v_min3_f32 v49, v50, v51, v103
	v_pk_add_f32 v[50:51], v[18:19], v[42:43]
	s_nop 0
	v_min_f32_e32 v50, v50, v51
	v_min3_f32 v50, v48, v50, v49
	v_lshl_add_u64 v[48:49], v[72:73], 2, v[44:45]
	global_store_dword v[48:49], v50, off
	s_or_b64 exec, exec, s[26:27]
	s_and_b64 s[30:31], s[12:13], s[18:19]
	s_and_saveexec_b64 s[26:27], s[30:31]
	s_cbranch_execz .LBB69_260
.LBB69_282:
	s_and_b64 vcc, exec, s[0:1]
	s_cbranch_vccnz .LBB69_284
; %bb.283:
	v_lshl_add_u64 v[48:49], v[74:75], 2, v[46:47]
	flat_load_dword v48, v[48:49]
	s_waitcnt vmcnt(0) lgkmcnt(0)
	v_mul_f32_e32 v48, s33, v48
	s_branch .LBB69_285
.LBB69_284:
	v_mov_b32_e32 v48, 0
.LBB69_285:
	v_pk_add_f32 v[50:51], v[12:13], v[40:41]
	s_nop 0
	v_min3_f32 v49, v50, v51, v102
	v_pk_add_f32 v[50:51], v[14:15], v[42:43]
	s_nop 0
	v_min_f32_e32 v50, v50, v51
	v_min3_f32 v50, v48, v50, v49
	v_lshl_add_u64 v[48:49], v[74:75], 2, v[44:45]
	global_store_dword v[48:49], v50, off
	s_or_b64 exec, exec, s[26:27]
	s_and_b64 s[30:31], s[14:15], s[18:19]
	s_and_saveexec_b64 s[26:27], s[30:31]
	s_cbranch_execz .LBB69_261
.LBB69_286:
	s_and_b64 vcc, exec, s[0:1]
	s_cbranch_vccnz .LBB69_288
; %bb.287:
	v_lshl_add_u64 v[48:49], v[76:77], 2, v[46:47]
	flat_load_dword v48, v[48:49]
	s_waitcnt vmcnt(0) lgkmcnt(0)
	v_mul_f32_e32 v48, s33, v48
	s_branch .LBB69_289
.LBB69_288:
	v_mov_b32_e32 v48, 0
.LBB69_289:
	v_pk_add_f32 v[50:51], v[8:9], v[40:41]
	s_nop 0
	v_min3_f32 v49, v50, v51, v101
	v_pk_add_f32 v[50:51], v[10:11], v[42:43]
	s_nop 0
	v_min_f32_e32 v50, v50, v51
	v_min3_f32 v50, v48, v50, v49
	v_lshl_add_u64 v[48:49], v[76:77], 2, v[44:45]
	global_store_dword v[48:49], v50, off
	s_or_b64 exec, exec, s[26:27]
	s_and_b64 s[26:27], s[16:17], s[18:19]
	s_and_saveexec_b64 s[18:19], s[26:27]
	s_cbranch_execz .LBB69_294
.LBB69_290:
	s_and_b64 vcc, exec, s[0:1]
	s_cbranch_vccnz .LBB69_292
; %bb.291:
	v_lshl_add_u64 v[46:47], v[78:79], 2, v[46:47]
	flat_load_dword v46, v[46:47]
	s_waitcnt vmcnt(0) lgkmcnt(0)
	v_mul_f32_e32 v46, s33, v46
	s_branch .LBB69_293
.LBB69_292:
	v_mov_b32_e32 v46, 0
.LBB69_293:
	v_pk_add_f32 v[40:41], v[0:1], v[40:41]
	s_nop 0
	v_min3_f32 v47, v40, v41, v100
	v_pk_add_f32 v[40:41], v[2:3], v[42:43]
	s_nop 0
	v_min_f32_e32 v40, v40, v41
	v_min3_f32 v42, v46, v40, v47
	v_lshl_add_u64 v[40:41], v[78:79], 2, v[44:45]
	global_store_dword v[40:41], v42, off
.LBB69_294:
	s_or_b64 exec, exec, s[18:19]
	v_add_u32_e32 v44, 0xc0, v124
	v_mad_i64_i32 v[40:41], s[26:27], v44, s29, 0
	v_cmp_gt_i32_e64 s[18:19], s21, v44
	v_lshl_add_u64 v[42:43], v[40:41], 2, s[24:25]
	v_mad_i64_i32 v[40:41], s[26:27], v44, s28, 0
	v_lshl_add_u64 v[40:41], v[40:41], 2, s[22:23]
	s_and_b64 s[30:31], s[2:3], s[18:19]
	s_and_saveexec_b64 s[26:27], s[30:31]
	s_cbranch_execnz .LBB69_302
; %bb.295:
	s_or_b64 exec, exec, s[26:27]
	s_and_b64 s[30:31], s[4:5], s[18:19]
	s_and_saveexec_b64 s[26:27], s[30:31]
	s_cbranch_execnz .LBB69_306
.LBB69_296:
	s_or_b64 exec, exec, s[26:27]
	s_and_b64 s[30:31], s[6:7], s[18:19]
	s_and_saveexec_b64 s[26:27], s[30:31]
	s_cbranch_execnz .LBB69_310
.LBB69_297:
	s_or_b64 exec, exec, s[26:27]
	s_and_b64 s[30:31], s[8:9], s[18:19]
	s_and_saveexec_b64 s[26:27], s[30:31]
	s_cbranch_execnz .LBB69_314
.LBB69_298:
	s_or_b64 exec, exec, s[26:27]
	s_and_b64 s[30:31], s[10:11], s[18:19]
	s_and_saveexec_b64 s[26:27], s[30:31]
	s_cbranch_execnz .LBB69_318
.LBB69_299:
	s_or_b64 exec, exec, s[26:27]
	s_and_b64 s[30:31], s[12:13], s[18:19]
	s_and_saveexec_b64 s[26:27], s[30:31]
	s_cbranch_execnz .LBB69_322
.LBB69_300:
	s_or_b64 exec, exec, s[26:27]
	s_and_b64 s[30:31], s[14:15], s[18:19]
	s_and_saveexec_b64 s[26:27], s[30:31]
	s_cbranch_execnz .LBB69_326
.LBB69_301:
	s_or_b64 exec, exec, s[26:27]
	s_and_b64 s[26:27], s[16:17], s[18:19]
	s_and_saveexec_b64 s[18:19], s[26:27]
	s_cbranch_execnz .LBB69_330
	s_branch .LBB69_334
.LBB69_302:
	s_and_b64 vcc, exec, s[0:1]
	s_cbranch_vccnz .LBB69_304
; %bb.303:
	v_lshl_add_u64 v[44:45], v[64:65], 2, v[42:43]
	flat_load_dword v44, v[44:45]
	s_waitcnt vmcnt(0) lgkmcnt(0)
	v_mul_f32_e32 v44, s33, v44
	s_branch .LBB69_305
.LBB69_304:
	v_mov_b32_e32 v44, 0
.LBB69_305:
	v_pk_add_f32 v[46:47], v[32:33], v[36:37]
	s_nop 0
	v_min3_f32 v45, v46, v47, v99
	v_pk_add_f32 v[46:47], v[34:35], v[38:39]
	s_nop 0
	v_min_f32_e32 v46, v46, v47
	v_min3_f32 v46, v44, v46, v45
	v_lshl_add_u64 v[44:45], v[64:65], 2, v[40:41]
	global_store_dword v[44:45], v46, off
	s_or_b64 exec, exec, s[26:27]
	s_and_b64 s[30:31], s[4:5], s[18:19]
	s_and_saveexec_b64 s[26:27], s[30:31]
	s_cbranch_execz .LBB69_296
.LBB69_306:
	s_and_b64 vcc, exec, s[0:1]
	s_cbranch_vccnz .LBB69_308
; %bb.307:
	v_lshl_add_u64 v[44:45], v[66:67], 2, v[42:43]
	flat_load_dword v44, v[44:45]
	s_waitcnt vmcnt(0) lgkmcnt(0)
	v_mul_f32_e32 v44, s33, v44
	s_branch .LBB69_309
.LBB69_308:
	v_mov_b32_e32 v44, 0
.LBB69_309:
	v_pk_add_f32 v[46:47], v[28:29], v[36:37]
	s_nop 0
	v_min3_f32 v45, v46, v47, v98
	v_pk_add_f32 v[46:47], v[30:31], v[38:39]
	s_nop 0
	v_min_f32_e32 v46, v46, v47
	v_min3_f32 v46, v44, v46, v45
	v_lshl_add_u64 v[44:45], v[66:67], 2, v[40:41]
	global_store_dword v[44:45], v46, off
	s_or_b64 exec, exec, s[26:27]
	s_and_b64 s[30:31], s[6:7], s[18:19]
	s_and_saveexec_b64 s[26:27], s[30:31]
	s_cbranch_execz .LBB69_297
.LBB69_310:
	s_and_b64 vcc, exec, s[0:1]
	s_cbranch_vccnz .LBB69_312
; %bb.311:
	v_lshl_add_u64 v[44:45], v[68:69], 2, v[42:43]
	flat_load_dword v44, v[44:45]
	s_waitcnt vmcnt(0) lgkmcnt(0)
	v_mul_f32_e32 v44, s33, v44
	s_branch .LBB69_313
.LBB69_312:
	v_mov_b32_e32 v44, 0
.LBB69_313:
	v_pk_add_f32 v[46:47], v[24:25], v[36:37]
	s_nop 0
	v_min3_f32 v45, v46, v47, v97
	v_pk_add_f32 v[46:47], v[26:27], v[38:39]
	s_nop 0
	v_min_f32_e32 v46, v46, v47
	v_min3_f32 v46, v44, v46, v45
	v_lshl_add_u64 v[44:45], v[68:69], 2, v[40:41]
	global_store_dword v[44:45], v46, off
	s_or_b64 exec, exec, s[26:27]
	s_and_b64 s[30:31], s[8:9], s[18:19]
	s_and_saveexec_b64 s[26:27], s[30:31]
	s_cbranch_execz .LBB69_298
.LBB69_314:
	s_and_b64 vcc, exec, s[0:1]
	s_cbranch_vccnz .LBB69_316
; %bb.315:
	v_lshl_add_u64 v[44:45], v[70:71], 2, v[42:43]
	flat_load_dword v44, v[44:45]
	s_waitcnt vmcnt(0) lgkmcnt(0)
	v_mul_f32_e32 v44, s33, v44
	s_branch .LBB69_317
.LBB69_316:
	v_mov_b32_e32 v44, 0
.LBB69_317:
	v_pk_add_f32 v[46:47], v[20:21], v[36:37]
	s_nop 0
	v_min3_f32 v45, v46, v47, v96
	v_pk_add_f32 v[46:47], v[22:23], v[38:39]
	s_nop 0
	v_min_f32_e32 v46, v46, v47
	v_min3_f32 v46, v44, v46, v45
	v_lshl_add_u64 v[44:45], v[70:71], 2, v[40:41]
	global_store_dword v[44:45], v46, off
	s_or_b64 exec, exec, s[26:27]
	s_and_b64 s[30:31], s[10:11], s[18:19]
	s_and_saveexec_b64 s[26:27], s[30:31]
	s_cbranch_execz .LBB69_299
.LBB69_318:
	s_and_b64 vcc, exec, s[0:1]
	s_cbranch_vccnz .LBB69_320
; %bb.319:
	v_lshl_add_u64 v[44:45], v[72:73], 2, v[42:43]
	flat_load_dword v44, v[44:45]
	s_waitcnt vmcnt(0) lgkmcnt(0)
	v_mul_f32_e32 v44, s33, v44
	s_branch .LBB69_321
.LBB69_320:
	v_mov_b32_e32 v44, 0
.LBB69_321:
	v_pk_add_f32 v[46:47], v[16:17], v[36:37]
	s_nop 0
	v_min3_f32 v45, v46, v47, v95
	v_pk_add_f32 v[46:47], v[18:19], v[38:39]
	s_nop 0
	v_min_f32_e32 v46, v46, v47
	v_min3_f32 v46, v44, v46, v45
	v_lshl_add_u64 v[44:45], v[72:73], 2, v[40:41]
	global_store_dword v[44:45], v46, off
	s_or_b64 exec, exec, s[26:27]
	s_and_b64 s[30:31], s[12:13], s[18:19]
	s_and_saveexec_b64 s[26:27], s[30:31]
	s_cbranch_execz .LBB69_300
.LBB69_322:
	s_and_b64 vcc, exec, s[0:1]
	s_cbranch_vccnz .LBB69_324
; %bb.323:
	v_lshl_add_u64 v[44:45], v[74:75], 2, v[42:43]
	flat_load_dword v44, v[44:45]
	s_waitcnt vmcnt(0) lgkmcnt(0)
	v_mul_f32_e32 v44, s33, v44
	s_branch .LBB69_325
.LBB69_324:
	v_mov_b32_e32 v44, 0
.LBB69_325:
	v_pk_add_f32 v[46:47], v[12:13], v[36:37]
	s_nop 0
	v_min3_f32 v45, v46, v47, v94
	v_pk_add_f32 v[46:47], v[14:15], v[38:39]
	s_nop 0
	v_min_f32_e32 v46, v46, v47
	v_min3_f32 v46, v44, v46, v45
	v_lshl_add_u64 v[44:45], v[74:75], 2, v[40:41]
	global_store_dword v[44:45], v46, off
	s_or_b64 exec, exec, s[26:27]
	s_and_b64 s[30:31], s[14:15], s[18:19]
	s_and_saveexec_b64 s[26:27], s[30:31]
	s_cbranch_execz .LBB69_301
.LBB69_326:
	s_and_b64 vcc, exec, s[0:1]
	s_cbranch_vccnz .LBB69_328
; %bb.327:
	v_lshl_add_u64 v[44:45], v[76:77], 2, v[42:43]
	flat_load_dword v44, v[44:45]
	s_waitcnt vmcnt(0) lgkmcnt(0)
	v_mul_f32_e32 v44, s33, v44
	s_branch .LBB69_329
.LBB69_328:
	v_mov_b32_e32 v44, 0
.LBB69_329:
	v_pk_add_f32 v[46:47], v[8:9], v[36:37]
	s_nop 0
	v_min3_f32 v45, v46, v47, v93
	v_pk_add_f32 v[46:47], v[10:11], v[38:39]
	s_nop 0
	v_min_f32_e32 v46, v46, v47
	v_min3_f32 v46, v44, v46, v45
	v_lshl_add_u64 v[44:45], v[76:77], 2, v[40:41]
	global_store_dword v[44:45], v46, off
	s_or_b64 exec, exec, s[26:27]
	s_and_b64 s[26:27], s[16:17], s[18:19]
	s_and_saveexec_b64 s[18:19], s[26:27]
	s_cbranch_execz .LBB69_334
.LBB69_330:
	s_and_b64 vcc, exec, s[0:1]
	s_cbranch_vccnz .LBB69_332
; %bb.331:
	v_lshl_add_u64 v[42:43], v[78:79], 2, v[42:43]
	flat_load_dword v42, v[42:43]
	s_waitcnt vmcnt(0) lgkmcnt(0)
	v_mul_f32_e32 v42, s33, v42
	s_branch .LBB69_333
.LBB69_332:
	v_mov_b32_e32 v42, 0
.LBB69_333:
	v_pk_add_f32 v[36:37], v[0:1], v[36:37]
	s_nop 0
	v_min3_f32 v43, v36, v37, v92
	v_pk_add_f32 v[36:37], v[2:3], v[38:39]
	s_nop 0
	v_min_f32_e32 v36, v36, v37
	v_min3_f32 v38, v42, v36, v43
	v_lshl_add_u64 v[36:37], v[78:79], 2, v[40:41]
	global_store_dword v[36:37], v38, off
.LBB69_334:
	s_or_b64 exec, exec, s[18:19]
	v_add_u32_e32 v40, 0xe0, v124
	v_cmp_gt_i32_e64 s[18:19], s21, v40
	v_mad_i64_i32 v[36:37], s[20:21], v40, s29, 0
	v_lshl_add_u64 v[38:39], v[36:37], 2, s[24:25]
	v_mad_i64_i32 v[36:37], s[20:21], v40, s28, 0
	v_lshl_add_u64 v[36:37], v[36:37], 2, s[22:23]
	s_and_b64 s[20:21], s[2:3], s[18:19]
	s_and_saveexec_b64 s[2:3], s[20:21]
	s_cbranch_execnz .LBB69_343
; %bb.335:
	s_or_b64 exec, exec, s[2:3]
	s_and_b64 s[4:5], s[4:5], s[18:19]
	s_and_saveexec_b64 s[2:3], s[4:5]
	s_cbranch_execnz .LBB69_347
.LBB69_336:
	s_or_b64 exec, exec, s[2:3]
	s_and_b64 s[4:5], s[6:7], s[18:19]
	s_and_saveexec_b64 s[2:3], s[4:5]
	s_cbranch_execnz .LBB69_351
.LBB69_337:
	s_or_b64 exec, exec, s[2:3]
	s_and_b64 s[4:5], s[8:9], s[18:19]
	s_and_saveexec_b64 s[2:3], s[4:5]
	s_cbranch_execnz .LBB69_355
.LBB69_338:
	s_or_b64 exec, exec, s[2:3]
	s_and_b64 s[4:5], s[10:11], s[18:19]
	s_and_saveexec_b64 s[2:3], s[4:5]
	s_cbranch_execnz .LBB69_359
.LBB69_339:
	s_or_b64 exec, exec, s[2:3]
	s_and_b64 s[4:5], s[12:13], s[18:19]
	s_and_saveexec_b64 s[2:3], s[4:5]
	s_cbranch_execnz .LBB69_363
.LBB69_340:
	s_or_b64 exec, exec, s[2:3]
	s_and_b64 s[4:5], s[14:15], s[18:19]
	s_and_saveexec_b64 s[2:3], s[4:5]
	s_cbranch_execnz .LBB69_367
.LBB69_341:
	s_or_b64 exec, exec, s[2:3]
	s_and_b64 s[2:3], s[16:17], s[18:19]
	s_and_saveexec_b64 s[4:5], s[2:3]
	s_cbranch_execnz .LBB69_371
.LBB69_342:
	s_endpgm
.LBB69_343:
	s_and_b64 vcc, exec, s[0:1]
	s_cbranch_vccnz .LBB69_345
; %bb.344:
	v_lshl_add_u64 v[40:41], v[64:65], 2, v[38:39]
	flat_load_dword v40, v[40:41]
	s_waitcnt vmcnt(0) lgkmcnt(0)
	v_mul_f32_e32 v40, s33, v40
	s_branch .LBB69_346
.LBB69_345:
	v_mov_b32_e32 v40, 0
.LBB69_346:
	v_pk_add_f32 v[32:33], v[32:33], v[4:5]
	s_nop 0
	v_min3_f32 v41, v32, v33, v91
	v_pk_add_f32 v[32:33], v[34:35], v[6:7]
	s_nop 0
	v_min_f32_e32 v32, v32, v33
	v_min3_f32 v34, v40, v32, v41
	v_lshl_add_u64 v[32:33], v[64:65], 2, v[36:37]
	global_store_dword v[32:33], v34, off
	s_or_b64 exec, exec, s[2:3]
	s_and_b64 s[4:5], s[4:5], s[18:19]
	s_and_saveexec_b64 s[2:3], s[4:5]
	s_cbranch_execz .LBB69_336
.LBB69_347:
	s_and_b64 vcc, exec, s[0:1]
	s_cbranch_vccnz .LBB69_349
; %bb.348:
	v_lshl_add_u64 v[32:33], v[66:67], 2, v[38:39]
	flat_load_dword v32, v[32:33]
	s_waitcnt vmcnt(0) lgkmcnt(0)
	v_mul_f32_e32 v32, s33, v32
	s_branch .LBB69_350
.LBB69_349:
	v_mov_b32_e32 v32, 0
.LBB69_350:
	v_pk_add_f32 v[28:29], v[28:29], v[4:5]
	s_nop 0
	v_min3_f32 v33, v28, v29, v90
	v_pk_add_f32 v[28:29], v[30:31], v[6:7]
	s_nop 0
	v_min_f32_e32 v28, v28, v29
	v_min3_f32 v30, v32, v28, v33
	v_lshl_add_u64 v[28:29], v[66:67], 2, v[36:37]
	global_store_dword v[28:29], v30, off
	s_or_b64 exec, exec, s[2:3]
	s_and_b64 s[4:5], s[6:7], s[18:19]
	s_and_saveexec_b64 s[2:3], s[4:5]
	s_cbranch_execz .LBB69_337
.LBB69_351:
	s_and_b64 vcc, exec, s[0:1]
	s_cbranch_vccnz .LBB69_353
; %bb.352:
	v_lshl_add_u64 v[28:29], v[68:69], 2, v[38:39]
	flat_load_dword v28, v[28:29]
	s_waitcnt vmcnt(0) lgkmcnt(0)
	v_mul_f32_e32 v28, s33, v28
	s_branch .LBB69_354
.LBB69_353:
	v_mov_b32_e32 v28, 0
.LBB69_354:
	v_pk_add_f32 v[24:25], v[24:25], v[4:5]
	s_nop 0
	v_min3_f32 v29, v24, v25, v89
	v_pk_add_f32 v[24:25], v[26:27], v[6:7]
	s_nop 0
	v_min_f32_e32 v24, v24, v25
	v_min3_f32 v26, v28, v24, v29
	v_lshl_add_u64 v[24:25], v[68:69], 2, v[36:37]
	global_store_dword v[24:25], v26, off
	s_or_b64 exec, exec, s[2:3]
	s_and_b64 s[4:5], s[8:9], s[18:19]
	s_and_saveexec_b64 s[2:3], s[4:5]
	s_cbranch_execz .LBB69_338
.LBB69_355:
	s_and_b64 vcc, exec, s[0:1]
	s_cbranch_vccnz .LBB69_357
; %bb.356:
	v_lshl_add_u64 v[24:25], v[70:71], 2, v[38:39]
	flat_load_dword v24, v[24:25]
	s_waitcnt vmcnt(0) lgkmcnt(0)
	v_mul_f32_e32 v24, s33, v24
	s_branch .LBB69_358
.LBB69_357:
	v_mov_b32_e32 v24, 0
.LBB69_358:
	v_pk_add_f32 v[20:21], v[20:21], v[4:5]
	s_nop 0
	v_min3_f32 v25, v20, v21, v87
	v_pk_add_f32 v[20:21], v[22:23], v[6:7]
	s_nop 0
	v_min_f32_e32 v20, v20, v21
	v_min3_f32 v22, v24, v20, v25
	v_lshl_add_u64 v[20:21], v[70:71], 2, v[36:37]
	global_store_dword v[20:21], v22, off
	s_or_b64 exec, exec, s[2:3]
	s_and_b64 s[4:5], s[10:11], s[18:19]
	s_and_saveexec_b64 s[2:3], s[4:5]
	s_cbranch_execz .LBB69_339
.LBB69_359:
	s_and_b64 vcc, exec, s[0:1]
	s_cbranch_vccnz .LBB69_361
; %bb.360:
	v_lshl_add_u64 v[20:21], v[72:73], 2, v[38:39]
	flat_load_dword v20, v[20:21]
	s_waitcnt vmcnt(0) lgkmcnt(0)
	v_mul_f32_e32 v20, s33, v20
	s_branch .LBB69_362
.LBB69_361:
	v_mov_b32_e32 v20, 0
.LBB69_362:
	v_pk_add_f32 v[16:17], v[16:17], v[4:5]
	s_nop 0
	v_min3_f32 v21, v16, v17, v86
	v_pk_add_f32 v[16:17], v[18:19], v[6:7]
	s_nop 0
	v_min_f32_e32 v16, v16, v17
	v_min3_f32 v18, v20, v16, v21
	v_lshl_add_u64 v[16:17], v[72:73], 2, v[36:37]
	global_store_dword v[16:17], v18, off
	s_or_b64 exec, exec, s[2:3]
	s_and_b64 s[4:5], s[12:13], s[18:19]
	s_and_saveexec_b64 s[2:3], s[4:5]
	s_cbranch_execz .LBB69_340
.LBB69_363:
	s_and_b64 vcc, exec, s[0:1]
	s_cbranch_vccnz .LBB69_365
; %bb.364:
	v_lshl_add_u64 v[16:17], v[74:75], 2, v[38:39]
	flat_load_dword v16, v[16:17]
	s_waitcnt vmcnt(0) lgkmcnt(0)
	v_mul_f32_e32 v16, s33, v16
	s_branch .LBB69_366
.LBB69_365:
	v_mov_b32_e32 v16, 0
.LBB69_366:
	v_pk_add_f32 v[12:13], v[12:13], v[4:5]
	s_nop 0
	v_min3_f32 v17, v12, v13, v85
	v_pk_add_f32 v[12:13], v[14:15], v[6:7]
	s_nop 0
	v_min_f32_e32 v12, v12, v13
	v_min3_f32 v14, v16, v12, v17
	v_lshl_add_u64 v[12:13], v[74:75], 2, v[36:37]
	global_store_dword v[12:13], v14, off
	s_or_b64 exec, exec, s[2:3]
	s_and_b64 s[4:5], s[14:15], s[18:19]
	s_and_saveexec_b64 s[2:3], s[4:5]
	s_cbranch_execz .LBB69_341
.LBB69_367:
	s_and_b64 vcc, exec, s[0:1]
	s_cbranch_vccnz .LBB69_369
; %bb.368:
	v_lshl_add_u64 v[12:13], v[76:77], 2, v[38:39]
	flat_load_dword v12, v[12:13]
	s_waitcnt vmcnt(0) lgkmcnt(0)
	v_mul_f32_e32 v12, s33, v12
	s_branch .LBB69_370
.LBB69_369:
	v_mov_b32_e32 v12, 0
.LBB69_370:
	v_pk_add_f32 v[8:9], v[8:9], v[4:5]
	s_nop 0
	v_min3_f32 v13, v8, v9, v84
	v_pk_add_f32 v[8:9], v[10:11], v[6:7]
	s_nop 0
	v_min_f32_e32 v8, v8, v9
	v_min3_f32 v10, v12, v8, v13
	v_lshl_add_u64 v[8:9], v[76:77], 2, v[36:37]
	global_store_dword v[8:9], v10, off
	s_or_b64 exec, exec, s[2:3]
	s_and_b64 s[2:3], s[16:17], s[18:19]
	s_and_saveexec_b64 s[4:5], s[2:3]
	s_cbranch_execz .LBB69_342
.LBB69_371:
	s_and_b64 vcc, exec, s[0:1]
	s_cbranch_vccnz .LBB69_373
; %bb.372:
	v_lshl_add_u64 v[8:9], v[78:79], 2, v[38:39]
	flat_load_dword v8, v[8:9]
	s_waitcnt vmcnt(0) lgkmcnt(0)
	v_mul_f32_e32 v8, s33, v8
	s_branch .LBB69_374
.LBB69_373:
	v_mov_b32_e32 v8, 0
.LBB69_374:
	v_pk_add_f32 v[0:1], v[0:1], v[4:5]
	s_nop 0
	v_min3_f32 v4, v0, v1, v88
	v_pk_add_f32 v[0:1], v[2:3], v[6:7]
	s_nop 0
	v_min_f32_e32 v0, v0, v1
	v_min3_f32 v2, v8, v0, v4
	v_lshl_add_u64 v[0:1], v[78:79], 2, v[36:37]
	global_store_dword v[0:1], v2, off
	s_endpgm
	.section	.rodata,"a",@progbits
	.p2align	6, 0x0
	.amdhsa_kernel _ZN12_GLOBAL__N_120geam_min_plus_kernelIf15HIP_vector_typeIfLj2EEfLi8ELi32ELi64ELi256ELi4ELi64ELi4ELi64ELi4ELc78ELc84ELb0ELb1ELb1EPKfS3_fEEviiiT16_PT17_ilS7_ilS5_S7_ilPT18_ili26rocblas_geam_ex_operation_
		.amdhsa_group_segment_fixed_size 10240
		.amdhsa_private_segment_fixed_size 0
		.amdhsa_kernarg_size 136
		.amdhsa_user_sgpr_count 2
		.amdhsa_user_sgpr_dispatch_ptr 0
		.amdhsa_user_sgpr_queue_ptr 0
		.amdhsa_user_sgpr_kernarg_segment_ptr 1
		.amdhsa_user_sgpr_dispatch_id 0
		.amdhsa_user_sgpr_kernarg_preload_length 0
		.amdhsa_user_sgpr_kernarg_preload_offset 0
		.amdhsa_user_sgpr_private_segment_size 0
		.amdhsa_uses_dynamic_stack 0
		.amdhsa_enable_private_segment 0
		.amdhsa_system_sgpr_workgroup_id_x 1
		.amdhsa_system_sgpr_workgroup_id_y 0
		.amdhsa_system_sgpr_workgroup_id_z 1
		.amdhsa_system_sgpr_workgroup_info 0
		.amdhsa_system_vgpr_workitem_id 1
		.amdhsa_next_free_vgpr 180
		.amdhsa_next_free_sgpr 44
		.amdhsa_accum_offset 180
		.amdhsa_reserve_vcc 1
		.amdhsa_float_round_mode_32 0
		.amdhsa_float_round_mode_16_64 0
		.amdhsa_float_denorm_mode_32 3
		.amdhsa_float_denorm_mode_16_64 3
		.amdhsa_dx10_clamp 1
		.amdhsa_ieee_mode 1
		.amdhsa_fp16_overflow 0
		.amdhsa_tg_split 0
		.amdhsa_exception_fp_ieee_invalid_op 0
		.amdhsa_exception_fp_denorm_src 0
		.amdhsa_exception_fp_ieee_div_zero 0
		.amdhsa_exception_fp_ieee_overflow 0
		.amdhsa_exception_fp_ieee_underflow 0
		.amdhsa_exception_fp_ieee_inexact 0
		.amdhsa_exception_int_div_zero 0
	.end_amdhsa_kernel
	.section	.text._ZN12_GLOBAL__N_120geam_min_plus_kernelIf15HIP_vector_typeIfLj2EEfLi8ELi32ELi64ELi256ELi4ELi64ELi4ELi64ELi4ELc78ELc84ELb0ELb1ELb1EPKfS3_fEEviiiT16_PT17_ilS7_ilS5_S7_ilPT18_ili26rocblas_geam_ex_operation_,"axG",@progbits,_ZN12_GLOBAL__N_120geam_min_plus_kernelIf15HIP_vector_typeIfLj2EEfLi8ELi32ELi64ELi256ELi4ELi64ELi4ELi64ELi4ELc78ELc84ELb0ELb1ELb1EPKfS3_fEEviiiT16_PT17_ilS7_ilS5_S7_ilPT18_ili26rocblas_geam_ex_operation_,comdat
.Lfunc_end69:
	.size	_ZN12_GLOBAL__N_120geam_min_plus_kernelIf15HIP_vector_typeIfLj2EEfLi8ELi32ELi64ELi256ELi4ELi64ELi4ELi64ELi4ELc78ELc84ELb0ELb1ELb1EPKfS3_fEEviiiT16_PT17_ilS7_ilS5_S7_ilPT18_ili26rocblas_geam_ex_operation_, .Lfunc_end69-_ZN12_GLOBAL__N_120geam_min_plus_kernelIf15HIP_vector_typeIfLj2EEfLi8ELi32ELi64ELi256ELi4ELi64ELi4ELi64ELi4ELc78ELc84ELb0ELb1ELb1EPKfS3_fEEviiiT16_PT17_ilS7_ilS5_S7_ilPT18_ili26rocblas_geam_ex_operation_
                                        ; -- End function
	.section	.AMDGPU.csdata,"",@progbits
; Kernel info:
; codeLenInByte = 18664
; NumSgprs: 50
; NumVgprs: 180
; NumAgprs: 0
; TotalNumVgprs: 180
; ScratchSize: 0
; MemoryBound: 0
; FloatMode: 240
; IeeeMode: 1
; LDSByteSize: 10240 bytes/workgroup (compile time only)
; SGPRBlocks: 6
; VGPRBlocks: 22
; NumSGPRsForWavesPerEU: 50
; NumVGPRsForWavesPerEU: 180
; AccumOffset: 180
; Occupancy: 2
; WaveLimiterHint : 0
; COMPUTE_PGM_RSRC2:SCRATCH_EN: 0
; COMPUTE_PGM_RSRC2:USER_SGPR: 2
; COMPUTE_PGM_RSRC2:TRAP_HANDLER: 0
; COMPUTE_PGM_RSRC2:TGID_X_EN: 1
; COMPUTE_PGM_RSRC2:TGID_Y_EN: 0
; COMPUTE_PGM_RSRC2:TGID_Z_EN: 1
; COMPUTE_PGM_RSRC2:TIDIG_COMP_CNT: 1
; COMPUTE_PGM_RSRC3_GFX90A:ACCUM_OFFSET: 44
; COMPUTE_PGM_RSRC3_GFX90A:TG_SPLIT: 0
	.section	.text._ZN12_GLOBAL__N_120geam_min_plus_kernelIf15HIP_vector_typeIfLj2EEfLi8ELi32ELi64ELi256ELi4ELi64ELi4ELi64ELi4ELc78ELc84ELb1ELb1ELb1EfKffEEviiiT16_PT17_ilS6_ilS4_S6_ilPT18_ili26rocblas_geam_ex_operation_,"axG",@progbits,_ZN12_GLOBAL__N_120geam_min_plus_kernelIf15HIP_vector_typeIfLj2EEfLi8ELi32ELi64ELi256ELi4ELi64ELi4ELi64ELi4ELc78ELc84ELb1ELb1ELb1EfKffEEviiiT16_PT17_ilS6_ilS4_S6_ilPT18_ili26rocblas_geam_ex_operation_,comdat
	.globl	_ZN12_GLOBAL__N_120geam_min_plus_kernelIf15HIP_vector_typeIfLj2EEfLi8ELi32ELi64ELi256ELi4ELi64ELi4ELi64ELi4ELc78ELc84ELb1ELb1ELb1EfKffEEviiiT16_PT17_ilS6_ilS4_S6_ilPT18_ili26rocblas_geam_ex_operation_ ; -- Begin function _ZN12_GLOBAL__N_120geam_min_plus_kernelIf15HIP_vector_typeIfLj2EEfLi8ELi32ELi64ELi256ELi4ELi64ELi4ELi64ELi4ELc78ELc84ELb1ELb1ELb1EfKffEEviiiT16_PT17_ilS6_ilS4_S6_ilPT18_ili26rocblas_geam_ex_operation_
	.p2align	8
	.type	_ZN12_GLOBAL__N_120geam_min_plus_kernelIf15HIP_vector_typeIfLj2EEfLi8ELi32ELi64ELi256ELi4ELi64ELi4ELi64ELi4ELc78ELc84ELb1ELb1ELb1EfKffEEviiiT16_PT17_ilS6_ilS4_S6_ilPT18_ili26rocblas_geam_ex_operation_,@function
_ZN12_GLOBAL__N_120geam_min_plus_kernelIf15HIP_vector_typeIfLj2EEfLi8ELi32ELi64ELi256ELi4ELi64ELi4ELi64ELi4ELc78ELc84ELb1ELb1ELb1EfKffEEviiiT16_PT17_ilS6_ilS4_S6_ilPT18_ili26rocblas_geam_ex_operation_: ; @_ZN12_GLOBAL__N_120geam_min_plus_kernelIf15HIP_vector_typeIfLj2EEfLi8ELi32ELi64ELi256ELi4ELi64ELi4ELi64ELi4ELc78ELc84ELb1ELb1ELb1EfKffEEviiiT16_PT17_ilS6_ilS4_S6_ilPT18_ili26rocblas_geam_ex_operation_
; %bb.0:
	s_load_dwordx4 s[20:23], s[0:1], 0x0
	s_load_dwordx4 s[4:7], s[0:1], 0x20
	s_waitcnt lgkmcnt(0)
	v_cmp_eq_f32_e64 s[8:9], s23, 0
	s_and_b64 vcc, exec, s[8:9]
	s_cbranch_vccnz .LBB70_3
; %bb.1:
	s_load_dwordx2 s[10:11], s[0:1], 0x10
	s_mul_i32 s5, s3, s5
	s_mul_hi_u32 s12, s3, s4
	s_add_i32 s5, s12, s5
	s_mul_i32 s4, s3, s4
	s_lshl_b64 s[4:5], s[4:5], 2
	s_waitcnt lgkmcnt(0)
	s_add_u32 s26, s10, s4
	s_addc_u32 s27, s11, s5
	s_andn2_b64 vcc, exec, s[8:9]
	s_cbranch_vccnz .LBB70_4
.LBB70_2:
	s_mov_b32 s19, 0
	s_mov_b64 s[28:29], 0
	s_cbranch_execz .LBB70_5
	s_branch .LBB70_6
.LBB70_3:
	s_mov_b64 s[26:27], 0
	s_andn2_b64 vcc, exec, s[8:9]
	s_cbranch_vccz .LBB70_2
.LBB70_4:
                                        ; implicit-def: $sgpr28_sgpr29
                                        ; implicit-def: $sgpr18_sgpr19
.LBB70_5:
	s_load_dwordx2 s[4:5], s[0:1], 0x38
	s_mov_b32 s19, 0
	s_waitcnt lgkmcnt(0)
	s_mul_i32 s5, s3, s5
	s_mul_hi_u32 s8, s3, s4
	s_add_i32 s5, s8, s5
	s_mul_i32 s4, s3, s4
	s_lshl_b64 s[4:5], s[4:5], 2
	s_add_u32 s28, s6, s4
	s_addc_u32 s29, s7, s5
.LBB70_6:
	s_load_dword s33, s[0:1], 0x40
	s_load_dwordx4 s[12:15], s[0:1], 0x58
	s_waitcnt lgkmcnt(0)
	v_cmp_eq_f32_e64 s[4:5], s33, 0
	v_cmp_neq_f32_e64 s[16:17], s33, 0
	s_and_b64 vcc, exec, s[4:5]
	s_cbranch_vccnz .LBB70_8
; %bb.7:
	s_load_dwordx2 s[4:5], s[0:1], 0x48
	s_mul_i32 s6, s3, s13
	s_mul_hi_u32 s7, s3, s12
	s_add_i32 s6, s7, s6
	s_mul_i32 s7, s19, s12
	s_add_i32 s7, s6, s7
	s_mul_i32 s6, s3, s12
	s_lshl_b64 s[6:7], s[6:7], 2
	s_waitcnt lgkmcnt(0)
	s_add_u32 s24, s4, s6
	s_addc_u32 s25, s5, s7
	s_branch .LBB70_9
.LBB70_8:
	s_mov_b64 s[24:25], 0
.LBB70_9:
	s_add_i32 s4, s20, -1
	s_ashr_i32 s5, s4, 31
	s_lshr_b32 s5, s5, 26
	s_add_i32 s4, s4, s5
	s_ashr_i32 s4, s4, 6
	s_add_i32 s5, s4, 1
	v_cvt_f32_u32_e32 v1, s5
	s_not_b32 s4, s4
	s_load_dword s30, s[0:1], 0x18
	v_and_b32_e32 v78, 0x3ff, v0
	v_rcp_iflag_f32_e32 v1, v1
	v_bfe_u32 v79, v0, 10, 10
	v_lshl_add_u32 v0, v79, 3, v78
	s_waitcnt lgkmcnt(0)
	s_ashr_i32 s31, s30, 31
	v_mul_f32_e32 v1, 0x4f7ffffe, v1
	v_cvt_u32_f32_e32 v1, v1
	v_and_b32_e32 v2, 63, v0
	v_lshrrev_b32_e32 v81, 6, v0
	v_cmp_le_i32_e64 s[10:11], s22, v81
	v_readfirstlane_b32 s6, v1
	s_mul_i32 s4, s4, s6
	s_mul_hi_u32 s4, s6, s4
	s_add_i32 s6, s6, s4
	s_mul_hi_u32 s4, s2, s6
	s_mul_i32 s6, s4, s5
	s_sub_i32 s6, s2, s6
	s_add_i32 s7, s4, 1
	s_sub_i32 s8, s6, s5
	s_cmp_ge_u32 s6, s5
	s_cselect_b32 s4, s7, s4
	s_cselect_b32 s6, s8, s6
	s_add_i32 s7, s4, 1
	s_cmp_ge_u32 s6, s5
	s_cselect_b32 s6, s7, s4
	s_mul_i32 s4, s6, s5
	s_sub_i32 s2, s2, s4
	s_lshl_b32 s2, s2, 6
	v_or_b32_e32 v56, s2, v2
	v_cmp_le_i32_e32 vcc, s20, v56
	s_or_b64 s[4:5], s[10:11], vcc
	s_xor_b64 s[8:9], s[4:5], -1
	v_mov_b32_e32 v3, 0x7f7fffff
	v_ashrrev_i32_e32 v57, 31, v56
	v_mov_b32_e32 v4, 0x7f7fffff
	s_and_saveexec_b64 s[4:5], s[8:9]
	s_cbranch_execz .LBB70_11
; %bb.10:
	v_mad_i64_i32 v[0:1], s[8:9], s30, v81, 0
	v_lshl_add_u64 v[0:1], v[0:1], 2, s[26:27]
	v_lshl_add_u64 v[0:1], v[56:57], 2, v[0:1]
	flat_load_dword v4, v[0:1]
.LBB70_11:
	s_or_b64 exec, exec, s[4:5]
	s_load_dword s34, s[0:1], 0x30
	s_lshl_b32 s18, s6, 8
	v_or_b32_e32 v58, s18, v2
	v_cmp_le_i32_e64 s[12:13], s21, v58
	v_ashrrev_i32_e32 v59, 31, v58
	s_waitcnt lgkmcnt(0)
	v_mad_i64_i32 v[0:1], s[4:5], v81, s34, 0
	s_or_b64 s[4:5], s[10:11], s[12:13]
	v_lshl_add_u64 v[0:1], v[0:1], 2, s[28:29]
	s_xor_b64 s[6:7], s[4:5], -1
	s_and_saveexec_b64 s[4:5], s[6:7]
	s_cbranch_execz .LBB70_13
; %bb.12:
	v_lshl_add_u64 v[6:7], v[58:59], 2, v[0:1]
	flat_load_dword v3, v[6:7]
.LBB70_13:
	s_or_b64 exec, exec, s[4:5]
	v_or_b32_e32 v5, 64, v58
	v_cmp_le_i32_e64 s[4:5], s21, v5
	s_or_b64 s[6:7], s[10:11], s[4:5]
	s_xor_b64 s[8:9], s[6:7], -1
	v_mov_b32_e32 v5, 0x7f7fffff
	v_mov_b32_e32 v6, 0x7f7fffff
	s_and_saveexec_b64 s[6:7], s[8:9]
	s_cbranch_execz .LBB70_15
; %bb.14:
	v_lshl_add_u64 v[6:7], v[58:59], 2, v[0:1]
	flat_load_dword v6, v[6:7] offset:256
.LBB70_15:
	s_or_b64 exec, exec, s[6:7]
	v_or_b32_e32 v7, 0x80, v58
	v_cmp_le_i32_e64 s[6:7], s21, v7
	s_or_b64 s[8:9], s[10:11], s[6:7]
	s_ashr_i32 s35, s34, 31
	s_xor_b64 s[36:37], s[8:9], -1
	s_and_saveexec_b64 s[8:9], s[36:37]
	s_cbranch_execz .LBB70_17
; %bb.16:
	v_lshl_add_u64 v[8:9], v[58:59], 2, v[0:1]
	flat_load_dword v5, v[8:9] offset:512
.LBB70_17:
	s_or_b64 exec, exec, s[8:9]
	v_or_b32_e32 v7, 0xc0, v58
	v_cmp_le_i32_e64 s[8:9], s21, v7
	s_or_b64 s[10:11], s[10:11], s[8:9]
	s_xor_b64 s[36:37], s[10:11], -1
	v_mov_b32_e32 v60, 0x7f7fffff
	v_mov_b32_e32 v7, 0x7f7fffff
	s_and_saveexec_b64 s[10:11], s[36:37]
	s_cbranch_execz .LBB70_19
; %bb.18:
	v_lshl_add_u64 v[0:1], v[58:59], 2, v[0:1]
	flat_load_dword v7, v[0:1] offset:768
.LBB70_19:
	s_or_b64 exec, exec, s[10:11]
	v_add_u32_e32 v0, 4, v81
	v_cmp_le_i32_e64 s[10:11], s22, v0
	s_or_b64 s[36:37], vcc, s[10:11]
	s_xor_b64 s[38:39], s[36:37], -1
	s_and_saveexec_b64 s[36:37], s[38:39]
	s_cbranch_execz .LBB70_21
; %bb.20:
	v_mad_i64_i32 v[8:9], s[38:39], s30, v0, 0
	v_lshl_add_u64 v[8:9], v[8:9], 2, s[26:27]
	v_lshl_add_u64 v[8:9], v[56:57], 2, v[8:9]
	flat_load_dword v60, v[8:9]
.LBB70_21:
	s_or_b64 exec, exec, s[36:37]
	v_mad_i64_i32 v[0:1], s[36:37], v0, s34, 0
	s_or_b64 s[36:37], s[12:13], s[10:11]
	v_lshl_add_u64 v[0:1], v[0:1], 2, s[28:29]
	s_xor_b64 s[38:39], s[36:37], -1
	v_mov_b32_e32 v61, 0x7f7fffff
	v_mov_b32_e32 v62, 0x7f7fffff
	s_and_saveexec_b64 s[36:37], s[38:39]
	s_cbranch_execz .LBB70_23
; %bb.22:
	v_lshl_add_u64 v[8:9], v[58:59], 2, v[0:1]
	flat_load_dword v62, v[8:9]
.LBB70_23:
	s_or_b64 exec, exec, s[36:37]
	s_or_b64 s[36:37], s[4:5], s[10:11]
	s_xor_b64 s[38:39], s[36:37], -1
	s_and_saveexec_b64 s[36:37], s[38:39]
	s_cbranch_execz .LBB70_25
; %bb.24:
	v_lshl_add_u64 v[8:9], v[58:59], 2, v[0:1]
	flat_load_dword v61, v[8:9] offset:256
.LBB70_25:
	s_or_b64 exec, exec, s[36:37]
	s_or_b64 s[36:37], s[6:7], s[10:11]
	s_xor_b64 s[38:39], s[36:37], -1
	v_mov_b32_e32 v63, 0x7f7fffff
	v_mov_b32_e32 v64, 0x7f7fffff
	s_and_saveexec_b64 s[36:37], s[38:39]
	s_cbranch_execz .LBB70_27
; %bb.26:
	v_lshl_add_u64 v[8:9], v[58:59], 2, v[0:1]
	flat_load_dword v64, v[8:9] offset:512
.LBB70_27:
	s_or_b64 exec, exec, s[36:37]
	s_or_b64 s[10:11], s[8:9], s[10:11]
	s_xor_b64 s[36:37], s[10:11], -1
	s_and_saveexec_b64 s[10:11], s[36:37]
	s_cbranch_execz .LBB70_29
; %bb.28:
	v_lshl_add_u64 v[0:1], v[58:59], 2, v[0:1]
	flat_load_dword v63, v[0:1] offset:768
.LBB70_29:
	s_or_b64 exec, exec, s[10:11]
	v_lshlrev_b32_e32 v0, 2, v81
	v_lshl_add_u32 v83, v2, 4, v0
	v_lshlrev_b32_e32 v80, 4, v78
	v_lshlrev_b32_e32 v82, 4, v79
	s_waitcnt vmcnt(0)
	ds_write_b32 v83, v4 offset:8192
	s_waitcnt lgkmcnt(0)
	ds_write2st64_b32 v83, v3, v6 offset1:4
	ds_write2st64_b32 v83, v5, v7 offset0:8 offset1:12
	s_waitcnt lgkmcnt(0)
	s_barrier
	ds_read_b128 v[12:15], v80 offset:8192
	ds_read_b128 v[20:23], v80 offset:8320
	ds_read_b128 v[24:27], v80 offset:8448
	ds_read_b128 v[28:31], v80 offset:8576
	ds_read_b128 v[16:19], v80 offset:8704
	ds_read_b128 v[8:11], v80 offset:8832
	ds_read_b128 v[4:7], v80 offset:8960
	ds_read_b128 v[0:3], v80 offset:9088
	ds_read_b128 v[52:55], v82
	ds_read_b128 v[48:51], v82 offset:512
	ds_read_b128 v[44:47], v82 offset:1024
	;; [unrolled: 1-line block ×5, first 2 shown]
	s_waitcnt lgkmcnt(5)
	v_pk_add_f32 v[66:67], v[12:13], v[52:53]
	s_mov_b32 s10, 0x7f7fffff
	v_min3_f32 v65, v66, v67, s10
	v_pk_add_f32 v[66:67], v[20:21], v[52:53]
	s_cmp_lt_i32 s22, 9
	v_min3_f32 v68, v66, v67, s10
	v_pk_add_f32 v[66:67], v[24:25], v[52:53]
	s_nop 0
	v_min3_f32 v69, v66, v67, s10
	v_pk_add_f32 v[66:67], v[28:29], v[52:53]
	s_nop 0
	v_min3_f32 v70, v66, v67, s10
	v_pk_add_f32 v[66:67], v[16:17], v[52:53]
	s_nop 0
	v_min3_f32 v71, v66, v67, s10
	v_pk_add_f32 v[66:67], v[8:9], v[52:53]
	s_nop 0
	v_min3_f32 v72, v66, v67, s10
	v_pk_add_f32 v[66:67], v[4:5], v[52:53]
	v_pk_add_f32 v[52:53], v[0:1], v[52:53]
	v_min3_f32 v66, v66, v67, s10
	v_min3_f32 v67, v52, v53, s10
	s_waitcnt lgkmcnt(4)
	v_pk_add_f32 v[52:53], v[12:13], v[48:49]
	s_nop 0
	v_min3_f32 v73, v52, v53, s10
	v_pk_add_f32 v[52:53], v[20:21], v[48:49]
	s_nop 0
	v_min3_f32 v74, v52, v53, s10
	v_pk_add_f32 v[52:53], v[24:25], v[48:49]
	s_nop 0
	v_min3_f32 v75, v52, v53, s10
	v_pk_add_f32 v[52:53], v[28:29], v[48:49]
	s_nop 0
	v_min3_f32 v76, v52, v53, s10
	v_pk_add_f32 v[52:53], v[16:17], v[48:49]
	s_nop 0
	v_min3_f32 v77, v52, v53, s10
	v_pk_add_f32 v[52:53], v[8:9], v[48:49]
	s_nop 0
	v_min3_f32 v84, v52, v53, s10
	v_pk_add_f32 v[52:53], v[4:5], v[48:49]
	v_pk_add_f32 v[48:49], v[0:1], v[48:49]
	v_min3_f32 v85, v52, v53, s10
	v_min3_f32 v86, v48, v49, s10
	s_waitcnt lgkmcnt(3)
	v_pk_add_f32 v[48:49], v[12:13], v[44:45]
	s_nop 0
	v_min3_f32 v87, v48, v49, s10
	v_pk_add_f32 v[48:49], v[20:21], v[44:45]
	s_nop 0
	;; [unrolled: 23-line block ×5, first 2 shown]
	v_min3_f32 v106, v36, v37, s10
	v_pk_add_f32 v[36:37], v[24:25], v[32:33]
	s_nop 0
	v_min3_f32 v124, v36, v37, s10
	v_pk_add_f32 v[36:37], v[28:29], v[32:33]
	s_nop 0
	v_min3_f32 v149, v36, v37, s10
	v_pk_add_f32 v[36:37], v[16:17], v[32:33]
	s_nop 0
	v_min3_f32 v150, v36, v37, s10
	v_pk_add_f32 v[36:37], v[8:9], v[32:33]
	s_nop 0
	v_min3_f32 v151, v36, v37, s10
	v_pk_add_f32 v[36:37], v[4:5], v[32:33]
	v_pk_add_f32 v[32:33], v[0:1], v[32:33]
	v_min3_f32 v152, v36, v37, s10
	v_min3_f32 v153, v32, v33, s10
	v_pk_add_f32 v[32:33], v[14:15], v[54:55]
	s_nop 0
	v_min3_f32 v148, v32, v33, v65
	v_pk_add_f32 v[32:33], v[22:23], v[54:55]
	s_nop 0
	;; [unrolled: 3-line block ×7, first 2 shown]
	v_min3_f32 v142, v32, v33, v66
	v_pk_add_f32 v[32:33], v[2:3], v[54:55]
	ds_read_b128 v[52:55], v82 offset:3072
	v_min3_f32 v141, v32, v33, v67
	ds_read_b128 v[66:69], v82 offset:3584
	v_pk_add_f32 v[32:33], v[14:15], v[50:51]
	ds_write_b32 v83, v60 offset:9216
	ds_write2st64_b32 v83, v62, v61 offset0:16 offset1:20
	ds_write2st64_b32 v83, v64, v63 offset0:24 offset1:28
	v_min3_f32 v140, v32, v33, v73
	v_pk_add_f32 v[32:33], v[22:23], v[50:51]
	s_waitcnt lgkmcnt(4)
	v_pk_add_f32 v[36:37], v[24:25], v[52:53]
	v_min3_f32 v139, v32, v33, v74
	v_pk_add_f32 v[32:33], v[26:27], v[50:51]
	s_waitcnt lgkmcnt(0)
	v_min3_f32 v138, v32, v33, v75
	v_pk_add_f32 v[32:33], v[30:31], v[50:51]
	s_barrier
	v_min3_f32 v137, v32, v33, v76
	v_pk_add_f32 v[32:33], v[18:19], v[50:51]
	s_nop 0
	v_min3_f32 v136, v32, v33, v77
	v_pk_add_f32 v[32:33], v[10:11], v[50:51]
	s_nop 0
	v_min3_f32 v134, v32, v33, v84
	v_pk_add_f32 v[32:33], v[6:7], v[50:51]
	s_nop 0
	v_min3_f32 v132, v32, v33, v85
	v_pk_add_f32 v[32:33], v[12:13], v[52:53]
	v_pk_add_f32 v[12:13], v[12:13], v[66:67]
	v_min3_f32 v65, v32, v33, s10
	v_pk_add_f32 v[32:33], v[20:21], v[52:53]
	s_nop 0
	v_min3_f32 v70, v32, v33, s10
	v_pk_add_f32 v[32:33], v[2:3], v[50:51]
	v_min3_f32 v50, v36, v37, s10
	v_min3_f32 v135, v32, v33, v86
	v_pk_add_f32 v[32:33], v[14:15], v[46:47]
	v_pk_add_f32 v[36:37], v[28:29], v[52:53]
	v_min3_f32 v133, v32, v33, v87
	v_pk_add_f32 v[32:33], v[22:23], v[46:47]
	v_min3_f32 v51, v36, v37, s10
	v_min3_f32 v131, v32, v33, v88
	v_pk_add_f32 v[32:33], v[26:27], v[46:47]
	v_pk_add_f32 v[36:37], v[4:5], v[52:53]
	v_min3_f32 v130, v32, v33, v89
	v_pk_add_f32 v[32:33], v[30:31], v[46:47]
	v_pk_add_f32 v[4:5], v[4:5], v[66:67]
	v_min3_f32 v129, v32, v33, v90
	v_pk_add_f32 v[32:33], v[18:19], v[46:47]
	v_min3_f32 v4, v4, v5, s10
	v_min3_f32 v128, v32, v33, v91
	v_pk_add_f32 v[32:33], v[10:11], v[46:47]
	s_nop 0
	v_min3_f32 v127, v32, v33, v92
	v_pk_add_f32 v[32:33], v[6:7], v[46:47]
	s_nop 0
	;; [unrolled: 3-line block ×3, first 2 shown]
	v_min3_f32 v48, v32, v33, s10
	v_pk_add_f32 v[32:33], v[8:9], v[52:53]
	v_pk_add_f32 v[8:9], v[8:9], v[66:67]
	v_min3_f32 v71, v32, v33, s10
	v_pk_add_f32 v[32:33], v[2:3], v[46:47]
	v_min3_f32 v46, v36, v37, s10
	v_min3_f32 v125, v32, v33, v49
	v_pk_add_f32 v[32:33], v[14:15], v[42:43]
	v_pk_add_f32 v[36:37], v[0:1], v[52:53]
	v_min3_f32 v123, v32, v33, v93
	v_pk_add_f32 v[32:33], v[22:23], v[42:43]
	v_pk_add_f32 v[0:1], v[0:1], v[66:67]
	v_min3_f32 v122, v32, v33, v94
	v_pk_add_f32 v[32:33], v[26:27], v[42:43]
	v_min3_f32 v5, v0, v1, s10
	v_min3_f32 v121, v32, v33, v95
	v_pk_add_f32 v[32:33], v[30:31], v[42:43]
	v_pk_add_f32 v[0:1], v[14:15], v[54:55]
	v_min3_f32 v120, v32, v33, v96
	v_pk_add_f32 v[32:33], v[18:19], v[42:43]
	v_min3_f32 v36, v36, v37, s10
	v_min3_f32 v119, v32, v33, v97
	v_pk_add_f32 v[32:33], v[10:11], v[42:43]
	s_nop 0
	v_min3_f32 v118, v32, v33, v98
	v_pk_add_f32 v[32:33], v[6:7], v[42:43]
	s_nop 0
	v_min3_f32 v117, v32, v33, v44
	v_pk_add_f32 v[32:33], v[2:3], v[42:43]
	s_nop 0
	v_min3_f32 v116, v32, v33, v45
	v_pk_add_f32 v[32:33], v[14:15], v[38:39]
	s_nop 0
	v_min3_f32 v115, v32, v33, v99
	v_pk_add_f32 v[32:33], v[22:23], v[38:39]
	v_min3_f32 v99, v0, v1, v65
	v_min3_f32 v114, v32, v33, v100
	v_pk_add_f32 v[32:33], v[26:27], v[38:39]
	v_pk_add_f32 v[0:1], v[22:23], v[54:55]
	v_min3_f32 v113, v32, v33, v101
	v_pk_add_f32 v[32:33], v[30:31], v[38:39]
	v_min3_f32 v98, v0, v1, v70
	v_min3_f32 v112, v32, v33, v102
	v_pk_add_f32 v[32:33], v[18:19], v[38:39]
	v_pk_add_f32 v[0:1], v[26:27], v[54:55]
	v_min3_f32 v111, v32, v33, v103
	v_pk_add_f32 v[32:33], v[10:11], v[38:39]
	v_min3_f32 v97, v0, v1, v50
	v_min3_f32 v110, v32, v33, v104
	v_pk_add_f32 v[32:33], v[6:7], v[38:39]
	v_pk_add_f32 v[0:1], v[30:31], v[54:55]
	v_min3_f32 v109, v32, v33, v40
	v_min3_f32 v32, v12, v13, s10
	v_pk_add_f32 v[12:13], v[20:21], v[66:67]
	v_min3_f32 v96, v0, v1, v51
	v_min3_f32 v33, v12, v13, s10
	v_pk_add_f32 v[12:13], v[2:3], v[38:39]
	v_pk_add_f32 v[0:1], v[18:19], v[54:55]
	v_min3_f32 v108, v12, v13, v41
	v_pk_add_f32 v[12:13], v[14:15], v[34:35]
	v_min3_f32 v95, v0, v1, v48
	v_min3_f32 v107, v12, v13, v105
	v_pk_add_f32 v[12:13], v[22:23], v[34:35]
	v_pk_add_f32 v[0:1], v[10:11], v[54:55]
	v_min3_f32 v106, v12, v13, v106
	v_pk_add_f32 v[12:13], v[26:27], v[34:35]
	v_min3_f32 v94, v0, v1, v71
	;; [unrolled: 2-line block ×6, first 2 shown]
	v_pk_add_f32 v[0:1], v[14:15], v[68:69]
	v_pk_add_f32 v[20:21], v[24:25], v[66:67]
	v_min3_f32 v103, v12, v13, v150
	v_pk_add_f32 v[12:13], v[10:11], v[34:35]
	v_min3_f32 v91, v0, v1, v32
	;; [unrolled: 2-line block ×6, first 2 shown]
	v_min3_f32 v101, v12, v13, v152
	v_pk_add_f32 v[12:13], v[16:17], v[66:67]
	v_min3_f32 v89, v0, v1, v24
	v_pk_add_f32 v[0:1], v[30:31], v[68:69]
	v_min3_f32 v12, v12, v13, s10
	v_min3_f32 v87, v0, v1, v20
	v_pk_add_f32 v[0:1], v[18:19], v[68:69]
	v_min3_f32 v13, v8, v9, s10
	v_min3_f32 v86, v0, v1, v12
	v_pk_add_f32 v[0:1], v[10:11], v[68:69]
	v_pk_add_f32 v[8:9], v[2:3], v[34:35]
	v_min3_f32 v85, v0, v1, v13
	v_pk_add_f32 v[0:1], v[6:7], v[68:69]
	v_min3_f32 v100, v8, v9, v153
	v_min3_f32 v84, v0, v1, v4
	v_pk_add_f32 v[0:1], v[2:3], v[68:69]
	s_nop 0
	v_min3_f32 v88, v0, v1, v5
	s_cbranch_scc1 .LBB70_52
; %bb.30:
	v_mov_b32_e32 v0, 0x2400
	v_lshl_add_u32 v152, v78, 4, v0
	v_mov_b32_e32 v0, 0x1000
	v_add_u32_e32 v2, 8, v81
	v_lshl_add_u32 v153, v79, 4, v0
	v_mad_i64_i32 v[0:1], s[10:11], v2, s30, 0
	v_lshlrev_b64 v[66:67], 2, v[0:1]
	v_mad_i64_i32 v[0:1], s[10:11], v2, s34, 0
	v_add_u32_e32 v2, 12, v81
	v_lshlrev_b64 v[68:69], 2, v[0:1]
	v_mad_i64_i32 v[0:1], s[10:11], v2, s34, 0
	v_lshlrev_b64 v[72:73], 2, v[0:1]
	v_mad_i64_i32 v[0:1], s[10:11], v2, s30, 0
	v_or_b32_e32 v124, 0x2000, v83
	v_add_u32_e32 v149, 0x2000, v80
	v_add_u32_e32 v150, 0x2400, v83
	v_or_b32_e32 v151, 0x1000, v83
	s_add_i32 s23, s22, -8
	v_lshl_add_u64 v[64:65], v[56:57], 2, s[26:27]
	s_lshl_b64 s[26:27], s[30:31], 5
	v_lshl_add_u64 v[70:71], v[58:59], 2, s[28:29]
	s_lshl_b64 s[28:29], s[34:35], 5
	v_lshlrev_b64 v[74:75], 2, v[0:1]
	s_mov_b32 s34, 0
	s_branch .LBB70_32
.LBB70_31:                              ;   in Loop: Header=BB70_32 Depth=1
	s_or_b64 exec, exec, s[10:11]
	ds_read_b128 v[0:3], v149
	ds_read_b128 v[4:7], v149 offset:128
	ds_read_b128 v[8:11], v149 offset:256
	;; [unrolled: 1-line block ×7, first 2 shown]
	ds_read_b128 v[120:123], v82
	ds_read_b128 v[126:129], v82 offset:512
	ds_read_b128 v[160:163], v82 offset:1024
	;; [unrolled: 1-line block ×7, first 2 shown]
	s_waitcnt lgkmcnt(0)
	v_pk_add_f32 v[76:77], v[0:1], v[120:121]
	s_add_i32 s34, s34, 8
	v_min3_f32 v125, v76, v77, v36
	v_pk_add_f32 v[76:77], v[4:5], v[120:121]
	v_lshl_add_u64 v[64:65], v[64:65], 0, s[26:27]
	v_min3_f32 v76, v76, v77, v37
	v_pk_add_f32 v[36:37], v[8:9], v[120:121]
	s_cmp_ge_i32 s34, s23
	v_min3_f32 v40, v36, v37, v40
	v_pk_add_f32 v[36:37], v[12:13], v[120:121]
	v_lshl_add_u64 v[70:71], v[70:71], 0, s[28:29]
	v_min3_f32 v41, v36, v37, v41
	v_pk_add_f32 v[36:37], v[16:17], v[120:121]
	s_waitcnt vmcnt(0)
	ds_write_b32 v150, v154
	ds_write2st64_b32 v151, v156, v155 offset1:4
	ds_write2st64_b32 v151, v158, v157 offset0:8 offset1:12
	v_min3_f32 v44, v36, v37, v44
	v_pk_add_f32 v[36:37], v[20:21], v[120:121]
	s_waitcnt lgkmcnt(0)
	v_min3_f32 v45, v36, v37, v45
	v_pk_add_f32 v[36:37], v[24:25], v[120:121]
	s_barrier
	v_min3_f32 v48, v36, v37, v48
	v_pk_add_f32 v[36:37], v[28:29], v[120:121]
	s_nop 0
	v_min3_f32 v49, v36, v37, v49
	v_pk_add_f32 v[36:37], v[0:1], v[126:127]
	s_nop 0
	;; [unrolled: 3-line block ×41, first 2 shown]
	v_min3_f32 v42, v36, v37, v42
	v_pk_add_f32 v[36:37], v[0:1], v[176:177]
	v_pk_add_f32 v[0:1], v[0:1], v[32:33]
	v_min3_f32 v43, v36, v37, v43
	v_pk_add_f32 v[36:37], v[4:5], v[176:177]
	s_nop 0
	v_min3_f32 v161, v36, v37, v107
	v_pk_add_f32 v[36:37], v[8:9], v[176:177]
	s_nop 0
	;; [unrolled: 3-line block ×7, first 2 shown]
	v_min3_f32 v36, v36, v37, v38
	v_min3_f32 v37, v0, v1, v39
	v_pk_add_f32 v[0:1], v[4:5], v[32:33]
	s_nop 0
	v_min3_f32 v4, v0, v1, v113
	v_pk_add_f32 v[0:1], v[8:9], v[32:33]
	s_nop 0
	;; [unrolled: 3-line block ×71, first 2 shown]
	v_min3_f32 v88, v0, v1, v16
	s_cbranch_scc1 .LBB70_52
.LBB70_32:                              ; =>This Inner Loop Header: Depth=1
	v_add_u32_e32 v76, s34, v81
	v_add_u32_e32 v0, 8, v76
	v_cmp_le_i32_e64 s[10:11], s22, v0
	s_or_b64 s[30:31], vcc, s[10:11]
	s_xor_b64 s[36:37], s[30:31], -1
	v_mov_b32_e32 v77, 0x7f7fffff
	v_mov_b32_e32 v155, 0x7f7fffff
	s_and_saveexec_b64 s[30:31], s[36:37]
	s_cbranch_execz .LBB70_34
; %bb.33:                               ;   in Loop: Header=BB70_32 Depth=1
	v_lshl_add_u64 v[0:1], v[64:65], 0, v[66:67]
	flat_load_dword v155, v[0:1]
.LBB70_34:                              ;   in Loop: Header=BB70_32 Depth=1
	s_or_b64 exec, exec, s[30:31]
	s_or_b64 s[30:31], s[12:13], s[10:11]
	s_xor_b64 s[36:37], s[30:31], -1
	v_lshl_add_u64 v[0:1], v[70:71], 0, v[68:69]
	s_and_saveexec_b64 s[30:31], s[36:37]
	s_cbranch_execz .LBB70_36
; %bb.35:                               ;   in Loop: Header=BB70_32 Depth=1
	flat_load_dword v77, v[0:1]
.LBB70_36:                              ;   in Loop: Header=BB70_32 Depth=1
	s_or_b64 exec, exec, s[30:31]
	s_or_b64 s[30:31], s[4:5], s[10:11]
	s_xor_b64 s[36:37], s[30:31], -1
	v_mov_b32_e32 v156, 0x7f7fffff
	v_mov_b32_e32 v157, 0x7f7fffff
	s_and_saveexec_b64 s[30:31], s[36:37]
	s_cbranch_execz .LBB70_38
; %bb.37:                               ;   in Loop: Header=BB70_32 Depth=1
	flat_load_dword v157, v[0:1] offset:256
.LBB70_38:                              ;   in Loop: Header=BB70_32 Depth=1
	s_or_b64 exec, exec, s[30:31]
	s_or_b64 s[30:31], s[6:7], s[10:11]
	s_xor_b64 s[36:37], s[30:31], -1
	s_and_saveexec_b64 s[30:31], s[36:37]
	s_cbranch_execz .LBB70_40
; %bb.39:                               ;   in Loop: Header=BB70_32 Depth=1
	flat_load_dword v156, v[0:1] offset:512
.LBB70_40:                              ;   in Loop: Header=BB70_32 Depth=1
	s_or_b64 exec, exec, s[30:31]
	s_or_b64 s[10:11], s[8:9], s[10:11]
	s_xor_b64 s[30:31], s[10:11], -1
	v_mov_b32_e32 v154, 0x7f7fffff
	v_mov_b32_e32 v158, 0x7f7fffff
	s_and_saveexec_b64 s[10:11], s[30:31]
	s_cbranch_execz .LBB70_42
; %bb.41:                               ;   in Loop: Header=BB70_32 Depth=1
	flat_load_dword v158, v[0:1] offset:768
.LBB70_42:                              ;   in Loop: Header=BB70_32 Depth=1
	s_or_b64 exec, exec, s[10:11]
	ds_read_b128 v[28:31], v152
	ds_read_b128 v[24:27], v152 offset:128
	ds_read_b128 v[20:23], v152 offset:256
	;; [unrolled: 1-line block ×7, first 2 shown]
	ds_read_b128 v[60:63], v153
	ds_read_b128 v[56:59], v153 offset:512
	ds_read_b128 v[52:55], v153 offset:1024
	;; [unrolled: 1-line block ×7, first 2 shown]
	v_add_u32_e32 v76, 12, v76
	v_cmp_le_i32_e64 s[10:11], s22, v76
	s_or_b64 s[30:31], vcc, s[10:11]
	s_xor_b64 s[36:37], s[30:31], -1
	s_waitcnt vmcnt(0) lgkmcnt(0)
	ds_write_b32 v124, v155
	ds_write2st64_b32 v83, v77, v157 offset1:4
	ds_write2st64_b32 v83, v156, v158 offset0:8 offset1:12
	s_waitcnt lgkmcnt(0)
	s_barrier
	s_and_saveexec_b64 s[30:31], s[36:37]
	s_cbranch_execz .LBB70_44
; %bb.43:                               ;   in Loop: Header=BB70_32 Depth=1
	v_lshl_add_u64 v[76:77], v[64:65], 0, v[74:75]
	flat_load_dword v154, v[76:77]
.LBB70_44:                              ;   in Loop: Header=BB70_32 Depth=1
	s_or_b64 exec, exec, s[30:31]
	s_or_b64 s[30:31], s[12:13], s[10:11]
	s_xor_b64 s[36:37], s[30:31], -1
	v_mov_b32_e32 v155, 0x7f7fffff
	v_lshl_add_u64 v[76:77], v[70:71], 0, v[72:73]
	v_mov_b32_e32 v156, 0x7f7fffff
	s_and_saveexec_b64 s[30:31], s[36:37]
	s_cbranch_execz .LBB70_46
; %bb.45:                               ;   in Loop: Header=BB70_32 Depth=1
	flat_load_dword v156, v[76:77]
.LBB70_46:                              ;   in Loop: Header=BB70_32 Depth=1
	s_or_b64 exec, exec, s[30:31]
	s_or_b64 s[30:31], s[4:5], s[10:11]
	s_xor_b64 s[36:37], s[30:31], -1
	s_and_saveexec_b64 s[30:31], s[36:37]
	s_cbranch_execz .LBB70_48
; %bb.47:                               ;   in Loop: Header=BB70_32 Depth=1
	flat_load_dword v155, v[76:77] offset:256
.LBB70_48:                              ;   in Loop: Header=BB70_32 Depth=1
	s_or_b64 exec, exec, s[30:31]
	s_or_b64 s[30:31], s[6:7], s[10:11]
	s_xor_b64 s[36:37], s[30:31], -1
	v_mov_b32_e32 v157, 0x7f7fffff
	v_mov_b32_e32 v158, 0x7f7fffff
	s_and_saveexec_b64 s[30:31], s[36:37]
	s_cbranch_execz .LBB70_50
; %bb.49:                               ;   in Loop: Header=BB70_32 Depth=1
	flat_load_dword v158, v[76:77] offset:512
.LBB70_50:                              ;   in Loop: Header=BB70_32 Depth=1
	s_or_b64 exec, exec, s[30:31]
	v_pk_add_f32 v[160:161], v[28:29], v[60:61]
	s_or_b64 s[10:11], s[8:9], s[10:11]
	v_min3_f32 v148, v160, v161, v148
	v_pk_add_f32 v[160:161], v[24:25], v[60:61]
	s_xor_b64 s[30:31], s[10:11], -1
	v_min3_f32 v159, v160, v161, v147
	v_pk_add_f32 v[160:161], v[20:21], v[60:61]
	s_nop 0
	v_min3_f32 v160, v160, v161, v146
	v_pk_add_f32 v[146:147], v[16:17], v[60:61]
	s_nop 0
	v_min3_f32 v161, v146, v147, v145
	v_pk_add_f32 v[146:147], v[12:13], v[60:61]
	s_nop 0
	v_min3_f32 v146, v146, v147, v144
	v_pk_add_f32 v[144:145], v[8:9], v[60:61]
	s_nop 0
	v_min3_f32 v143, v144, v145, v143
	v_pk_add_f32 v[144:145], v[4:5], v[60:61]
	v_pk_add_f32 v[60:61], v[0:1], v[60:61]
	v_min3_f32 v142, v144, v145, v142
	v_min3_f32 v141, v60, v61, v141
	v_pk_add_f32 v[60:61], v[28:29], v[56:57]
	s_nop 0
	v_min3_f32 v140, v60, v61, v140
	v_pk_add_f32 v[60:61], v[24:25], v[56:57]
	s_nop 0
	v_min3_f32 v139, v60, v61, v139
	v_pk_add_f32 v[60:61], v[20:21], v[56:57]
	s_nop 0
	v_min3_f32 v138, v60, v61, v138
	v_pk_add_f32 v[60:61], v[16:17], v[56:57]
	s_nop 0
	v_min3_f32 v137, v60, v61, v137
	v_pk_add_f32 v[60:61], v[12:13], v[56:57]
	s_nop 0
	v_min3_f32 v136, v60, v61, v136
	v_pk_add_f32 v[60:61], v[8:9], v[56:57]
	s_nop 0
	v_min3_f32 v134, v60, v61, v134
	v_pk_add_f32 v[60:61], v[4:5], v[56:57]
	v_pk_add_f32 v[56:57], v[0:1], v[56:57]
	v_min3_f32 v132, v60, v61, v132
	v_min3_f32 v135, v56, v57, v135
	v_pk_add_f32 v[56:57], v[28:29], v[52:53]
	s_nop 0
	v_min3_f32 v133, v56, v57, v133
	v_pk_add_f32 v[56:57], v[24:25], v[52:53]
	s_nop 0
	;; [unrolled: 22-line block ×5, first 2 shown]
	v_min3_f32 v106, v44, v45, v106
	v_pk_add_f32 v[44:45], v[20:21], v[40:41]
	s_nop 0
	v_min3_f32 v105, v44, v45, v105
	v_pk_add_f32 v[44:45], v[16:17], v[40:41]
	s_nop 0
	;; [unrolled: 3-line block ×4, first 2 shown]
	v_min3_f32 v145, v44, v45, v102
	v_pk_add_f32 v[44:45], v[4:5], v[40:41]
	v_pk_add_f32 v[40:41], v[0:1], v[40:41]
	v_min3_f32 v147, v44, v45, v101
	v_min3_f32 v162, v40, v41, v100
	v_pk_add_f32 v[40:41], v[28:29], v[36:37]
	v_pk_add_f32 v[28:29], v[28:29], v[32:33]
	v_min3_f32 v163, v40, v41, v99
	v_pk_add_f32 v[40:41], v[24:25], v[36:37]
	v_pk_add_f32 v[24:25], v[24:25], v[32:33]
	;; [unrolled: 3-line block ×7, first 2 shown]
	v_pk_add_f32 v[4:5], v[4:5], v[32:33]
	v_pk_add_f32 v[0:1], v[0:1], v[32:33]
	v_min3_f32 v4, v4, v5, v84
	v_min3_f32 v5, v0, v1, v88
	v_pk_add_f32 v[0:1], v[30:31], v[62:63]
	v_min3_f32 v170, v36, v37, v92
	v_min3_f32 v36, v0, v1, v148
	;; [unrolled: 3-line block ×9, first 2 shown]
	v_pk_add_f32 v[0:1], v[30:31], v[58:59]
	s_nop 0
	v_min3_f32 v52, v0, v1, v140
	v_pk_add_f32 v[0:1], v[26:27], v[58:59]
	s_nop 0
	v_min3_f32 v53, v0, v1, v139
	v_pk_add_f32 v[0:1], v[22:23], v[58:59]
	s_nop 0
	v_min3_f32 v56, v0, v1, v138
	v_pk_add_f32 v[0:1], v[18:19], v[58:59]
	s_nop 0
	v_min3_f32 v57, v0, v1, v137
	v_pk_add_f32 v[0:1], v[14:15], v[58:59]
	s_nop 0
	v_min3_f32 v60, v0, v1, v136
	v_pk_add_f32 v[0:1], v[10:11], v[58:59]
	s_nop 0
	v_min3_f32 v61, v0, v1, v134
	v_pk_add_f32 v[0:1], v[6:7], v[58:59]
	s_nop 0
	v_min3_f32 v62, v0, v1, v132
	v_pk_add_f32 v[0:1], v[2:3], v[58:59]
	s_nop 0
	v_min3_f32 v58, v0, v1, v135
	v_pk_add_f32 v[0:1], v[30:31], v[54:55]
	s_nop 0
	v_min3_f32 v59, v0, v1, v133
	v_pk_add_f32 v[0:1], v[26:27], v[54:55]
	s_nop 0
	v_min3_f32 v63, v0, v1, v131
	v_pk_add_f32 v[0:1], v[22:23], v[54:55]
	s_nop 0
	v_min3_f32 v84, v0, v1, v130
	v_pk_add_f32 v[0:1], v[18:19], v[54:55]
	s_nop 0
	v_min3_f32 v85, v0, v1, v129
	v_pk_add_f32 v[0:1], v[14:15], v[54:55]
	s_nop 0
	v_min3_f32 v86, v0, v1, v128
	v_pk_add_f32 v[0:1], v[10:11], v[54:55]
	s_nop 0
	v_min3_f32 v87, v0, v1, v127
	v_pk_add_f32 v[0:1], v[6:7], v[54:55]
	s_nop 0
	v_min3_f32 v88, v0, v1, v126
	v_pk_add_f32 v[0:1], v[2:3], v[54:55]
	s_nop 0
	v_min3_f32 v54, v0, v1, v125
	v_pk_add_f32 v[0:1], v[30:31], v[50:51]
	s_nop 0
	v_min3_f32 v55, v0, v1, v123
	v_pk_add_f32 v[0:1], v[26:27], v[50:51]
	s_nop 0
	v_min3_f32 v89, v0, v1, v122
	v_pk_add_f32 v[0:1], v[22:23], v[50:51]
	s_nop 0
	v_min3_f32 v90, v0, v1, v121
	v_pk_add_f32 v[0:1], v[18:19], v[50:51]
	s_nop 0
	v_min3_f32 v91, v0, v1, v120
	v_pk_add_f32 v[0:1], v[14:15], v[50:51]
	s_nop 0
	v_min3_f32 v92, v0, v1, v119
	v_pk_add_f32 v[0:1], v[10:11], v[50:51]
	s_nop 0
	v_min3_f32 v93, v0, v1, v118
	v_pk_add_f32 v[0:1], v[6:7], v[50:51]
	s_nop 0
	v_min3_f32 v94, v0, v1, v117
	v_pk_add_f32 v[0:1], v[2:3], v[50:51]
	s_nop 0
	v_min3_f32 v50, v0, v1, v116
	v_pk_add_f32 v[0:1], v[30:31], v[46:47]
	s_nop 0
	v_min3_f32 v51, v0, v1, v115
	v_pk_add_f32 v[0:1], v[26:27], v[46:47]
	s_nop 0
	v_min3_f32 v95, v0, v1, v114
	v_pk_add_f32 v[0:1], v[22:23], v[46:47]
	s_nop 0
	v_min3_f32 v96, v0, v1, v113
	v_pk_add_f32 v[0:1], v[18:19], v[46:47]
	s_nop 0
	v_min3_f32 v97, v0, v1, v112
	v_pk_add_f32 v[0:1], v[14:15], v[46:47]
	s_nop 0
	v_min3_f32 v98, v0, v1, v111
	v_pk_add_f32 v[0:1], v[10:11], v[46:47]
	s_nop 0
	v_min3_f32 v99, v0, v1, v110
	v_pk_add_f32 v[0:1], v[6:7], v[46:47]
	s_nop 0
	v_min3_f32 v100, v0, v1, v109
	v_pk_add_f32 v[0:1], v[2:3], v[46:47]
	s_nop 0
	v_min3_f32 v46, v0, v1, v108
	v_pk_add_f32 v[0:1], v[30:31], v[42:43]
	s_nop 0
	v_min3_f32 v47, v0, v1, v107
	v_pk_add_f32 v[0:1], v[26:27], v[42:43]
	s_nop 0
	v_min3_f32 v101, v0, v1, v106
	v_pk_add_f32 v[0:1], v[22:23], v[42:43]
	s_nop 0
	v_min3_f32 v102, v0, v1, v105
	v_pk_add_f32 v[0:1], v[18:19], v[42:43]
	s_nop 0
	v_min3_f32 v103, v0, v1, v104
	v_pk_add_f32 v[0:1], v[14:15], v[42:43]
	s_nop 0
	v_min3_f32 v104, v0, v1, v144
	v_pk_add_f32 v[0:1], v[10:11], v[42:43]
	s_nop 0
	v_min3_f32 v105, v0, v1, v145
	v_pk_add_f32 v[0:1], v[6:7], v[42:43]
	s_nop 0
	v_min3_f32 v106, v0, v1, v147
	v_pk_add_f32 v[0:1], v[2:3], v[42:43]
	s_nop 0
	v_min3_f32 v42, v0, v1, v162
	v_pk_add_f32 v[0:1], v[30:31], v[38:39]
	s_nop 0
	v_min3_f32 v43, v0, v1, v163
	v_pk_add_f32 v[0:1], v[26:27], v[38:39]
	s_nop 0
	v_min3_f32 v107, v0, v1, v164
	v_pk_add_f32 v[0:1], v[22:23], v[38:39]
	s_nop 0
	v_min3_f32 v108, v0, v1, v165
	v_pk_add_f32 v[0:1], v[18:19], v[38:39]
	s_nop 0
	v_min3_f32 v109, v0, v1, v166
	v_pk_add_f32 v[0:1], v[14:15], v[38:39]
	s_nop 0
	v_min3_f32 v110, v0, v1, v167
	v_pk_add_f32 v[0:1], v[10:11], v[38:39]
	s_nop 0
	v_min3_f32 v111, v0, v1, v168
	v_pk_add_f32 v[0:1], v[6:7], v[38:39]
	s_nop 0
	v_min3_f32 v112, v0, v1, v169
	v_pk_add_f32 v[0:1], v[2:3], v[38:39]
	s_nop 0
	v_min3_f32 v38, v0, v1, v170
	v_pk_add_f32 v[0:1], v[30:31], v[34:35]
	s_nop 0
	v_min3_f32 v39, v0, v1, v28
	v_pk_add_f32 v[0:1], v[26:27], v[34:35]
	s_nop 0
	v_min3_f32 v113, v0, v1, v24
	v_pk_add_f32 v[0:1], v[22:23], v[34:35]
	s_nop 0
	v_min3_f32 v114, v0, v1, v20
	v_pk_add_f32 v[0:1], v[18:19], v[34:35]
	s_nop 0
	v_min3_f32 v115, v0, v1, v16
	v_pk_add_f32 v[0:1], v[14:15], v[34:35]
	s_nop 0
	v_min3_f32 v116, v0, v1, v12
	v_pk_add_f32 v[0:1], v[10:11], v[34:35]
	s_nop 0
	v_min3_f32 v117, v0, v1, v8
	v_pk_add_f32 v[0:1], v[6:7], v[34:35]
	s_nop 0
	v_min3_f32 v118, v0, v1, v4
	v_pk_add_f32 v[0:1], v[2:3], v[34:35]
	s_nop 0
	v_min3_f32 v119, v0, v1, v5
	s_and_saveexec_b64 s[10:11], s[30:31]
	s_cbranch_execz .LBB70_31
; %bb.51:                               ;   in Loop: Header=BB70_32 Depth=1
	flat_load_dword v157, v[76:77] offset:768
	s_branch .LBB70_31
.LBB70_52:
	s_load_dwordx2 s[4:5], s[0:1], 0x70
	s_load_dword s29, s[0:1], 0x50
	s_load_dword s28, s[0:1], 0x68
	ds_read_b128 v[32:35], v80 offset:9216
	ds_read_b128 v[28:31], v80 offset:9344
	;; [unrolled: 1-line block ×16, first 2 shown]
	v_add_u32_e32 v124, s18, v79
	s_waitcnt lgkmcnt(0)
	s_mul_i32 s0, s3, s5
	s_mul_hi_u32 s1, s3, s4
	s_mul_i32 s5, s19, s4
	s_add_i32 s0, s1, s0
	s_add_i32 s1, s0, s5
	s_mul_i32 s0, s3, s4
	s_lshl_b64 s[0:1], s[0:1], 2
	s_add_u32 s22, s14, s0
	s_addc_u32 s23, s15, s1
	v_mad_i64_i32 v[66:67], s[0:1], v124, s29, 0
	v_add_u32_e32 v64, s2, v78
	v_lshl_add_u64 v[82:83], v[66:67], 2, s[24:25]
	v_mad_i64_i32 v[66:67], s[0:1], v124, s28, 0
	v_cmp_gt_i32_e64 s[18:19], s21, v124
	v_lshl_add_u64 v[80:81], v[66:67], 2, s[22:23]
	v_cmp_gt_i32_e64 s[2:3], s20, v64
	v_cndmask_b32_e64 v66, 0, 1, s[16:17]
	s_and_b64 s[6:7], s[2:3], s[18:19]
	v_ashrrev_i32_e32 v65, 31, v64
	v_cmp_ne_u32_e64 s[0:1], 1, v66
	s_and_saveexec_b64 s[4:5], s[6:7]
	s_cbranch_execz .LBB70_57
; %bb.53:
	s_and_b64 vcc, exec, s[0:1]
	s_cbranch_vccnz .LBB70_55
; %bb.54:
	v_lshl_add_u64 v[66:67], v[64:65], 2, v[82:83]
	flat_load_dword v66, v[66:67]
	s_waitcnt vmcnt(0) lgkmcnt(0)
	v_mul_f32_e32 v66, s33, v66
	s_branch .LBB70_56
.LBB70_55:
	v_mov_b32_e32 v66, 0
.LBB70_56:
	v_pk_add_f32 v[68:69], v[32:33], v[60:61]
	s_nop 0
	v_min3_f32 v67, v68, v69, v148
	v_pk_add_f32 v[68:69], v[34:35], v[62:63]
	s_nop 0
	v_min_f32_e32 v68, v68, v69
	v_min3_f32 v68, v66, v68, v67
	v_lshl_add_u64 v[66:67], v[64:65], 2, v[80:81]
	global_store_dword v[66:67], v68, off
.LBB70_57:
	s_or_b64 exec, exec, s[4:5]
	v_add_u32_e32 v66, 8, v64
	v_cmp_gt_i32_e64 s[4:5], s20, v66
	s_and_b64 s[8:9], s[4:5], s[18:19]
	v_ashrrev_i32_e32 v67, 31, v66
	s_and_saveexec_b64 s[6:7], s[8:9]
	s_cbranch_execz .LBB70_62
; %bb.58:
	s_and_b64 vcc, exec, s[0:1]
	s_cbranch_vccnz .LBB70_60
; %bb.59:
	v_lshl_add_u64 v[68:69], v[66:67], 2, v[82:83]
	flat_load_dword v68, v[68:69]
	s_waitcnt vmcnt(0) lgkmcnt(0)
	v_mul_f32_e32 v68, s33, v68
	s_branch .LBB70_61
.LBB70_60:
	v_mov_b32_e32 v68, 0
.LBB70_61:
	v_pk_add_f32 v[70:71], v[28:29], v[60:61]
	s_nop 0
	v_min3_f32 v69, v70, v71, v147
	v_pk_add_f32 v[70:71], v[30:31], v[62:63]
	s_nop 0
	v_min_f32_e32 v70, v70, v71
	v_min3_f32 v70, v68, v70, v69
	v_lshl_add_u64 v[68:69], v[66:67], 2, v[80:81]
	global_store_dword v[68:69], v70, off
.LBB70_62:
	s_or_b64 exec, exec, s[6:7]
	v_add_u32_e32 v68, 16, v64
	v_cmp_gt_i32_e64 s[6:7], s20, v68
	s_and_b64 s[10:11], s[6:7], s[18:19]
	v_ashrrev_i32_e32 v69, 31, v68
	;; [unrolled: 29-line block ×7, first 2 shown]
	s_and_saveexec_b64 s[18:19], s[26:27]
	s_cbranch_execz .LBB70_92
; %bb.88:
	s_and_b64 vcc, exec, s[0:1]
	s_cbranch_vccnz .LBB70_90
; %bb.89:
	v_lshl_add_u64 v[82:83], v[78:79], 2, v[82:83]
	flat_load_dword v82, v[82:83]
	s_waitcnt vmcnt(0) lgkmcnt(0)
	v_mul_f32_e32 v82, s33, v82
	s_branch .LBB70_91
.LBB70_90:
	v_mov_b32_e32 v82, 0
.LBB70_91:
	v_pk_add_f32 v[60:61], v[0:1], v[60:61]
	s_nop 0
	v_min3_f32 v83, v60, v61, v141
	v_pk_add_f32 v[60:61], v[2:3], v[62:63]
	s_nop 0
	v_min_f32_e32 v60, v60, v61
	v_min3_f32 v62, v82, v60, v83
	v_lshl_add_u64 v[60:61], v[78:79], 2, v[80:81]
	global_store_dword v[60:61], v62, off
.LBB70_92:
	s_or_b64 exec, exec, s[18:19]
	v_add_u32_e32 v80, 32, v124
	v_mad_i64_i32 v[60:61], s[26:27], v80, s29, 0
	v_cmp_gt_i32_e64 s[18:19], s21, v80
	v_lshl_add_u64 v[62:63], v[60:61], 2, s[24:25]
	v_mad_i64_i32 v[60:61], s[26:27], v80, s28, 0
	v_lshl_add_u64 v[60:61], v[60:61], 2, s[22:23]
	s_and_b64 s[30:31], s[2:3], s[18:19]
	s_and_saveexec_b64 s[26:27], s[30:31]
	s_cbranch_execnz .LBB70_100
; %bb.93:
	s_or_b64 exec, exec, s[26:27]
	s_and_b64 s[30:31], s[4:5], s[18:19]
	s_and_saveexec_b64 s[26:27], s[30:31]
	s_cbranch_execnz .LBB70_104
.LBB70_94:
	s_or_b64 exec, exec, s[26:27]
	s_and_b64 s[30:31], s[6:7], s[18:19]
	s_and_saveexec_b64 s[26:27], s[30:31]
	s_cbranch_execnz .LBB70_108
.LBB70_95:
	s_or_b64 exec, exec, s[26:27]
	s_and_b64 s[30:31], s[8:9], s[18:19]
	s_and_saveexec_b64 s[26:27], s[30:31]
	s_cbranch_execnz .LBB70_112
.LBB70_96:
	s_or_b64 exec, exec, s[26:27]
	s_and_b64 s[30:31], s[10:11], s[18:19]
	s_and_saveexec_b64 s[26:27], s[30:31]
	s_cbranch_execnz .LBB70_116
.LBB70_97:
	s_or_b64 exec, exec, s[26:27]
	s_and_b64 s[30:31], s[12:13], s[18:19]
	s_and_saveexec_b64 s[26:27], s[30:31]
	s_cbranch_execnz .LBB70_120
.LBB70_98:
	s_or_b64 exec, exec, s[26:27]
	s_and_b64 s[30:31], s[14:15], s[18:19]
	s_and_saveexec_b64 s[26:27], s[30:31]
	s_cbranch_execnz .LBB70_124
.LBB70_99:
	s_or_b64 exec, exec, s[26:27]
	s_and_b64 s[26:27], s[16:17], s[18:19]
	s_and_saveexec_b64 s[18:19], s[26:27]
	s_cbranch_execnz .LBB70_128
	s_branch .LBB70_132
.LBB70_100:
	s_and_b64 vcc, exec, s[0:1]
	s_cbranch_vccnz .LBB70_102
; %bb.101:
	v_lshl_add_u64 v[80:81], v[64:65], 2, v[62:63]
	flat_load_dword v80, v[80:81]
	s_waitcnt vmcnt(0) lgkmcnt(0)
	v_mul_f32_e32 v80, s33, v80
	s_branch .LBB70_103
.LBB70_102:
	v_mov_b32_e32 v80, 0
.LBB70_103:
	v_pk_add_f32 v[82:83], v[32:33], v[56:57]
	s_nop 0
	v_min3_f32 v81, v82, v83, v140
	v_pk_add_f32 v[82:83], v[34:35], v[58:59]
	s_nop 0
	v_min_f32_e32 v82, v82, v83
	v_min3_f32 v82, v80, v82, v81
	v_lshl_add_u64 v[80:81], v[64:65], 2, v[60:61]
	global_store_dword v[80:81], v82, off
	s_or_b64 exec, exec, s[26:27]
	s_and_b64 s[30:31], s[4:5], s[18:19]
	s_and_saveexec_b64 s[26:27], s[30:31]
	s_cbranch_execz .LBB70_94
.LBB70_104:
	s_and_b64 vcc, exec, s[0:1]
	s_cbranch_vccnz .LBB70_106
; %bb.105:
	v_lshl_add_u64 v[80:81], v[66:67], 2, v[62:63]
	flat_load_dword v80, v[80:81]
	s_waitcnt vmcnt(0) lgkmcnt(0)
	v_mul_f32_e32 v80, s33, v80
	s_branch .LBB70_107
.LBB70_106:
	v_mov_b32_e32 v80, 0
.LBB70_107:
	v_pk_add_f32 v[82:83], v[28:29], v[56:57]
	s_nop 0
	v_min3_f32 v81, v82, v83, v139
	v_pk_add_f32 v[82:83], v[30:31], v[58:59]
	s_nop 0
	v_min_f32_e32 v82, v82, v83
	v_min3_f32 v82, v80, v82, v81
	v_lshl_add_u64 v[80:81], v[66:67], 2, v[60:61]
	global_store_dword v[80:81], v82, off
	s_or_b64 exec, exec, s[26:27]
	s_and_b64 s[30:31], s[6:7], s[18:19]
	s_and_saveexec_b64 s[26:27], s[30:31]
	s_cbranch_execz .LBB70_95
.LBB70_108:
	s_and_b64 vcc, exec, s[0:1]
	s_cbranch_vccnz .LBB70_110
; %bb.109:
	v_lshl_add_u64 v[80:81], v[68:69], 2, v[62:63]
	flat_load_dword v80, v[80:81]
	s_waitcnt vmcnt(0) lgkmcnt(0)
	v_mul_f32_e32 v80, s33, v80
	s_branch .LBB70_111
.LBB70_110:
	v_mov_b32_e32 v80, 0
.LBB70_111:
	v_pk_add_f32 v[82:83], v[24:25], v[56:57]
	s_nop 0
	v_min3_f32 v81, v82, v83, v138
	v_pk_add_f32 v[82:83], v[26:27], v[58:59]
	s_nop 0
	v_min_f32_e32 v82, v82, v83
	v_min3_f32 v82, v80, v82, v81
	v_lshl_add_u64 v[80:81], v[68:69], 2, v[60:61]
	global_store_dword v[80:81], v82, off
	s_or_b64 exec, exec, s[26:27]
	s_and_b64 s[30:31], s[8:9], s[18:19]
	s_and_saveexec_b64 s[26:27], s[30:31]
	s_cbranch_execz .LBB70_96
.LBB70_112:
	s_and_b64 vcc, exec, s[0:1]
	s_cbranch_vccnz .LBB70_114
; %bb.113:
	v_lshl_add_u64 v[80:81], v[70:71], 2, v[62:63]
	flat_load_dword v80, v[80:81]
	s_waitcnt vmcnt(0) lgkmcnt(0)
	v_mul_f32_e32 v80, s33, v80
	s_branch .LBB70_115
.LBB70_114:
	v_mov_b32_e32 v80, 0
.LBB70_115:
	v_pk_add_f32 v[82:83], v[20:21], v[56:57]
	s_nop 0
	v_min3_f32 v81, v82, v83, v137
	v_pk_add_f32 v[82:83], v[22:23], v[58:59]
	s_nop 0
	v_min_f32_e32 v82, v82, v83
	v_min3_f32 v82, v80, v82, v81
	v_lshl_add_u64 v[80:81], v[70:71], 2, v[60:61]
	global_store_dword v[80:81], v82, off
	s_or_b64 exec, exec, s[26:27]
	s_and_b64 s[30:31], s[10:11], s[18:19]
	s_and_saveexec_b64 s[26:27], s[30:31]
	s_cbranch_execz .LBB70_97
.LBB70_116:
	s_and_b64 vcc, exec, s[0:1]
	s_cbranch_vccnz .LBB70_118
; %bb.117:
	v_lshl_add_u64 v[80:81], v[72:73], 2, v[62:63]
	flat_load_dword v80, v[80:81]
	s_waitcnt vmcnt(0) lgkmcnt(0)
	v_mul_f32_e32 v80, s33, v80
	s_branch .LBB70_119
.LBB70_118:
	v_mov_b32_e32 v80, 0
.LBB70_119:
	v_pk_add_f32 v[82:83], v[16:17], v[56:57]
	s_nop 0
	v_min3_f32 v81, v82, v83, v136
	v_pk_add_f32 v[82:83], v[18:19], v[58:59]
	s_nop 0
	v_min_f32_e32 v82, v82, v83
	v_min3_f32 v82, v80, v82, v81
	v_lshl_add_u64 v[80:81], v[72:73], 2, v[60:61]
	global_store_dword v[80:81], v82, off
	s_or_b64 exec, exec, s[26:27]
	s_and_b64 s[30:31], s[12:13], s[18:19]
	s_and_saveexec_b64 s[26:27], s[30:31]
	s_cbranch_execz .LBB70_98
.LBB70_120:
	s_and_b64 vcc, exec, s[0:1]
	s_cbranch_vccnz .LBB70_122
; %bb.121:
	v_lshl_add_u64 v[80:81], v[74:75], 2, v[62:63]
	flat_load_dword v80, v[80:81]
	s_waitcnt vmcnt(0) lgkmcnt(0)
	v_mul_f32_e32 v80, s33, v80
	s_branch .LBB70_123
.LBB70_122:
	v_mov_b32_e32 v80, 0
.LBB70_123:
	v_pk_add_f32 v[82:83], v[12:13], v[56:57]
	s_nop 0
	v_min3_f32 v81, v82, v83, v134
	v_pk_add_f32 v[82:83], v[14:15], v[58:59]
	s_nop 0
	v_min_f32_e32 v82, v82, v83
	v_min3_f32 v82, v80, v82, v81
	v_lshl_add_u64 v[80:81], v[74:75], 2, v[60:61]
	global_store_dword v[80:81], v82, off
	s_or_b64 exec, exec, s[26:27]
	s_and_b64 s[30:31], s[14:15], s[18:19]
	s_and_saveexec_b64 s[26:27], s[30:31]
	s_cbranch_execz .LBB70_99
.LBB70_124:
	s_and_b64 vcc, exec, s[0:1]
	s_cbranch_vccnz .LBB70_126
; %bb.125:
	v_lshl_add_u64 v[80:81], v[76:77], 2, v[62:63]
	flat_load_dword v80, v[80:81]
	s_waitcnt vmcnt(0) lgkmcnt(0)
	v_mul_f32_e32 v80, s33, v80
	s_branch .LBB70_127
.LBB70_126:
	v_mov_b32_e32 v80, 0
.LBB70_127:
	v_pk_add_f32 v[82:83], v[8:9], v[56:57]
	s_nop 0
	v_min3_f32 v81, v82, v83, v132
	v_pk_add_f32 v[82:83], v[10:11], v[58:59]
	s_nop 0
	v_min_f32_e32 v82, v82, v83
	v_min3_f32 v82, v80, v82, v81
	v_lshl_add_u64 v[80:81], v[76:77], 2, v[60:61]
	global_store_dword v[80:81], v82, off
	s_or_b64 exec, exec, s[26:27]
	s_and_b64 s[26:27], s[16:17], s[18:19]
	s_and_saveexec_b64 s[18:19], s[26:27]
	s_cbranch_execz .LBB70_132
.LBB70_128:
	s_and_b64 vcc, exec, s[0:1]
	s_cbranch_vccnz .LBB70_130
; %bb.129:
	v_lshl_add_u64 v[62:63], v[78:79], 2, v[62:63]
	flat_load_dword v62, v[62:63]
	s_waitcnt vmcnt(0) lgkmcnt(0)
	v_mul_f32_e32 v62, s33, v62
	s_branch .LBB70_131
.LBB70_130:
	v_mov_b32_e32 v62, 0
.LBB70_131:
	v_pk_add_f32 v[56:57], v[0:1], v[56:57]
	s_nop 0
	v_min3_f32 v63, v56, v57, v135
	v_pk_add_f32 v[56:57], v[2:3], v[58:59]
	s_nop 0
	v_min_f32_e32 v56, v56, v57
	v_min3_f32 v58, v62, v56, v63
	v_lshl_add_u64 v[56:57], v[78:79], 2, v[60:61]
	global_store_dword v[56:57], v58, off
.LBB70_132:
	s_or_b64 exec, exec, s[18:19]
	v_add_u32_e32 v60, 64, v124
	v_mad_i64_i32 v[56:57], s[26:27], v60, s29, 0
	v_cmp_gt_i32_e64 s[18:19], s21, v60
	v_lshl_add_u64 v[58:59], v[56:57], 2, s[24:25]
	v_mad_i64_i32 v[56:57], s[26:27], v60, s28, 0
	v_lshl_add_u64 v[56:57], v[56:57], 2, s[22:23]
	s_and_b64 s[30:31], s[2:3], s[18:19]
	s_and_saveexec_b64 s[26:27], s[30:31]
	s_cbranch_execnz .LBB70_140
; %bb.133:
	s_or_b64 exec, exec, s[26:27]
	s_and_b64 s[30:31], s[4:5], s[18:19]
	s_and_saveexec_b64 s[26:27], s[30:31]
	s_cbranch_execnz .LBB70_144
.LBB70_134:
	s_or_b64 exec, exec, s[26:27]
	s_and_b64 s[30:31], s[6:7], s[18:19]
	s_and_saveexec_b64 s[26:27], s[30:31]
	s_cbranch_execnz .LBB70_148
.LBB70_135:
	s_or_b64 exec, exec, s[26:27]
	s_and_b64 s[30:31], s[8:9], s[18:19]
	s_and_saveexec_b64 s[26:27], s[30:31]
	s_cbranch_execnz .LBB70_152
.LBB70_136:
	s_or_b64 exec, exec, s[26:27]
	s_and_b64 s[30:31], s[10:11], s[18:19]
	s_and_saveexec_b64 s[26:27], s[30:31]
	s_cbranch_execnz .LBB70_156
.LBB70_137:
	s_or_b64 exec, exec, s[26:27]
	s_and_b64 s[30:31], s[12:13], s[18:19]
	s_and_saveexec_b64 s[26:27], s[30:31]
	s_cbranch_execnz .LBB70_160
.LBB70_138:
	s_or_b64 exec, exec, s[26:27]
	s_and_b64 s[30:31], s[14:15], s[18:19]
	s_and_saveexec_b64 s[26:27], s[30:31]
	s_cbranch_execnz .LBB70_164
.LBB70_139:
	s_or_b64 exec, exec, s[26:27]
	s_and_b64 s[26:27], s[16:17], s[18:19]
	s_and_saveexec_b64 s[18:19], s[26:27]
	s_cbranch_execnz .LBB70_168
	s_branch .LBB70_172
.LBB70_140:
	s_and_b64 vcc, exec, s[0:1]
	s_cbranch_vccnz .LBB70_142
; %bb.141:
	v_lshl_add_u64 v[60:61], v[64:65], 2, v[58:59]
	flat_load_dword v60, v[60:61]
	s_waitcnt vmcnt(0) lgkmcnt(0)
	v_mul_f32_e32 v60, s33, v60
	s_branch .LBB70_143
.LBB70_142:
	v_mov_b32_e32 v60, 0
.LBB70_143:
	v_pk_add_f32 v[62:63], v[32:33], v[52:53]
	s_nop 0
	v_min3_f32 v61, v62, v63, v133
	v_pk_add_f32 v[62:63], v[34:35], v[54:55]
	s_nop 0
	v_min_f32_e32 v62, v62, v63
	v_min3_f32 v62, v60, v62, v61
	v_lshl_add_u64 v[60:61], v[64:65], 2, v[56:57]
	global_store_dword v[60:61], v62, off
	s_or_b64 exec, exec, s[26:27]
	s_and_b64 s[30:31], s[4:5], s[18:19]
	s_and_saveexec_b64 s[26:27], s[30:31]
	s_cbranch_execz .LBB70_134
.LBB70_144:
	s_and_b64 vcc, exec, s[0:1]
	s_cbranch_vccnz .LBB70_146
; %bb.145:
	v_lshl_add_u64 v[60:61], v[66:67], 2, v[58:59]
	flat_load_dword v60, v[60:61]
	s_waitcnt vmcnt(0) lgkmcnt(0)
	v_mul_f32_e32 v60, s33, v60
	s_branch .LBB70_147
.LBB70_146:
	v_mov_b32_e32 v60, 0
.LBB70_147:
	v_pk_add_f32 v[62:63], v[28:29], v[52:53]
	s_nop 0
	v_min3_f32 v61, v62, v63, v131
	v_pk_add_f32 v[62:63], v[30:31], v[54:55]
	s_nop 0
	v_min_f32_e32 v62, v62, v63
	v_min3_f32 v62, v60, v62, v61
	v_lshl_add_u64 v[60:61], v[66:67], 2, v[56:57]
	global_store_dword v[60:61], v62, off
	s_or_b64 exec, exec, s[26:27]
	s_and_b64 s[30:31], s[6:7], s[18:19]
	s_and_saveexec_b64 s[26:27], s[30:31]
	s_cbranch_execz .LBB70_135
.LBB70_148:
	s_and_b64 vcc, exec, s[0:1]
	s_cbranch_vccnz .LBB70_150
; %bb.149:
	v_lshl_add_u64 v[60:61], v[68:69], 2, v[58:59]
	flat_load_dword v60, v[60:61]
	s_waitcnt vmcnt(0) lgkmcnt(0)
	v_mul_f32_e32 v60, s33, v60
	s_branch .LBB70_151
.LBB70_150:
	v_mov_b32_e32 v60, 0
.LBB70_151:
	v_pk_add_f32 v[62:63], v[24:25], v[52:53]
	s_nop 0
	v_min3_f32 v61, v62, v63, v130
	v_pk_add_f32 v[62:63], v[26:27], v[54:55]
	s_nop 0
	v_min_f32_e32 v62, v62, v63
	v_min3_f32 v62, v60, v62, v61
	v_lshl_add_u64 v[60:61], v[68:69], 2, v[56:57]
	global_store_dword v[60:61], v62, off
	s_or_b64 exec, exec, s[26:27]
	s_and_b64 s[30:31], s[8:9], s[18:19]
	s_and_saveexec_b64 s[26:27], s[30:31]
	s_cbranch_execz .LBB70_136
.LBB70_152:
	s_and_b64 vcc, exec, s[0:1]
	s_cbranch_vccnz .LBB70_154
; %bb.153:
	v_lshl_add_u64 v[60:61], v[70:71], 2, v[58:59]
	flat_load_dword v60, v[60:61]
	s_waitcnt vmcnt(0) lgkmcnt(0)
	v_mul_f32_e32 v60, s33, v60
	s_branch .LBB70_155
.LBB70_154:
	v_mov_b32_e32 v60, 0
.LBB70_155:
	v_pk_add_f32 v[62:63], v[20:21], v[52:53]
	s_nop 0
	v_min3_f32 v61, v62, v63, v129
	v_pk_add_f32 v[62:63], v[22:23], v[54:55]
	s_nop 0
	v_min_f32_e32 v62, v62, v63
	v_min3_f32 v62, v60, v62, v61
	v_lshl_add_u64 v[60:61], v[70:71], 2, v[56:57]
	global_store_dword v[60:61], v62, off
	s_or_b64 exec, exec, s[26:27]
	s_and_b64 s[30:31], s[10:11], s[18:19]
	s_and_saveexec_b64 s[26:27], s[30:31]
	s_cbranch_execz .LBB70_137
.LBB70_156:
	s_and_b64 vcc, exec, s[0:1]
	s_cbranch_vccnz .LBB70_158
; %bb.157:
	v_lshl_add_u64 v[60:61], v[72:73], 2, v[58:59]
	flat_load_dword v60, v[60:61]
	s_waitcnt vmcnt(0) lgkmcnt(0)
	v_mul_f32_e32 v60, s33, v60
	s_branch .LBB70_159
.LBB70_158:
	v_mov_b32_e32 v60, 0
.LBB70_159:
	v_pk_add_f32 v[62:63], v[16:17], v[52:53]
	s_nop 0
	v_min3_f32 v61, v62, v63, v128
	v_pk_add_f32 v[62:63], v[18:19], v[54:55]
	s_nop 0
	v_min_f32_e32 v62, v62, v63
	v_min3_f32 v62, v60, v62, v61
	v_lshl_add_u64 v[60:61], v[72:73], 2, v[56:57]
	global_store_dword v[60:61], v62, off
	s_or_b64 exec, exec, s[26:27]
	s_and_b64 s[30:31], s[12:13], s[18:19]
	s_and_saveexec_b64 s[26:27], s[30:31]
	s_cbranch_execz .LBB70_138
.LBB70_160:
	s_and_b64 vcc, exec, s[0:1]
	s_cbranch_vccnz .LBB70_162
; %bb.161:
	v_lshl_add_u64 v[60:61], v[74:75], 2, v[58:59]
	flat_load_dword v60, v[60:61]
	s_waitcnt vmcnt(0) lgkmcnt(0)
	v_mul_f32_e32 v60, s33, v60
	s_branch .LBB70_163
.LBB70_162:
	v_mov_b32_e32 v60, 0
.LBB70_163:
	v_pk_add_f32 v[62:63], v[12:13], v[52:53]
	s_nop 0
	v_min3_f32 v61, v62, v63, v127
	v_pk_add_f32 v[62:63], v[14:15], v[54:55]
	s_nop 0
	v_min_f32_e32 v62, v62, v63
	v_min3_f32 v62, v60, v62, v61
	v_lshl_add_u64 v[60:61], v[74:75], 2, v[56:57]
	global_store_dword v[60:61], v62, off
	s_or_b64 exec, exec, s[26:27]
	s_and_b64 s[30:31], s[14:15], s[18:19]
	s_and_saveexec_b64 s[26:27], s[30:31]
	s_cbranch_execz .LBB70_139
.LBB70_164:
	s_and_b64 vcc, exec, s[0:1]
	s_cbranch_vccnz .LBB70_166
; %bb.165:
	v_lshl_add_u64 v[60:61], v[76:77], 2, v[58:59]
	flat_load_dword v60, v[60:61]
	s_waitcnt vmcnt(0) lgkmcnt(0)
	v_mul_f32_e32 v60, s33, v60
	s_branch .LBB70_167
.LBB70_166:
	v_mov_b32_e32 v60, 0
.LBB70_167:
	v_pk_add_f32 v[62:63], v[8:9], v[52:53]
	s_nop 0
	v_min3_f32 v61, v62, v63, v126
	v_pk_add_f32 v[62:63], v[10:11], v[54:55]
	s_nop 0
	v_min_f32_e32 v62, v62, v63
	v_min3_f32 v62, v60, v62, v61
	v_lshl_add_u64 v[60:61], v[76:77], 2, v[56:57]
	global_store_dword v[60:61], v62, off
	s_or_b64 exec, exec, s[26:27]
	s_and_b64 s[26:27], s[16:17], s[18:19]
	s_and_saveexec_b64 s[18:19], s[26:27]
	s_cbranch_execz .LBB70_172
.LBB70_168:
	s_and_b64 vcc, exec, s[0:1]
	s_cbranch_vccnz .LBB70_170
; %bb.169:
	v_lshl_add_u64 v[58:59], v[78:79], 2, v[58:59]
	flat_load_dword v58, v[58:59]
	s_waitcnt vmcnt(0) lgkmcnt(0)
	v_mul_f32_e32 v58, s33, v58
	s_branch .LBB70_171
.LBB70_170:
	v_mov_b32_e32 v58, 0
.LBB70_171:
	v_pk_add_f32 v[52:53], v[0:1], v[52:53]
	s_nop 0
	v_min3_f32 v59, v52, v53, v125
	v_pk_add_f32 v[52:53], v[2:3], v[54:55]
	s_nop 0
	v_min_f32_e32 v52, v52, v53
	v_min3_f32 v54, v58, v52, v59
	v_lshl_add_u64 v[52:53], v[78:79], 2, v[56:57]
	global_store_dword v[52:53], v54, off
.LBB70_172:
	s_or_b64 exec, exec, s[18:19]
	v_add_u32_e32 v56, 0x60, v124
	v_mad_i64_i32 v[52:53], s[26:27], v56, s29, 0
	v_cmp_gt_i32_e64 s[18:19], s21, v56
	v_lshl_add_u64 v[54:55], v[52:53], 2, s[24:25]
	v_mad_i64_i32 v[52:53], s[26:27], v56, s28, 0
	v_lshl_add_u64 v[52:53], v[52:53], 2, s[22:23]
	s_and_b64 s[30:31], s[2:3], s[18:19]
	s_and_saveexec_b64 s[26:27], s[30:31]
	s_cbranch_execnz .LBB70_180
; %bb.173:
	s_or_b64 exec, exec, s[26:27]
	s_and_b64 s[30:31], s[4:5], s[18:19]
	s_and_saveexec_b64 s[26:27], s[30:31]
	s_cbranch_execnz .LBB70_184
.LBB70_174:
	s_or_b64 exec, exec, s[26:27]
	s_and_b64 s[30:31], s[6:7], s[18:19]
	s_and_saveexec_b64 s[26:27], s[30:31]
	s_cbranch_execnz .LBB70_188
.LBB70_175:
	s_or_b64 exec, exec, s[26:27]
	s_and_b64 s[30:31], s[8:9], s[18:19]
	s_and_saveexec_b64 s[26:27], s[30:31]
	s_cbranch_execnz .LBB70_192
.LBB70_176:
	s_or_b64 exec, exec, s[26:27]
	s_and_b64 s[30:31], s[10:11], s[18:19]
	s_and_saveexec_b64 s[26:27], s[30:31]
	s_cbranch_execnz .LBB70_196
.LBB70_177:
	s_or_b64 exec, exec, s[26:27]
	s_and_b64 s[30:31], s[12:13], s[18:19]
	s_and_saveexec_b64 s[26:27], s[30:31]
	s_cbranch_execnz .LBB70_200
.LBB70_178:
	s_or_b64 exec, exec, s[26:27]
	s_and_b64 s[30:31], s[14:15], s[18:19]
	s_and_saveexec_b64 s[26:27], s[30:31]
	s_cbranch_execnz .LBB70_204
.LBB70_179:
	s_or_b64 exec, exec, s[26:27]
	s_and_b64 s[26:27], s[16:17], s[18:19]
	s_and_saveexec_b64 s[18:19], s[26:27]
	s_cbranch_execnz .LBB70_208
	s_branch .LBB70_212
.LBB70_180:
	s_and_b64 vcc, exec, s[0:1]
	s_cbranch_vccnz .LBB70_182
; %bb.181:
	v_lshl_add_u64 v[56:57], v[64:65], 2, v[54:55]
	flat_load_dword v56, v[56:57]
	s_waitcnt vmcnt(0) lgkmcnt(0)
	v_mul_f32_e32 v56, s33, v56
	s_branch .LBB70_183
.LBB70_182:
	v_mov_b32_e32 v56, 0
.LBB70_183:
	v_pk_add_f32 v[58:59], v[32:33], v[48:49]
	s_nop 0
	v_min3_f32 v57, v58, v59, v123
	v_pk_add_f32 v[58:59], v[34:35], v[50:51]
	s_nop 0
	v_min_f32_e32 v58, v58, v59
	v_min3_f32 v58, v56, v58, v57
	v_lshl_add_u64 v[56:57], v[64:65], 2, v[52:53]
	global_store_dword v[56:57], v58, off
	s_or_b64 exec, exec, s[26:27]
	s_and_b64 s[30:31], s[4:5], s[18:19]
	s_and_saveexec_b64 s[26:27], s[30:31]
	s_cbranch_execz .LBB70_174
.LBB70_184:
	s_and_b64 vcc, exec, s[0:1]
	s_cbranch_vccnz .LBB70_186
; %bb.185:
	v_lshl_add_u64 v[56:57], v[66:67], 2, v[54:55]
	flat_load_dword v56, v[56:57]
	s_waitcnt vmcnt(0) lgkmcnt(0)
	v_mul_f32_e32 v56, s33, v56
	s_branch .LBB70_187
.LBB70_186:
	v_mov_b32_e32 v56, 0
.LBB70_187:
	v_pk_add_f32 v[58:59], v[28:29], v[48:49]
	s_nop 0
	v_min3_f32 v57, v58, v59, v122
	v_pk_add_f32 v[58:59], v[30:31], v[50:51]
	s_nop 0
	v_min_f32_e32 v58, v58, v59
	v_min3_f32 v58, v56, v58, v57
	v_lshl_add_u64 v[56:57], v[66:67], 2, v[52:53]
	global_store_dword v[56:57], v58, off
	s_or_b64 exec, exec, s[26:27]
	s_and_b64 s[30:31], s[6:7], s[18:19]
	s_and_saveexec_b64 s[26:27], s[30:31]
	s_cbranch_execz .LBB70_175
.LBB70_188:
	s_and_b64 vcc, exec, s[0:1]
	s_cbranch_vccnz .LBB70_190
; %bb.189:
	v_lshl_add_u64 v[56:57], v[68:69], 2, v[54:55]
	flat_load_dword v56, v[56:57]
	s_waitcnt vmcnt(0) lgkmcnt(0)
	v_mul_f32_e32 v56, s33, v56
	s_branch .LBB70_191
.LBB70_190:
	v_mov_b32_e32 v56, 0
.LBB70_191:
	v_pk_add_f32 v[58:59], v[24:25], v[48:49]
	s_nop 0
	v_min3_f32 v57, v58, v59, v121
	v_pk_add_f32 v[58:59], v[26:27], v[50:51]
	s_nop 0
	v_min_f32_e32 v58, v58, v59
	v_min3_f32 v58, v56, v58, v57
	v_lshl_add_u64 v[56:57], v[68:69], 2, v[52:53]
	global_store_dword v[56:57], v58, off
	s_or_b64 exec, exec, s[26:27]
	s_and_b64 s[30:31], s[8:9], s[18:19]
	s_and_saveexec_b64 s[26:27], s[30:31]
	s_cbranch_execz .LBB70_176
.LBB70_192:
	s_and_b64 vcc, exec, s[0:1]
	s_cbranch_vccnz .LBB70_194
; %bb.193:
	v_lshl_add_u64 v[56:57], v[70:71], 2, v[54:55]
	flat_load_dword v56, v[56:57]
	s_waitcnt vmcnt(0) lgkmcnt(0)
	v_mul_f32_e32 v56, s33, v56
	s_branch .LBB70_195
.LBB70_194:
	v_mov_b32_e32 v56, 0
.LBB70_195:
	v_pk_add_f32 v[58:59], v[20:21], v[48:49]
	s_nop 0
	v_min3_f32 v57, v58, v59, v120
	v_pk_add_f32 v[58:59], v[22:23], v[50:51]
	s_nop 0
	v_min_f32_e32 v58, v58, v59
	v_min3_f32 v58, v56, v58, v57
	v_lshl_add_u64 v[56:57], v[70:71], 2, v[52:53]
	global_store_dword v[56:57], v58, off
	s_or_b64 exec, exec, s[26:27]
	s_and_b64 s[30:31], s[10:11], s[18:19]
	s_and_saveexec_b64 s[26:27], s[30:31]
	s_cbranch_execz .LBB70_177
.LBB70_196:
	s_and_b64 vcc, exec, s[0:1]
	s_cbranch_vccnz .LBB70_198
; %bb.197:
	v_lshl_add_u64 v[56:57], v[72:73], 2, v[54:55]
	flat_load_dword v56, v[56:57]
	s_waitcnt vmcnt(0) lgkmcnt(0)
	v_mul_f32_e32 v56, s33, v56
	s_branch .LBB70_199
.LBB70_198:
	v_mov_b32_e32 v56, 0
.LBB70_199:
	v_pk_add_f32 v[58:59], v[16:17], v[48:49]
	s_nop 0
	v_min3_f32 v57, v58, v59, v119
	v_pk_add_f32 v[58:59], v[18:19], v[50:51]
	s_nop 0
	v_min_f32_e32 v58, v58, v59
	v_min3_f32 v58, v56, v58, v57
	v_lshl_add_u64 v[56:57], v[72:73], 2, v[52:53]
	global_store_dword v[56:57], v58, off
	s_or_b64 exec, exec, s[26:27]
	s_and_b64 s[30:31], s[12:13], s[18:19]
	s_and_saveexec_b64 s[26:27], s[30:31]
	s_cbranch_execz .LBB70_178
.LBB70_200:
	s_and_b64 vcc, exec, s[0:1]
	s_cbranch_vccnz .LBB70_202
; %bb.201:
	v_lshl_add_u64 v[56:57], v[74:75], 2, v[54:55]
	flat_load_dword v56, v[56:57]
	s_waitcnt vmcnt(0) lgkmcnt(0)
	v_mul_f32_e32 v56, s33, v56
	s_branch .LBB70_203
.LBB70_202:
	v_mov_b32_e32 v56, 0
.LBB70_203:
	v_pk_add_f32 v[58:59], v[12:13], v[48:49]
	s_nop 0
	v_min3_f32 v57, v58, v59, v118
	v_pk_add_f32 v[58:59], v[14:15], v[50:51]
	s_nop 0
	v_min_f32_e32 v58, v58, v59
	v_min3_f32 v58, v56, v58, v57
	v_lshl_add_u64 v[56:57], v[74:75], 2, v[52:53]
	global_store_dword v[56:57], v58, off
	s_or_b64 exec, exec, s[26:27]
	s_and_b64 s[30:31], s[14:15], s[18:19]
	s_and_saveexec_b64 s[26:27], s[30:31]
	s_cbranch_execz .LBB70_179
.LBB70_204:
	s_and_b64 vcc, exec, s[0:1]
	s_cbranch_vccnz .LBB70_206
; %bb.205:
	v_lshl_add_u64 v[56:57], v[76:77], 2, v[54:55]
	flat_load_dword v56, v[56:57]
	s_waitcnt vmcnt(0) lgkmcnt(0)
	v_mul_f32_e32 v56, s33, v56
	s_branch .LBB70_207
.LBB70_206:
	v_mov_b32_e32 v56, 0
.LBB70_207:
	v_pk_add_f32 v[58:59], v[8:9], v[48:49]
	s_nop 0
	v_min3_f32 v57, v58, v59, v117
	v_pk_add_f32 v[58:59], v[10:11], v[50:51]
	s_nop 0
	v_min_f32_e32 v58, v58, v59
	v_min3_f32 v58, v56, v58, v57
	v_lshl_add_u64 v[56:57], v[76:77], 2, v[52:53]
	global_store_dword v[56:57], v58, off
	s_or_b64 exec, exec, s[26:27]
	s_and_b64 s[26:27], s[16:17], s[18:19]
	s_and_saveexec_b64 s[18:19], s[26:27]
	s_cbranch_execz .LBB70_212
.LBB70_208:
	s_and_b64 vcc, exec, s[0:1]
	s_cbranch_vccnz .LBB70_210
; %bb.209:
	v_lshl_add_u64 v[54:55], v[78:79], 2, v[54:55]
	flat_load_dword v54, v[54:55]
	s_waitcnt vmcnt(0) lgkmcnt(0)
	v_mul_f32_e32 v54, s33, v54
	s_branch .LBB70_211
.LBB70_210:
	v_mov_b32_e32 v54, 0
.LBB70_211:
	v_pk_add_f32 v[48:49], v[0:1], v[48:49]
	s_nop 0
	v_min3_f32 v55, v48, v49, v116
	v_pk_add_f32 v[48:49], v[2:3], v[50:51]
	s_nop 0
	v_min_f32_e32 v48, v48, v49
	v_min3_f32 v50, v54, v48, v55
	v_lshl_add_u64 v[48:49], v[78:79], 2, v[52:53]
	global_store_dword v[48:49], v50, off
.LBB70_212:
	s_or_b64 exec, exec, s[18:19]
	v_add_u32_e32 v52, 0x80, v124
	v_mad_i64_i32 v[48:49], s[26:27], v52, s29, 0
	v_cmp_gt_i32_e64 s[18:19], s21, v52
	v_lshl_add_u64 v[50:51], v[48:49], 2, s[24:25]
	v_mad_i64_i32 v[48:49], s[26:27], v52, s28, 0
	v_lshl_add_u64 v[48:49], v[48:49], 2, s[22:23]
	s_and_b64 s[30:31], s[2:3], s[18:19]
	s_and_saveexec_b64 s[26:27], s[30:31]
	s_cbranch_execnz .LBB70_220
; %bb.213:
	s_or_b64 exec, exec, s[26:27]
	s_and_b64 s[30:31], s[4:5], s[18:19]
	s_and_saveexec_b64 s[26:27], s[30:31]
	s_cbranch_execnz .LBB70_224
.LBB70_214:
	s_or_b64 exec, exec, s[26:27]
	s_and_b64 s[30:31], s[6:7], s[18:19]
	s_and_saveexec_b64 s[26:27], s[30:31]
	s_cbranch_execnz .LBB70_228
.LBB70_215:
	s_or_b64 exec, exec, s[26:27]
	s_and_b64 s[30:31], s[8:9], s[18:19]
	s_and_saveexec_b64 s[26:27], s[30:31]
	s_cbranch_execnz .LBB70_232
.LBB70_216:
	s_or_b64 exec, exec, s[26:27]
	s_and_b64 s[30:31], s[10:11], s[18:19]
	s_and_saveexec_b64 s[26:27], s[30:31]
	s_cbranch_execnz .LBB70_236
.LBB70_217:
	s_or_b64 exec, exec, s[26:27]
	s_and_b64 s[30:31], s[12:13], s[18:19]
	s_and_saveexec_b64 s[26:27], s[30:31]
	s_cbranch_execnz .LBB70_240
.LBB70_218:
	s_or_b64 exec, exec, s[26:27]
	s_and_b64 s[30:31], s[14:15], s[18:19]
	s_and_saveexec_b64 s[26:27], s[30:31]
	s_cbranch_execnz .LBB70_244
.LBB70_219:
	s_or_b64 exec, exec, s[26:27]
	s_and_b64 s[26:27], s[16:17], s[18:19]
	s_and_saveexec_b64 s[18:19], s[26:27]
	s_cbranch_execnz .LBB70_248
	s_branch .LBB70_252
.LBB70_220:
	s_and_b64 vcc, exec, s[0:1]
	s_cbranch_vccnz .LBB70_222
; %bb.221:
	v_lshl_add_u64 v[52:53], v[64:65], 2, v[50:51]
	flat_load_dword v52, v[52:53]
	s_waitcnt vmcnt(0) lgkmcnt(0)
	v_mul_f32_e32 v52, s33, v52
	s_branch .LBB70_223
.LBB70_222:
	v_mov_b32_e32 v52, 0
.LBB70_223:
	v_pk_add_f32 v[54:55], v[32:33], v[44:45]
	s_nop 0
	v_min3_f32 v53, v54, v55, v115
	v_pk_add_f32 v[54:55], v[34:35], v[46:47]
	s_nop 0
	v_min_f32_e32 v54, v54, v55
	v_min3_f32 v54, v52, v54, v53
	v_lshl_add_u64 v[52:53], v[64:65], 2, v[48:49]
	global_store_dword v[52:53], v54, off
	s_or_b64 exec, exec, s[26:27]
	s_and_b64 s[30:31], s[4:5], s[18:19]
	s_and_saveexec_b64 s[26:27], s[30:31]
	s_cbranch_execz .LBB70_214
.LBB70_224:
	s_and_b64 vcc, exec, s[0:1]
	s_cbranch_vccnz .LBB70_226
; %bb.225:
	v_lshl_add_u64 v[52:53], v[66:67], 2, v[50:51]
	flat_load_dword v52, v[52:53]
	s_waitcnt vmcnt(0) lgkmcnt(0)
	v_mul_f32_e32 v52, s33, v52
	s_branch .LBB70_227
.LBB70_226:
	v_mov_b32_e32 v52, 0
.LBB70_227:
	v_pk_add_f32 v[54:55], v[28:29], v[44:45]
	s_nop 0
	v_min3_f32 v53, v54, v55, v114
	v_pk_add_f32 v[54:55], v[30:31], v[46:47]
	s_nop 0
	v_min_f32_e32 v54, v54, v55
	v_min3_f32 v54, v52, v54, v53
	v_lshl_add_u64 v[52:53], v[66:67], 2, v[48:49]
	global_store_dword v[52:53], v54, off
	s_or_b64 exec, exec, s[26:27]
	s_and_b64 s[30:31], s[6:7], s[18:19]
	s_and_saveexec_b64 s[26:27], s[30:31]
	s_cbranch_execz .LBB70_215
.LBB70_228:
	s_and_b64 vcc, exec, s[0:1]
	s_cbranch_vccnz .LBB70_230
; %bb.229:
	v_lshl_add_u64 v[52:53], v[68:69], 2, v[50:51]
	flat_load_dword v52, v[52:53]
	s_waitcnt vmcnt(0) lgkmcnt(0)
	v_mul_f32_e32 v52, s33, v52
	s_branch .LBB70_231
.LBB70_230:
	v_mov_b32_e32 v52, 0
.LBB70_231:
	v_pk_add_f32 v[54:55], v[24:25], v[44:45]
	s_nop 0
	v_min3_f32 v53, v54, v55, v113
	v_pk_add_f32 v[54:55], v[26:27], v[46:47]
	s_nop 0
	v_min_f32_e32 v54, v54, v55
	v_min3_f32 v54, v52, v54, v53
	v_lshl_add_u64 v[52:53], v[68:69], 2, v[48:49]
	global_store_dword v[52:53], v54, off
	s_or_b64 exec, exec, s[26:27]
	s_and_b64 s[30:31], s[8:9], s[18:19]
	s_and_saveexec_b64 s[26:27], s[30:31]
	s_cbranch_execz .LBB70_216
.LBB70_232:
	s_and_b64 vcc, exec, s[0:1]
	s_cbranch_vccnz .LBB70_234
; %bb.233:
	v_lshl_add_u64 v[52:53], v[70:71], 2, v[50:51]
	flat_load_dword v52, v[52:53]
	s_waitcnt vmcnt(0) lgkmcnt(0)
	v_mul_f32_e32 v52, s33, v52
	s_branch .LBB70_235
.LBB70_234:
	v_mov_b32_e32 v52, 0
.LBB70_235:
	v_pk_add_f32 v[54:55], v[20:21], v[44:45]
	s_nop 0
	v_min3_f32 v53, v54, v55, v112
	v_pk_add_f32 v[54:55], v[22:23], v[46:47]
	s_nop 0
	v_min_f32_e32 v54, v54, v55
	v_min3_f32 v54, v52, v54, v53
	v_lshl_add_u64 v[52:53], v[70:71], 2, v[48:49]
	global_store_dword v[52:53], v54, off
	s_or_b64 exec, exec, s[26:27]
	s_and_b64 s[30:31], s[10:11], s[18:19]
	s_and_saveexec_b64 s[26:27], s[30:31]
	s_cbranch_execz .LBB70_217
.LBB70_236:
	s_and_b64 vcc, exec, s[0:1]
	s_cbranch_vccnz .LBB70_238
; %bb.237:
	v_lshl_add_u64 v[52:53], v[72:73], 2, v[50:51]
	flat_load_dword v52, v[52:53]
	s_waitcnt vmcnt(0) lgkmcnt(0)
	v_mul_f32_e32 v52, s33, v52
	s_branch .LBB70_239
.LBB70_238:
	v_mov_b32_e32 v52, 0
.LBB70_239:
	v_pk_add_f32 v[54:55], v[16:17], v[44:45]
	s_nop 0
	v_min3_f32 v53, v54, v55, v111
	v_pk_add_f32 v[54:55], v[18:19], v[46:47]
	s_nop 0
	v_min_f32_e32 v54, v54, v55
	v_min3_f32 v54, v52, v54, v53
	v_lshl_add_u64 v[52:53], v[72:73], 2, v[48:49]
	global_store_dword v[52:53], v54, off
	s_or_b64 exec, exec, s[26:27]
	s_and_b64 s[30:31], s[12:13], s[18:19]
	s_and_saveexec_b64 s[26:27], s[30:31]
	s_cbranch_execz .LBB70_218
.LBB70_240:
	s_and_b64 vcc, exec, s[0:1]
	s_cbranch_vccnz .LBB70_242
; %bb.241:
	v_lshl_add_u64 v[52:53], v[74:75], 2, v[50:51]
	flat_load_dword v52, v[52:53]
	s_waitcnt vmcnt(0) lgkmcnt(0)
	v_mul_f32_e32 v52, s33, v52
	s_branch .LBB70_243
.LBB70_242:
	v_mov_b32_e32 v52, 0
.LBB70_243:
	v_pk_add_f32 v[54:55], v[12:13], v[44:45]
	s_nop 0
	v_min3_f32 v53, v54, v55, v110
	v_pk_add_f32 v[54:55], v[14:15], v[46:47]
	s_nop 0
	v_min_f32_e32 v54, v54, v55
	v_min3_f32 v54, v52, v54, v53
	v_lshl_add_u64 v[52:53], v[74:75], 2, v[48:49]
	global_store_dword v[52:53], v54, off
	s_or_b64 exec, exec, s[26:27]
	s_and_b64 s[30:31], s[14:15], s[18:19]
	s_and_saveexec_b64 s[26:27], s[30:31]
	s_cbranch_execz .LBB70_219
.LBB70_244:
	s_and_b64 vcc, exec, s[0:1]
	s_cbranch_vccnz .LBB70_246
; %bb.245:
	v_lshl_add_u64 v[52:53], v[76:77], 2, v[50:51]
	flat_load_dword v52, v[52:53]
	s_waitcnt vmcnt(0) lgkmcnt(0)
	v_mul_f32_e32 v52, s33, v52
	s_branch .LBB70_247
.LBB70_246:
	v_mov_b32_e32 v52, 0
.LBB70_247:
	v_pk_add_f32 v[54:55], v[8:9], v[44:45]
	s_nop 0
	v_min3_f32 v53, v54, v55, v109
	v_pk_add_f32 v[54:55], v[10:11], v[46:47]
	s_nop 0
	v_min_f32_e32 v54, v54, v55
	v_min3_f32 v54, v52, v54, v53
	v_lshl_add_u64 v[52:53], v[76:77], 2, v[48:49]
	global_store_dword v[52:53], v54, off
	s_or_b64 exec, exec, s[26:27]
	s_and_b64 s[26:27], s[16:17], s[18:19]
	s_and_saveexec_b64 s[18:19], s[26:27]
	s_cbranch_execz .LBB70_252
.LBB70_248:
	s_and_b64 vcc, exec, s[0:1]
	s_cbranch_vccnz .LBB70_250
; %bb.249:
	v_lshl_add_u64 v[50:51], v[78:79], 2, v[50:51]
	flat_load_dword v50, v[50:51]
	s_waitcnt vmcnt(0) lgkmcnt(0)
	v_mul_f32_e32 v50, s33, v50
	s_branch .LBB70_251
.LBB70_250:
	v_mov_b32_e32 v50, 0
.LBB70_251:
	v_pk_add_f32 v[44:45], v[0:1], v[44:45]
	s_nop 0
	v_min3_f32 v51, v44, v45, v108
	v_pk_add_f32 v[44:45], v[2:3], v[46:47]
	s_nop 0
	v_min_f32_e32 v44, v44, v45
	v_min3_f32 v46, v50, v44, v51
	v_lshl_add_u64 v[44:45], v[78:79], 2, v[48:49]
	global_store_dword v[44:45], v46, off
.LBB70_252:
	s_or_b64 exec, exec, s[18:19]
	v_add_u32_e32 v48, 0xa0, v124
	v_mad_i64_i32 v[44:45], s[26:27], v48, s29, 0
	v_cmp_gt_i32_e64 s[18:19], s21, v48
	v_lshl_add_u64 v[46:47], v[44:45], 2, s[24:25]
	v_mad_i64_i32 v[44:45], s[26:27], v48, s28, 0
	v_lshl_add_u64 v[44:45], v[44:45], 2, s[22:23]
	s_and_b64 s[30:31], s[2:3], s[18:19]
	s_and_saveexec_b64 s[26:27], s[30:31]
	s_cbranch_execnz .LBB70_260
; %bb.253:
	s_or_b64 exec, exec, s[26:27]
	s_and_b64 s[30:31], s[4:5], s[18:19]
	s_and_saveexec_b64 s[26:27], s[30:31]
	s_cbranch_execnz .LBB70_264
.LBB70_254:
	s_or_b64 exec, exec, s[26:27]
	s_and_b64 s[30:31], s[6:7], s[18:19]
	s_and_saveexec_b64 s[26:27], s[30:31]
	s_cbranch_execnz .LBB70_268
.LBB70_255:
	s_or_b64 exec, exec, s[26:27]
	s_and_b64 s[30:31], s[8:9], s[18:19]
	s_and_saveexec_b64 s[26:27], s[30:31]
	s_cbranch_execnz .LBB70_272
.LBB70_256:
	s_or_b64 exec, exec, s[26:27]
	s_and_b64 s[30:31], s[10:11], s[18:19]
	s_and_saveexec_b64 s[26:27], s[30:31]
	s_cbranch_execnz .LBB70_276
.LBB70_257:
	s_or_b64 exec, exec, s[26:27]
	s_and_b64 s[30:31], s[12:13], s[18:19]
	s_and_saveexec_b64 s[26:27], s[30:31]
	s_cbranch_execnz .LBB70_280
.LBB70_258:
	s_or_b64 exec, exec, s[26:27]
	s_and_b64 s[30:31], s[14:15], s[18:19]
	s_and_saveexec_b64 s[26:27], s[30:31]
	s_cbranch_execnz .LBB70_284
.LBB70_259:
	s_or_b64 exec, exec, s[26:27]
	s_and_b64 s[26:27], s[16:17], s[18:19]
	s_and_saveexec_b64 s[18:19], s[26:27]
	s_cbranch_execnz .LBB70_288
	s_branch .LBB70_292
.LBB70_260:
	s_and_b64 vcc, exec, s[0:1]
	s_cbranch_vccnz .LBB70_262
; %bb.261:
	v_lshl_add_u64 v[48:49], v[64:65], 2, v[46:47]
	flat_load_dword v48, v[48:49]
	s_waitcnt vmcnt(0) lgkmcnt(0)
	v_mul_f32_e32 v48, s33, v48
	s_branch .LBB70_263
.LBB70_262:
	v_mov_b32_e32 v48, 0
.LBB70_263:
	v_pk_add_f32 v[50:51], v[32:33], v[40:41]
	s_nop 0
	v_min3_f32 v49, v50, v51, v107
	v_pk_add_f32 v[50:51], v[34:35], v[42:43]
	s_nop 0
	v_min_f32_e32 v50, v50, v51
	v_min3_f32 v50, v48, v50, v49
	v_lshl_add_u64 v[48:49], v[64:65], 2, v[44:45]
	global_store_dword v[48:49], v50, off
	s_or_b64 exec, exec, s[26:27]
	s_and_b64 s[30:31], s[4:5], s[18:19]
	s_and_saveexec_b64 s[26:27], s[30:31]
	s_cbranch_execz .LBB70_254
.LBB70_264:
	s_and_b64 vcc, exec, s[0:1]
	s_cbranch_vccnz .LBB70_266
; %bb.265:
	v_lshl_add_u64 v[48:49], v[66:67], 2, v[46:47]
	flat_load_dword v48, v[48:49]
	s_waitcnt vmcnt(0) lgkmcnt(0)
	v_mul_f32_e32 v48, s33, v48
	s_branch .LBB70_267
.LBB70_266:
	v_mov_b32_e32 v48, 0
.LBB70_267:
	v_pk_add_f32 v[50:51], v[28:29], v[40:41]
	s_nop 0
	v_min3_f32 v49, v50, v51, v106
	v_pk_add_f32 v[50:51], v[30:31], v[42:43]
	s_nop 0
	v_min_f32_e32 v50, v50, v51
	v_min3_f32 v50, v48, v50, v49
	v_lshl_add_u64 v[48:49], v[66:67], 2, v[44:45]
	global_store_dword v[48:49], v50, off
	s_or_b64 exec, exec, s[26:27]
	s_and_b64 s[30:31], s[6:7], s[18:19]
	s_and_saveexec_b64 s[26:27], s[30:31]
	s_cbranch_execz .LBB70_255
.LBB70_268:
	s_and_b64 vcc, exec, s[0:1]
	s_cbranch_vccnz .LBB70_270
; %bb.269:
	v_lshl_add_u64 v[48:49], v[68:69], 2, v[46:47]
	flat_load_dword v48, v[48:49]
	s_waitcnt vmcnt(0) lgkmcnt(0)
	v_mul_f32_e32 v48, s33, v48
	s_branch .LBB70_271
.LBB70_270:
	v_mov_b32_e32 v48, 0
.LBB70_271:
	v_pk_add_f32 v[50:51], v[24:25], v[40:41]
	s_nop 0
	v_min3_f32 v49, v50, v51, v105
	v_pk_add_f32 v[50:51], v[26:27], v[42:43]
	s_nop 0
	v_min_f32_e32 v50, v50, v51
	v_min3_f32 v50, v48, v50, v49
	v_lshl_add_u64 v[48:49], v[68:69], 2, v[44:45]
	global_store_dword v[48:49], v50, off
	s_or_b64 exec, exec, s[26:27]
	s_and_b64 s[30:31], s[8:9], s[18:19]
	s_and_saveexec_b64 s[26:27], s[30:31]
	s_cbranch_execz .LBB70_256
.LBB70_272:
	s_and_b64 vcc, exec, s[0:1]
	s_cbranch_vccnz .LBB70_274
; %bb.273:
	v_lshl_add_u64 v[48:49], v[70:71], 2, v[46:47]
	flat_load_dword v48, v[48:49]
	s_waitcnt vmcnt(0) lgkmcnt(0)
	v_mul_f32_e32 v48, s33, v48
	s_branch .LBB70_275
.LBB70_274:
	v_mov_b32_e32 v48, 0
.LBB70_275:
	v_pk_add_f32 v[50:51], v[20:21], v[40:41]
	s_nop 0
	v_min3_f32 v49, v50, v51, v104
	v_pk_add_f32 v[50:51], v[22:23], v[42:43]
	s_nop 0
	v_min_f32_e32 v50, v50, v51
	v_min3_f32 v50, v48, v50, v49
	v_lshl_add_u64 v[48:49], v[70:71], 2, v[44:45]
	global_store_dword v[48:49], v50, off
	s_or_b64 exec, exec, s[26:27]
	s_and_b64 s[30:31], s[10:11], s[18:19]
	s_and_saveexec_b64 s[26:27], s[30:31]
	s_cbranch_execz .LBB70_257
.LBB70_276:
	s_and_b64 vcc, exec, s[0:1]
	s_cbranch_vccnz .LBB70_278
; %bb.277:
	v_lshl_add_u64 v[48:49], v[72:73], 2, v[46:47]
	flat_load_dword v48, v[48:49]
	s_waitcnt vmcnt(0) lgkmcnt(0)
	v_mul_f32_e32 v48, s33, v48
	s_branch .LBB70_279
.LBB70_278:
	v_mov_b32_e32 v48, 0
.LBB70_279:
	v_pk_add_f32 v[50:51], v[16:17], v[40:41]
	s_nop 0
	v_min3_f32 v49, v50, v51, v103
	v_pk_add_f32 v[50:51], v[18:19], v[42:43]
	s_nop 0
	v_min_f32_e32 v50, v50, v51
	v_min3_f32 v50, v48, v50, v49
	v_lshl_add_u64 v[48:49], v[72:73], 2, v[44:45]
	global_store_dword v[48:49], v50, off
	s_or_b64 exec, exec, s[26:27]
	s_and_b64 s[30:31], s[12:13], s[18:19]
	s_and_saveexec_b64 s[26:27], s[30:31]
	s_cbranch_execz .LBB70_258
.LBB70_280:
	s_and_b64 vcc, exec, s[0:1]
	s_cbranch_vccnz .LBB70_282
; %bb.281:
	v_lshl_add_u64 v[48:49], v[74:75], 2, v[46:47]
	flat_load_dword v48, v[48:49]
	s_waitcnt vmcnt(0) lgkmcnt(0)
	v_mul_f32_e32 v48, s33, v48
	s_branch .LBB70_283
.LBB70_282:
	v_mov_b32_e32 v48, 0
.LBB70_283:
	v_pk_add_f32 v[50:51], v[12:13], v[40:41]
	s_nop 0
	v_min3_f32 v49, v50, v51, v102
	v_pk_add_f32 v[50:51], v[14:15], v[42:43]
	s_nop 0
	v_min_f32_e32 v50, v50, v51
	v_min3_f32 v50, v48, v50, v49
	v_lshl_add_u64 v[48:49], v[74:75], 2, v[44:45]
	global_store_dword v[48:49], v50, off
	s_or_b64 exec, exec, s[26:27]
	s_and_b64 s[30:31], s[14:15], s[18:19]
	s_and_saveexec_b64 s[26:27], s[30:31]
	s_cbranch_execz .LBB70_259
.LBB70_284:
	s_and_b64 vcc, exec, s[0:1]
	s_cbranch_vccnz .LBB70_286
; %bb.285:
	v_lshl_add_u64 v[48:49], v[76:77], 2, v[46:47]
	flat_load_dword v48, v[48:49]
	s_waitcnt vmcnt(0) lgkmcnt(0)
	v_mul_f32_e32 v48, s33, v48
	s_branch .LBB70_287
.LBB70_286:
	v_mov_b32_e32 v48, 0
.LBB70_287:
	v_pk_add_f32 v[50:51], v[8:9], v[40:41]
	s_nop 0
	v_min3_f32 v49, v50, v51, v101
	v_pk_add_f32 v[50:51], v[10:11], v[42:43]
	s_nop 0
	v_min_f32_e32 v50, v50, v51
	v_min3_f32 v50, v48, v50, v49
	v_lshl_add_u64 v[48:49], v[76:77], 2, v[44:45]
	global_store_dword v[48:49], v50, off
	s_or_b64 exec, exec, s[26:27]
	s_and_b64 s[26:27], s[16:17], s[18:19]
	s_and_saveexec_b64 s[18:19], s[26:27]
	s_cbranch_execz .LBB70_292
.LBB70_288:
	s_and_b64 vcc, exec, s[0:1]
	s_cbranch_vccnz .LBB70_290
; %bb.289:
	v_lshl_add_u64 v[46:47], v[78:79], 2, v[46:47]
	flat_load_dword v46, v[46:47]
	s_waitcnt vmcnt(0) lgkmcnt(0)
	v_mul_f32_e32 v46, s33, v46
	s_branch .LBB70_291
.LBB70_290:
	v_mov_b32_e32 v46, 0
.LBB70_291:
	v_pk_add_f32 v[40:41], v[0:1], v[40:41]
	s_nop 0
	v_min3_f32 v47, v40, v41, v100
	v_pk_add_f32 v[40:41], v[2:3], v[42:43]
	s_nop 0
	v_min_f32_e32 v40, v40, v41
	v_min3_f32 v42, v46, v40, v47
	v_lshl_add_u64 v[40:41], v[78:79], 2, v[44:45]
	global_store_dword v[40:41], v42, off
.LBB70_292:
	s_or_b64 exec, exec, s[18:19]
	v_add_u32_e32 v44, 0xc0, v124
	v_mad_i64_i32 v[40:41], s[26:27], v44, s29, 0
	v_cmp_gt_i32_e64 s[18:19], s21, v44
	v_lshl_add_u64 v[42:43], v[40:41], 2, s[24:25]
	v_mad_i64_i32 v[40:41], s[26:27], v44, s28, 0
	v_lshl_add_u64 v[40:41], v[40:41], 2, s[22:23]
	s_and_b64 s[30:31], s[2:3], s[18:19]
	s_and_saveexec_b64 s[26:27], s[30:31]
	s_cbranch_execnz .LBB70_300
; %bb.293:
	s_or_b64 exec, exec, s[26:27]
	s_and_b64 s[30:31], s[4:5], s[18:19]
	s_and_saveexec_b64 s[26:27], s[30:31]
	s_cbranch_execnz .LBB70_304
.LBB70_294:
	s_or_b64 exec, exec, s[26:27]
	s_and_b64 s[30:31], s[6:7], s[18:19]
	s_and_saveexec_b64 s[26:27], s[30:31]
	s_cbranch_execnz .LBB70_308
.LBB70_295:
	s_or_b64 exec, exec, s[26:27]
	s_and_b64 s[30:31], s[8:9], s[18:19]
	s_and_saveexec_b64 s[26:27], s[30:31]
	s_cbranch_execnz .LBB70_312
.LBB70_296:
	s_or_b64 exec, exec, s[26:27]
	s_and_b64 s[30:31], s[10:11], s[18:19]
	s_and_saveexec_b64 s[26:27], s[30:31]
	s_cbranch_execnz .LBB70_316
.LBB70_297:
	s_or_b64 exec, exec, s[26:27]
	s_and_b64 s[30:31], s[12:13], s[18:19]
	s_and_saveexec_b64 s[26:27], s[30:31]
	s_cbranch_execnz .LBB70_320
.LBB70_298:
	s_or_b64 exec, exec, s[26:27]
	s_and_b64 s[30:31], s[14:15], s[18:19]
	s_and_saveexec_b64 s[26:27], s[30:31]
	s_cbranch_execnz .LBB70_324
.LBB70_299:
	s_or_b64 exec, exec, s[26:27]
	s_and_b64 s[26:27], s[16:17], s[18:19]
	s_and_saveexec_b64 s[18:19], s[26:27]
	s_cbranch_execnz .LBB70_328
	s_branch .LBB70_332
.LBB70_300:
	s_and_b64 vcc, exec, s[0:1]
	s_cbranch_vccnz .LBB70_302
; %bb.301:
	v_lshl_add_u64 v[44:45], v[64:65], 2, v[42:43]
	flat_load_dword v44, v[44:45]
	s_waitcnt vmcnt(0) lgkmcnt(0)
	v_mul_f32_e32 v44, s33, v44
	s_branch .LBB70_303
.LBB70_302:
	v_mov_b32_e32 v44, 0
.LBB70_303:
	v_pk_add_f32 v[46:47], v[32:33], v[36:37]
	s_nop 0
	v_min3_f32 v45, v46, v47, v99
	v_pk_add_f32 v[46:47], v[34:35], v[38:39]
	s_nop 0
	v_min_f32_e32 v46, v46, v47
	v_min3_f32 v46, v44, v46, v45
	v_lshl_add_u64 v[44:45], v[64:65], 2, v[40:41]
	global_store_dword v[44:45], v46, off
	s_or_b64 exec, exec, s[26:27]
	s_and_b64 s[30:31], s[4:5], s[18:19]
	s_and_saveexec_b64 s[26:27], s[30:31]
	s_cbranch_execz .LBB70_294
.LBB70_304:
	s_and_b64 vcc, exec, s[0:1]
	s_cbranch_vccnz .LBB70_306
; %bb.305:
	v_lshl_add_u64 v[44:45], v[66:67], 2, v[42:43]
	flat_load_dword v44, v[44:45]
	s_waitcnt vmcnt(0) lgkmcnt(0)
	v_mul_f32_e32 v44, s33, v44
	s_branch .LBB70_307
.LBB70_306:
	v_mov_b32_e32 v44, 0
.LBB70_307:
	v_pk_add_f32 v[46:47], v[28:29], v[36:37]
	s_nop 0
	v_min3_f32 v45, v46, v47, v98
	v_pk_add_f32 v[46:47], v[30:31], v[38:39]
	s_nop 0
	v_min_f32_e32 v46, v46, v47
	v_min3_f32 v46, v44, v46, v45
	v_lshl_add_u64 v[44:45], v[66:67], 2, v[40:41]
	global_store_dword v[44:45], v46, off
	s_or_b64 exec, exec, s[26:27]
	s_and_b64 s[30:31], s[6:7], s[18:19]
	s_and_saveexec_b64 s[26:27], s[30:31]
	s_cbranch_execz .LBB70_295
.LBB70_308:
	s_and_b64 vcc, exec, s[0:1]
	s_cbranch_vccnz .LBB70_310
; %bb.309:
	v_lshl_add_u64 v[44:45], v[68:69], 2, v[42:43]
	flat_load_dword v44, v[44:45]
	s_waitcnt vmcnt(0) lgkmcnt(0)
	v_mul_f32_e32 v44, s33, v44
	s_branch .LBB70_311
.LBB70_310:
	v_mov_b32_e32 v44, 0
.LBB70_311:
	v_pk_add_f32 v[46:47], v[24:25], v[36:37]
	s_nop 0
	v_min3_f32 v45, v46, v47, v97
	v_pk_add_f32 v[46:47], v[26:27], v[38:39]
	s_nop 0
	v_min_f32_e32 v46, v46, v47
	v_min3_f32 v46, v44, v46, v45
	v_lshl_add_u64 v[44:45], v[68:69], 2, v[40:41]
	global_store_dword v[44:45], v46, off
	s_or_b64 exec, exec, s[26:27]
	s_and_b64 s[30:31], s[8:9], s[18:19]
	s_and_saveexec_b64 s[26:27], s[30:31]
	s_cbranch_execz .LBB70_296
.LBB70_312:
	s_and_b64 vcc, exec, s[0:1]
	s_cbranch_vccnz .LBB70_314
; %bb.313:
	v_lshl_add_u64 v[44:45], v[70:71], 2, v[42:43]
	flat_load_dword v44, v[44:45]
	s_waitcnt vmcnt(0) lgkmcnt(0)
	v_mul_f32_e32 v44, s33, v44
	s_branch .LBB70_315
.LBB70_314:
	v_mov_b32_e32 v44, 0
.LBB70_315:
	v_pk_add_f32 v[46:47], v[20:21], v[36:37]
	s_nop 0
	v_min3_f32 v45, v46, v47, v96
	v_pk_add_f32 v[46:47], v[22:23], v[38:39]
	s_nop 0
	v_min_f32_e32 v46, v46, v47
	v_min3_f32 v46, v44, v46, v45
	v_lshl_add_u64 v[44:45], v[70:71], 2, v[40:41]
	global_store_dword v[44:45], v46, off
	s_or_b64 exec, exec, s[26:27]
	s_and_b64 s[30:31], s[10:11], s[18:19]
	s_and_saveexec_b64 s[26:27], s[30:31]
	s_cbranch_execz .LBB70_297
.LBB70_316:
	s_and_b64 vcc, exec, s[0:1]
	s_cbranch_vccnz .LBB70_318
; %bb.317:
	v_lshl_add_u64 v[44:45], v[72:73], 2, v[42:43]
	flat_load_dword v44, v[44:45]
	s_waitcnt vmcnt(0) lgkmcnt(0)
	v_mul_f32_e32 v44, s33, v44
	s_branch .LBB70_319
.LBB70_318:
	v_mov_b32_e32 v44, 0
.LBB70_319:
	v_pk_add_f32 v[46:47], v[16:17], v[36:37]
	s_nop 0
	v_min3_f32 v45, v46, v47, v95
	v_pk_add_f32 v[46:47], v[18:19], v[38:39]
	s_nop 0
	v_min_f32_e32 v46, v46, v47
	v_min3_f32 v46, v44, v46, v45
	v_lshl_add_u64 v[44:45], v[72:73], 2, v[40:41]
	global_store_dword v[44:45], v46, off
	s_or_b64 exec, exec, s[26:27]
	s_and_b64 s[30:31], s[12:13], s[18:19]
	s_and_saveexec_b64 s[26:27], s[30:31]
	s_cbranch_execz .LBB70_298
.LBB70_320:
	s_and_b64 vcc, exec, s[0:1]
	s_cbranch_vccnz .LBB70_322
; %bb.321:
	v_lshl_add_u64 v[44:45], v[74:75], 2, v[42:43]
	flat_load_dword v44, v[44:45]
	s_waitcnt vmcnt(0) lgkmcnt(0)
	v_mul_f32_e32 v44, s33, v44
	s_branch .LBB70_323
.LBB70_322:
	v_mov_b32_e32 v44, 0
.LBB70_323:
	v_pk_add_f32 v[46:47], v[12:13], v[36:37]
	s_nop 0
	v_min3_f32 v45, v46, v47, v94
	v_pk_add_f32 v[46:47], v[14:15], v[38:39]
	s_nop 0
	v_min_f32_e32 v46, v46, v47
	v_min3_f32 v46, v44, v46, v45
	v_lshl_add_u64 v[44:45], v[74:75], 2, v[40:41]
	global_store_dword v[44:45], v46, off
	s_or_b64 exec, exec, s[26:27]
	s_and_b64 s[30:31], s[14:15], s[18:19]
	s_and_saveexec_b64 s[26:27], s[30:31]
	s_cbranch_execz .LBB70_299
.LBB70_324:
	s_and_b64 vcc, exec, s[0:1]
	s_cbranch_vccnz .LBB70_326
; %bb.325:
	v_lshl_add_u64 v[44:45], v[76:77], 2, v[42:43]
	flat_load_dword v44, v[44:45]
	s_waitcnt vmcnt(0) lgkmcnt(0)
	v_mul_f32_e32 v44, s33, v44
	s_branch .LBB70_327
.LBB70_326:
	v_mov_b32_e32 v44, 0
.LBB70_327:
	v_pk_add_f32 v[46:47], v[8:9], v[36:37]
	s_nop 0
	v_min3_f32 v45, v46, v47, v93
	v_pk_add_f32 v[46:47], v[10:11], v[38:39]
	s_nop 0
	v_min_f32_e32 v46, v46, v47
	v_min3_f32 v46, v44, v46, v45
	v_lshl_add_u64 v[44:45], v[76:77], 2, v[40:41]
	global_store_dword v[44:45], v46, off
	s_or_b64 exec, exec, s[26:27]
	s_and_b64 s[26:27], s[16:17], s[18:19]
	s_and_saveexec_b64 s[18:19], s[26:27]
	s_cbranch_execz .LBB70_332
.LBB70_328:
	s_and_b64 vcc, exec, s[0:1]
	s_cbranch_vccnz .LBB70_330
; %bb.329:
	v_lshl_add_u64 v[42:43], v[78:79], 2, v[42:43]
	flat_load_dword v42, v[42:43]
	s_waitcnt vmcnt(0) lgkmcnt(0)
	v_mul_f32_e32 v42, s33, v42
	s_branch .LBB70_331
.LBB70_330:
	v_mov_b32_e32 v42, 0
.LBB70_331:
	v_pk_add_f32 v[36:37], v[0:1], v[36:37]
	s_nop 0
	v_min3_f32 v43, v36, v37, v92
	v_pk_add_f32 v[36:37], v[2:3], v[38:39]
	s_nop 0
	v_min_f32_e32 v36, v36, v37
	v_min3_f32 v38, v42, v36, v43
	v_lshl_add_u64 v[36:37], v[78:79], 2, v[40:41]
	global_store_dword v[36:37], v38, off
.LBB70_332:
	s_or_b64 exec, exec, s[18:19]
	v_add_u32_e32 v40, 0xe0, v124
	v_cmp_gt_i32_e64 s[18:19], s21, v40
	v_mad_i64_i32 v[36:37], s[20:21], v40, s29, 0
	v_lshl_add_u64 v[38:39], v[36:37], 2, s[24:25]
	v_mad_i64_i32 v[36:37], s[20:21], v40, s28, 0
	v_lshl_add_u64 v[36:37], v[36:37], 2, s[22:23]
	s_and_b64 s[20:21], s[2:3], s[18:19]
	s_and_saveexec_b64 s[2:3], s[20:21]
	s_cbranch_execnz .LBB70_341
; %bb.333:
	s_or_b64 exec, exec, s[2:3]
	s_and_b64 s[4:5], s[4:5], s[18:19]
	s_and_saveexec_b64 s[2:3], s[4:5]
	s_cbranch_execnz .LBB70_345
.LBB70_334:
	s_or_b64 exec, exec, s[2:3]
	s_and_b64 s[4:5], s[6:7], s[18:19]
	s_and_saveexec_b64 s[2:3], s[4:5]
	s_cbranch_execnz .LBB70_349
.LBB70_335:
	s_or_b64 exec, exec, s[2:3]
	s_and_b64 s[4:5], s[8:9], s[18:19]
	s_and_saveexec_b64 s[2:3], s[4:5]
	s_cbranch_execnz .LBB70_353
.LBB70_336:
	s_or_b64 exec, exec, s[2:3]
	s_and_b64 s[4:5], s[10:11], s[18:19]
	s_and_saveexec_b64 s[2:3], s[4:5]
	s_cbranch_execnz .LBB70_357
.LBB70_337:
	s_or_b64 exec, exec, s[2:3]
	s_and_b64 s[4:5], s[12:13], s[18:19]
	s_and_saveexec_b64 s[2:3], s[4:5]
	s_cbranch_execnz .LBB70_361
.LBB70_338:
	s_or_b64 exec, exec, s[2:3]
	s_and_b64 s[4:5], s[14:15], s[18:19]
	s_and_saveexec_b64 s[2:3], s[4:5]
	s_cbranch_execnz .LBB70_365
.LBB70_339:
	s_or_b64 exec, exec, s[2:3]
	s_and_b64 s[2:3], s[16:17], s[18:19]
	s_and_saveexec_b64 s[4:5], s[2:3]
	s_cbranch_execnz .LBB70_369
.LBB70_340:
	s_endpgm
.LBB70_341:
	s_and_b64 vcc, exec, s[0:1]
	s_cbranch_vccnz .LBB70_343
; %bb.342:
	v_lshl_add_u64 v[40:41], v[64:65], 2, v[38:39]
	flat_load_dword v40, v[40:41]
	s_waitcnt vmcnt(0) lgkmcnt(0)
	v_mul_f32_e32 v40, s33, v40
	s_branch .LBB70_344
.LBB70_343:
	v_mov_b32_e32 v40, 0
.LBB70_344:
	v_pk_add_f32 v[32:33], v[32:33], v[4:5]
	s_nop 0
	v_min3_f32 v41, v32, v33, v91
	v_pk_add_f32 v[32:33], v[34:35], v[6:7]
	s_nop 0
	v_min_f32_e32 v32, v32, v33
	v_min3_f32 v34, v40, v32, v41
	v_lshl_add_u64 v[32:33], v[64:65], 2, v[36:37]
	global_store_dword v[32:33], v34, off
	s_or_b64 exec, exec, s[2:3]
	s_and_b64 s[4:5], s[4:5], s[18:19]
	s_and_saveexec_b64 s[2:3], s[4:5]
	s_cbranch_execz .LBB70_334
.LBB70_345:
	s_and_b64 vcc, exec, s[0:1]
	s_cbranch_vccnz .LBB70_347
; %bb.346:
	v_lshl_add_u64 v[32:33], v[66:67], 2, v[38:39]
	flat_load_dword v32, v[32:33]
	s_waitcnt vmcnt(0) lgkmcnt(0)
	v_mul_f32_e32 v32, s33, v32
	s_branch .LBB70_348
.LBB70_347:
	v_mov_b32_e32 v32, 0
.LBB70_348:
	v_pk_add_f32 v[28:29], v[28:29], v[4:5]
	s_nop 0
	v_min3_f32 v33, v28, v29, v90
	v_pk_add_f32 v[28:29], v[30:31], v[6:7]
	s_nop 0
	v_min_f32_e32 v28, v28, v29
	v_min3_f32 v30, v32, v28, v33
	v_lshl_add_u64 v[28:29], v[66:67], 2, v[36:37]
	global_store_dword v[28:29], v30, off
	s_or_b64 exec, exec, s[2:3]
	s_and_b64 s[4:5], s[6:7], s[18:19]
	s_and_saveexec_b64 s[2:3], s[4:5]
	s_cbranch_execz .LBB70_335
.LBB70_349:
	s_and_b64 vcc, exec, s[0:1]
	s_cbranch_vccnz .LBB70_351
; %bb.350:
	v_lshl_add_u64 v[28:29], v[68:69], 2, v[38:39]
	flat_load_dword v28, v[28:29]
	s_waitcnt vmcnt(0) lgkmcnt(0)
	v_mul_f32_e32 v28, s33, v28
	s_branch .LBB70_352
.LBB70_351:
	v_mov_b32_e32 v28, 0
.LBB70_352:
	v_pk_add_f32 v[24:25], v[24:25], v[4:5]
	s_nop 0
	v_min3_f32 v29, v24, v25, v89
	v_pk_add_f32 v[24:25], v[26:27], v[6:7]
	s_nop 0
	v_min_f32_e32 v24, v24, v25
	v_min3_f32 v26, v28, v24, v29
	v_lshl_add_u64 v[24:25], v[68:69], 2, v[36:37]
	global_store_dword v[24:25], v26, off
	s_or_b64 exec, exec, s[2:3]
	s_and_b64 s[4:5], s[8:9], s[18:19]
	s_and_saveexec_b64 s[2:3], s[4:5]
	s_cbranch_execz .LBB70_336
.LBB70_353:
	s_and_b64 vcc, exec, s[0:1]
	s_cbranch_vccnz .LBB70_355
; %bb.354:
	v_lshl_add_u64 v[24:25], v[70:71], 2, v[38:39]
	flat_load_dword v24, v[24:25]
	s_waitcnt vmcnt(0) lgkmcnt(0)
	v_mul_f32_e32 v24, s33, v24
	s_branch .LBB70_356
.LBB70_355:
	v_mov_b32_e32 v24, 0
.LBB70_356:
	v_pk_add_f32 v[20:21], v[20:21], v[4:5]
	s_nop 0
	v_min3_f32 v25, v20, v21, v87
	v_pk_add_f32 v[20:21], v[22:23], v[6:7]
	s_nop 0
	v_min_f32_e32 v20, v20, v21
	v_min3_f32 v22, v24, v20, v25
	v_lshl_add_u64 v[20:21], v[70:71], 2, v[36:37]
	global_store_dword v[20:21], v22, off
	s_or_b64 exec, exec, s[2:3]
	s_and_b64 s[4:5], s[10:11], s[18:19]
	s_and_saveexec_b64 s[2:3], s[4:5]
	s_cbranch_execz .LBB70_337
.LBB70_357:
	s_and_b64 vcc, exec, s[0:1]
	s_cbranch_vccnz .LBB70_359
; %bb.358:
	v_lshl_add_u64 v[20:21], v[72:73], 2, v[38:39]
	flat_load_dword v20, v[20:21]
	s_waitcnt vmcnt(0) lgkmcnt(0)
	v_mul_f32_e32 v20, s33, v20
	s_branch .LBB70_360
.LBB70_359:
	v_mov_b32_e32 v20, 0
.LBB70_360:
	v_pk_add_f32 v[16:17], v[16:17], v[4:5]
	s_nop 0
	v_min3_f32 v21, v16, v17, v86
	v_pk_add_f32 v[16:17], v[18:19], v[6:7]
	s_nop 0
	v_min_f32_e32 v16, v16, v17
	v_min3_f32 v18, v20, v16, v21
	v_lshl_add_u64 v[16:17], v[72:73], 2, v[36:37]
	global_store_dword v[16:17], v18, off
	s_or_b64 exec, exec, s[2:3]
	s_and_b64 s[4:5], s[12:13], s[18:19]
	s_and_saveexec_b64 s[2:3], s[4:5]
	s_cbranch_execz .LBB70_338
.LBB70_361:
	s_and_b64 vcc, exec, s[0:1]
	s_cbranch_vccnz .LBB70_363
; %bb.362:
	v_lshl_add_u64 v[16:17], v[74:75], 2, v[38:39]
	flat_load_dword v16, v[16:17]
	s_waitcnt vmcnt(0) lgkmcnt(0)
	v_mul_f32_e32 v16, s33, v16
	s_branch .LBB70_364
.LBB70_363:
	v_mov_b32_e32 v16, 0
.LBB70_364:
	v_pk_add_f32 v[12:13], v[12:13], v[4:5]
	s_nop 0
	v_min3_f32 v17, v12, v13, v85
	v_pk_add_f32 v[12:13], v[14:15], v[6:7]
	s_nop 0
	v_min_f32_e32 v12, v12, v13
	v_min3_f32 v14, v16, v12, v17
	v_lshl_add_u64 v[12:13], v[74:75], 2, v[36:37]
	global_store_dword v[12:13], v14, off
	s_or_b64 exec, exec, s[2:3]
	s_and_b64 s[4:5], s[14:15], s[18:19]
	s_and_saveexec_b64 s[2:3], s[4:5]
	s_cbranch_execz .LBB70_339
.LBB70_365:
	s_and_b64 vcc, exec, s[0:1]
	s_cbranch_vccnz .LBB70_367
; %bb.366:
	v_lshl_add_u64 v[12:13], v[76:77], 2, v[38:39]
	flat_load_dword v12, v[12:13]
	s_waitcnt vmcnt(0) lgkmcnt(0)
	v_mul_f32_e32 v12, s33, v12
	s_branch .LBB70_368
.LBB70_367:
	v_mov_b32_e32 v12, 0
.LBB70_368:
	v_pk_add_f32 v[8:9], v[8:9], v[4:5]
	s_nop 0
	v_min3_f32 v13, v8, v9, v84
	v_pk_add_f32 v[8:9], v[10:11], v[6:7]
	s_nop 0
	v_min_f32_e32 v8, v8, v9
	v_min3_f32 v10, v12, v8, v13
	v_lshl_add_u64 v[8:9], v[76:77], 2, v[36:37]
	global_store_dword v[8:9], v10, off
	s_or_b64 exec, exec, s[2:3]
	s_and_b64 s[2:3], s[16:17], s[18:19]
	s_and_saveexec_b64 s[4:5], s[2:3]
	s_cbranch_execz .LBB70_340
.LBB70_369:
	s_and_b64 vcc, exec, s[0:1]
	s_cbranch_vccnz .LBB70_371
; %bb.370:
	v_lshl_add_u64 v[8:9], v[78:79], 2, v[38:39]
	flat_load_dword v8, v[8:9]
	s_waitcnt vmcnt(0) lgkmcnt(0)
	v_mul_f32_e32 v8, s33, v8
	s_branch .LBB70_372
.LBB70_371:
	v_mov_b32_e32 v8, 0
.LBB70_372:
	v_pk_add_f32 v[0:1], v[0:1], v[4:5]
	s_nop 0
	v_min3_f32 v4, v0, v1, v88
	v_pk_add_f32 v[0:1], v[2:3], v[6:7]
	s_nop 0
	v_min_f32_e32 v0, v0, v1
	v_min3_f32 v2, v8, v0, v4
	v_lshl_add_u64 v[0:1], v[78:79], 2, v[36:37]
	global_store_dword v[0:1], v2, off
	s_endpgm
	.section	.rodata,"a",@progbits
	.p2align	6, 0x0
	.amdhsa_kernel _ZN12_GLOBAL__N_120geam_min_plus_kernelIf15HIP_vector_typeIfLj2EEfLi8ELi32ELi64ELi256ELi4ELi64ELi4ELi64ELi4ELc78ELc84ELb1ELb1ELb1EfKffEEviiiT16_PT17_ilS6_ilS4_S6_ilPT18_ili26rocblas_geam_ex_operation_
		.amdhsa_group_segment_fixed_size 10240
		.amdhsa_private_segment_fixed_size 0
		.amdhsa_kernarg_size 128
		.amdhsa_user_sgpr_count 2
		.amdhsa_user_sgpr_dispatch_ptr 0
		.amdhsa_user_sgpr_queue_ptr 0
		.amdhsa_user_sgpr_kernarg_segment_ptr 1
		.amdhsa_user_sgpr_dispatch_id 0
		.amdhsa_user_sgpr_kernarg_preload_length 0
		.amdhsa_user_sgpr_kernarg_preload_offset 0
		.amdhsa_user_sgpr_private_segment_size 0
		.amdhsa_uses_dynamic_stack 0
		.amdhsa_enable_private_segment 0
		.amdhsa_system_sgpr_workgroup_id_x 1
		.amdhsa_system_sgpr_workgroup_id_y 0
		.amdhsa_system_sgpr_workgroup_id_z 1
		.amdhsa_system_sgpr_workgroup_info 0
		.amdhsa_system_vgpr_workitem_id 1
		.amdhsa_next_free_vgpr 180
		.amdhsa_next_free_sgpr 40
		.amdhsa_accum_offset 180
		.amdhsa_reserve_vcc 1
		.amdhsa_float_round_mode_32 0
		.amdhsa_float_round_mode_16_64 0
		.amdhsa_float_denorm_mode_32 3
		.amdhsa_float_denorm_mode_16_64 3
		.amdhsa_dx10_clamp 1
		.amdhsa_ieee_mode 1
		.amdhsa_fp16_overflow 0
		.amdhsa_tg_split 0
		.amdhsa_exception_fp_ieee_invalid_op 0
		.amdhsa_exception_fp_denorm_src 0
		.amdhsa_exception_fp_ieee_div_zero 0
		.amdhsa_exception_fp_ieee_overflow 0
		.amdhsa_exception_fp_ieee_underflow 0
		.amdhsa_exception_fp_ieee_inexact 0
		.amdhsa_exception_int_div_zero 0
	.end_amdhsa_kernel
	.section	.text._ZN12_GLOBAL__N_120geam_min_plus_kernelIf15HIP_vector_typeIfLj2EEfLi8ELi32ELi64ELi256ELi4ELi64ELi4ELi64ELi4ELc78ELc84ELb1ELb1ELb1EfKffEEviiiT16_PT17_ilS6_ilS4_S6_ilPT18_ili26rocblas_geam_ex_operation_,"axG",@progbits,_ZN12_GLOBAL__N_120geam_min_plus_kernelIf15HIP_vector_typeIfLj2EEfLi8ELi32ELi64ELi256ELi4ELi64ELi4ELi64ELi4ELc78ELc84ELb1ELb1ELb1EfKffEEviiiT16_PT17_ilS6_ilS4_S6_ilPT18_ili26rocblas_geam_ex_operation_,comdat
.Lfunc_end70:
	.size	_ZN12_GLOBAL__N_120geam_min_plus_kernelIf15HIP_vector_typeIfLj2EEfLi8ELi32ELi64ELi256ELi4ELi64ELi4ELi64ELi4ELc78ELc84ELb1ELb1ELb1EfKffEEviiiT16_PT17_ilS6_ilS4_S6_ilPT18_ili26rocblas_geam_ex_operation_, .Lfunc_end70-_ZN12_GLOBAL__N_120geam_min_plus_kernelIf15HIP_vector_typeIfLj2EEfLi8ELi32ELi64ELi256ELi4ELi64ELi4ELi64ELi4ELc78ELc84ELb1ELb1ELb1EfKffEEviiiT16_PT17_ilS6_ilS4_S6_ilPT18_ili26rocblas_geam_ex_operation_
                                        ; -- End function
	.section	.AMDGPU.csdata,"",@progbits
; Kernel info:
; codeLenInByte = 18396
; NumSgprs: 46
; NumVgprs: 180
; NumAgprs: 0
; TotalNumVgprs: 180
; ScratchSize: 0
; MemoryBound: 0
; FloatMode: 240
; IeeeMode: 1
; LDSByteSize: 10240 bytes/workgroup (compile time only)
; SGPRBlocks: 5
; VGPRBlocks: 22
; NumSGPRsForWavesPerEU: 46
; NumVGPRsForWavesPerEU: 180
; AccumOffset: 180
; Occupancy: 2
; WaveLimiterHint : 0
; COMPUTE_PGM_RSRC2:SCRATCH_EN: 0
; COMPUTE_PGM_RSRC2:USER_SGPR: 2
; COMPUTE_PGM_RSRC2:TRAP_HANDLER: 0
; COMPUTE_PGM_RSRC2:TGID_X_EN: 1
; COMPUTE_PGM_RSRC2:TGID_Y_EN: 0
; COMPUTE_PGM_RSRC2:TGID_Z_EN: 1
; COMPUTE_PGM_RSRC2:TIDIG_COMP_CNT: 1
; COMPUTE_PGM_RSRC3_GFX90A:ACCUM_OFFSET: 44
; COMPUTE_PGM_RSRC3_GFX90A:TG_SPLIT: 0
	.section	.text._ZN12_GLOBAL__N_120geam_min_plus_kernelIf15HIP_vector_typeIfLj2EEfLi8ELi32ELi64ELi256ELi4ELi64ELi4ELi64ELi4ELc78ELc84ELb0ELb1ELb1EfKffEEviiiT16_PT17_ilS6_ilS4_S6_ilPT18_ili26rocblas_geam_ex_operation_,"axG",@progbits,_ZN12_GLOBAL__N_120geam_min_plus_kernelIf15HIP_vector_typeIfLj2EEfLi8ELi32ELi64ELi256ELi4ELi64ELi4ELi64ELi4ELc78ELc84ELb0ELb1ELb1EfKffEEviiiT16_PT17_ilS6_ilS4_S6_ilPT18_ili26rocblas_geam_ex_operation_,comdat
	.globl	_ZN12_GLOBAL__N_120geam_min_plus_kernelIf15HIP_vector_typeIfLj2EEfLi8ELi32ELi64ELi256ELi4ELi64ELi4ELi64ELi4ELc78ELc84ELb0ELb1ELb1EfKffEEviiiT16_PT17_ilS6_ilS4_S6_ilPT18_ili26rocblas_geam_ex_operation_ ; -- Begin function _ZN12_GLOBAL__N_120geam_min_plus_kernelIf15HIP_vector_typeIfLj2EEfLi8ELi32ELi64ELi256ELi4ELi64ELi4ELi64ELi4ELc78ELc84ELb0ELb1ELb1EfKffEEviiiT16_PT17_ilS6_ilS4_S6_ilPT18_ili26rocblas_geam_ex_operation_
	.p2align	8
	.type	_ZN12_GLOBAL__N_120geam_min_plus_kernelIf15HIP_vector_typeIfLj2EEfLi8ELi32ELi64ELi256ELi4ELi64ELi4ELi64ELi4ELc78ELc84ELb0ELb1ELb1EfKffEEviiiT16_PT17_ilS6_ilS4_S6_ilPT18_ili26rocblas_geam_ex_operation_,@function
_ZN12_GLOBAL__N_120geam_min_plus_kernelIf15HIP_vector_typeIfLj2EEfLi8ELi32ELi64ELi256ELi4ELi64ELi4ELi64ELi4ELc78ELc84ELb0ELb1ELb1EfKffEEviiiT16_PT17_ilS6_ilS4_S6_ilPT18_ili26rocblas_geam_ex_operation_: ; @_ZN12_GLOBAL__N_120geam_min_plus_kernelIf15HIP_vector_typeIfLj2EEfLi8ELi32ELi64ELi256ELi4ELi64ELi4ELi64ELi4ELc78ELc84ELb0ELb1ELb1EfKffEEviiiT16_PT17_ilS6_ilS4_S6_ilPT18_ili26rocblas_geam_ex_operation_
; %bb.0:
	s_load_dwordx4 s[20:23], s[0:1], 0x0
	s_load_dwordx4 s[4:7], s[0:1], 0x20
	s_mov_b64 s[36:37], 0
	s_waitcnt lgkmcnt(0)
	v_cmp_eq_f32_e64 s[30:31], s23, 0
	v_cmp_neq_f32_e64 s[8:9], s23, 0
	s_and_b64 vcc, exec, s[30:31]
	s_cbranch_vccnz .LBB71_2
; %bb.1:
	s_load_dwordx2 s[10:11], s[0:1], 0x10
	s_mul_i32 s5, s3, s5
	s_mul_hi_u32 s12, s3, s4
	s_add_i32 s5, s12, s5
	s_mul_i32 s4, s3, s4
	s_lshl_b64 s[4:5], s[4:5], 2
	s_waitcnt lgkmcnt(0)
	s_add_u32 s36, s10, s4
	s_addc_u32 s37, s11, s5
.LBB71_2:
	s_and_b64 vcc, exec, s[8:9]
	s_cbranch_vccz .LBB71_4
; %bb.3:
	s_load_dwordx2 s[4:5], s[0:1], 0x38
	s_mov_b32 s29, 0
	s_waitcnt lgkmcnt(0)
	s_mul_i32 s5, s3, s5
	s_mul_hi_u32 s8, s3, s4
	s_mul_i32 s4, s3, s4
	s_add_i32 s5, s8, s5
	s_lshl_b64 s[4:5], s[4:5], 2
	s_add_u32 s34, s6, s4
	s_addc_u32 s35, s7, s5
	s_cbranch_execz .LBB71_5
	s_branch .LBB71_6
.LBB71_4:
                                        ; implicit-def: $sgpr34_sgpr35
                                        ; implicit-def: $sgpr28_sgpr29
.LBB71_5:
	s_mov_b32 s29, 0
	s_mov_b64 s[34:35], 0
.LBB71_6:
	s_load_dword s28, s[0:1], 0x40
	s_load_dwordx4 s[16:19], s[0:1], 0x58
	s_waitcnt lgkmcnt(0)
	v_cmp_eq_f32_e64 s[4:5], s28, 0
	v_cmp_neq_f32_e64 s[26:27], s28, 0
	s_and_b64 vcc, exec, s[4:5]
	s_cbranch_vccnz .LBB71_8
; %bb.7:
	s_load_dwordx2 s[4:5], s[0:1], 0x48
	s_mul_i32 s6, s3, s17
	s_mul_hi_u32 s7, s3, s16
	s_add_i32 s6, s7, s6
	s_mul_i32 s7, s29, s16
	s_add_i32 s7, s6, s7
	s_mul_i32 s6, s3, s16
	s_lshl_b64 s[6:7], s[6:7], 2
	s_waitcnt lgkmcnt(0)
	s_add_u32 s24, s4, s6
	s_addc_u32 s25, s5, s7
	s_branch .LBB71_9
.LBB71_8:
	s_mov_b64 s[24:25], 0
.LBB71_9:
	s_add_i32 s6, s20, -1
	s_ashr_i32 s4, s6, 31
	s_lshr_b32 s4, s4, 26
	s_add_i32 s4, s6, s4
	s_ashr_i32 s4, s4, 6
	s_add_i32 s5, s4, 1
	v_cvt_f32_u32_e32 v1, s5
	s_not_b32 s4, s4
	s_load_dword s16, s[0:1], 0x18
	v_and_b32_e32 v74, 0x3ff, v0
	v_rcp_iflag_f32_e32 v1, v1
	v_bfe_u32 v75, v0, 10, 10
	v_lshl_add_u32 v0, v75, 3, v74
	s_waitcnt lgkmcnt(0)
	s_ashr_i32 s17, s16, 31
	v_mul_f32_e32 v1, 0x4f7ffffe, v1
	v_cvt_u32_f32_e32 v1, v1
	v_and_b32_e32 v2, 63, v0
	v_lshrrev_b32_e32 v76, 6, v0
	v_cmp_le_i32_e64 s[10:11], s22, v76
	v_readfirstlane_b32 s7, v1
	s_mul_i32 s4, s4, s7
	s_mul_hi_u32 s4, s7, s4
	s_add_i32 s7, s7, s4
	s_mul_hi_u32 s4, s2, s7
	s_mul_i32 s7, s4, s5
	s_sub_i32 s7, s2, s7
	s_add_i32 s8, s4, 1
	s_sub_i32 s9, s7, s5
	s_cmp_ge_u32 s7, s5
	s_cselect_b32 s4, s8, s4
	s_cselect_b32 s7, s9, s7
	s_add_i32 s8, s4, 1
	s_cmp_ge_u32 s7, s5
	s_cselect_b32 s8, s8, s4
	s_mul_i32 s4, s8, s5
	s_sub_i32 s2, s2, s4
	s_lshl_b32 s2, s2, 6
	v_or_b32_e32 v0, s2, v2
	v_cmp_le_i32_e32 vcc, s20, v0
	s_or_b64 s[4:5], s[10:11], vcc
	s_add_i32 s40, s22, -1
	v_min_i32_e32 v56, s6, v0
	v_min_i32_e32 v0, s40, v76
	s_or_b64 s[6:7], s[30:31], s[4:5]
	s_xor_b64 s[6:7], s[6:7], -1
	v_ashrrev_i32_e32 v1, 31, v0
	v_ashrrev_i32_e32 v57, 31, v56
                                        ; implicit-def: $vgpr3
	s_and_saveexec_b64 s[12:13], s[6:7]
	s_xor_b64 s[6:7], exec, s[12:13]
	s_cbranch_execz .LBB71_11
; %bb.10:
	v_mad_i64_i32 v[4:5], s[12:13], s16, v0, 0
	v_lshl_add_u64 v[4:5], v[4:5], 2, s[36:37]
	v_lshl_add_u64 v[4:5], v[56:57], 2, v[4:5]
	flat_load_dword v3, v[4:5]
	s_waitcnt vmcnt(0) lgkmcnt(0)
	v_mul_f32_e32 v3, s23, v3
.LBB71_11:
	s_andn2_saveexec_b64 s[6:7], s[6:7]
; %bb.12:
	v_mov_b32_e32 v3, 0x7f7fffff
	v_cndmask_b32_e64 v3, 0, v3, s[4:5]
; %bb.13:
	s_or_b64 exec, exec, s[6:7]
	s_load_dword s41, s[0:1], 0x30
	s_lshl_b32 s33, s8, 8
	v_or_b32_e32 v64, s33, v2
	v_cmp_le_i32_e64 s[14:15], s21, v64
	v_ashrrev_i32_e32 v65, 31, v64
	s_waitcnt lgkmcnt(0)
	s_ashr_i32 s42, s41, 31
	v_mul_lo_u32 v4, v1, s41
	v_mul_lo_u32 v5, v0, s42
	v_mad_u64_u32 v[0:1], s[4:5], v0, s41, 0
	v_add3_u32 v1, v1, v5, v4
	v_mov_b32_e32 v5, 0x7f7fffff
	s_or_b64 s[4:5], s[10:11], s[14:15]
	v_cndmask_b32_e64 v4, 0, v5, s[4:5]
	s_or_b64 s[4:5], s[30:31], s[4:5]
	v_lshl_add_u64 v[0:1], v[0:1], 2, s[34:35]
	s_xor_b64 s[6:7], s[4:5], -1
	s_and_saveexec_b64 s[4:5], s[6:7]
	s_cbranch_execz .LBB71_15
; %bb.14:
	v_lshl_add_u64 v[6:7], v[64:65], 2, v[0:1]
	flat_load_dword v4, v[6:7]
	s_waitcnt vmcnt(0) lgkmcnt(0)
	v_mul_f32_e32 v4, s23, v4
.LBB71_15:
	s_or_b64 exec, exec, s[4:5]
	v_or_b32_e32 v6, 64, v64
	v_cmp_le_i32_e64 s[4:5], s21, v6
	s_or_b64 s[6:7], s[10:11], s[4:5]
	v_cndmask_b32_e64 v5, 0, v5, s[6:7]
	s_or_b64 s[6:7], s[30:31], s[6:7]
	s_xor_b64 s[8:9], s[6:7], -1
	s_and_saveexec_b64 s[6:7], s[8:9]
	s_cbranch_execz .LBB71_17
; %bb.16:
	v_lshl_add_u64 v[6:7], v[64:65], 2, v[0:1]
	flat_load_dword v5, v[6:7] offset:256
	s_waitcnt vmcnt(0) lgkmcnt(0)
	v_mul_f32_e32 v5, s23, v5
.LBB71_17:
	s_or_b64 exec, exec, s[6:7]
	v_or_b32_e32 v6, 0x80, v64
	v_cmp_le_i32_e64 s[6:7], s21, v6
	v_mov_b32_e32 v7, 0x7f7fffff
	s_or_b64 s[8:9], s[10:11], s[6:7]
	v_cndmask_b32_e64 v6, 0, v7, s[8:9]
	s_or_b64 s[8:9], s[30:31], s[8:9]
	s_xor_b64 s[12:13], s[8:9], -1
	s_and_saveexec_b64 s[8:9], s[12:13]
	s_cbranch_execz .LBB71_19
; %bb.18:
	v_lshl_add_u64 v[8:9], v[64:65], 2, v[0:1]
	flat_load_dword v6, v[8:9] offset:512
	s_waitcnt vmcnt(0) lgkmcnt(0)
	v_mul_f32_e32 v6, s23, v6
.LBB71_19:
	s_or_b64 exec, exec, s[8:9]
	v_or_b32_e32 v8, 0xc0, v64
	v_cmp_le_i32_e64 s[8:9], s21, v8
	s_or_b64 s[10:11], s[10:11], s[8:9]
	v_cndmask_b32_e64 v7, 0, v7, s[10:11]
	s_or_b64 s[10:11], s[30:31], s[10:11]
	s_xor_b64 s[12:13], s[10:11], -1
	s_and_saveexec_b64 s[10:11], s[12:13]
	s_cbranch_execz .LBB71_21
; %bb.20:
	v_lshl_add_u64 v[0:1], v[64:65], 2, v[0:1]
	flat_load_dword v0, v[0:1] offset:768
	s_waitcnt vmcnt(0) lgkmcnt(0)
	v_mul_f32_e32 v7, s23, v0
.LBB71_21:
	s_or_b64 exec, exec, s[10:11]
	v_add_u32_e32 v0, 4, v76
	v_cmp_le_i32_e64 s[10:11], s22, v0
	s_or_b64 s[12:13], vcc, s[10:11]
	v_min_i32_e32 v0, s40, v0
	s_or_b64 s[38:39], s[30:31], s[12:13]
	s_xor_b64 s[38:39], s[38:39], -1
	v_ashrrev_i32_e32 v1, 31, v0
                                        ; implicit-def: $vgpr58
	s_and_saveexec_b64 s[44:45], s[38:39]
	s_xor_b64 s[38:39], exec, s[44:45]
	s_cbranch_execz .LBB71_23
; %bb.22:
	v_mad_i64_i32 v[8:9], s[44:45], s16, v0, 0
	v_lshl_add_u64 v[8:9], v[8:9], 2, s[36:37]
	v_lshl_add_u64 v[8:9], v[56:57], 2, v[8:9]
	flat_load_dword v8, v[8:9]
	s_waitcnt vmcnt(0) lgkmcnt(0)
	v_mul_f32_e32 v58, s23, v8
.LBB71_23:
	s_andn2_saveexec_b64 s[38:39], s[38:39]
; %bb.24:
	v_mov_b32_e32 v8, 0x7f7fffff
	v_cndmask_b32_e64 v58, 0, v8, s[12:13]
; %bb.25:
	s_or_b64 exec, exec, s[38:39]
	v_mul_lo_u32 v8, v1, s41
	v_mul_lo_u32 v9, v0, s42
	v_mad_u64_u32 v[0:1], s[12:13], v0, s41, 0
	v_add3_u32 v1, v1, v9, v8
	v_mov_b32_e32 v8, 0x7f7fffff
	s_or_b64 s[12:13], s[14:15], s[10:11]
	v_cndmask_b32_e64 v59, 0, v8, s[12:13]
	s_or_b64 s[12:13], s[30:31], s[12:13]
	v_lshl_add_u64 v[0:1], v[0:1], 2, s[34:35]
	s_xor_b64 s[38:39], s[12:13], -1
	s_and_saveexec_b64 s[12:13], s[38:39]
	s_cbranch_execz .LBB71_27
; %bb.26:
	v_lshl_add_u64 v[10:11], v[64:65], 2, v[0:1]
	flat_load_dword v9, v[10:11]
	s_waitcnt vmcnt(0) lgkmcnt(0)
	v_mul_f32_e32 v59, s23, v9
.LBB71_27:
	s_or_b64 exec, exec, s[12:13]
	s_or_b64 s[12:13], s[4:5], s[10:11]
	v_cndmask_b32_e64 v60, 0, v8, s[12:13]
	s_or_b64 s[12:13], s[30:31], s[12:13]
	s_xor_b64 s[38:39], s[12:13], -1
	s_and_saveexec_b64 s[12:13], s[38:39]
	s_cbranch_execz .LBB71_29
; %bb.28:
	v_lshl_add_u64 v[8:9], v[64:65], 2, v[0:1]
	flat_load_dword v8, v[8:9] offset:256
	s_waitcnt vmcnt(0) lgkmcnt(0)
	v_mul_f32_e32 v60, s23, v8
.LBB71_29:
	s_or_b64 exec, exec, s[12:13]
	v_mov_b32_e32 v8, 0x7f7fffff
	s_or_b64 s[12:13], s[6:7], s[10:11]
	v_cndmask_b32_e64 v61, 0, v8, s[12:13]
	s_or_b64 s[12:13], s[30:31], s[12:13]
	s_xor_b64 s[38:39], s[12:13], -1
	s_and_saveexec_b64 s[12:13], s[38:39]
	s_cbranch_execz .LBB71_31
; %bb.30:
	v_lshl_add_u64 v[10:11], v[64:65], 2, v[0:1]
	flat_load_dword v9, v[10:11] offset:512
	s_waitcnt vmcnt(0) lgkmcnt(0)
	v_mul_f32_e32 v61, s23, v9
.LBB71_31:
	s_or_b64 exec, exec, s[12:13]
	s_or_b64 s[10:11], s[8:9], s[10:11]
	v_cndmask_b32_e64 v62, 0, v8, s[10:11]
	s_or_b64 s[10:11], s[30:31], s[10:11]
	s_xor_b64 s[38:39], s[10:11], -1
	s_mov_b32 s12, 0x7f7fffff
	s_and_saveexec_b64 s[10:11], s[38:39]
	s_cbranch_execz .LBB71_33
; %bb.32:
	v_lshl_add_u64 v[0:1], v[64:65], 2, v[0:1]
	flat_load_dword v0, v[0:1] offset:768
	s_waitcnt vmcnt(0) lgkmcnt(0)
	v_mul_f32_e32 v62, s23, v0
.LBB71_33:
	s_or_b64 exec, exec, s[10:11]
	v_lshlrev_b32_e32 v0, 2, v76
	v_lshl_add_u32 v79, v2, 4, v0
	v_lshlrev_b32_e32 v77, 4, v74
	v_lshlrev_b32_e32 v78, 4, v75
	ds_write_b32 v79, v3 offset:8192
	ds_write2st64_b32 v79, v4, v5 offset1:4
	ds_write2st64_b32 v79, v6, v7 offset0:8 offset1:12
	s_waitcnt lgkmcnt(0)
	s_barrier
	ds_read_b128 v[12:15], v77 offset:8192
	ds_read_b128 v[20:23], v77 offset:8320
	;; [unrolled: 1-line block ×8, first 2 shown]
	ds_read_b128 v[52:55], v78
	ds_read_b128 v[48:51], v78 offset:512
	ds_read_b128 v[44:47], v78 offset:1024
	;; [unrolled: 1-line block ×5, first 2 shown]
	s_waitcnt lgkmcnt(5)
	v_pk_add_f32 v[66:67], v[12:13], v[52:53]
	s_cmp_lt_i32 s22, 9
	v_min3_f32 v63, v66, v67, s12
	v_pk_add_f32 v[66:67], v[20:21], v[52:53]
	s_nop 0
	v_min3_f32 v68, v66, v67, s12
	v_pk_add_f32 v[66:67], v[24:25], v[52:53]
	s_nop 0
	v_min3_f32 v69, v66, v67, s12
	v_pk_add_f32 v[66:67], v[28:29], v[52:53]
	s_nop 0
	v_min3_f32 v70, v66, v67, s12
	v_pk_add_f32 v[66:67], v[16:17], v[52:53]
	s_nop 0
	v_min3_f32 v71, v66, v67, s12
	v_pk_add_f32 v[66:67], v[8:9], v[52:53]
	s_nop 0
	v_min3_f32 v72, v66, v67, s12
	v_pk_add_f32 v[66:67], v[4:5], v[52:53]
	v_pk_add_f32 v[52:53], v[0:1], v[52:53]
	v_min3_f32 v66, v66, v67, s12
	v_min3_f32 v67, v52, v53, s12
	s_waitcnt lgkmcnt(4)
	v_pk_add_f32 v[52:53], v[12:13], v[48:49]
	s_nop 0
	v_min3_f32 v73, v52, v53, s12
	v_pk_add_f32 v[52:53], v[20:21], v[48:49]
	s_nop 0
	v_min3_f32 v80, v52, v53, s12
	v_pk_add_f32 v[52:53], v[24:25], v[48:49]
	s_nop 0
	v_min3_f32 v81, v52, v53, s12
	v_pk_add_f32 v[52:53], v[28:29], v[48:49]
	s_nop 0
	v_min3_f32 v82, v52, v53, s12
	v_pk_add_f32 v[52:53], v[16:17], v[48:49]
	s_nop 0
	v_min3_f32 v83, v52, v53, s12
	v_pk_add_f32 v[52:53], v[8:9], v[48:49]
	s_nop 0
	v_min3_f32 v84, v52, v53, s12
	v_pk_add_f32 v[52:53], v[4:5], v[48:49]
	v_pk_add_f32 v[48:49], v[0:1], v[48:49]
	v_min3_f32 v85, v52, v53, s12
	v_min3_f32 v86, v48, v49, s12
	s_waitcnt lgkmcnt(3)
	v_pk_add_f32 v[48:49], v[12:13], v[44:45]
	s_nop 0
	;; [unrolled: 23-line block ×5, first 2 shown]
	v_min3_f32 v105, v36, v37, s12
	v_pk_add_f32 v[36:37], v[20:21], v[32:33]
	s_nop 0
	v_min3_f32 v106, v36, v37, s12
	v_pk_add_f32 v[36:37], v[24:25], v[32:33]
	s_nop 0
	;; [unrolled: 3-line block ×5, first 2 shown]
	v_min3_f32 v151, v36, v37, s12
	v_pk_add_f32 v[36:37], v[4:5], v[32:33]
	v_pk_add_f32 v[32:33], v[0:1], v[32:33]
	v_min3_f32 v152, v36, v37, s12
	v_min3_f32 v153, v32, v33, s12
	v_pk_add_f32 v[32:33], v[14:15], v[54:55]
	s_nop 0
	v_min3_f32 v148, v32, v33, v63
	v_pk_add_f32 v[32:33], v[22:23], v[54:55]
	s_nop 0
	;; [unrolled: 3-line block ×7, first 2 shown]
	v_min3_f32 v142, v32, v33, v66
	v_pk_add_f32 v[32:33], v[2:3], v[54:55]
	ds_read_b128 v[52:55], v78 offset:3072
	v_min3_f32 v141, v32, v33, v67
	ds_read_b128 v[66:69], v78 offset:3584
	v_pk_add_f32 v[32:33], v[14:15], v[50:51]
	ds_write_b32 v79, v58 offset:9216
	ds_write2st64_b32 v79, v59, v60 offset0:16 offset1:20
	ds_write2st64_b32 v79, v61, v62 offset0:24 offset1:28
	v_min3_f32 v140, v32, v33, v73
	v_pk_add_f32 v[32:33], v[22:23], v[50:51]
	s_waitcnt lgkmcnt(4)
	v_pk_add_f32 v[36:37], v[24:25], v[52:53]
	v_min3_f32 v139, v32, v33, v80
	v_pk_add_f32 v[32:33], v[26:27], v[50:51]
	s_waitcnt lgkmcnt(0)
	v_min3_f32 v138, v32, v33, v81
	v_pk_add_f32 v[32:33], v[30:31], v[50:51]
	s_barrier
	v_min3_f32 v137, v32, v33, v82
	v_pk_add_f32 v[32:33], v[18:19], v[50:51]
	s_nop 0
	v_min3_f32 v136, v32, v33, v83
	v_pk_add_f32 v[32:33], v[10:11], v[50:51]
	s_nop 0
	;; [unrolled: 3-line block ×3, first 2 shown]
	v_min3_f32 v132, v32, v33, v85
	v_pk_add_f32 v[32:33], v[12:13], v[52:53]
	v_pk_add_f32 v[12:13], v[12:13], v[66:67]
	v_min3_f32 v63, v32, v33, s12
	v_pk_add_f32 v[32:33], v[20:21], v[52:53]
	s_nop 0
	v_min3_f32 v70, v32, v33, s12
	v_pk_add_f32 v[32:33], v[2:3], v[50:51]
	v_min3_f32 v50, v36, v37, s12
	v_min3_f32 v135, v32, v33, v86
	v_pk_add_f32 v[32:33], v[14:15], v[46:47]
	v_pk_add_f32 v[36:37], v[28:29], v[52:53]
	v_min3_f32 v133, v32, v33, v87
	v_pk_add_f32 v[32:33], v[22:23], v[46:47]
	v_min3_f32 v51, v36, v37, s12
	v_min3_f32 v131, v32, v33, v88
	v_pk_add_f32 v[32:33], v[26:27], v[46:47]
	v_pk_add_f32 v[36:37], v[4:5], v[52:53]
	v_min3_f32 v130, v32, v33, v89
	v_pk_add_f32 v[32:33], v[30:31], v[46:47]
	v_pk_add_f32 v[4:5], v[4:5], v[66:67]
	v_min3_f32 v129, v32, v33, v90
	v_pk_add_f32 v[32:33], v[18:19], v[46:47]
	v_min3_f32 v4, v4, v5, s12
	v_min3_f32 v128, v32, v33, v91
	v_pk_add_f32 v[32:33], v[10:11], v[46:47]
	s_nop 0
	v_min3_f32 v127, v32, v33, v92
	v_pk_add_f32 v[32:33], v[6:7], v[46:47]
	s_nop 0
	;; [unrolled: 3-line block ×3, first 2 shown]
	v_min3_f32 v48, v32, v33, s12
	v_pk_add_f32 v[32:33], v[8:9], v[52:53]
	v_pk_add_f32 v[8:9], v[8:9], v[66:67]
	v_min3_f32 v71, v32, v33, s12
	v_pk_add_f32 v[32:33], v[2:3], v[46:47]
	v_min3_f32 v46, v36, v37, s12
	v_min3_f32 v125, v32, v33, v49
	v_pk_add_f32 v[32:33], v[14:15], v[42:43]
	v_pk_add_f32 v[36:37], v[0:1], v[52:53]
	v_min3_f32 v123, v32, v33, v93
	v_pk_add_f32 v[32:33], v[22:23], v[42:43]
	v_pk_add_f32 v[0:1], v[0:1], v[66:67]
	v_min3_f32 v122, v32, v33, v94
	v_pk_add_f32 v[32:33], v[26:27], v[42:43]
	v_min3_f32 v5, v0, v1, s12
	v_min3_f32 v121, v32, v33, v95
	v_pk_add_f32 v[32:33], v[30:31], v[42:43]
	v_pk_add_f32 v[0:1], v[14:15], v[54:55]
	v_min3_f32 v120, v32, v33, v96
	v_pk_add_f32 v[32:33], v[18:19], v[42:43]
	v_min3_f32 v36, v36, v37, s12
	v_min3_f32 v119, v32, v33, v97
	v_pk_add_f32 v[32:33], v[10:11], v[42:43]
	s_nop 0
	v_min3_f32 v118, v32, v33, v98
	v_pk_add_f32 v[32:33], v[6:7], v[42:43]
	s_nop 0
	;; [unrolled: 3-line block ×4, first 2 shown]
	v_min3_f32 v115, v32, v33, v99
	v_pk_add_f32 v[32:33], v[22:23], v[38:39]
	v_min3_f32 v99, v0, v1, v63
	v_min3_f32 v114, v32, v33, v100
	v_pk_add_f32 v[32:33], v[26:27], v[38:39]
	v_pk_add_f32 v[0:1], v[22:23], v[54:55]
	v_min3_f32 v113, v32, v33, v101
	v_pk_add_f32 v[32:33], v[30:31], v[38:39]
	v_min3_f32 v98, v0, v1, v70
	v_min3_f32 v112, v32, v33, v102
	v_pk_add_f32 v[32:33], v[18:19], v[38:39]
	v_pk_add_f32 v[0:1], v[26:27], v[54:55]
	;; [unrolled: 6-line block ×3, first 2 shown]
	v_min3_f32 v109, v32, v33, v40
	v_min3_f32 v32, v12, v13, s12
	v_pk_add_f32 v[12:13], v[20:21], v[66:67]
	v_min3_f32 v96, v0, v1, v51
	v_min3_f32 v33, v12, v13, s12
	v_pk_add_f32 v[12:13], v[2:3], v[38:39]
	v_pk_add_f32 v[0:1], v[18:19], v[54:55]
	v_min3_f32 v108, v12, v13, v41
	v_pk_add_f32 v[12:13], v[14:15], v[34:35]
	v_min3_f32 v95, v0, v1, v48
	v_min3_f32 v107, v12, v13, v105
	v_pk_add_f32 v[12:13], v[22:23], v[34:35]
	v_pk_add_f32 v[0:1], v[10:11], v[54:55]
	v_min3_f32 v106, v12, v13, v106
	v_pk_add_f32 v[12:13], v[26:27], v[34:35]
	v_min3_f32 v94, v0, v1, v71
	;; [unrolled: 2-line block ×6, first 2 shown]
	v_pk_add_f32 v[0:1], v[14:15], v[68:69]
	v_pk_add_f32 v[20:21], v[24:25], v[66:67]
	v_min3_f32 v103, v12, v13, v150
	v_pk_add_f32 v[12:13], v[10:11], v[34:35]
	v_min3_f32 v91, v0, v1, v32
	;; [unrolled: 2-line block ×6, first 2 shown]
	v_min3_f32 v101, v12, v13, v152
	v_pk_add_f32 v[12:13], v[16:17], v[66:67]
	v_min3_f32 v89, v0, v1, v24
	v_pk_add_f32 v[0:1], v[30:31], v[68:69]
	v_min3_f32 v12, v12, v13, s12
	v_min3_f32 v87, v0, v1, v20
	v_pk_add_f32 v[0:1], v[18:19], v[68:69]
	v_min3_f32 v13, v8, v9, s12
	v_min3_f32 v86, v0, v1, v12
	v_pk_add_f32 v[0:1], v[10:11], v[68:69]
	v_pk_add_f32 v[8:9], v[2:3], v[34:35]
	v_min3_f32 v85, v0, v1, v13
	v_pk_add_f32 v[0:1], v[6:7], v[68:69]
	v_min3_f32 v100, v8, v9, v153
	v_min3_f32 v84, v0, v1, v4
	v_pk_add_f32 v[0:1], v[2:3], v[68:69]
	s_nop 0
	v_min3_f32 v88, v0, v1, v5
	s_cbranch_scc1 .LBB71_56
; %bb.34:
	v_mov_b32_e32 v0, 0x2400
	v_lshl_add_u32 v124, v74, 4, v0
	v_mov_b32_e32 v0, 0x1000
	v_lshl_add_u32 v149, v75, 4, v0
	v_add_u32_e32 v0, 12, v76
	v_mad_i64_i32 v[0:1], s[10:11], v0, s16, 0
	v_lshlrev_b64 v[68:69], 2, v[0:1]
	v_add_u32_e32 v0, 8, v76
	v_mad_i64_i32 v[0:1], s[10:11], v0, s16, 0
	v_or_b32_e32 v80, 0x2000, v79
	v_add_u32_e32 v81, 0x2000, v77
	v_add_u32_e32 v82, 0x2400, v79
	v_or_b32_e32 v83, 0x1000, v79
	s_add_i32 s38, s22, -8
	v_lshl_add_u64 v[66:67], v[56:57], 2, s[36:37]
	s_lshl_b64 s[36:37], s[16:17], 5
	v_lshlrev_b64 v[70:71], 2, v[0:1]
	s_mov_b32 s16, 0
	v_mov_b32_e32 v150, 0x7f7fffff
	s_branch .LBB71_36
.LBB71_35:                              ;   in Loop: Header=BB71_36 Depth=1
	s_or_b64 exec, exec, s[10:11]
	ds_read_b128 v[0:3], v81
	ds_read_b128 v[4:7], v81 offset:128
	ds_read_b128 v[8:11], v81 offset:256
	;; [unrolled: 1-line block ×7, first 2 shown]
	ds_read_b128 v[126:129], v78
	ds_read_b128 v[156:159], v78 offset:512
	ds_read_b128 v[160:163], v78 offset:1024
	;; [unrolled: 1-line block ×7, first 2 shown]
	s_waitcnt lgkmcnt(7)
	v_pk_add_f32 v[72:73], v[0:1], v[126:127]
	s_add_i32 s16, s16, 8
	v_min3_f32 v37, v72, v73, v37
	v_pk_add_f32 v[72:73], v[4:5], v[126:127]
	s_cmp_ge_i32 s16, s38
	v_min3_f32 v121, v72, v73, v40
	v_pk_add_f32 v[72:73], v[8:9], v[126:127]
	v_lshl_add_u64 v[66:67], v[66:67], 0, s[36:37]
	v_min3_f32 v72, v72, v73, v41
	v_pk_add_f32 v[40:41], v[12:13], v[126:127]
	ds_write_b32 v82, v151
	ds_write2st64_b32 v83, v152, v153 offset1:4
	ds_write2st64_b32 v83, v154, v36 offset0:8 offset1:12
	v_min3_f32 v44, v40, v41, v44
	v_pk_add_f32 v[40:41], v[16:17], v[126:127]
	s_waitcnt lgkmcnt(0)
	v_min3_f32 v45, v40, v41, v45
	v_pk_add_f32 v[40:41], v[20:21], v[126:127]
	s_barrier
	v_min3_f32 v48, v40, v41, v48
	v_pk_add_f32 v[40:41], v[24:25], v[126:127]
	s_nop 0
	v_min3_f32 v49, v40, v41, v49
	v_pk_add_f32 v[40:41], v[28:29], v[126:127]
	s_nop 0
	;; [unrolled: 3-line block ×42, first 2 shown]
	v_min3_f32 v42, v40, v41, v42
	v_pk_add_f32 v[40:41], v[0:1], v[176:177]
	v_pk_add_f32 v[0:1], v[0:1], v[32:33]
	v_min3_f32 v43, v40, v41, v43
	v_min3_f32 v39, v0, v1, v39
	v_pk_add_f32 v[0:1], v[4:5], v[32:33]
	v_pk_add_f32 v[40:41], v[4:5], v[176:177]
	v_min3_f32 v4, v0, v1, v114
	v_pk_add_f32 v[0:1], v[8:9], v[32:33]
	v_min3_f32 v160, v40, v41, v108
	v_min3_f32 v5, v0, v1, v115
	v_pk_add_f32 v[0:1], v[12:13], v[32:33]
	v_pk_add_f32 v[40:41], v[8:9], v[176:177]
	v_min3_f32 v8, v0, v1, v116
	;; [unrolled: 6-line block ×7, first 2 shown]
	v_pk_add_f32 v[0:1], v[26:27], v[128:129]
	v_min3_f32 v38, v40, v41, v38
	v_min3_f32 v142, v0, v1, v49
	v_pk_add_f32 v[0:1], v[30:31], v[128:129]
	s_nop 0
	v_min3_f32 v141, v0, v1, v52
	v_pk_add_f32 v[0:1], v[2:3], v[158:159]
	s_nop 0
	;; [unrolled: 3-line block ×57, first 2 shown]
	v_min3_f32 v88, v0, v1, v16
	s_cbranch_scc1 .LBB71_56
.LBB71_36:                              ; =>This Inner Loop Header: Depth=1
	v_add_u32_e32 v72, s16, v76
	v_add_u32_e32 v0, 8, v72
	v_cmp_le_i32_e64 s[10:11], s22, v0
	s_or_b64 s[12:13], vcc, s[10:11]
	v_cndmask_b32_e64 v73, 0, v150, s[12:13]
	s_or_b64 s[12:13], s[30:31], s[12:13]
	s_xor_b64 s[42:43], s[12:13], -1
	s_and_saveexec_b64 s[12:13], s[42:43]
	s_cbranch_execz .LBB71_38
; %bb.37:                               ;   in Loop: Header=BB71_36 Depth=1
	v_lshl_add_u64 v[2:3], v[66:67], 0, v[70:71]
	flat_load_dword v1, v[2:3]
	s_waitcnt vmcnt(0) lgkmcnt(0)
	v_mul_f32_e32 v73, s23, v1
.LBB71_38:                              ;   in Loop: Header=BB71_36 Depth=1
	s_or_b64 exec, exec, s[12:13]
	v_min_i32_e32 v0, s40, v0
	v_mad_i64_i32 v[0:1], s[12:13], v0, s41, 0
	s_or_b64 s[12:13], s[14:15], s[10:11]
	v_lshl_add_u64 v[0:1], v[0:1], 2, s[34:35]
	v_cndmask_b32_e64 v151, 0, v150, s[12:13]
	s_or_b64 s[12:13], s[30:31], s[12:13]
	s_xor_b64 s[42:43], s[12:13], -1
	v_lshl_add_u64 v[0:1], v[64:65], 2, v[0:1]
	s_and_saveexec_b64 s[12:13], s[42:43]
	s_cbranch_execz .LBB71_40
; %bb.39:                               ;   in Loop: Header=BB71_36 Depth=1
	flat_load_dword v2, v[0:1]
	s_waitcnt vmcnt(0) lgkmcnt(0)
	v_mul_f32_e32 v151, s23, v2
.LBB71_40:                              ;   in Loop: Header=BB71_36 Depth=1
	s_or_b64 exec, exec, s[12:13]
	s_or_b64 s[12:13], s[4:5], s[10:11]
	v_cndmask_b32_e64 v152, 0, v150, s[12:13]
	s_or_b64 s[12:13], s[30:31], s[12:13]
	s_xor_b64 s[42:43], s[12:13], -1
	s_and_saveexec_b64 s[12:13], s[42:43]
	s_cbranch_execz .LBB71_42
; %bb.41:                               ;   in Loop: Header=BB71_36 Depth=1
	flat_load_dword v2, v[0:1] offset:256
	s_waitcnt vmcnt(0) lgkmcnt(0)
	v_mul_f32_e32 v152, s23, v2
.LBB71_42:                              ;   in Loop: Header=BB71_36 Depth=1
	s_or_b64 exec, exec, s[12:13]
	s_or_b64 s[12:13], s[6:7], s[10:11]
	v_cndmask_b32_e64 v153, 0, v150, s[12:13]
	s_or_b64 s[12:13], s[30:31], s[12:13]
	s_xor_b64 s[42:43], s[12:13], -1
	s_and_saveexec_b64 s[12:13], s[42:43]
	s_cbranch_execz .LBB71_44
; %bb.43:                               ;   in Loop: Header=BB71_36 Depth=1
	flat_load_dword v2, v[0:1] offset:512
	s_waitcnt vmcnt(0) lgkmcnt(0)
	v_mul_f32_e32 v153, s23, v2
.LBB71_44:                              ;   in Loop: Header=BB71_36 Depth=1
	;; [unrolled: 12-line block ×3, first 2 shown]
	s_or_b64 exec, exec, s[10:11]
	ds_read_b128 v[28:31], v124
	ds_read_b128 v[24:27], v124 offset:128
	ds_read_b128 v[20:23], v124 offset:256
	;; [unrolled: 1-line block ×7, first 2 shown]
	ds_read_b128 v[60:63], v149
	ds_read_b128 v[56:59], v149 offset:512
	ds_read_b128 v[52:55], v149 offset:1024
	;; [unrolled: 1-line block ×7, first 2 shown]
	v_add_u32_e32 v72, 12, v72
	v_cmp_le_i32_e64 s[10:11], s22, v72
	s_or_b64 s[12:13], vcc, s[10:11]
	ds_write_b32 v80, v73
	ds_write2st64_b32 v79, v151, v152 offset1:4
	ds_write2st64_b32 v79, v153, v154 offset0:8 offset1:12
	v_cndmask_b32_e64 v151, 0, v150, s[12:13]
	s_or_b64 s[12:13], s[30:31], s[12:13]
	s_xor_b64 s[42:43], s[12:13], -1
	s_waitcnt lgkmcnt(0)
	s_barrier
	s_and_saveexec_b64 s[12:13], s[42:43]
	s_cbranch_execz .LBB71_48
; %bb.47:                               ;   in Loop: Header=BB71_36 Depth=1
	v_lshl_add_u64 v[152:153], v[66:67], 0, v[68:69]
	flat_load_dword v73, v[152:153]
	s_waitcnt vmcnt(0) lgkmcnt(0)
	v_mul_f32_e32 v151, s23, v73
.LBB71_48:                              ;   in Loop: Header=BB71_36 Depth=1
	s_or_b64 exec, exec, s[12:13]
	v_min_i32_e32 v72, s40, v72
	v_mad_i64_i32 v[72:73], s[12:13], v72, s41, 0
	s_or_b64 s[12:13], s[14:15], s[10:11]
	v_lshl_add_u64 v[72:73], v[72:73], 2, s[34:35]
	v_cndmask_b32_e64 v152, 0, v150, s[12:13]
	s_or_b64 s[12:13], s[30:31], s[12:13]
	s_xor_b64 s[42:43], s[12:13], -1
	v_lshl_add_u64 v[72:73], v[64:65], 2, v[72:73]
	s_and_saveexec_b64 s[12:13], s[42:43]
	s_cbranch_execz .LBB71_50
; %bb.49:                               ;   in Loop: Header=BB71_36 Depth=1
	flat_load_dword v152, v[72:73]
	s_waitcnt vmcnt(0) lgkmcnt(0)
	v_mul_f32_e32 v152, s23, v152
.LBB71_50:                              ;   in Loop: Header=BB71_36 Depth=1
	s_or_b64 exec, exec, s[12:13]
	s_or_b64 s[12:13], s[4:5], s[10:11]
	v_cndmask_b32_e64 v153, 0, v150, s[12:13]
	s_or_b64 s[12:13], s[30:31], s[12:13]
	s_xor_b64 s[42:43], s[12:13], -1
	s_and_saveexec_b64 s[12:13], s[42:43]
	s_cbranch_execz .LBB71_52
; %bb.51:                               ;   in Loop: Header=BB71_36 Depth=1
	flat_load_dword v153, v[72:73] offset:256
	s_waitcnt vmcnt(0) lgkmcnt(0)
	v_mul_f32_e32 v153, s23, v153
.LBB71_52:                              ;   in Loop: Header=BB71_36 Depth=1
	s_or_b64 exec, exec, s[12:13]
	s_or_b64 s[12:13], s[6:7], s[10:11]
	v_cndmask_b32_e64 v154, 0, v150, s[12:13]
	s_or_b64 s[12:13], s[30:31], s[12:13]
	s_xor_b64 s[42:43], s[12:13], -1
	s_and_saveexec_b64 s[12:13], s[42:43]
	s_cbranch_execz .LBB71_54
; %bb.53:                               ;   in Loop: Header=BB71_36 Depth=1
	flat_load_dword v154, v[72:73] offset:512
	s_waitcnt vmcnt(0) lgkmcnt(0)
	v_mul_f32_e32 v154, s23, v154
.LBB71_54:                              ;   in Loop: Header=BB71_36 Depth=1
	s_or_b64 exec, exec, s[12:13]
	v_pk_add_f32 v[156:157], v[28:29], v[60:61]
	s_or_b64 s[10:11], s[8:9], s[10:11]
	v_min3_f32 v148, v156, v157, v148
	v_pk_add_f32 v[156:157], v[24:25], v[60:61]
	s_nop 0
	v_min3_f32 v155, v156, v157, v147
	v_pk_add_f32 v[156:157], v[20:21], v[60:61]
	s_nop 0
	v_min3_f32 v156, v156, v157, v146
	v_pk_add_f32 v[146:147], v[16:17], v[60:61]
	s_nop 0
	v_min3_f32 v157, v146, v147, v145
	v_pk_add_f32 v[146:147], v[12:13], v[60:61]
	s_nop 0
	v_min3_f32 v146, v146, v147, v144
	v_pk_add_f32 v[144:145], v[8:9], v[60:61]
	s_nop 0
	v_min3_f32 v143, v144, v145, v143
	v_pk_add_f32 v[144:145], v[4:5], v[60:61]
	v_pk_add_f32 v[60:61], v[0:1], v[60:61]
	v_min3_f32 v142, v144, v145, v142
	v_min3_f32 v141, v60, v61, v141
	v_pk_add_f32 v[60:61], v[28:29], v[56:57]
	s_nop 0
	v_min3_f32 v140, v60, v61, v140
	v_pk_add_f32 v[60:61], v[24:25], v[56:57]
	s_nop 0
	v_min3_f32 v139, v60, v61, v139
	v_pk_add_f32 v[60:61], v[20:21], v[56:57]
	s_nop 0
	v_min3_f32 v138, v60, v61, v138
	v_pk_add_f32 v[60:61], v[16:17], v[56:57]
	s_nop 0
	v_min3_f32 v137, v60, v61, v137
	v_pk_add_f32 v[60:61], v[12:13], v[56:57]
	s_nop 0
	v_min3_f32 v136, v60, v61, v136
	v_pk_add_f32 v[60:61], v[8:9], v[56:57]
	s_nop 0
	v_min3_f32 v134, v60, v61, v134
	v_pk_add_f32 v[60:61], v[4:5], v[56:57]
	v_pk_add_f32 v[56:57], v[0:1], v[56:57]
	v_min3_f32 v132, v60, v61, v132
	v_min3_f32 v135, v56, v57, v135
	v_pk_add_f32 v[56:57], v[28:29], v[52:53]
	s_nop 0
	;; [unrolled: 22-line block ×5, first 2 shown]
	v_min3_f32 v107, v44, v45, v107
	v_pk_add_f32 v[44:45], v[24:25], v[40:41]
	s_nop 0
	v_min3_f32 v106, v44, v45, v106
	v_pk_add_f32 v[44:45], v[20:21], v[40:41]
	s_nop 0
	;; [unrolled: 3-line block ×5, first 2 shown]
	v_min3_f32 v145, v44, v45, v102
	v_pk_add_f32 v[44:45], v[4:5], v[40:41]
	v_pk_add_f32 v[40:41], v[0:1], v[40:41]
	v_min3_f32 v147, v44, v45, v101
	v_min3_f32 v158, v40, v41, v100
	v_pk_add_f32 v[40:41], v[28:29], v[36:37]
	v_pk_add_f32 v[28:29], v[28:29], v[32:33]
	v_min3_f32 v159, v40, v41, v99
	v_pk_add_f32 v[40:41], v[24:25], v[36:37]
	v_pk_add_f32 v[24:25], v[24:25], v[32:33]
	v_min3_f32 v160, v40, v41, v98
	v_pk_add_f32 v[40:41], v[20:21], v[36:37]
	v_pk_add_f32 v[20:21], v[20:21], v[32:33]
	v_min3_f32 v161, v40, v41, v97
	v_pk_add_f32 v[40:41], v[16:17], v[36:37]
	v_pk_add_f32 v[16:17], v[16:17], v[32:33]
	v_min3_f32 v162, v40, v41, v96
	v_pk_add_f32 v[40:41], v[12:13], v[36:37]
	v_pk_add_f32 v[12:13], v[12:13], v[32:33]
	v_min3_f32 v163, v40, v41, v95
	v_pk_add_f32 v[40:41], v[8:9], v[36:37]
	v_pk_add_f32 v[8:9], v[8:9], v[32:33]
	v_min3_f32 v164, v40, v41, v94
	v_pk_add_f32 v[40:41], v[4:5], v[36:37]
	v_pk_add_f32 v[36:37], v[0:1], v[36:37]
	v_pk_add_f32 v[4:5], v[4:5], v[32:33]
	v_pk_add_f32 v[0:1], v[0:1], v[32:33]
	v_min3_f32 v4, v4, v5, v84
	v_min3_f32 v5, v0, v1, v88
	v_pk_add_f32 v[0:1], v[30:31], v[62:63]
	v_min3_f32 v36, v36, v37, v92
	v_min3_f32 v37, v0, v1, v148
	;; [unrolled: 3-line block ×9, first 2 shown]
	v_pk_add_f32 v[0:1], v[30:31], v[58:59]
	s_nop 0
	v_min3_f32 v53, v0, v1, v140
	v_pk_add_f32 v[0:1], v[26:27], v[58:59]
	s_nop 0
	v_min3_f32 v56, v0, v1, v139
	;; [unrolled: 3-line block ×48, first 2 shown]
	v_pk_add_f32 v[0:1], v[30:31], v[34:35]
	v_cndmask_b32_e64 v36, 0, v150, s[10:11]
	v_min3_f32 v39, v0, v1, v28
	v_pk_add_f32 v[0:1], v[26:27], v[34:35]
	s_or_b64 s[10:11], s[30:31], s[10:11]
	v_min3_f32 v114, v0, v1, v24
	v_pk_add_f32 v[0:1], v[22:23], v[34:35]
	s_xor_b64 s[12:13], s[10:11], -1
	v_min3_f32 v115, v0, v1, v20
	v_pk_add_f32 v[0:1], v[18:19], v[34:35]
	s_nop 0
	v_min3_f32 v116, v0, v1, v16
	v_pk_add_f32 v[0:1], v[14:15], v[34:35]
	s_nop 0
	;; [unrolled: 3-line block ×5, first 2 shown]
	v_min3_f32 v120, v0, v1, v5
	s_and_saveexec_b64 s[10:11], s[12:13]
	s_cbranch_execz .LBB71_35
; %bb.55:                               ;   in Loop: Header=BB71_36 Depth=1
	flat_load_dword v0, v[72:73] offset:768
	s_waitcnt vmcnt(0) lgkmcnt(0)
	v_mul_f32_e32 v36, s23, v0
	s_branch .LBB71_35
.LBB71_56:
	s_load_dwordx2 s[4:5], s[0:1], 0x70
	s_load_dword s31, s[0:1], 0x50
	s_load_dword s30, s[0:1], 0x68
	ds_read_b128 v[32:35], v77 offset:9216
	ds_read_b128 v[28:31], v77 offset:9344
	;; [unrolled: 1-line block ×16, first 2 shown]
	v_add_u32_e32 v124, s33, v75
	s_waitcnt lgkmcnt(0)
	s_mul_i32 s0, s3, s5
	s_mul_hi_u32 s1, s3, s4
	s_mul_i32 s5, s29, s4
	s_add_i32 s0, s1, s0
	s_add_i32 s1, s0, s5
	s_mul_i32 s0, s3, s4
	s_lshl_b64 s[0:1], s[0:1], 2
	s_add_u32 s22, s18, s0
	s_addc_u32 s23, s19, s1
	v_mad_i64_i32 v[66:67], s[0:1], v124, s31, 0
	v_add_u32_e32 v64, s2, v74
	v_lshl_add_u64 v[82:83], v[66:67], 2, s[24:25]
	v_mad_i64_i32 v[66:67], s[0:1], v124, s30, 0
	v_cmp_gt_i32_e64 s[18:19], s21, v124
	v_lshl_add_u64 v[80:81], v[66:67], 2, s[22:23]
	v_cmp_gt_i32_e64 s[2:3], s20, v64
	v_cndmask_b32_e64 v66, 0, 1, s[26:27]
	s_and_b64 s[6:7], s[2:3], s[18:19]
	v_ashrrev_i32_e32 v65, 31, v64
	v_cmp_ne_u32_e64 s[0:1], 1, v66
	s_and_saveexec_b64 s[4:5], s[6:7]
	s_cbranch_execz .LBB71_61
; %bb.57:
	s_and_b64 vcc, exec, s[0:1]
	s_cbranch_vccnz .LBB71_59
; %bb.58:
	v_lshl_add_u64 v[66:67], v[64:65], 2, v[82:83]
	flat_load_dword v66, v[66:67]
	s_waitcnt vmcnt(0) lgkmcnt(0)
	v_mul_f32_e32 v66, s28, v66
	s_branch .LBB71_60
.LBB71_59:
	v_mov_b32_e32 v66, 0
.LBB71_60:
	v_pk_add_f32 v[68:69], v[32:33], v[60:61]
	s_nop 0
	v_min3_f32 v67, v68, v69, v148
	v_pk_add_f32 v[68:69], v[34:35], v[62:63]
	s_nop 0
	v_min_f32_e32 v68, v68, v69
	v_min3_f32 v68, v66, v68, v67
	v_lshl_add_u64 v[66:67], v[64:65], 2, v[80:81]
	global_store_dword v[66:67], v68, off
.LBB71_61:
	s_or_b64 exec, exec, s[4:5]
	v_add_u32_e32 v66, 8, v64
	v_cmp_gt_i32_e64 s[4:5], s20, v66
	s_and_b64 s[8:9], s[4:5], s[18:19]
	v_ashrrev_i32_e32 v67, 31, v66
	s_and_saveexec_b64 s[6:7], s[8:9]
	s_cbranch_execz .LBB71_66
; %bb.62:
	s_and_b64 vcc, exec, s[0:1]
	s_cbranch_vccnz .LBB71_64
; %bb.63:
	v_lshl_add_u64 v[68:69], v[66:67], 2, v[82:83]
	flat_load_dword v68, v[68:69]
	s_waitcnt vmcnt(0) lgkmcnt(0)
	v_mul_f32_e32 v68, s28, v68
	s_branch .LBB71_65
.LBB71_64:
	v_mov_b32_e32 v68, 0
.LBB71_65:
	v_pk_add_f32 v[70:71], v[28:29], v[60:61]
	s_nop 0
	v_min3_f32 v69, v70, v71, v147
	v_pk_add_f32 v[70:71], v[30:31], v[62:63]
	s_nop 0
	v_min_f32_e32 v70, v70, v71
	v_min3_f32 v70, v68, v70, v69
	v_lshl_add_u64 v[68:69], v[66:67], 2, v[80:81]
	global_store_dword v[68:69], v70, off
.LBB71_66:
	s_or_b64 exec, exec, s[6:7]
	v_add_u32_e32 v68, 16, v64
	v_cmp_gt_i32_e64 s[6:7], s20, v68
	s_and_b64 s[10:11], s[6:7], s[18:19]
	v_ashrrev_i32_e32 v69, 31, v68
	;; [unrolled: 29-line block ×7, first 2 shown]
	s_and_saveexec_b64 s[18:19], s[26:27]
	s_cbranch_execz .LBB71_96
; %bb.92:
	s_and_b64 vcc, exec, s[0:1]
	s_cbranch_vccnz .LBB71_94
; %bb.93:
	v_lshl_add_u64 v[82:83], v[78:79], 2, v[82:83]
	flat_load_dword v82, v[82:83]
	s_waitcnt vmcnt(0) lgkmcnt(0)
	v_mul_f32_e32 v82, s28, v82
	s_branch .LBB71_95
.LBB71_94:
	v_mov_b32_e32 v82, 0
.LBB71_95:
	v_pk_add_f32 v[60:61], v[0:1], v[60:61]
	s_nop 0
	v_min3_f32 v83, v60, v61, v141
	v_pk_add_f32 v[60:61], v[2:3], v[62:63]
	s_nop 0
	v_min_f32_e32 v60, v60, v61
	v_min3_f32 v62, v82, v60, v83
	v_lshl_add_u64 v[60:61], v[78:79], 2, v[80:81]
	global_store_dword v[60:61], v62, off
.LBB71_96:
	s_or_b64 exec, exec, s[18:19]
	v_add_u32_e32 v80, 32, v124
	v_mad_i64_i32 v[60:61], s[26:27], v80, s31, 0
	v_cmp_gt_i32_e64 s[18:19], s21, v80
	v_lshl_add_u64 v[62:63], v[60:61], 2, s[24:25]
	v_mad_i64_i32 v[60:61], s[26:27], v80, s30, 0
	v_lshl_add_u64 v[60:61], v[60:61], 2, s[22:23]
	s_and_b64 s[34:35], s[2:3], s[18:19]
	s_and_saveexec_b64 s[26:27], s[34:35]
	s_cbranch_execnz .LBB71_104
; %bb.97:
	s_or_b64 exec, exec, s[26:27]
	s_and_b64 s[34:35], s[4:5], s[18:19]
	s_and_saveexec_b64 s[26:27], s[34:35]
	s_cbranch_execnz .LBB71_108
.LBB71_98:
	s_or_b64 exec, exec, s[26:27]
	s_and_b64 s[34:35], s[6:7], s[18:19]
	s_and_saveexec_b64 s[26:27], s[34:35]
	s_cbranch_execnz .LBB71_112
.LBB71_99:
	s_or_b64 exec, exec, s[26:27]
	s_and_b64 s[34:35], s[8:9], s[18:19]
	s_and_saveexec_b64 s[26:27], s[34:35]
	s_cbranch_execnz .LBB71_116
.LBB71_100:
	s_or_b64 exec, exec, s[26:27]
	s_and_b64 s[34:35], s[10:11], s[18:19]
	s_and_saveexec_b64 s[26:27], s[34:35]
	s_cbranch_execnz .LBB71_120
.LBB71_101:
	s_or_b64 exec, exec, s[26:27]
	s_and_b64 s[34:35], s[12:13], s[18:19]
	s_and_saveexec_b64 s[26:27], s[34:35]
	s_cbranch_execnz .LBB71_124
.LBB71_102:
	s_or_b64 exec, exec, s[26:27]
	s_and_b64 s[34:35], s[14:15], s[18:19]
	s_and_saveexec_b64 s[26:27], s[34:35]
	s_cbranch_execnz .LBB71_128
.LBB71_103:
	s_or_b64 exec, exec, s[26:27]
	s_and_b64 s[26:27], s[16:17], s[18:19]
	s_and_saveexec_b64 s[18:19], s[26:27]
	s_cbranch_execnz .LBB71_132
	s_branch .LBB71_136
.LBB71_104:
	s_and_b64 vcc, exec, s[0:1]
	s_cbranch_vccnz .LBB71_106
; %bb.105:
	v_lshl_add_u64 v[80:81], v[64:65], 2, v[62:63]
	flat_load_dword v80, v[80:81]
	s_waitcnt vmcnt(0) lgkmcnt(0)
	v_mul_f32_e32 v80, s28, v80
	s_branch .LBB71_107
.LBB71_106:
	v_mov_b32_e32 v80, 0
.LBB71_107:
	v_pk_add_f32 v[82:83], v[32:33], v[56:57]
	s_nop 0
	v_min3_f32 v81, v82, v83, v140
	v_pk_add_f32 v[82:83], v[34:35], v[58:59]
	s_nop 0
	v_min_f32_e32 v82, v82, v83
	v_min3_f32 v82, v80, v82, v81
	v_lshl_add_u64 v[80:81], v[64:65], 2, v[60:61]
	global_store_dword v[80:81], v82, off
	s_or_b64 exec, exec, s[26:27]
	s_and_b64 s[34:35], s[4:5], s[18:19]
	s_and_saveexec_b64 s[26:27], s[34:35]
	s_cbranch_execz .LBB71_98
.LBB71_108:
	s_and_b64 vcc, exec, s[0:1]
	s_cbranch_vccnz .LBB71_110
; %bb.109:
	v_lshl_add_u64 v[80:81], v[66:67], 2, v[62:63]
	flat_load_dword v80, v[80:81]
	s_waitcnt vmcnt(0) lgkmcnt(0)
	v_mul_f32_e32 v80, s28, v80
	s_branch .LBB71_111
.LBB71_110:
	v_mov_b32_e32 v80, 0
.LBB71_111:
	v_pk_add_f32 v[82:83], v[28:29], v[56:57]
	s_nop 0
	v_min3_f32 v81, v82, v83, v139
	v_pk_add_f32 v[82:83], v[30:31], v[58:59]
	s_nop 0
	v_min_f32_e32 v82, v82, v83
	v_min3_f32 v82, v80, v82, v81
	v_lshl_add_u64 v[80:81], v[66:67], 2, v[60:61]
	global_store_dword v[80:81], v82, off
	s_or_b64 exec, exec, s[26:27]
	s_and_b64 s[34:35], s[6:7], s[18:19]
	s_and_saveexec_b64 s[26:27], s[34:35]
	s_cbranch_execz .LBB71_99
.LBB71_112:
	s_and_b64 vcc, exec, s[0:1]
	s_cbranch_vccnz .LBB71_114
; %bb.113:
	v_lshl_add_u64 v[80:81], v[68:69], 2, v[62:63]
	flat_load_dword v80, v[80:81]
	s_waitcnt vmcnt(0) lgkmcnt(0)
	v_mul_f32_e32 v80, s28, v80
	s_branch .LBB71_115
.LBB71_114:
	v_mov_b32_e32 v80, 0
.LBB71_115:
	v_pk_add_f32 v[82:83], v[24:25], v[56:57]
	s_nop 0
	v_min3_f32 v81, v82, v83, v138
	v_pk_add_f32 v[82:83], v[26:27], v[58:59]
	s_nop 0
	v_min_f32_e32 v82, v82, v83
	v_min3_f32 v82, v80, v82, v81
	v_lshl_add_u64 v[80:81], v[68:69], 2, v[60:61]
	global_store_dword v[80:81], v82, off
	s_or_b64 exec, exec, s[26:27]
	s_and_b64 s[34:35], s[8:9], s[18:19]
	s_and_saveexec_b64 s[26:27], s[34:35]
	s_cbranch_execz .LBB71_100
.LBB71_116:
	s_and_b64 vcc, exec, s[0:1]
	s_cbranch_vccnz .LBB71_118
; %bb.117:
	v_lshl_add_u64 v[80:81], v[70:71], 2, v[62:63]
	flat_load_dword v80, v[80:81]
	s_waitcnt vmcnt(0) lgkmcnt(0)
	v_mul_f32_e32 v80, s28, v80
	s_branch .LBB71_119
.LBB71_118:
	v_mov_b32_e32 v80, 0
.LBB71_119:
	v_pk_add_f32 v[82:83], v[20:21], v[56:57]
	s_nop 0
	v_min3_f32 v81, v82, v83, v137
	v_pk_add_f32 v[82:83], v[22:23], v[58:59]
	s_nop 0
	v_min_f32_e32 v82, v82, v83
	v_min3_f32 v82, v80, v82, v81
	v_lshl_add_u64 v[80:81], v[70:71], 2, v[60:61]
	global_store_dword v[80:81], v82, off
	s_or_b64 exec, exec, s[26:27]
	s_and_b64 s[34:35], s[10:11], s[18:19]
	s_and_saveexec_b64 s[26:27], s[34:35]
	s_cbranch_execz .LBB71_101
.LBB71_120:
	s_and_b64 vcc, exec, s[0:1]
	s_cbranch_vccnz .LBB71_122
; %bb.121:
	v_lshl_add_u64 v[80:81], v[72:73], 2, v[62:63]
	flat_load_dword v80, v[80:81]
	s_waitcnt vmcnt(0) lgkmcnt(0)
	v_mul_f32_e32 v80, s28, v80
	s_branch .LBB71_123
.LBB71_122:
	v_mov_b32_e32 v80, 0
.LBB71_123:
	v_pk_add_f32 v[82:83], v[16:17], v[56:57]
	s_nop 0
	v_min3_f32 v81, v82, v83, v136
	v_pk_add_f32 v[82:83], v[18:19], v[58:59]
	s_nop 0
	v_min_f32_e32 v82, v82, v83
	v_min3_f32 v82, v80, v82, v81
	v_lshl_add_u64 v[80:81], v[72:73], 2, v[60:61]
	global_store_dword v[80:81], v82, off
	s_or_b64 exec, exec, s[26:27]
	s_and_b64 s[34:35], s[12:13], s[18:19]
	s_and_saveexec_b64 s[26:27], s[34:35]
	s_cbranch_execz .LBB71_102
.LBB71_124:
	s_and_b64 vcc, exec, s[0:1]
	s_cbranch_vccnz .LBB71_126
; %bb.125:
	v_lshl_add_u64 v[80:81], v[74:75], 2, v[62:63]
	flat_load_dword v80, v[80:81]
	s_waitcnt vmcnt(0) lgkmcnt(0)
	v_mul_f32_e32 v80, s28, v80
	s_branch .LBB71_127
.LBB71_126:
	v_mov_b32_e32 v80, 0
.LBB71_127:
	v_pk_add_f32 v[82:83], v[12:13], v[56:57]
	s_nop 0
	v_min3_f32 v81, v82, v83, v134
	v_pk_add_f32 v[82:83], v[14:15], v[58:59]
	s_nop 0
	v_min_f32_e32 v82, v82, v83
	v_min3_f32 v82, v80, v82, v81
	v_lshl_add_u64 v[80:81], v[74:75], 2, v[60:61]
	global_store_dword v[80:81], v82, off
	s_or_b64 exec, exec, s[26:27]
	s_and_b64 s[34:35], s[14:15], s[18:19]
	s_and_saveexec_b64 s[26:27], s[34:35]
	s_cbranch_execz .LBB71_103
.LBB71_128:
	s_and_b64 vcc, exec, s[0:1]
	s_cbranch_vccnz .LBB71_130
; %bb.129:
	v_lshl_add_u64 v[80:81], v[76:77], 2, v[62:63]
	flat_load_dword v80, v[80:81]
	s_waitcnt vmcnt(0) lgkmcnt(0)
	v_mul_f32_e32 v80, s28, v80
	s_branch .LBB71_131
.LBB71_130:
	v_mov_b32_e32 v80, 0
.LBB71_131:
	v_pk_add_f32 v[82:83], v[8:9], v[56:57]
	s_nop 0
	v_min3_f32 v81, v82, v83, v132
	v_pk_add_f32 v[82:83], v[10:11], v[58:59]
	s_nop 0
	v_min_f32_e32 v82, v82, v83
	v_min3_f32 v82, v80, v82, v81
	v_lshl_add_u64 v[80:81], v[76:77], 2, v[60:61]
	global_store_dword v[80:81], v82, off
	s_or_b64 exec, exec, s[26:27]
	s_and_b64 s[26:27], s[16:17], s[18:19]
	s_and_saveexec_b64 s[18:19], s[26:27]
	s_cbranch_execz .LBB71_136
.LBB71_132:
	s_and_b64 vcc, exec, s[0:1]
	s_cbranch_vccnz .LBB71_134
; %bb.133:
	v_lshl_add_u64 v[62:63], v[78:79], 2, v[62:63]
	flat_load_dword v62, v[62:63]
	s_waitcnt vmcnt(0) lgkmcnt(0)
	v_mul_f32_e32 v62, s28, v62
	s_branch .LBB71_135
.LBB71_134:
	v_mov_b32_e32 v62, 0
.LBB71_135:
	v_pk_add_f32 v[56:57], v[0:1], v[56:57]
	s_nop 0
	v_min3_f32 v63, v56, v57, v135
	v_pk_add_f32 v[56:57], v[2:3], v[58:59]
	s_nop 0
	v_min_f32_e32 v56, v56, v57
	v_min3_f32 v58, v62, v56, v63
	v_lshl_add_u64 v[56:57], v[78:79], 2, v[60:61]
	global_store_dword v[56:57], v58, off
.LBB71_136:
	s_or_b64 exec, exec, s[18:19]
	v_add_u32_e32 v60, 64, v124
	v_mad_i64_i32 v[56:57], s[26:27], v60, s31, 0
	v_cmp_gt_i32_e64 s[18:19], s21, v60
	v_lshl_add_u64 v[58:59], v[56:57], 2, s[24:25]
	v_mad_i64_i32 v[56:57], s[26:27], v60, s30, 0
	v_lshl_add_u64 v[56:57], v[56:57], 2, s[22:23]
	s_and_b64 s[34:35], s[2:3], s[18:19]
	s_and_saveexec_b64 s[26:27], s[34:35]
	s_cbranch_execnz .LBB71_144
; %bb.137:
	s_or_b64 exec, exec, s[26:27]
	s_and_b64 s[34:35], s[4:5], s[18:19]
	s_and_saveexec_b64 s[26:27], s[34:35]
	s_cbranch_execnz .LBB71_148
.LBB71_138:
	s_or_b64 exec, exec, s[26:27]
	s_and_b64 s[34:35], s[6:7], s[18:19]
	s_and_saveexec_b64 s[26:27], s[34:35]
	s_cbranch_execnz .LBB71_152
.LBB71_139:
	s_or_b64 exec, exec, s[26:27]
	s_and_b64 s[34:35], s[8:9], s[18:19]
	s_and_saveexec_b64 s[26:27], s[34:35]
	s_cbranch_execnz .LBB71_156
.LBB71_140:
	s_or_b64 exec, exec, s[26:27]
	s_and_b64 s[34:35], s[10:11], s[18:19]
	s_and_saveexec_b64 s[26:27], s[34:35]
	s_cbranch_execnz .LBB71_160
.LBB71_141:
	s_or_b64 exec, exec, s[26:27]
	s_and_b64 s[34:35], s[12:13], s[18:19]
	s_and_saveexec_b64 s[26:27], s[34:35]
	s_cbranch_execnz .LBB71_164
.LBB71_142:
	s_or_b64 exec, exec, s[26:27]
	s_and_b64 s[34:35], s[14:15], s[18:19]
	s_and_saveexec_b64 s[26:27], s[34:35]
	s_cbranch_execnz .LBB71_168
.LBB71_143:
	s_or_b64 exec, exec, s[26:27]
	s_and_b64 s[26:27], s[16:17], s[18:19]
	s_and_saveexec_b64 s[18:19], s[26:27]
	s_cbranch_execnz .LBB71_172
	s_branch .LBB71_176
.LBB71_144:
	s_and_b64 vcc, exec, s[0:1]
	s_cbranch_vccnz .LBB71_146
; %bb.145:
	v_lshl_add_u64 v[60:61], v[64:65], 2, v[58:59]
	flat_load_dword v60, v[60:61]
	s_waitcnt vmcnt(0) lgkmcnt(0)
	v_mul_f32_e32 v60, s28, v60
	s_branch .LBB71_147
.LBB71_146:
	v_mov_b32_e32 v60, 0
.LBB71_147:
	v_pk_add_f32 v[62:63], v[32:33], v[52:53]
	s_nop 0
	v_min3_f32 v61, v62, v63, v133
	v_pk_add_f32 v[62:63], v[34:35], v[54:55]
	s_nop 0
	v_min_f32_e32 v62, v62, v63
	v_min3_f32 v62, v60, v62, v61
	v_lshl_add_u64 v[60:61], v[64:65], 2, v[56:57]
	global_store_dword v[60:61], v62, off
	s_or_b64 exec, exec, s[26:27]
	s_and_b64 s[34:35], s[4:5], s[18:19]
	s_and_saveexec_b64 s[26:27], s[34:35]
	s_cbranch_execz .LBB71_138
.LBB71_148:
	s_and_b64 vcc, exec, s[0:1]
	s_cbranch_vccnz .LBB71_150
; %bb.149:
	v_lshl_add_u64 v[60:61], v[66:67], 2, v[58:59]
	flat_load_dword v60, v[60:61]
	s_waitcnt vmcnt(0) lgkmcnt(0)
	v_mul_f32_e32 v60, s28, v60
	s_branch .LBB71_151
.LBB71_150:
	v_mov_b32_e32 v60, 0
.LBB71_151:
	v_pk_add_f32 v[62:63], v[28:29], v[52:53]
	s_nop 0
	v_min3_f32 v61, v62, v63, v131
	v_pk_add_f32 v[62:63], v[30:31], v[54:55]
	s_nop 0
	v_min_f32_e32 v62, v62, v63
	v_min3_f32 v62, v60, v62, v61
	v_lshl_add_u64 v[60:61], v[66:67], 2, v[56:57]
	global_store_dword v[60:61], v62, off
	s_or_b64 exec, exec, s[26:27]
	s_and_b64 s[34:35], s[6:7], s[18:19]
	s_and_saveexec_b64 s[26:27], s[34:35]
	s_cbranch_execz .LBB71_139
.LBB71_152:
	s_and_b64 vcc, exec, s[0:1]
	s_cbranch_vccnz .LBB71_154
; %bb.153:
	v_lshl_add_u64 v[60:61], v[68:69], 2, v[58:59]
	flat_load_dword v60, v[60:61]
	s_waitcnt vmcnt(0) lgkmcnt(0)
	v_mul_f32_e32 v60, s28, v60
	s_branch .LBB71_155
.LBB71_154:
	v_mov_b32_e32 v60, 0
.LBB71_155:
	v_pk_add_f32 v[62:63], v[24:25], v[52:53]
	s_nop 0
	v_min3_f32 v61, v62, v63, v130
	v_pk_add_f32 v[62:63], v[26:27], v[54:55]
	s_nop 0
	v_min_f32_e32 v62, v62, v63
	v_min3_f32 v62, v60, v62, v61
	v_lshl_add_u64 v[60:61], v[68:69], 2, v[56:57]
	global_store_dword v[60:61], v62, off
	s_or_b64 exec, exec, s[26:27]
	s_and_b64 s[34:35], s[8:9], s[18:19]
	s_and_saveexec_b64 s[26:27], s[34:35]
	s_cbranch_execz .LBB71_140
.LBB71_156:
	s_and_b64 vcc, exec, s[0:1]
	s_cbranch_vccnz .LBB71_158
; %bb.157:
	v_lshl_add_u64 v[60:61], v[70:71], 2, v[58:59]
	flat_load_dword v60, v[60:61]
	s_waitcnt vmcnt(0) lgkmcnt(0)
	v_mul_f32_e32 v60, s28, v60
	s_branch .LBB71_159
.LBB71_158:
	v_mov_b32_e32 v60, 0
.LBB71_159:
	v_pk_add_f32 v[62:63], v[20:21], v[52:53]
	s_nop 0
	v_min3_f32 v61, v62, v63, v129
	v_pk_add_f32 v[62:63], v[22:23], v[54:55]
	s_nop 0
	v_min_f32_e32 v62, v62, v63
	v_min3_f32 v62, v60, v62, v61
	v_lshl_add_u64 v[60:61], v[70:71], 2, v[56:57]
	global_store_dword v[60:61], v62, off
	s_or_b64 exec, exec, s[26:27]
	s_and_b64 s[34:35], s[10:11], s[18:19]
	s_and_saveexec_b64 s[26:27], s[34:35]
	s_cbranch_execz .LBB71_141
.LBB71_160:
	s_and_b64 vcc, exec, s[0:1]
	s_cbranch_vccnz .LBB71_162
; %bb.161:
	v_lshl_add_u64 v[60:61], v[72:73], 2, v[58:59]
	flat_load_dword v60, v[60:61]
	s_waitcnt vmcnt(0) lgkmcnt(0)
	v_mul_f32_e32 v60, s28, v60
	s_branch .LBB71_163
.LBB71_162:
	v_mov_b32_e32 v60, 0
.LBB71_163:
	v_pk_add_f32 v[62:63], v[16:17], v[52:53]
	s_nop 0
	v_min3_f32 v61, v62, v63, v128
	v_pk_add_f32 v[62:63], v[18:19], v[54:55]
	s_nop 0
	v_min_f32_e32 v62, v62, v63
	v_min3_f32 v62, v60, v62, v61
	v_lshl_add_u64 v[60:61], v[72:73], 2, v[56:57]
	global_store_dword v[60:61], v62, off
	s_or_b64 exec, exec, s[26:27]
	s_and_b64 s[34:35], s[12:13], s[18:19]
	s_and_saveexec_b64 s[26:27], s[34:35]
	s_cbranch_execz .LBB71_142
.LBB71_164:
	s_and_b64 vcc, exec, s[0:1]
	s_cbranch_vccnz .LBB71_166
; %bb.165:
	v_lshl_add_u64 v[60:61], v[74:75], 2, v[58:59]
	flat_load_dword v60, v[60:61]
	s_waitcnt vmcnt(0) lgkmcnt(0)
	v_mul_f32_e32 v60, s28, v60
	s_branch .LBB71_167
.LBB71_166:
	v_mov_b32_e32 v60, 0
.LBB71_167:
	v_pk_add_f32 v[62:63], v[12:13], v[52:53]
	s_nop 0
	v_min3_f32 v61, v62, v63, v127
	v_pk_add_f32 v[62:63], v[14:15], v[54:55]
	s_nop 0
	v_min_f32_e32 v62, v62, v63
	v_min3_f32 v62, v60, v62, v61
	v_lshl_add_u64 v[60:61], v[74:75], 2, v[56:57]
	global_store_dword v[60:61], v62, off
	s_or_b64 exec, exec, s[26:27]
	s_and_b64 s[34:35], s[14:15], s[18:19]
	s_and_saveexec_b64 s[26:27], s[34:35]
	s_cbranch_execz .LBB71_143
.LBB71_168:
	s_and_b64 vcc, exec, s[0:1]
	s_cbranch_vccnz .LBB71_170
; %bb.169:
	v_lshl_add_u64 v[60:61], v[76:77], 2, v[58:59]
	flat_load_dword v60, v[60:61]
	s_waitcnt vmcnt(0) lgkmcnt(0)
	v_mul_f32_e32 v60, s28, v60
	s_branch .LBB71_171
.LBB71_170:
	v_mov_b32_e32 v60, 0
.LBB71_171:
	v_pk_add_f32 v[62:63], v[8:9], v[52:53]
	s_nop 0
	v_min3_f32 v61, v62, v63, v126
	v_pk_add_f32 v[62:63], v[10:11], v[54:55]
	s_nop 0
	v_min_f32_e32 v62, v62, v63
	v_min3_f32 v62, v60, v62, v61
	v_lshl_add_u64 v[60:61], v[76:77], 2, v[56:57]
	global_store_dword v[60:61], v62, off
	s_or_b64 exec, exec, s[26:27]
	s_and_b64 s[26:27], s[16:17], s[18:19]
	s_and_saveexec_b64 s[18:19], s[26:27]
	s_cbranch_execz .LBB71_176
.LBB71_172:
	s_and_b64 vcc, exec, s[0:1]
	s_cbranch_vccnz .LBB71_174
; %bb.173:
	v_lshl_add_u64 v[58:59], v[78:79], 2, v[58:59]
	flat_load_dword v58, v[58:59]
	s_waitcnt vmcnt(0) lgkmcnt(0)
	v_mul_f32_e32 v58, s28, v58
	s_branch .LBB71_175
.LBB71_174:
	v_mov_b32_e32 v58, 0
.LBB71_175:
	v_pk_add_f32 v[52:53], v[0:1], v[52:53]
	s_nop 0
	v_min3_f32 v59, v52, v53, v125
	v_pk_add_f32 v[52:53], v[2:3], v[54:55]
	s_nop 0
	v_min_f32_e32 v52, v52, v53
	v_min3_f32 v54, v58, v52, v59
	v_lshl_add_u64 v[52:53], v[78:79], 2, v[56:57]
	global_store_dword v[52:53], v54, off
.LBB71_176:
	s_or_b64 exec, exec, s[18:19]
	v_add_u32_e32 v56, 0x60, v124
	v_mad_i64_i32 v[52:53], s[26:27], v56, s31, 0
	v_cmp_gt_i32_e64 s[18:19], s21, v56
	v_lshl_add_u64 v[54:55], v[52:53], 2, s[24:25]
	v_mad_i64_i32 v[52:53], s[26:27], v56, s30, 0
	v_lshl_add_u64 v[52:53], v[52:53], 2, s[22:23]
	s_and_b64 s[34:35], s[2:3], s[18:19]
	s_and_saveexec_b64 s[26:27], s[34:35]
	s_cbranch_execnz .LBB71_184
; %bb.177:
	s_or_b64 exec, exec, s[26:27]
	s_and_b64 s[34:35], s[4:5], s[18:19]
	s_and_saveexec_b64 s[26:27], s[34:35]
	s_cbranch_execnz .LBB71_188
.LBB71_178:
	s_or_b64 exec, exec, s[26:27]
	s_and_b64 s[34:35], s[6:7], s[18:19]
	s_and_saveexec_b64 s[26:27], s[34:35]
	s_cbranch_execnz .LBB71_192
.LBB71_179:
	s_or_b64 exec, exec, s[26:27]
	s_and_b64 s[34:35], s[8:9], s[18:19]
	s_and_saveexec_b64 s[26:27], s[34:35]
	s_cbranch_execnz .LBB71_196
.LBB71_180:
	s_or_b64 exec, exec, s[26:27]
	s_and_b64 s[34:35], s[10:11], s[18:19]
	s_and_saveexec_b64 s[26:27], s[34:35]
	s_cbranch_execnz .LBB71_200
.LBB71_181:
	s_or_b64 exec, exec, s[26:27]
	s_and_b64 s[34:35], s[12:13], s[18:19]
	s_and_saveexec_b64 s[26:27], s[34:35]
	s_cbranch_execnz .LBB71_204
.LBB71_182:
	s_or_b64 exec, exec, s[26:27]
	s_and_b64 s[34:35], s[14:15], s[18:19]
	s_and_saveexec_b64 s[26:27], s[34:35]
	s_cbranch_execnz .LBB71_208
.LBB71_183:
	s_or_b64 exec, exec, s[26:27]
	s_and_b64 s[26:27], s[16:17], s[18:19]
	s_and_saveexec_b64 s[18:19], s[26:27]
	s_cbranch_execnz .LBB71_212
	s_branch .LBB71_216
.LBB71_184:
	s_and_b64 vcc, exec, s[0:1]
	s_cbranch_vccnz .LBB71_186
; %bb.185:
	v_lshl_add_u64 v[56:57], v[64:65], 2, v[54:55]
	flat_load_dword v56, v[56:57]
	s_waitcnt vmcnt(0) lgkmcnt(0)
	v_mul_f32_e32 v56, s28, v56
	s_branch .LBB71_187
.LBB71_186:
	v_mov_b32_e32 v56, 0
.LBB71_187:
	v_pk_add_f32 v[58:59], v[32:33], v[48:49]
	s_nop 0
	v_min3_f32 v57, v58, v59, v123
	v_pk_add_f32 v[58:59], v[34:35], v[50:51]
	s_nop 0
	v_min_f32_e32 v58, v58, v59
	v_min3_f32 v58, v56, v58, v57
	v_lshl_add_u64 v[56:57], v[64:65], 2, v[52:53]
	global_store_dword v[56:57], v58, off
	s_or_b64 exec, exec, s[26:27]
	s_and_b64 s[34:35], s[4:5], s[18:19]
	s_and_saveexec_b64 s[26:27], s[34:35]
	s_cbranch_execz .LBB71_178
.LBB71_188:
	s_and_b64 vcc, exec, s[0:1]
	s_cbranch_vccnz .LBB71_190
; %bb.189:
	v_lshl_add_u64 v[56:57], v[66:67], 2, v[54:55]
	flat_load_dword v56, v[56:57]
	s_waitcnt vmcnt(0) lgkmcnt(0)
	v_mul_f32_e32 v56, s28, v56
	s_branch .LBB71_191
.LBB71_190:
	v_mov_b32_e32 v56, 0
.LBB71_191:
	v_pk_add_f32 v[58:59], v[28:29], v[48:49]
	s_nop 0
	v_min3_f32 v57, v58, v59, v122
	v_pk_add_f32 v[58:59], v[30:31], v[50:51]
	s_nop 0
	v_min_f32_e32 v58, v58, v59
	v_min3_f32 v58, v56, v58, v57
	v_lshl_add_u64 v[56:57], v[66:67], 2, v[52:53]
	global_store_dword v[56:57], v58, off
	s_or_b64 exec, exec, s[26:27]
	s_and_b64 s[34:35], s[6:7], s[18:19]
	s_and_saveexec_b64 s[26:27], s[34:35]
	s_cbranch_execz .LBB71_179
.LBB71_192:
	s_and_b64 vcc, exec, s[0:1]
	s_cbranch_vccnz .LBB71_194
; %bb.193:
	v_lshl_add_u64 v[56:57], v[68:69], 2, v[54:55]
	flat_load_dword v56, v[56:57]
	s_waitcnt vmcnt(0) lgkmcnt(0)
	v_mul_f32_e32 v56, s28, v56
	s_branch .LBB71_195
.LBB71_194:
	v_mov_b32_e32 v56, 0
.LBB71_195:
	v_pk_add_f32 v[58:59], v[24:25], v[48:49]
	s_nop 0
	v_min3_f32 v57, v58, v59, v121
	v_pk_add_f32 v[58:59], v[26:27], v[50:51]
	s_nop 0
	v_min_f32_e32 v58, v58, v59
	v_min3_f32 v58, v56, v58, v57
	v_lshl_add_u64 v[56:57], v[68:69], 2, v[52:53]
	global_store_dword v[56:57], v58, off
	s_or_b64 exec, exec, s[26:27]
	s_and_b64 s[34:35], s[8:9], s[18:19]
	s_and_saveexec_b64 s[26:27], s[34:35]
	s_cbranch_execz .LBB71_180
.LBB71_196:
	s_and_b64 vcc, exec, s[0:1]
	s_cbranch_vccnz .LBB71_198
; %bb.197:
	v_lshl_add_u64 v[56:57], v[70:71], 2, v[54:55]
	flat_load_dword v56, v[56:57]
	s_waitcnt vmcnt(0) lgkmcnt(0)
	v_mul_f32_e32 v56, s28, v56
	s_branch .LBB71_199
.LBB71_198:
	v_mov_b32_e32 v56, 0
.LBB71_199:
	v_pk_add_f32 v[58:59], v[20:21], v[48:49]
	s_nop 0
	v_min3_f32 v57, v58, v59, v120
	v_pk_add_f32 v[58:59], v[22:23], v[50:51]
	s_nop 0
	v_min_f32_e32 v58, v58, v59
	v_min3_f32 v58, v56, v58, v57
	v_lshl_add_u64 v[56:57], v[70:71], 2, v[52:53]
	global_store_dword v[56:57], v58, off
	s_or_b64 exec, exec, s[26:27]
	s_and_b64 s[34:35], s[10:11], s[18:19]
	s_and_saveexec_b64 s[26:27], s[34:35]
	s_cbranch_execz .LBB71_181
.LBB71_200:
	s_and_b64 vcc, exec, s[0:1]
	s_cbranch_vccnz .LBB71_202
; %bb.201:
	v_lshl_add_u64 v[56:57], v[72:73], 2, v[54:55]
	flat_load_dword v56, v[56:57]
	s_waitcnt vmcnt(0) lgkmcnt(0)
	v_mul_f32_e32 v56, s28, v56
	s_branch .LBB71_203
.LBB71_202:
	v_mov_b32_e32 v56, 0
.LBB71_203:
	v_pk_add_f32 v[58:59], v[16:17], v[48:49]
	s_nop 0
	v_min3_f32 v57, v58, v59, v119
	v_pk_add_f32 v[58:59], v[18:19], v[50:51]
	s_nop 0
	v_min_f32_e32 v58, v58, v59
	v_min3_f32 v58, v56, v58, v57
	v_lshl_add_u64 v[56:57], v[72:73], 2, v[52:53]
	global_store_dword v[56:57], v58, off
	s_or_b64 exec, exec, s[26:27]
	s_and_b64 s[34:35], s[12:13], s[18:19]
	s_and_saveexec_b64 s[26:27], s[34:35]
	s_cbranch_execz .LBB71_182
.LBB71_204:
	s_and_b64 vcc, exec, s[0:1]
	s_cbranch_vccnz .LBB71_206
; %bb.205:
	v_lshl_add_u64 v[56:57], v[74:75], 2, v[54:55]
	flat_load_dword v56, v[56:57]
	s_waitcnt vmcnt(0) lgkmcnt(0)
	v_mul_f32_e32 v56, s28, v56
	s_branch .LBB71_207
.LBB71_206:
	v_mov_b32_e32 v56, 0
.LBB71_207:
	v_pk_add_f32 v[58:59], v[12:13], v[48:49]
	s_nop 0
	v_min3_f32 v57, v58, v59, v118
	v_pk_add_f32 v[58:59], v[14:15], v[50:51]
	s_nop 0
	v_min_f32_e32 v58, v58, v59
	v_min3_f32 v58, v56, v58, v57
	v_lshl_add_u64 v[56:57], v[74:75], 2, v[52:53]
	global_store_dword v[56:57], v58, off
	s_or_b64 exec, exec, s[26:27]
	s_and_b64 s[34:35], s[14:15], s[18:19]
	s_and_saveexec_b64 s[26:27], s[34:35]
	s_cbranch_execz .LBB71_183
.LBB71_208:
	s_and_b64 vcc, exec, s[0:1]
	s_cbranch_vccnz .LBB71_210
; %bb.209:
	v_lshl_add_u64 v[56:57], v[76:77], 2, v[54:55]
	flat_load_dword v56, v[56:57]
	s_waitcnt vmcnt(0) lgkmcnt(0)
	v_mul_f32_e32 v56, s28, v56
	s_branch .LBB71_211
.LBB71_210:
	v_mov_b32_e32 v56, 0
.LBB71_211:
	v_pk_add_f32 v[58:59], v[8:9], v[48:49]
	s_nop 0
	v_min3_f32 v57, v58, v59, v117
	v_pk_add_f32 v[58:59], v[10:11], v[50:51]
	s_nop 0
	v_min_f32_e32 v58, v58, v59
	v_min3_f32 v58, v56, v58, v57
	v_lshl_add_u64 v[56:57], v[76:77], 2, v[52:53]
	global_store_dword v[56:57], v58, off
	s_or_b64 exec, exec, s[26:27]
	s_and_b64 s[26:27], s[16:17], s[18:19]
	s_and_saveexec_b64 s[18:19], s[26:27]
	s_cbranch_execz .LBB71_216
.LBB71_212:
	s_and_b64 vcc, exec, s[0:1]
	s_cbranch_vccnz .LBB71_214
; %bb.213:
	v_lshl_add_u64 v[54:55], v[78:79], 2, v[54:55]
	flat_load_dword v54, v[54:55]
	s_waitcnt vmcnt(0) lgkmcnt(0)
	v_mul_f32_e32 v54, s28, v54
	s_branch .LBB71_215
.LBB71_214:
	v_mov_b32_e32 v54, 0
.LBB71_215:
	v_pk_add_f32 v[48:49], v[0:1], v[48:49]
	s_nop 0
	v_min3_f32 v55, v48, v49, v116
	v_pk_add_f32 v[48:49], v[2:3], v[50:51]
	s_nop 0
	v_min_f32_e32 v48, v48, v49
	v_min3_f32 v50, v54, v48, v55
	v_lshl_add_u64 v[48:49], v[78:79], 2, v[52:53]
	global_store_dword v[48:49], v50, off
.LBB71_216:
	s_or_b64 exec, exec, s[18:19]
	v_add_u32_e32 v52, 0x80, v124
	v_mad_i64_i32 v[48:49], s[26:27], v52, s31, 0
	v_cmp_gt_i32_e64 s[18:19], s21, v52
	v_lshl_add_u64 v[50:51], v[48:49], 2, s[24:25]
	v_mad_i64_i32 v[48:49], s[26:27], v52, s30, 0
	v_lshl_add_u64 v[48:49], v[48:49], 2, s[22:23]
	s_and_b64 s[34:35], s[2:3], s[18:19]
	s_and_saveexec_b64 s[26:27], s[34:35]
	s_cbranch_execnz .LBB71_224
; %bb.217:
	s_or_b64 exec, exec, s[26:27]
	s_and_b64 s[34:35], s[4:5], s[18:19]
	s_and_saveexec_b64 s[26:27], s[34:35]
	s_cbranch_execnz .LBB71_228
.LBB71_218:
	s_or_b64 exec, exec, s[26:27]
	s_and_b64 s[34:35], s[6:7], s[18:19]
	s_and_saveexec_b64 s[26:27], s[34:35]
	s_cbranch_execnz .LBB71_232
.LBB71_219:
	s_or_b64 exec, exec, s[26:27]
	s_and_b64 s[34:35], s[8:9], s[18:19]
	s_and_saveexec_b64 s[26:27], s[34:35]
	s_cbranch_execnz .LBB71_236
.LBB71_220:
	s_or_b64 exec, exec, s[26:27]
	s_and_b64 s[34:35], s[10:11], s[18:19]
	s_and_saveexec_b64 s[26:27], s[34:35]
	s_cbranch_execnz .LBB71_240
.LBB71_221:
	s_or_b64 exec, exec, s[26:27]
	s_and_b64 s[34:35], s[12:13], s[18:19]
	s_and_saveexec_b64 s[26:27], s[34:35]
	s_cbranch_execnz .LBB71_244
.LBB71_222:
	s_or_b64 exec, exec, s[26:27]
	s_and_b64 s[34:35], s[14:15], s[18:19]
	s_and_saveexec_b64 s[26:27], s[34:35]
	s_cbranch_execnz .LBB71_248
.LBB71_223:
	s_or_b64 exec, exec, s[26:27]
	s_and_b64 s[26:27], s[16:17], s[18:19]
	s_and_saveexec_b64 s[18:19], s[26:27]
	s_cbranch_execnz .LBB71_252
	s_branch .LBB71_256
.LBB71_224:
	s_and_b64 vcc, exec, s[0:1]
	s_cbranch_vccnz .LBB71_226
; %bb.225:
	v_lshl_add_u64 v[52:53], v[64:65], 2, v[50:51]
	flat_load_dword v52, v[52:53]
	s_waitcnt vmcnt(0) lgkmcnt(0)
	v_mul_f32_e32 v52, s28, v52
	s_branch .LBB71_227
.LBB71_226:
	v_mov_b32_e32 v52, 0
.LBB71_227:
	v_pk_add_f32 v[54:55], v[32:33], v[44:45]
	s_nop 0
	v_min3_f32 v53, v54, v55, v115
	v_pk_add_f32 v[54:55], v[34:35], v[46:47]
	s_nop 0
	v_min_f32_e32 v54, v54, v55
	v_min3_f32 v54, v52, v54, v53
	v_lshl_add_u64 v[52:53], v[64:65], 2, v[48:49]
	global_store_dword v[52:53], v54, off
	s_or_b64 exec, exec, s[26:27]
	s_and_b64 s[34:35], s[4:5], s[18:19]
	s_and_saveexec_b64 s[26:27], s[34:35]
	s_cbranch_execz .LBB71_218
.LBB71_228:
	s_and_b64 vcc, exec, s[0:1]
	s_cbranch_vccnz .LBB71_230
; %bb.229:
	v_lshl_add_u64 v[52:53], v[66:67], 2, v[50:51]
	flat_load_dword v52, v[52:53]
	s_waitcnt vmcnt(0) lgkmcnt(0)
	v_mul_f32_e32 v52, s28, v52
	s_branch .LBB71_231
.LBB71_230:
	v_mov_b32_e32 v52, 0
.LBB71_231:
	v_pk_add_f32 v[54:55], v[28:29], v[44:45]
	s_nop 0
	v_min3_f32 v53, v54, v55, v114
	v_pk_add_f32 v[54:55], v[30:31], v[46:47]
	s_nop 0
	v_min_f32_e32 v54, v54, v55
	v_min3_f32 v54, v52, v54, v53
	v_lshl_add_u64 v[52:53], v[66:67], 2, v[48:49]
	global_store_dword v[52:53], v54, off
	s_or_b64 exec, exec, s[26:27]
	s_and_b64 s[34:35], s[6:7], s[18:19]
	s_and_saveexec_b64 s[26:27], s[34:35]
	s_cbranch_execz .LBB71_219
.LBB71_232:
	s_and_b64 vcc, exec, s[0:1]
	s_cbranch_vccnz .LBB71_234
; %bb.233:
	v_lshl_add_u64 v[52:53], v[68:69], 2, v[50:51]
	flat_load_dword v52, v[52:53]
	s_waitcnt vmcnt(0) lgkmcnt(0)
	v_mul_f32_e32 v52, s28, v52
	s_branch .LBB71_235
.LBB71_234:
	v_mov_b32_e32 v52, 0
.LBB71_235:
	v_pk_add_f32 v[54:55], v[24:25], v[44:45]
	s_nop 0
	v_min3_f32 v53, v54, v55, v113
	v_pk_add_f32 v[54:55], v[26:27], v[46:47]
	s_nop 0
	v_min_f32_e32 v54, v54, v55
	v_min3_f32 v54, v52, v54, v53
	v_lshl_add_u64 v[52:53], v[68:69], 2, v[48:49]
	global_store_dword v[52:53], v54, off
	s_or_b64 exec, exec, s[26:27]
	s_and_b64 s[34:35], s[8:9], s[18:19]
	s_and_saveexec_b64 s[26:27], s[34:35]
	s_cbranch_execz .LBB71_220
.LBB71_236:
	s_and_b64 vcc, exec, s[0:1]
	s_cbranch_vccnz .LBB71_238
; %bb.237:
	v_lshl_add_u64 v[52:53], v[70:71], 2, v[50:51]
	flat_load_dword v52, v[52:53]
	s_waitcnt vmcnt(0) lgkmcnt(0)
	v_mul_f32_e32 v52, s28, v52
	s_branch .LBB71_239
.LBB71_238:
	v_mov_b32_e32 v52, 0
.LBB71_239:
	v_pk_add_f32 v[54:55], v[20:21], v[44:45]
	s_nop 0
	v_min3_f32 v53, v54, v55, v112
	v_pk_add_f32 v[54:55], v[22:23], v[46:47]
	s_nop 0
	v_min_f32_e32 v54, v54, v55
	v_min3_f32 v54, v52, v54, v53
	v_lshl_add_u64 v[52:53], v[70:71], 2, v[48:49]
	global_store_dword v[52:53], v54, off
	s_or_b64 exec, exec, s[26:27]
	s_and_b64 s[34:35], s[10:11], s[18:19]
	s_and_saveexec_b64 s[26:27], s[34:35]
	s_cbranch_execz .LBB71_221
.LBB71_240:
	s_and_b64 vcc, exec, s[0:1]
	s_cbranch_vccnz .LBB71_242
; %bb.241:
	v_lshl_add_u64 v[52:53], v[72:73], 2, v[50:51]
	flat_load_dword v52, v[52:53]
	s_waitcnt vmcnt(0) lgkmcnt(0)
	v_mul_f32_e32 v52, s28, v52
	s_branch .LBB71_243
.LBB71_242:
	v_mov_b32_e32 v52, 0
.LBB71_243:
	v_pk_add_f32 v[54:55], v[16:17], v[44:45]
	s_nop 0
	v_min3_f32 v53, v54, v55, v111
	v_pk_add_f32 v[54:55], v[18:19], v[46:47]
	s_nop 0
	v_min_f32_e32 v54, v54, v55
	v_min3_f32 v54, v52, v54, v53
	v_lshl_add_u64 v[52:53], v[72:73], 2, v[48:49]
	global_store_dword v[52:53], v54, off
	s_or_b64 exec, exec, s[26:27]
	s_and_b64 s[34:35], s[12:13], s[18:19]
	s_and_saveexec_b64 s[26:27], s[34:35]
	s_cbranch_execz .LBB71_222
.LBB71_244:
	s_and_b64 vcc, exec, s[0:1]
	s_cbranch_vccnz .LBB71_246
; %bb.245:
	v_lshl_add_u64 v[52:53], v[74:75], 2, v[50:51]
	flat_load_dword v52, v[52:53]
	s_waitcnt vmcnt(0) lgkmcnt(0)
	v_mul_f32_e32 v52, s28, v52
	s_branch .LBB71_247
.LBB71_246:
	v_mov_b32_e32 v52, 0
.LBB71_247:
	v_pk_add_f32 v[54:55], v[12:13], v[44:45]
	s_nop 0
	v_min3_f32 v53, v54, v55, v110
	v_pk_add_f32 v[54:55], v[14:15], v[46:47]
	s_nop 0
	v_min_f32_e32 v54, v54, v55
	v_min3_f32 v54, v52, v54, v53
	v_lshl_add_u64 v[52:53], v[74:75], 2, v[48:49]
	global_store_dword v[52:53], v54, off
	s_or_b64 exec, exec, s[26:27]
	s_and_b64 s[34:35], s[14:15], s[18:19]
	s_and_saveexec_b64 s[26:27], s[34:35]
	s_cbranch_execz .LBB71_223
.LBB71_248:
	s_and_b64 vcc, exec, s[0:1]
	s_cbranch_vccnz .LBB71_250
; %bb.249:
	v_lshl_add_u64 v[52:53], v[76:77], 2, v[50:51]
	flat_load_dword v52, v[52:53]
	s_waitcnt vmcnt(0) lgkmcnt(0)
	v_mul_f32_e32 v52, s28, v52
	s_branch .LBB71_251
.LBB71_250:
	v_mov_b32_e32 v52, 0
.LBB71_251:
	v_pk_add_f32 v[54:55], v[8:9], v[44:45]
	s_nop 0
	v_min3_f32 v53, v54, v55, v109
	v_pk_add_f32 v[54:55], v[10:11], v[46:47]
	s_nop 0
	v_min_f32_e32 v54, v54, v55
	v_min3_f32 v54, v52, v54, v53
	v_lshl_add_u64 v[52:53], v[76:77], 2, v[48:49]
	global_store_dword v[52:53], v54, off
	s_or_b64 exec, exec, s[26:27]
	s_and_b64 s[26:27], s[16:17], s[18:19]
	s_and_saveexec_b64 s[18:19], s[26:27]
	s_cbranch_execz .LBB71_256
.LBB71_252:
	s_and_b64 vcc, exec, s[0:1]
	s_cbranch_vccnz .LBB71_254
; %bb.253:
	v_lshl_add_u64 v[50:51], v[78:79], 2, v[50:51]
	flat_load_dword v50, v[50:51]
	s_waitcnt vmcnt(0) lgkmcnt(0)
	v_mul_f32_e32 v50, s28, v50
	s_branch .LBB71_255
.LBB71_254:
	v_mov_b32_e32 v50, 0
.LBB71_255:
	v_pk_add_f32 v[44:45], v[0:1], v[44:45]
	s_nop 0
	v_min3_f32 v51, v44, v45, v108
	v_pk_add_f32 v[44:45], v[2:3], v[46:47]
	s_nop 0
	v_min_f32_e32 v44, v44, v45
	v_min3_f32 v46, v50, v44, v51
	v_lshl_add_u64 v[44:45], v[78:79], 2, v[48:49]
	global_store_dword v[44:45], v46, off
.LBB71_256:
	s_or_b64 exec, exec, s[18:19]
	v_add_u32_e32 v48, 0xa0, v124
	v_mad_i64_i32 v[44:45], s[26:27], v48, s31, 0
	v_cmp_gt_i32_e64 s[18:19], s21, v48
	v_lshl_add_u64 v[46:47], v[44:45], 2, s[24:25]
	v_mad_i64_i32 v[44:45], s[26:27], v48, s30, 0
	v_lshl_add_u64 v[44:45], v[44:45], 2, s[22:23]
	s_and_b64 s[34:35], s[2:3], s[18:19]
	s_and_saveexec_b64 s[26:27], s[34:35]
	s_cbranch_execnz .LBB71_264
; %bb.257:
	s_or_b64 exec, exec, s[26:27]
	s_and_b64 s[34:35], s[4:5], s[18:19]
	s_and_saveexec_b64 s[26:27], s[34:35]
	s_cbranch_execnz .LBB71_268
.LBB71_258:
	s_or_b64 exec, exec, s[26:27]
	s_and_b64 s[34:35], s[6:7], s[18:19]
	s_and_saveexec_b64 s[26:27], s[34:35]
	s_cbranch_execnz .LBB71_272
.LBB71_259:
	s_or_b64 exec, exec, s[26:27]
	s_and_b64 s[34:35], s[8:9], s[18:19]
	s_and_saveexec_b64 s[26:27], s[34:35]
	s_cbranch_execnz .LBB71_276
.LBB71_260:
	s_or_b64 exec, exec, s[26:27]
	s_and_b64 s[34:35], s[10:11], s[18:19]
	s_and_saveexec_b64 s[26:27], s[34:35]
	s_cbranch_execnz .LBB71_280
.LBB71_261:
	s_or_b64 exec, exec, s[26:27]
	s_and_b64 s[34:35], s[12:13], s[18:19]
	s_and_saveexec_b64 s[26:27], s[34:35]
	s_cbranch_execnz .LBB71_284
.LBB71_262:
	s_or_b64 exec, exec, s[26:27]
	s_and_b64 s[34:35], s[14:15], s[18:19]
	s_and_saveexec_b64 s[26:27], s[34:35]
	s_cbranch_execnz .LBB71_288
.LBB71_263:
	s_or_b64 exec, exec, s[26:27]
	s_and_b64 s[26:27], s[16:17], s[18:19]
	s_and_saveexec_b64 s[18:19], s[26:27]
	s_cbranch_execnz .LBB71_292
	s_branch .LBB71_296
.LBB71_264:
	s_and_b64 vcc, exec, s[0:1]
	s_cbranch_vccnz .LBB71_266
; %bb.265:
	v_lshl_add_u64 v[48:49], v[64:65], 2, v[46:47]
	flat_load_dword v48, v[48:49]
	s_waitcnt vmcnt(0) lgkmcnt(0)
	v_mul_f32_e32 v48, s28, v48
	s_branch .LBB71_267
.LBB71_266:
	v_mov_b32_e32 v48, 0
.LBB71_267:
	v_pk_add_f32 v[50:51], v[32:33], v[40:41]
	s_nop 0
	v_min3_f32 v49, v50, v51, v107
	v_pk_add_f32 v[50:51], v[34:35], v[42:43]
	s_nop 0
	v_min_f32_e32 v50, v50, v51
	v_min3_f32 v50, v48, v50, v49
	v_lshl_add_u64 v[48:49], v[64:65], 2, v[44:45]
	global_store_dword v[48:49], v50, off
	s_or_b64 exec, exec, s[26:27]
	s_and_b64 s[34:35], s[4:5], s[18:19]
	s_and_saveexec_b64 s[26:27], s[34:35]
	s_cbranch_execz .LBB71_258
.LBB71_268:
	s_and_b64 vcc, exec, s[0:1]
	s_cbranch_vccnz .LBB71_270
; %bb.269:
	v_lshl_add_u64 v[48:49], v[66:67], 2, v[46:47]
	flat_load_dword v48, v[48:49]
	s_waitcnt vmcnt(0) lgkmcnt(0)
	v_mul_f32_e32 v48, s28, v48
	s_branch .LBB71_271
.LBB71_270:
	v_mov_b32_e32 v48, 0
.LBB71_271:
	v_pk_add_f32 v[50:51], v[28:29], v[40:41]
	s_nop 0
	v_min3_f32 v49, v50, v51, v106
	v_pk_add_f32 v[50:51], v[30:31], v[42:43]
	s_nop 0
	v_min_f32_e32 v50, v50, v51
	v_min3_f32 v50, v48, v50, v49
	v_lshl_add_u64 v[48:49], v[66:67], 2, v[44:45]
	global_store_dword v[48:49], v50, off
	s_or_b64 exec, exec, s[26:27]
	s_and_b64 s[34:35], s[6:7], s[18:19]
	s_and_saveexec_b64 s[26:27], s[34:35]
	s_cbranch_execz .LBB71_259
.LBB71_272:
	s_and_b64 vcc, exec, s[0:1]
	s_cbranch_vccnz .LBB71_274
; %bb.273:
	v_lshl_add_u64 v[48:49], v[68:69], 2, v[46:47]
	flat_load_dword v48, v[48:49]
	s_waitcnt vmcnt(0) lgkmcnt(0)
	v_mul_f32_e32 v48, s28, v48
	s_branch .LBB71_275
.LBB71_274:
	v_mov_b32_e32 v48, 0
.LBB71_275:
	v_pk_add_f32 v[50:51], v[24:25], v[40:41]
	s_nop 0
	v_min3_f32 v49, v50, v51, v105
	v_pk_add_f32 v[50:51], v[26:27], v[42:43]
	s_nop 0
	v_min_f32_e32 v50, v50, v51
	v_min3_f32 v50, v48, v50, v49
	v_lshl_add_u64 v[48:49], v[68:69], 2, v[44:45]
	global_store_dword v[48:49], v50, off
	s_or_b64 exec, exec, s[26:27]
	s_and_b64 s[34:35], s[8:9], s[18:19]
	s_and_saveexec_b64 s[26:27], s[34:35]
	s_cbranch_execz .LBB71_260
.LBB71_276:
	s_and_b64 vcc, exec, s[0:1]
	s_cbranch_vccnz .LBB71_278
; %bb.277:
	v_lshl_add_u64 v[48:49], v[70:71], 2, v[46:47]
	flat_load_dword v48, v[48:49]
	s_waitcnt vmcnt(0) lgkmcnt(0)
	v_mul_f32_e32 v48, s28, v48
	s_branch .LBB71_279
.LBB71_278:
	v_mov_b32_e32 v48, 0
.LBB71_279:
	v_pk_add_f32 v[50:51], v[20:21], v[40:41]
	s_nop 0
	v_min3_f32 v49, v50, v51, v104
	v_pk_add_f32 v[50:51], v[22:23], v[42:43]
	s_nop 0
	v_min_f32_e32 v50, v50, v51
	v_min3_f32 v50, v48, v50, v49
	v_lshl_add_u64 v[48:49], v[70:71], 2, v[44:45]
	global_store_dword v[48:49], v50, off
	s_or_b64 exec, exec, s[26:27]
	s_and_b64 s[34:35], s[10:11], s[18:19]
	s_and_saveexec_b64 s[26:27], s[34:35]
	s_cbranch_execz .LBB71_261
.LBB71_280:
	s_and_b64 vcc, exec, s[0:1]
	s_cbranch_vccnz .LBB71_282
; %bb.281:
	v_lshl_add_u64 v[48:49], v[72:73], 2, v[46:47]
	flat_load_dword v48, v[48:49]
	s_waitcnt vmcnt(0) lgkmcnt(0)
	v_mul_f32_e32 v48, s28, v48
	s_branch .LBB71_283
.LBB71_282:
	v_mov_b32_e32 v48, 0
.LBB71_283:
	v_pk_add_f32 v[50:51], v[16:17], v[40:41]
	s_nop 0
	v_min3_f32 v49, v50, v51, v103
	v_pk_add_f32 v[50:51], v[18:19], v[42:43]
	s_nop 0
	v_min_f32_e32 v50, v50, v51
	v_min3_f32 v50, v48, v50, v49
	v_lshl_add_u64 v[48:49], v[72:73], 2, v[44:45]
	global_store_dword v[48:49], v50, off
	s_or_b64 exec, exec, s[26:27]
	s_and_b64 s[34:35], s[12:13], s[18:19]
	s_and_saveexec_b64 s[26:27], s[34:35]
	s_cbranch_execz .LBB71_262
.LBB71_284:
	s_and_b64 vcc, exec, s[0:1]
	s_cbranch_vccnz .LBB71_286
; %bb.285:
	v_lshl_add_u64 v[48:49], v[74:75], 2, v[46:47]
	flat_load_dword v48, v[48:49]
	s_waitcnt vmcnt(0) lgkmcnt(0)
	v_mul_f32_e32 v48, s28, v48
	s_branch .LBB71_287
.LBB71_286:
	v_mov_b32_e32 v48, 0
.LBB71_287:
	v_pk_add_f32 v[50:51], v[12:13], v[40:41]
	s_nop 0
	v_min3_f32 v49, v50, v51, v102
	v_pk_add_f32 v[50:51], v[14:15], v[42:43]
	s_nop 0
	v_min_f32_e32 v50, v50, v51
	v_min3_f32 v50, v48, v50, v49
	v_lshl_add_u64 v[48:49], v[74:75], 2, v[44:45]
	global_store_dword v[48:49], v50, off
	s_or_b64 exec, exec, s[26:27]
	s_and_b64 s[34:35], s[14:15], s[18:19]
	s_and_saveexec_b64 s[26:27], s[34:35]
	s_cbranch_execz .LBB71_263
.LBB71_288:
	s_and_b64 vcc, exec, s[0:1]
	s_cbranch_vccnz .LBB71_290
; %bb.289:
	v_lshl_add_u64 v[48:49], v[76:77], 2, v[46:47]
	flat_load_dword v48, v[48:49]
	s_waitcnt vmcnt(0) lgkmcnt(0)
	v_mul_f32_e32 v48, s28, v48
	s_branch .LBB71_291
.LBB71_290:
	v_mov_b32_e32 v48, 0
.LBB71_291:
	v_pk_add_f32 v[50:51], v[8:9], v[40:41]
	s_nop 0
	v_min3_f32 v49, v50, v51, v101
	v_pk_add_f32 v[50:51], v[10:11], v[42:43]
	s_nop 0
	v_min_f32_e32 v50, v50, v51
	v_min3_f32 v50, v48, v50, v49
	v_lshl_add_u64 v[48:49], v[76:77], 2, v[44:45]
	global_store_dword v[48:49], v50, off
	s_or_b64 exec, exec, s[26:27]
	s_and_b64 s[26:27], s[16:17], s[18:19]
	s_and_saveexec_b64 s[18:19], s[26:27]
	s_cbranch_execz .LBB71_296
.LBB71_292:
	s_and_b64 vcc, exec, s[0:1]
	s_cbranch_vccnz .LBB71_294
; %bb.293:
	v_lshl_add_u64 v[46:47], v[78:79], 2, v[46:47]
	flat_load_dword v46, v[46:47]
	s_waitcnt vmcnt(0) lgkmcnt(0)
	v_mul_f32_e32 v46, s28, v46
	s_branch .LBB71_295
.LBB71_294:
	v_mov_b32_e32 v46, 0
.LBB71_295:
	v_pk_add_f32 v[40:41], v[0:1], v[40:41]
	s_nop 0
	v_min3_f32 v47, v40, v41, v100
	v_pk_add_f32 v[40:41], v[2:3], v[42:43]
	s_nop 0
	v_min_f32_e32 v40, v40, v41
	v_min3_f32 v42, v46, v40, v47
	v_lshl_add_u64 v[40:41], v[78:79], 2, v[44:45]
	global_store_dword v[40:41], v42, off
.LBB71_296:
	s_or_b64 exec, exec, s[18:19]
	v_add_u32_e32 v44, 0xc0, v124
	v_mad_i64_i32 v[40:41], s[26:27], v44, s31, 0
	v_cmp_gt_i32_e64 s[18:19], s21, v44
	v_lshl_add_u64 v[42:43], v[40:41], 2, s[24:25]
	v_mad_i64_i32 v[40:41], s[26:27], v44, s30, 0
	v_lshl_add_u64 v[40:41], v[40:41], 2, s[22:23]
	s_and_b64 s[34:35], s[2:3], s[18:19]
	s_and_saveexec_b64 s[26:27], s[34:35]
	s_cbranch_execnz .LBB71_304
; %bb.297:
	s_or_b64 exec, exec, s[26:27]
	s_and_b64 s[34:35], s[4:5], s[18:19]
	s_and_saveexec_b64 s[26:27], s[34:35]
	s_cbranch_execnz .LBB71_308
.LBB71_298:
	s_or_b64 exec, exec, s[26:27]
	s_and_b64 s[34:35], s[6:7], s[18:19]
	s_and_saveexec_b64 s[26:27], s[34:35]
	s_cbranch_execnz .LBB71_312
.LBB71_299:
	s_or_b64 exec, exec, s[26:27]
	s_and_b64 s[34:35], s[8:9], s[18:19]
	s_and_saveexec_b64 s[26:27], s[34:35]
	s_cbranch_execnz .LBB71_316
.LBB71_300:
	s_or_b64 exec, exec, s[26:27]
	s_and_b64 s[34:35], s[10:11], s[18:19]
	s_and_saveexec_b64 s[26:27], s[34:35]
	s_cbranch_execnz .LBB71_320
.LBB71_301:
	s_or_b64 exec, exec, s[26:27]
	s_and_b64 s[34:35], s[12:13], s[18:19]
	s_and_saveexec_b64 s[26:27], s[34:35]
	s_cbranch_execnz .LBB71_324
.LBB71_302:
	s_or_b64 exec, exec, s[26:27]
	s_and_b64 s[34:35], s[14:15], s[18:19]
	s_and_saveexec_b64 s[26:27], s[34:35]
	s_cbranch_execnz .LBB71_328
.LBB71_303:
	s_or_b64 exec, exec, s[26:27]
	s_and_b64 s[26:27], s[16:17], s[18:19]
	s_and_saveexec_b64 s[18:19], s[26:27]
	s_cbranch_execnz .LBB71_332
	s_branch .LBB71_336
.LBB71_304:
	s_and_b64 vcc, exec, s[0:1]
	s_cbranch_vccnz .LBB71_306
; %bb.305:
	v_lshl_add_u64 v[44:45], v[64:65], 2, v[42:43]
	flat_load_dword v44, v[44:45]
	s_waitcnt vmcnt(0) lgkmcnt(0)
	v_mul_f32_e32 v44, s28, v44
	s_branch .LBB71_307
.LBB71_306:
	v_mov_b32_e32 v44, 0
.LBB71_307:
	v_pk_add_f32 v[46:47], v[32:33], v[36:37]
	s_nop 0
	v_min3_f32 v45, v46, v47, v99
	v_pk_add_f32 v[46:47], v[34:35], v[38:39]
	s_nop 0
	v_min_f32_e32 v46, v46, v47
	v_min3_f32 v46, v44, v46, v45
	v_lshl_add_u64 v[44:45], v[64:65], 2, v[40:41]
	global_store_dword v[44:45], v46, off
	s_or_b64 exec, exec, s[26:27]
	s_and_b64 s[34:35], s[4:5], s[18:19]
	s_and_saveexec_b64 s[26:27], s[34:35]
	s_cbranch_execz .LBB71_298
.LBB71_308:
	s_and_b64 vcc, exec, s[0:1]
	s_cbranch_vccnz .LBB71_310
; %bb.309:
	v_lshl_add_u64 v[44:45], v[66:67], 2, v[42:43]
	flat_load_dword v44, v[44:45]
	s_waitcnt vmcnt(0) lgkmcnt(0)
	v_mul_f32_e32 v44, s28, v44
	s_branch .LBB71_311
.LBB71_310:
	v_mov_b32_e32 v44, 0
.LBB71_311:
	v_pk_add_f32 v[46:47], v[28:29], v[36:37]
	s_nop 0
	v_min3_f32 v45, v46, v47, v98
	v_pk_add_f32 v[46:47], v[30:31], v[38:39]
	s_nop 0
	v_min_f32_e32 v46, v46, v47
	v_min3_f32 v46, v44, v46, v45
	v_lshl_add_u64 v[44:45], v[66:67], 2, v[40:41]
	global_store_dword v[44:45], v46, off
	s_or_b64 exec, exec, s[26:27]
	s_and_b64 s[34:35], s[6:7], s[18:19]
	s_and_saveexec_b64 s[26:27], s[34:35]
	s_cbranch_execz .LBB71_299
.LBB71_312:
	s_and_b64 vcc, exec, s[0:1]
	s_cbranch_vccnz .LBB71_314
; %bb.313:
	v_lshl_add_u64 v[44:45], v[68:69], 2, v[42:43]
	flat_load_dword v44, v[44:45]
	s_waitcnt vmcnt(0) lgkmcnt(0)
	v_mul_f32_e32 v44, s28, v44
	s_branch .LBB71_315
.LBB71_314:
	v_mov_b32_e32 v44, 0
.LBB71_315:
	v_pk_add_f32 v[46:47], v[24:25], v[36:37]
	s_nop 0
	v_min3_f32 v45, v46, v47, v97
	v_pk_add_f32 v[46:47], v[26:27], v[38:39]
	s_nop 0
	v_min_f32_e32 v46, v46, v47
	v_min3_f32 v46, v44, v46, v45
	v_lshl_add_u64 v[44:45], v[68:69], 2, v[40:41]
	global_store_dword v[44:45], v46, off
	s_or_b64 exec, exec, s[26:27]
	s_and_b64 s[34:35], s[8:9], s[18:19]
	s_and_saveexec_b64 s[26:27], s[34:35]
	s_cbranch_execz .LBB71_300
.LBB71_316:
	s_and_b64 vcc, exec, s[0:1]
	s_cbranch_vccnz .LBB71_318
; %bb.317:
	v_lshl_add_u64 v[44:45], v[70:71], 2, v[42:43]
	flat_load_dword v44, v[44:45]
	s_waitcnt vmcnt(0) lgkmcnt(0)
	v_mul_f32_e32 v44, s28, v44
	s_branch .LBB71_319
.LBB71_318:
	v_mov_b32_e32 v44, 0
.LBB71_319:
	v_pk_add_f32 v[46:47], v[20:21], v[36:37]
	s_nop 0
	v_min3_f32 v45, v46, v47, v96
	v_pk_add_f32 v[46:47], v[22:23], v[38:39]
	s_nop 0
	v_min_f32_e32 v46, v46, v47
	v_min3_f32 v46, v44, v46, v45
	v_lshl_add_u64 v[44:45], v[70:71], 2, v[40:41]
	global_store_dword v[44:45], v46, off
	s_or_b64 exec, exec, s[26:27]
	s_and_b64 s[34:35], s[10:11], s[18:19]
	s_and_saveexec_b64 s[26:27], s[34:35]
	s_cbranch_execz .LBB71_301
.LBB71_320:
	s_and_b64 vcc, exec, s[0:1]
	s_cbranch_vccnz .LBB71_322
; %bb.321:
	v_lshl_add_u64 v[44:45], v[72:73], 2, v[42:43]
	flat_load_dword v44, v[44:45]
	s_waitcnt vmcnt(0) lgkmcnt(0)
	v_mul_f32_e32 v44, s28, v44
	s_branch .LBB71_323
.LBB71_322:
	v_mov_b32_e32 v44, 0
.LBB71_323:
	v_pk_add_f32 v[46:47], v[16:17], v[36:37]
	s_nop 0
	v_min3_f32 v45, v46, v47, v95
	v_pk_add_f32 v[46:47], v[18:19], v[38:39]
	s_nop 0
	v_min_f32_e32 v46, v46, v47
	v_min3_f32 v46, v44, v46, v45
	v_lshl_add_u64 v[44:45], v[72:73], 2, v[40:41]
	global_store_dword v[44:45], v46, off
	s_or_b64 exec, exec, s[26:27]
	s_and_b64 s[34:35], s[12:13], s[18:19]
	s_and_saveexec_b64 s[26:27], s[34:35]
	s_cbranch_execz .LBB71_302
.LBB71_324:
	s_and_b64 vcc, exec, s[0:1]
	s_cbranch_vccnz .LBB71_326
; %bb.325:
	v_lshl_add_u64 v[44:45], v[74:75], 2, v[42:43]
	flat_load_dword v44, v[44:45]
	s_waitcnt vmcnt(0) lgkmcnt(0)
	v_mul_f32_e32 v44, s28, v44
	s_branch .LBB71_327
.LBB71_326:
	v_mov_b32_e32 v44, 0
.LBB71_327:
	v_pk_add_f32 v[46:47], v[12:13], v[36:37]
	s_nop 0
	v_min3_f32 v45, v46, v47, v94
	v_pk_add_f32 v[46:47], v[14:15], v[38:39]
	s_nop 0
	v_min_f32_e32 v46, v46, v47
	v_min3_f32 v46, v44, v46, v45
	v_lshl_add_u64 v[44:45], v[74:75], 2, v[40:41]
	global_store_dword v[44:45], v46, off
	s_or_b64 exec, exec, s[26:27]
	s_and_b64 s[34:35], s[14:15], s[18:19]
	s_and_saveexec_b64 s[26:27], s[34:35]
	s_cbranch_execz .LBB71_303
.LBB71_328:
	s_and_b64 vcc, exec, s[0:1]
	s_cbranch_vccnz .LBB71_330
; %bb.329:
	v_lshl_add_u64 v[44:45], v[76:77], 2, v[42:43]
	flat_load_dword v44, v[44:45]
	s_waitcnt vmcnt(0) lgkmcnt(0)
	v_mul_f32_e32 v44, s28, v44
	s_branch .LBB71_331
.LBB71_330:
	v_mov_b32_e32 v44, 0
.LBB71_331:
	v_pk_add_f32 v[46:47], v[8:9], v[36:37]
	s_nop 0
	v_min3_f32 v45, v46, v47, v93
	v_pk_add_f32 v[46:47], v[10:11], v[38:39]
	s_nop 0
	v_min_f32_e32 v46, v46, v47
	v_min3_f32 v46, v44, v46, v45
	v_lshl_add_u64 v[44:45], v[76:77], 2, v[40:41]
	global_store_dword v[44:45], v46, off
	s_or_b64 exec, exec, s[26:27]
	s_and_b64 s[26:27], s[16:17], s[18:19]
	s_and_saveexec_b64 s[18:19], s[26:27]
	s_cbranch_execz .LBB71_336
.LBB71_332:
	s_and_b64 vcc, exec, s[0:1]
	s_cbranch_vccnz .LBB71_334
; %bb.333:
	v_lshl_add_u64 v[42:43], v[78:79], 2, v[42:43]
	flat_load_dword v42, v[42:43]
	s_waitcnt vmcnt(0) lgkmcnt(0)
	v_mul_f32_e32 v42, s28, v42
	s_branch .LBB71_335
.LBB71_334:
	v_mov_b32_e32 v42, 0
.LBB71_335:
	v_pk_add_f32 v[36:37], v[0:1], v[36:37]
	s_nop 0
	v_min3_f32 v43, v36, v37, v92
	v_pk_add_f32 v[36:37], v[2:3], v[38:39]
	s_nop 0
	v_min_f32_e32 v36, v36, v37
	v_min3_f32 v38, v42, v36, v43
	v_lshl_add_u64 v[36:37], v[78:79], 2, v[40:41]
	global_store_dword v[36:37], v38, off
.LBB71_336:
	s_or_b64 exec, exec, s[18:19]
	v_add_u32_e32 v40, 0xe0, v124
	v_cmp_gt_i32_e64 s[18:19], s21, v40
	v_mad_i64_i32 v[36:37], s[20:21], v40, s31, 0
	v_lshl_add_u64 v[38:39], v[36:37], 2, s[24:25]
	v_mad_i64_i32 v[36:37], s[20:21], v40, s30, 0
	v_lshl_add_u64 v[36:37], v[36:37], 2, s[22:23]
	s_and_b64 s[20:21], s[2:3], s[18:19]
	s_and_saveexec_b64 s[2:3], s[20:21]
	s_cbranch_execnz .LBB71_345
; %bb.337:
	s_or_b64 exec, exec, s[2:3]
	s_and_b64 s[4:5], s[4:5], s[18:19]
	s_and_saveexec_b64 s[2:3], s[4:5]
	s_cbranch_execnz .LBB71_349
.LBB71_338:
	s_or_b64 exec, exec, s[2:3]
	s_and_b64 s[4:5], s[6:7], s[18:19]
	s_and_saveexec_b64 s[2:3], s[4:5]
	s_cbranch_execnz .LBB71_353
.LBB71_339:
	s_or_b64 exec, exec, s[2:3]
	s_and_b64 s[4:5], s[8:9], s[18:19]
	s_and_saveexec_b64 s[2:3], s[4:5]
	s_cbranch_execnz .LBB71_357
.LBB71_340:
	s_or_b64 exec, exec, s[2:3]
	s_and_b64 s[4:5], s[10:11], s[18:19]
	s_and_saveexec_b64 s[2:3], s[4:5]
	s_cbranch_execnz .LBB71_361
.LBB71_341:
	s_or_b64 exec, exec, s[2:3]
	s_and_b64 s[4:5], s[12:13], s[18:19]
	s_and_saveexec_b64 s[2:3], s[4:5]
	s_cbranch_execnz .LBB71_365
.LBB71_342:
	s_or_b64 exec, exec, s[2:3]
	s_and_b64 s[4:5], s[14:15], s[18:19]
	s_and_saveexec_b64 s[2:3], s[4:5]
	s_cbranch_execnz .LBB71_369
.LBB71_343:
	s_or_b64 exec, exec, s[2:3]
	s_and_b64 s[2:3], s[16:17], s[18:19]
	s_and_saveexec_b64 s[4:5], s[2:3]
	s_cbranch_execnz .LBB71_373
.LBB71_344:
	s_endpgm
.LBB71_345:
	s_and_b64 vcc, exec, s[0:1]
	s_cbranch_vccnz .LBB71_347
; %bb.346:
	v_lshl_add_u64 v[40:41], v[64:65], 2, v[38:39]
	flat_load_dword v40, v[40:41]
	s_waitcnt vmcnt(0) lgkmcnt(0)
	v_mul_f32_e32 v40, s28, v40
	s_branch .LBB71_348
.LBB71_347:
	v_mov_b32_e32 v40, 0
.LBB71_348:
	v_pk_add_f32 v[32:33], v[32:33], v[4:5]
	s_nop 0
	v_min3_f32 v41, v32, v33, v91
	v_pk_add_f32 v[32:33], v[34:35], v[6:7]
	s_nop 0
	v_min_f32_e32 v32, v32, v33
	v_min3_f32 v34, v40, v32, v41
	v_lshl_add_u64 v[32:33], v[64:65], 2, v[36:37]
	global_store_dword v[32:33], v34, off
	s_or_b64 exec, exec, s[2:3]
	s_and_b64 s[4:5], s[4:5], s[18:19]
	s_and_saveexec_b64 s[2:3], s[4:5]
	s_cbranch_execz .LBB71_338
.LBB71_349:
	s_and_b64 vcc, exec, s[0:1]
	s_cbranch_vccnz .LBB71_351
; %bb.350:
	v_lshl_add_u64 v[32:33], v[66:67], 2, v[38:39]
	flat_load_dword v32, v[32:33]
	s_waitcnt vmcnt(0) lgkmcnt(0)
	v_mul_f32_e32 v32, s28, v32
	s_branch .LBB71_352
.LBB71_351:
	v_mov_b32_e32 v32, 0
.LBB71_352:
	v_pk_add_f32 v[28:29], v[28:29], v[4:5]
	s_nop 0
	v_min3_f32 v33, v28, v29, v90
	v_pk_add_f32 v[28:29], v[30:31], v[6:7]
	s_nop 0
	v_min_f32_e32 v28, v28, v29
	v_min3_f32 v30, v32, v28, v33
	v_lshl_add_u64 v[28:29], v[66:67], 2, v[36:37]
	global_store_dword v[28:29], v30, off
	s_or_b64 exec, exec, s[2:3]
	s_and_b64 s[4:5], s[6:7], s[18:19]
	s_and_saveexec_b64 s[2:3], s[4:5]
	s_cbranch_execz .LBB71_339
.LBB71_353:
	s_and_b64 vcc, exec, s[0:1]
	s_cbranch_vccnz .LBB71_355
; %bb.354:
	v_lshl_add_u64 v[28:29], v[68:69], 2, v[38:39]
	flat_load_dword v28, v[28:29]
	s_waitcnt vmcnt(0) lgkmcnt(0)
	v_mul_f32_e32 v28, s28, v28
	s_branch .LBB71_356
.LBB71_355:
	v_mov_b32_e32 v28, 0
.LBB71_356:
	v_pk_add_f32 v[24:25], v[24:25], v[4:5]
	s_nop 0
	v_min3_f32 v29, v24, v25, v89
	v_pk_add_f32 v[24:25], v[26:27], v[6:7]
	s_nop 0
	v_min_f32_e32 v24, v24, v25
	v_min3_f32 v26, v28, v24, v29
	v_lshl_add_u64 v[24:25], v[68:69], 2, v[36:37]
	global_store_dword v[24:25], v26, off
	s_or_b64 exec, exec, s[2:3]
	s_and_b64 s[4:5], s[8:9], s[18:19]
	s_and_saveexec_b64 s[2:3], s[4:5]
	s_cbranch_execz .LBB71_340
.LBB71_357:
	s_and_b64 vcc, exec, s[0:1]
	s_cbranch_vccnz .LBB71_359
; %bb.358:
	v_lshl_add_u64 v[24:25], v[70:71], 2, v[38:39]
	flat_load_dword v24, v[24:25]
	s_waitcnt vmcnt(0) lgkmcnt(0)
	v_mul_f32_e32 v24, s28, v24
	s_branch .LBB71_360
.LBB71_359:
	v_mov_b32_e32 v24, 0
.LBB71_360:
	v_pk_add_f32 v[20:21], v[20:21], v[4:5]
	s_nop 0
	v_min3_f32 v25, v20, v21, v87
	v_pk_add_f32 v[20:21], v[22:23], v[6:7]
	s_nop 0
	v_min_f32_e32 v20, v20, v21
	v_min3_f32 v22, v24, v20, v25
	v_lshl_add_u64 v[20:21], v[70:71], 2, v[36:37]
	global_store_dword v[20:21], v22, off
	s_or_b64 exec, exec, s[2:3]
	s_and_b64 s[4:5], s[10:11], s[18:19]
	s_and_saveexec_b64 s[2:3], s[4:5]
	s_cbranch_execz .LBB71_341
.LBB71_361:
	s_and_b64 vcc, exec, s[0:1]
	s_cbranch_vccnz .LBB71_363
; %bb.362:
	v_lshl_add_u64 v[20:21], v[72:73], 2, v[38:39]
	flat_load_dword v20, v[20:21]
	s_waitcnt vmcnt(0) lgkmcnt(0)
	v_mul_f32_e32 v20, s28, v20
	s_branch .LBB71_364
.LBB71_363:
	v_mov_b32_e32 v20, 0
.LBB71_364:
	v_pk_add_f32 v[16:17], v[16:17], v[4:5]
	s_nop 0
	v_min3_f32 v21, v16, v17, v86
	v_pk_add_f32 v[16:17], v[18:19], v[6:7]
	s_nop 0
	v_min_f32_e32 v16, v16, v17
	v_min3_f32 v18, v20, v16, v21
	v_lshl_add_u64 v[16:17], v[72:73], 2, v[36:37]
	global_store_dword v[16:17], v18, off
	s_or_b64 exec, exec, s[2:3]
	s_and_b64 s[4:5], s[12:13], s[18:19]
	s_and_saveexec_b64 s[2:3], s[4:5]
	s_cbranch_execz .LBB71_342
.LBB71_365:
	s_and_b64 vcc, exec, s[0:1]
	s_cbranch_vccnz .LBB71_367
; %bb.366:
	v_lshl_add_u64 v[16:17], v[74:75], 2, v[38:39]
	flat_load_dword v16, v[16:17]
	s_waitcnt vmcnt(0) lgkmcnt(0)
	v_mul_f32_e32 v16, s28, v16
	s_branch .LBB71_368
.LBB71_367:
	v_mov_b32_e32 v16, 0
.LBB71_368:
	v_pk_add_f32 v[12:13], v[12:13], v[4:5]
	s_nop 0
	v_min3_f32 v17, v12, v13, v85
	v_pk_add_f32 v[12:13], v[14:15], v[6:7]
	s_nop 0
	v_min_f32_e32 v12, v12, v13
	v_min3_f32 v14, v16, v12, v17
	v_lshl_add_u64 v[12:13], v[74:75], 2, v[36:37]
	global_store_dword v[12:13], v14, off
	s_or_b64 exec, exec, s[2:3]
	s_and_b64 s[4:5], s[14:15], s[18:19]
	s_and_saveexec_b64 s[2:3], s[4:5]
	s_cbranch_execz .LBB71_343
.LBB71_369:
	s_and_b64 vcc, exec, s[0:1]
	s_cbranch_vccnz .LBB71_371
; %bb.370:
	v_lshl_add_u64 v[12:13], v[76:77], 2, v[38:39]
	flat_load_dword v12, v[12:13]
	s_waitcnt vmcnt(0) lgkmcnt(0)
	v_mul_f32_e32 v12, s28, v12
	s_branch .LBB71_372
.LBB71_371:
	v_mov_b32_e32 v12, 0
.LBB71_372:
	v_pk_add_f32 v[8:9], v[8:9], v[4:5]
	s_nop 0
	v_min3_f32 v13, v8, v9, v84
	v_pk_add_f32 v[8:9], v[10:11], v[6:7]
	s_nop 0
	v_min_f32_e32 v8, v8, v9
	v_min3_f32 v10, v12, v8, v13
	v_lshl_add_u64 v[8:9], v[76:77], 2, v[36:37]
	global_store_dword v[8:9], v10, off
	s_or_b64 exec, exec, s[2:3]
	s_and_b64 s[2:3], s[16:17], s[18:19]
	s_and_saveexec_b64 s[4:5], s[2:3]
	s_cbranch_execz .LBB71_344
.LBB71_373:
	s_and_b64 vcc, exec, s[0:1]
	s_cbranch_vccnz .LBB71_375
; %bb.374:
	v_lshl_add_u64 v[8:9], v[78:79], 2, v[38:39]
	flat_load_dword v8, v[8:9]
	s_waitcnt vmcnt(0) lgkmcnt(0)
	v_mul_f32_e32 v8, s28, v8
	s_branch .LBB71_376
.LBB71_375:
	v_mov_b32_e32 v8, 0
.LBB71_376:
	v_pk_add_f32 v[0:1], v[0:1], v[4:5]
	s_nop 0
	v_min3_f32 v4, v0, v1, v88
	v_pk_add_f32 v[0:1], v[2:3], v[6:7]
	s_nop 0
	v_min_f32_e32 v0, v0, v1
	v_min3_f32 v2, v8, v0, v4
	v_lshl_add_u64 v[0:1], v[78:79], 2, v[36:37]
	global_store_dword v[0:1], v2, off
	s_endpgm
	.section	.rodata,"a",@progbits
	.p2align	6, 0x0
	.amdhsa_kernel _ZN12_GLOBAL__N_120geam_min_plus_kernelIf15HIP_vector_typeIfLj2EEfLi8ELi32ELi64ELi256ELi4ELi64ELi4ELi64ELi4ELc78ELc84ELb0ELb1ELb1EfKffEEviiiT16_PT17_ilS6_ilS4_S6_ilPT18_ili26rocblas_geam_ex_operation_
		.amdhsa_group_segment_fixed_size 10240
		.amdhsa_private_segment_fixed_size 0
		.amdhsa_kernarg_size 128
		.amdhsa_user_sgpr_count 2
		.amdhsa_user_sgpr_dispatch_ptr 0
		.amdhsa_user_sgpr_queue_ptr 0
		.amdhsa_user_sgpr_kernarg_segment_ptr 1
		.amdhsa_user_sgpr_dispatch_id 0
		.amdhsa_user_sgpr_kernarg_preload_length 0
		.amdhsa_user_sgpr_kernarg_preload_offset 0
		.amdhsa_user_sgpr_private_segment_size 0
		.amdhsa_uses_dynamic_stack 0
		.amdhsa_enable_private_segment 0
		.amdhsa_system_sgpr_workgroup_id_x 1
		.amdhsa_system_sgpr_workgroup_id_y 0
		.amdhsa_system_sgpr_workgroup_id_z 1
		.amdhsa_system_sgpr_workgroup_info 0
		.amdhsa_system_vgpr_workitem_id 1
		.amdhsa_next_free_vgpr 180
		.amdhsa_next_free_sgpr 46
		.amdhsa_accum_offset 180
		.amdhsa_reserve_vcc 1
		.amdhsa_float_round_mode_32 0
		.amdhsa_float_round_mode_16_64 0
		.amdhsa_float_denorm_mode_32 3
		.amdhsa_float_denorm_mode_16_64 3
		.amdhsa_dx10_clamp 1
		.amdhsa_ieee_mode 1
		.amdhsa_fp16_overflow 0
		.amdhsa_tg_split 0
		.amdhsa_exception_fp_ieee_invalid_op 0
		.amdhsa_exception_fp_denorm_src 0
		.amdhsa_exception_fp_ieee_div_zero 0
		.amdhsa_exception_fp_ieee_overflow 0
		.amdhsa_exception_fp_ieee_underflow 0
		.amdhsa_exception_fp_ieee_inexact 0
		.amdhsa_exception_int_div_zero 0
	.end_amdhsa_kernel
	.section	.text._ZN12_GLOBAL__N_120geam_min_plus_kernelIf15HIP_vector_typeIfLj2EEfLi8ELi32ELi64ELi256ELi4ELi64ELi4ELi64ELi4ELc78ELc84ELb0ELb1ELb1EfKffEEviiiT16_PT17_ilS6_ilS4_S6_ilPT18_ili26rocblas_geam_ex_operation_,"axG",@progbits,_ZN12_GLOBAL__N_120geam_min_plus_kernelIf15HIP_vector_typeIfLj2EEfLi8ELi32ELi64ELi256ELi4ELi64ELi4ELi64ELi4ELc78ELc84ELb0ELb1ELb1EfKffEEviiiT16_PT17_ilS6_ilS4_S6_ilPT18_ili26rocblas_geam_ex_operation_,comdat
.Lfunc_end71:
	.size	_ZN12_GLOBAL__N_120geam_min_plus_kernelIf15HIP_vector_typeIfLj2EEfLi8ELi32ELi64ELi256ELi4ELi64ELi4ELi64ELi4ELc78ELc84ELb0ELb1ELb1EfKffEEviiiT16_PT17_ilS6_ilS4_S6_ilPT18_ili26rocblas_geam_ex_operation_, .Lfunc_end71-_ZN12_GLOBAL__N_120geam_min_plus_kernelIf15HIP_vector_typeIfLj2EEfLi8ELi32ELi64ELi256ELi4ELi64ELi4ELi64ELi4ELc78ELc84ELb0ELb1ELb1EfKffEEviiiT16_PT17_ilS6_ilS4_S6_ilPT18_ili26rocblas_geam_ex_operation_
                                        ; -- End function
	.section	.AMDGPU.csdata,"",@progbits
; Kernel info:
; codeLenInByte = 18668
; NumSgprs: 52
; NumVgprs: 180
; NumAgprs: 0
; TotalNumVgprs: 180
; ScratchSize: 0
; MemoryBound: 0
; FloatMode: 240
; IeeeMode: 1
; LDSByteSize: 10240 bytes/workgroup (compile time only)
; SGPRBlocks: 6
; VGPRBlocks: 22
; NumSGPRsForWavesPerEU: 52
; NumVGPRsForWavesPerEU: 180
; AccumOffset: 180
; Occupancy: 2
; WaveLimiterHint : 0
; COMPUTE_PGM_RSRC2:SCRATCH_EN: 0
; COMPUTE_PGM_RSRC2:USER_SGPR: 2
; COMPUTE_PGM_RSRC2:TRAP_HANDLER: 0
; COMPUTE_PGM_RSRC2:TGID_X_EN: 1
; COMPUTE_PGM_RSRC2:TGID_Y_EN: 0
; COMPUTE_PGM_RSRC2:TGID_Z_EN: 1
; COMPUTE_PGM_RSRC2:TIDIG_COMP_CNT: 1
; COMPUTE_PGM_RSRC3_GFX90A:ACCUM_OFFSET: 44
; COMPUTE_PGM_RSRC3_GFX90A:TG_SPLIT: 0
	.section	.text._ZN12_GLOBAL__N_120geam_min_plus_kernelIf15HIP_vector_typeIfLj2EEfLi8ELi32ELi64ELi256ELi4ELi4ELi64ELi64ELi4ELc84ELc84ELb0ELb0ELb1EPKfS3_fEEviiiT16_PT17_ilS7_ilS5_S7_ilPT18_ili26rocblas_geam_ex_operation_,"axG",@progbits,_ZN12_GLOBAL__N_120geam_min_plus_kernelIf15HIP_vector_typeIfLj2EEfLi8ELi32ELi64ELi256ELi4ELi4ELi64ELi64ELi4ELc84ELc84ELb0ELb0ELb1EPKfS3_fEEviiiT16_PT17_ilS7_ilS5_S7_ilPT18_ili26rocblas_geam_ex_operation_,comdat
	.globl	_ZN12_GLOBAL__N_120geam_min_plus_kernelIf15HIP_vector_typeIfLj2EEfLi8ELi32ELi64ELi256ELi4ELi4ELi64ELi64ELi4ELc84ELc84ELb0ELb0ELb1EPKfS3_fEEviiiT16_PT17_ilS7_ilS5_S7_ilPT18_ili26rocblas_geam_ex_operation_ ; -- Begin function _ZN12_GLOBAL__N_120geam_min_plus_kernelIf15HIP_vector_typeIfLj2EEfLi8ELi32ELi64ELi256ELi4ELi4ELi64ELi64ELi4ELc84ELc84ELb0ELb0ELb1EPKfS3_fEEviiiT16_PT17_ilS7_ilS5_S7_ilPT18_ili26rocblas_geam_ex_operation_
	.p2align	8
	.type	_ZN12_GLOBAL__N_120geam_min_plus_kernelIf15HIP_vector_typeIfLj2EEfLi8ELi32ELi64ELi256ELi4ELi4ELi64ELi64ELi4ELc84ELc84ELb0ELb0ELb1EPKfS3_fEEviiiT16_PT17_ilS7_ilS5_S7_ilPT18_ili26rocblas_geam_ex_operation_,@function
_ZN12_GLOBAL__N_120geam_min_plus_kernelIf15HIP_vector_typeIfLj2EEfLi8ELi32ELi64ELi256ELi4ELi4ELi64ELi64ELi4ELc84ELc84ELb0ELb0ELb1EPKfS3_fEEviiiT16_PT17_ilS7_ilS5_S7_ilPT18_ili26rocblas_geam_ex_operation_: ; @_ZN12_GLOBAL__N_120geam_min_plus_kernelIf15HIP_vector_typeIfLj2EEfLi8ELi32ELi64ELi256ELi4ELi4ELi64ELi64ELi4ELc84ELc84ELb0ELb0ELb1EPKfS3_fEEviiiT16_PT17_ilS7_ilS5_S7_ilPT18_ili26rocblas_geam_ex_operation_
; %bb.0:
	s_load_dwordx4 s[12:15], s[0:1], 0x10
	s_load_dwordx4 s[4:7], s[0:1], 0x28
	s_mov_b32 s16, s3
	s_mov_b32 s17, 0
	s_lshl_b64 s[18:19], s[16:17], 2
	s_waitcnt lgkmcnt(0)
	s_add_u32 s20, s12, s18
	s_load_dwordx4 s[8:11], s[0:1], 0x40
	s_addc_u32 s21, s13, s19
	s_load_dword s12, s[20:21], 0x0
	s_load_dwordx2 s[22:23], s[0:1], 0x50
	s_waitcnt lgkmcnt(0)
	s_add_u32 s10, s10, s18
	v_cmp_eq_f32_e64 s[20:21], s12, 0
	s_addc_u32 s11, s11, s19
	v_cmp_neq_f32_e64 s[24:25], s12, 0
	s_mov_b64 s[18:19], 0
	s_and_b64 vcc, exec, s[20:21]
	s_mov_b64 s[20:21], 0
	s_cbranch_vccnz .LBB72_2
; %bb.1:
	s_mul_i32 s3, s16, s5
	s_mul_hi_u32 s5, s16, s4
	s_add_i32 s5, s5, s3
	s_mul_i32 s4, s16, s4
	s_lshl_b64 s[4:5], s[4:5], 2
	s_add_u32 s20, s14, s4
	s_addc_u32 s21, s15, s5
.LBB72_2:
	s_load_dword s17, s[10:11], 0x0
	v_cndmask_b32_e64 v1, 0, 1, s[24:25]
	v_cmp_ne_u32_e64 s[4:5], 1, v1
	s_andn2_b64 vcc, exec, s[24:25]
	s_cbranch_vccnz .LBB72_4
; %bb.3:
	s_mul_i32 s3, s16, s9
	s_mul_hi_u32 s9, s16, s8
	s_add_i32 s9, s9, s3
	s_mul_i32 s8, s16, s8
	s_lshl_b64 s[8:9], s[8:9], 2
	s_add_u32 s18, s6, s8
	s_addc_u32 s19, s7, s9
.LBB72_4:
	s_load_dwordx4 s[8:11], s[0:1], 0x60
	s_waitcnt lgkmcnt(0)
	v_cmp_eq_f32_e64 s[6:7], s17, 0
	s_and_b64 s[6:7], exec, s[6:7]
	s_mov_b64 vcc, s[6:7]
	s_cbranch_vccnz .LBB72_6
; %bb.5:
	s_mul_i32 s3, s16, s9
	s_mul_hi_u32 s9, s16, s8
	s_add_i32 s9, s9, s3
	s_mul_i32 s8, s16, s8
	s_lshl_b64 s[8:9], s[8:9], 2
	s_add_u32 s8, s22, s8
	s_addc_u32 s9, s23, s9
	s_branch .LBB72_7
.LBB72_6:
	s_mov_b64 s[8:9], 0
.LBB72_7:
	s_load_dword s13, s[0:1], 0x0
	s_load_dword s3, s[0:1], 0x20
	v_and_b32_e32 v76, 0x3ff, v0
	v_bfe_u32 v77, v0, 10, 10
	v_lshl_add_u32 v0, v77, 3, v76
	s_waitcnt lgkmcnt(0)
	s_add_i32 s13, s13, -1
	s_ashr_i32 s14, s13, 31
	s_lshr_b32 s14, s14, 26
	s_add_i32 s13, s13, s14
	s_ashr_i32 s13, s13, 6
	s_add_i32 s14, s13, 1
	v_cvt_f32_u32_e32 v1, s14
	s_not_b32 s13, s13
	v_and_b32_e32 v2, 3, v76
	v_lshrrev_b32_e32 v62, 2, v0
	v_rcp_iflag_f32_e32 v1, v1
	v_lshlrev_b32_e32 v56, 2, v2
	v_mul_f32_e32 v1, 0x4f7ffffe, v1
	v_cvt_u32_f32_e32 v1, v1
	s_nop 0
	v_readfirstlane_b32 s15, v1
	s_mul_i32 s13, s13, s15
	s_mul_hi_u32 s13, s15, s13
	s_add_i32 s15, s15, s13
	s_mul_hi_u32 s13, s2, s15
	s_mul_i32 s15, s13, s14
	s_sub_i32 s15, s2, s15
	s_add_i32 s22, s13, 1
	s_sub_i32 s23, s15, s14
	s_cmp_ge_u32 s15, s14
	s_cselect_b32 s13, s22, s13
	s_cselect_b32 s15, s23, s15
	s_add_i32 s22, s13, 1
	s_cmp_ge_u32 s15, s14
	s_cselect_b32 s13, s22, s13
	s_mul_i32 s25, s13, s14
	s_sub_i32 s14, s2, s25
	s_lshl_b32 s22, s14, 6
	s_and_b64 vcc, exec, s[4:5]
	v_add_u32_e32 v6, s22, v62
	s_cbranch_vccnz .LBB72_9
; %bb.8:
	v_mad_i64_i32 v[2:3], s[14:15], v6, s3, 0
	v_lshl_add_u64 v[2:3], v[2:3], 2, s[20:21]
	v_mov_b32_e32 v57, 0
	v_lshl_add_u64 v[2:3], v[2:3], 0, v[56:57]
	flat_load_dword v1, v[2:3]
	s_waitcnt vmcnt(0) lgkmcnt(0)
	v_mul_f32_e32 v8, s12, v1
	s_branch .LBB72_10
.LBB72_9:
	v_mov_b32_e32 v8, 0
.LBB72_10:
	s_load_dword s14, s[0:1], 0x38
	v_and_b32_e32 v68, 63, v0
	v_lshrrev_b32_e32 v63, 6, v0
	s_lshl_b32 s23, s13, 8
	v_or_b32_e32 v2, s23, v68
	s_waitcnt lgkmcnt(0)
	v_mad_i64_i32 v[0:1], s[26:27], s14, v63, 0
	s_ashr_i32 s15, s14, 31
	v_lshl_add_u64 v[4:5], v[0:1], 2, s[18:19]
	s_and_b64 vcc, exec, s[4:5]
	v_ashrrev_i32_e32 v3, 31, v2
	s_cbranch_vccnz .LBB72_14
; %bb.11:
	v_lshl_add_u64 v[0:1], v[2:3], 2, v[4:5]
	flat_load_dword v10, v[0:1]
	flat_load_dword v11, v[0:1] offset:256
	s_waitcnt vmcnt(0) lgkmcnt(0)
	v_pk_mul_f32 v[0:1], s[12:13], v[10:11] op_sel_hi:[0,1]
	s_and_b64 vcc, exec, s[4:5]
	s_cbranch_vccnz .LBB72_15
.LBB72_12:
	v_lshl_add_u64 v[4:5], v[2:3], 2, v[4:5]
	flat_load_dword v10, v[4:5] offset:512
	flat_load_dword v11, v[4:5] offset:768
	s_waitcnt vmcnt(0) lgkmcnt(0)
	v_pk_mul_f32 v[4:5], s[12:13], v[10:11] op_sel_hi:[0,1]
	s_and_b64 vcc, exec, s[4:5]
	s_cbranch_vccnz .LBB72_16
.LBB72_13:
	v_mad_i64_i32 v[6:7], s[26:27], v6, s3, 0
	v_lshl_add_u64 v[6:7], v[6:7], 2, s[20:21]
	v_mov_b32_e32 v57, 0
	v_lshl_add_u64 v[6:7], v[6:7], 0, v[56:57]
	flat_load_dword v6, v[6:7] offset:16
	s_waitcnt vmcnt(0) lgkmcnt(0)
	v_mul_f32_e32 v57, s12, v6
	s_branch .LBB72_17
.LBB72_14:
	v_mov_b32_e32 v0, 0
	v_mov_b32_e32 v1, 0
	s_and_b64 vcc, exec, s[4:5]
	s_cbranch_vccz .LBB72_12
.LBB72_15:
	v_mov_b32_e32 v4, 0
	v_mov_b32_e32 v5, 0
	s_and_b64 vcc, exec, s[4:5]
	s_cbranch_vccz .LBB72_13
.LBB72_16:
	v_mov_b32_e32 v57, 0
.LBB72_17:
	v_add_u32_e32 v6, 4, v63
	v_mad_i64_i32 v[6:7], s[26:27], s14, v6, 0
	s_and_b64 vcc, exec, s[4:5]
	v_lshl_add_u64 v[6:7], v[6:7], 2, s[18:19]
	s_cbranch_vccnz .LBB72_20
; %bb.18:
	v_lshl_add_u64 v[10:11], v[2:3], 2, v[6:7]
	flat_load_dword v12, v[10:11]
	flat_load_dword v13, v[10:11] offset:256
	s_waitcnt vmcnt(0) lgkmcnt(0)
	v_pk_mul_f32 v[58:59], s[12:13], v[12:13] op_sel_hi:[0,1]
	s_and_b64 vcc, exec, s[4:5]
	s_cbranch_vccnz .LBB72_21
.LBB72_19:
	v_lshl_add_u64 v[2:3], v[2:3], 2, v[6:7]
	flat_load_dword v6, v[2:3] offset:512
	flat_load_dword v7, v[2:3] offset:768
	s_waitcnt vmcnt(0) lgkmcnt(0)
	v_pk_mul_f32 v[60:61], s[12:13], v[6:7] op_sel_hi:[0,1]
	s_branch .LBB72_22
.LBB72_20:
	v_mov_b32_e32 v58, 0
	v_mov_b32_e32 v59, 0
	s_and_b64 vcc, exec, s[4:5]
	s_cbranch_vccz .LBB72_19
.LBB72_21:
	v_mov_b32_e32 v60, 0
	v_mov_b32_e32 v61, 0
.LBB72_22:
	v_lshlrev_b32_e32 v2, 2, v63
	v_lshl_or_b32 v64, v62, 4, v56
	v_lshl_add_u32 v80, v68, 4, v2
	v_lshlrev_b32_e32 v78, 4, v76
	v_lshlrev_b32_e32 v79, 4, v77
	ds_write_b32 v64, v8 offset:8192
	ds_write2st64_b32 v80, v0, v1 offset1:4
	ds_write2st64_b32 v80, v4, v5 offset0:8 offset1:12
	s_waitcnt lgkmcnt(0)
	s_barrier
	ds_read_b128 v[12:15], v78 offset:8192
	ds_read_b128 v[20:23], v78 offset:8320
	;; [unrolled: 1-line block ×8, first 2 shown]
	ds_read_b128 v[52:55], v79
	ds_read_b128 v[48:51], v79 offset:512
	ds_read_b128 v[44:47], v79 offset:1024
	ds_read_b128 v[40:43], v79 offset:1536
	ds_read_b128 v[36:39], v79 offset:2048
	ds_read_b128 v[32:35], v79 offset:2560
	s_waitcnt lgkmcnt(5)
	v_pk_add_f32 v[66:67], v[12:13], v[52:53]
	s_mov_b32 s13, 0x7f7fffff
	v_min3_f32 v65, v66, v67, s13
	v_pk_add_f32 v[66:67], v[20:21], v[52:53]
	s_load_dword s24, s[0:1], 0x8
	v_min3_f32 v69, v66, v67, s13
	v_pk_add_f32 v[66:67], v[24:25], v[52:53]
	s_waitcnt lgkmcnt(0)
	s_cmp_lt_i32 s24, 9
	v_min3_f32 v70, v66, v67, s13
	v_pk_add_f32 v[66:67], v[28:29], v[52:53]
	s_nop 0
	v_min3_f32 v71, v66, v67, s13
	v_pk_add_f32 v[66:67], v[16:17], v[52:53]
	s_nop 0
	v_min3_f32 v72, v66, v67, s13
	v_pk_add_f32 v[66:67], v[8:9], v[52:53]
	s_nop 0
	v_min3_f32 v73, v66, v67, s13
	v_pk_add_f32 v[66:67], v[4:5], v[52:53]
	v_pk_add_f32 v[52:53], v[0:1], v[52:53]
	v_min3_f32 v66, v66, v67, s13
	v_min3_f32 v67, v52, v53, s13
	v_pk_add_f32 v[52:53], v[12:13], v[48:49]
	s_nop 0
	v_min3_f32 v74, v52, v53, s13
	v_pk_add_f32 v[52:53], v[20:21], v[48:49]
	s_nop 0
	v_min3_f32 v75, v52, v53, s13
	v_pk_add_f32 v[52:53], v[24:25], v[48:49]
	s_nop 0
	v_min3_f32 v88, v52, v53, s13
	v_pk_add_f32 v[52:53], v[28:29], v[48:49]
	s_nop 0
	v_min3_f32 v89, v52, v53, s13
	v_pk_add_f32 v[52:53], v[16:17], v[48:49]
	s_nop 0
	v_min3_f32 v90, v52, v53, s13
	v_pk_add_f32 v[52:53], v[8:9], v[48:49]
	s_nop 0
	v_min3_f32 v91, v52, v53, s13
	v_pk_add_f32 v[52:53], v[4:5], v[48:49]
	v_pk_add_f32 v[48:49], v[0:1], v[48:49]
	v_min3_f32 v52, v52, v53, s13
	v_min3_f32 v53, v48, v49, s13
	v_pk_add_f32 v[48:49], v[12:13], v[44:45]
	s_nop 0
	v_min3_f32 v92, v48, v49, s13
	v_pk_add_f32 v[48:49], v[20:21], v[44:45]
	s_nop 0
	v_min3_f32 v93, v48, v49, s13
	v_pk_add_f32 v[48:49], v[24:25], v[44:45]
	s_nop 0
	;; [unrolled: 22-line block ×4, first 2 shown]
	v_min3_f32 v108, v40, v41, s13
	v_pk_add_f32 v[40:41], v[28:29], v[36:37]
	s_nop 0
	v_min3_f32 v109, v40, v41, s13
	v_pk_add_f32 v[40:41], v[16:17], v[36:37]
	s_nop 0
	;; [unrolled: 3-line block ×3, first 2 shown]
	v_min3_f32 v111, v40, v41, s13
	v_pk_add_f32 v[40:41], v[4:5], v[36:37]
	v_pk_add_f32 v[36:37], v[0:1], v[36:37]
	v_min3_f32 v112, v40, v41, s13
	v_min3_f32 v113, v36, v37, s13
	v_pk_add_f32 v[36:37], v[12:13], v[32:33]
	v_pk_add_f32 v[40:41], v[8:9], v[32:33]
	v_min3_f32 v114, v36, v37, s13
	v_pk_add_f32 v[36:37], v[20:21], v[32:33]
	s_nop 0
	v_min3_f32 v141, v36, v37, s13
	v_pk_add_f32 v[36:37], v[24:25], v[32:33]
	s_nop 0
	;; [unrolled: 3-line block ×4, first 2 shown]
	v_min3_f32 v83, v36, v37, v69
	v_pk_add_f32 v[36:37], v[26:27], v[54:55]
	v_min3_f32 v69, v40, v41, s13
	v_min3_f32 v86, v36, v37, v70
	v_pk_add_f32 v[36:37], v[30:31], v[54:55]
	v_pk_add_f32 v[40:41], v[4:5], v[32:33]
	v_min3_f32 v81, v36, v37, v71
	v_pk_add_f32 v[36:37], v[18:19], v[54:55]
	v_min3_f32 v40, v40, v41, s13
	v_min3_f32 v82, v36, v37, v72
	v_pk_add_f32 v[36:37], v[10:11], v[54:55]
	s_nop 0
	v_min3_f32 v84, v36, v37, v73
	v_pk_add_f32 v[36:37], v[6:7], v[54:55]
	s_nop 0
	;; [unrolled: 3-line block ×3, first 2 shown]
	v_min3_f32 v65, v36, v37, s13
	v_pk_add_f32 v[36:37], v[16:17], v[32:33]
	v_pk_add_f32 v[32:33], v[0:1], v[32:33]
	v_min3_f32 v66, v36, v37, s13
	v_pk_add_f32 v[36:37], v[2:3], v[54:55]
	v_min3_f32 v41, v32, v33, s13
	v_min3_f32 v148, v36, v37, v67
	v_pk_add_f32 v[36:37], v[14:15], v[50:51]
	s_nop 0
	v_min3_f32 v149, v36, v37, v74
	v_pk_add_f32 v[36:37], v[22:23], v[50:51]
	s_nop 0
	;; [unrolled: 3-line block ×7, first 2 shown]
	v_min3_f32 v143, v36, v37, v52
	v_pk_add_f32 v[36:37], v[2:3], v[50:51]
	ds_read_b128 v[48:51], v79 offset:3072
	v_min3_f32 v139, v36, v37, v53
	ds_read_b128 v[52:55], v79 offset:3584
	v_pk_add_f32 v[36:37], v[14:15], v[46:47]
	ds_write_b32 v64, v57 offset:9216
	ds_write2st64_b32 v80, v58, v59 offset0:16 offset1:20
	ds_write2st64_b32 v80, v60, v61 offset0:24 offset1:28
	s_waitcnt lgkmcnt(4)
	v_pk_add_f32 v[32:33], v[12:13], v[48:49]
	v_min3_f32 v140, v36, v37, v92
	v_min3_f32 v67, v32, v33, s13
	v_pk_add_f32 v[32:33], v[2:3], v[46:47]
	v_pk_add_f32 v[36:37], v[22:23], v[46:47]
	v_min3_f32 v134, v32, v33, v99
	v_pk_add_f32 v[32:33], v[14:15], v[42:43]
	v_min3_f32 v137, v36, v37, v93
	v_min3_f32 v133, v32, v33, v100
	v_pk_add_f32 v[32:33], v[22:23], v[42:43]
	v_pk_add_f32 v[36:37], v[26:27], v[46:47]
	v_min3_f32 v130, v32, v33, v101
	;; [unrolled: 6-line block ×5, first 2 shown]
	v_pk_add_f32 v[32:33], v[16:17], v[48:49]
	s_waitcnt lgkmcnt(3)
	v_pk_add_f32 v[12:13], v[12:13], v[52:53]
	v_min3_f32 v70, v32, v33, s13
	v_pk_add_f32 v[32:33], v[2:3], v[42:43]
	v_min3_f32 v131, v36, v37, v97
	v_min3_f32 v124, v32, v33, v45
	v_pk_add_f32 v[32:33], v[14:15], v[38:39]
	v_pk_add_f32 v[36:37], v[6:7], v[46:47]
	v_min3_f32 v123, v32, v33, v106
	v_pk_add_f32 v[32:33], v[22:23], v[38:39]
	v_min3_f32 v132, v36, v37, v98
	v_min3_f32 v122, v32, v33, v107
	v_pk_add_f32 v[32:33], v[26:27], v[38:39]
	;; [unrolled: 6-line block ×5, first 2 shown]
	v_pk_add_f32 v[36:37], v[4:5], v[48:49]
	v_min3_f32 v116, v32, v33, v114
	v_pk_add_f32 v[32:33], v[22:23], v[34:35]
	v_pk_add_f32 v[4:5], v[4:5], v[52:53]
	v_min3_f32 v113, v32, v33, v141
	v_pk_add_f32 v[32:33], v[26:27], v[34:35]
	;; [unrolled: 3-line block ×3, first 2 shown]
	v_min3_f32 v4, v4, v5, s13
	v_min3_f32 v111, v32, v33, v65
	v_pk_add_f32 v[32:33], v[18:19], v[34:35]
	v_min3_f32 v36, v36, v37, s13
	v_min3_f32 v112, v32, v33, v66
	v_pk_add_f32 v[32:33], v[10:11], v[34:35]
	v_pk_add_f32 v[8:9], v[8:9], v[52:53]
	v_min3_f32 v109, v32, v33, v69
	v_pk_add_f32 v[32:33], v[6:7], v[34:35]
	v_min3_f32 v8, v8, v9, s13
	v_min3_f32 v110, v32, v33, v40
	v_pk_add_f32 v[32:33], v[0:1], v[48:49]
	v_pk_add_f32 v[0:1], v[0:1], v[52:53]
	v_min3_f32 v32, v32, v33, s13
	v_min3_f32 v33, v12, v13, s13
	v_pk_add_f32 v[12:13], v[2:3], v[34:35]
	v_min3_f32 v5, v0, v1, s13
	v_min3_f32 v107, v12, v13, v41
	v_pk_add_f32 v[12:13], v[14:15], v[50:51]
	v_pk_add_f32 v[0:1], v[14:15], v[54:55]
	v_min3_f32 v108, v12, v13, v67
	v_pk_add_f32 v[12:13], v[22:23], v[50:51]
	v_min3_f32 v34, v20, v21, s13
	v_min3_f32 v105, v12, v13, v46
	v_pk_add_f32 v[12:13], v[26:27], v[50:51]
	v_pk_add_f32 v[20:21], v[24:25], v[52:53]
	;; [unrolled: 6-line block ×3, first 2 shown]
	v_min3_f32 v104, v12, v13, v70
	v_pk_add_f32 v[12:13], v[10:11], v[50:51]
	v_min3_f32 v20, v20, v21, s13
	v_min3_f32 v101, v12, v13, v42
	v_pk_add_f32 v[12:13], v[6:7], v[50:51]
	v_min3_f32 v97, v0, v1, v34
	v_min3_f32 v102, v12, v13, v36
	v_pk_add_f32 v[12:13], v[28:29], v[52:53]
	v_pk_add_f32 v[0:1], v[26:27], v[54:55]
	v_min3_f32 v21, v12, v13, s13
	v_pk_add_f32 v[12:13], v[16:17], v[52:53]
	v_min3_f32 v98, v0, v1, v20
	v_pk_add_f32 v[0:1], v[30:31], v[54:55]
	v_min3_f32 v16, v12, v13, s13
	v_min3_f32 v94, v0, v1, v21
	v_pk_add_f32 v[0:1], v[18:19], v[54:55]
	v_pk_add_f32 v[12:13], v[2:3], v[50:51]
	v_min3_f32 v95, v0, v1, v16
	v_pk_add_f32 v[0:1], v[10:11], v[54:55]
	v_min3_f32 v99, v12, v13, v32
	v_min3_f32 v92, v0, v1, v8
	v_pk_add_f32 v[0:1], v[6:7], v[54:55]
	s_waitcnt lgkmcnt(0)
	v_min3_f32 v93, v0, v1, v4
	v_pk_add_f32 v[0:1], v[2:3], v[54:55]
	s_barrier
	v_min3_f32 v96, v0, v1, v5
	s_cbranch_scc1 .LBB72_40
; %bb.23:
	v_mov_b32_e32 v0, 0x2400
	v_lshl_add_u32 v141, v76, 4, v0
	v_mov_b32_e32 v0, 0x1000
	v_lshl_add_u32 v150, v77, 4, v0
	v_lshl_add_u32 v0, s2, 6, v62
	s_lshl_b32 s2, s25, 6
	v_subrev_u32_e32 v0, s2, v0
	v_mad_i64_i32 v[0:1], s[2:3], s3, v0, 0
	v_mov_b32_e32 v57, 0
	v_lshl_add_u64 v[0:1], v[0:1], 2, v[56:57]
	v_lshl_add_u64 v[0:1], v[0:1], 0, s[20:21]
	v_add_u32_e32 v88, 0x2000, v64
	v_add_u32_e32 v90, 0x2400, v64
	v_lshl_add_u64 v[64:65], v[0:1], 0, 32
	v_add_u32_e32 v0, 12, v63
	v_mad_i64_i32 v[0:1], s[2:3], v0, s14, 0
	v_lshlrev_b64 v[66:67], 2, v[0:1]
	v_add_u32_e32 v0, s23, v68
	v_ashrrev_i32_e32 v1, 31, v0
	v_lshl_add_u64 v[68:69], v[0:1], 2, s[18:19]
	v_add_u32_e32 v0, 8, v63
	s_lshl_b64 s[2:3], s[14:15], 5
	v_mad_i64_i32 v[0:1], s[14:15], v0, s14, 0
	v_add_u32_e32 v89, 0x2000, v78
	v_or_b32_e32 v91, 0x1000, v80
	s_add_i32 s24, s24, -8
	s_mov_b32 s13, s12
	v_lshlrev_b64 v[70:71], 2, v[0:1]
	s_mov_b32 s14, 0
	s_branch .LBB72_26
.LBB72_24:                              ;   in Loop: Header=BB72_26 Depth=1
	flat_load_dword v0, v[74:75] offset:512
	flat_load_dword v1, v[74:75] offset:768
	s_waitcnt vmcnt(0) lgkmcnt(0)
	v_pk_mul_f32 v[36:37], s[12:13], v[0:1]
.LBB72_25:                              ;   in Loop: Header=BB72_26 Depth=1
	ds_read_b128 v[0:3], v89
	ds_read_b128 v[4:7], v89 offset:128
	ds_read_b128 v[8:11], v89 offset:256
	;; [unrolled: 1-line block ×7, first 2 shown]
	ds_read_b128 v[124:127], v79
	ds_read_b128 v[128:131], v79 offset:512
	ds_read_b128 v[152:155], v79 offset:1024
	;; [unrolled: 1-line block ×7, first 2 shown]
	s_waitcnt lgkmcnt(7)
	v_pk_add_f32 v[74:75], v[0:1], v[124:125]
	s_add_i32 s14, s14, 8
	v_min3_f32 v123, v74, v75, v40
	v_pk_add_f32 v[74:75], v[4:5], v[124:125]
	v_lshl_add_u64 v[64:65], v[64:65], 0, 32
	v_min3_f32 v74, v74, v75, v41
	v_pk_add_f32 v[40:41], v[8:9], v[124:125]
	s_cmp_ge_i32 s14, s24
	v_min3_f32 v44, v40, v41, v44
	v_pk_add_f32 v[40:41], v[12:13], v[124:125]
	v_lshl_add_u64 v[68:69], v[68:69], 0, s[2:3]
	v_min3_f32 v45, v40, v41, v45
	v_pk_add_f32 v[40:41], v[16:17], v[124:125]
	ds_write_b32 v90, v151
	ds_write2st64_b32 v91, v72, v73 offset1:4
	ds_write2st64_b32 v91, v36, v37 offset0:8 offset1:12
	v_min3_f32 v48, v40, v41, v48
	v_pk_add_f32 v[40:41], v[20:21], v[124:125]
	s_waitcnt lgkmcnt(0)
	v_min3_f32 v49, v40, v41, v49
	v_pk_add_f32 v[40:41], v[24:25], v[124:125]
	s_barrier
	v_min3_f32 v52, v40, v41, v52
	v_pk_add_f32 v[40:41], v[28:29], v[124:125]
	s_nop 0
	v_min3_f32 v53, v40, v41, v53
	v_pk_add_f32 v[40:41], v[0:1], v[128:129]
	s_nop 0
	;; [unrolled: 3-line block ×41, first 2 shown]
	v_min3_f32 v42, v40, v41, v42
	v_pk_add_f32 v[40:41], v[0:1], v[168:169]
	v_pk_add_f32 v[0:1], v[0:1], v[32:33]
	v_min3_f32 v43, v40, v41, v43
	v_min3_f32 v39, v0, v1, v39
	v_pk_add_f32 v[0:1], v[4:5], v[32:33]
	v_pk_add_f32 v[40:41], v[4:5], v[168:169]
	v_min3_f32 v4, v0, v1, v116
	v_pk_add_f32 v[0:1], v[8:9], v[32:33]
	v_min3_f32 v153, v40, v41, v110
	v_min3_f32 v5, v0, v1, v117
	v_pk_add_f32 v[0:1], v[12:13], v[32:33]
	v_pk_add_f32 v[40:41], v[8:9], v[168:169]
	v_min3_f32 v8, v0, v1, v118
	;; [unrolled: 6-line block ×7, first 2 shown]
	v_pk_add_f32 v[0:1], v[26:27], v[126:127]
	v_min3_f32 v38, v40, v41, v38
	v_min3_f32 v85, v0, v1, v52
	v_pk_add_f32 v[0:1], v[30:31], v[126:127]
	s_nop 0
	v_min3_f32 v148, v0, v1, v53
	v_pk_add_f32 v[0:1], v[2:3], v[130:131]
	s_nop 0
	;; [unrolled: 3-line block ×57, first 2 shown]
	v_min3_f32 v96, v0, v1, v16
	s_cbranch_scc1 .LBB72_40
.LBB72_26:                              ; =>This Inner Loop Header: Depth=1
	s_and_b64 vcc, exec, s[4:5]
	v_mov_b32_e32 v151, 0
	s_cbranch_vccnz .LBB72_28
; %bb.27:                               ;   in Loop: Header=BB72_26 Depth=1
	flat_load_dword v0, v[64:65]
	s_waitcnt vmcnt(0) lgkmcnt(0)
	v_mul_f32_e32 v151, s12, v0
.LBB72_28:                              ;   in Loop: Header=BB72_26 Depth=1
	s_and_b64 vcc, exec, s[4:5]
	v_lshl_add_u64 v[0:1], v[68:69], 0, v[70:71]
	s_cbranch_vccnz .LBB72_31
; %bb.29:                               ;   in Loop: Header=BB72_26 Depth=1
	flat_load_dword v2, v[0:1]
	flat_load_dword v3, v[0:1] offset:256
	s_waitcnt vmcnt(0) lgkmcnt(0)
	v_pk_mul_f32 v[72:73], s[12:13], v[2:3]
	s_and_b64 vcc, exec, s[4:5]
	s_cbranch_vccnz .LBB72_32
.LBB72_30:                              ;   in Loop: Header=BB72_26 Depth=1
	flat_load_dword v2, v[0:1] offset:512
	flat_load_dword v3, v[0:1] offset:768
	s_waitcnt vmcnt(0) lgkmcnt(0)
	v_pk_mul_f32 v[74:75], s[12:13], v[2:3]
	s_branch .LBB72_33
.LBB72_31:                              ;   in Loop: Header=BB72_26 Depth=1
	v_mov_b32_e32 v72, 0
	v_mov_b32_e32 v73, 0
	s_and_b64 vcc, exec, s[4:5]
	s_cbranch_vccz .LBB72_30
.LBB72_32:                              ;   in Loop: Header=BB72_26 Depth=1
	v_mov_b32_e32 v74, 0
	v_mov_b32_e32 v75, 0
.LBB72_33:                              ;   in Loop: Header=BB72_26 Depth=1
	ds_read_b128 v[28:31], v141
	ds_read_b128 v[24:27], v141 offset:128
	ds_read_b128 v[20:23], v141 offset:256
	;; [unrolled: 1-line block ×7, first 2 shown]
	ds_read_b128 v[60:63], v150
	ds_read_b128 v[56:59], v150 offset:512
	ds_read_b128 v[52:55], v150 offset:1024
	;; [unrolled: 1-line block ×7, first 2 shown]
	s_and_b64 vcc, exec, s[4:5]
	ds_write_b32 v88, v151
	ds_write2st64_b32 v80, v72, v73 offset1:4
	ds_write2st64_b32 v80, v74, v75 offset0:8 offset1:12
	s_waitcnt lgkmcnt(0)
	s_barrier
	s_cbranch_vccnz .LBB72_36
; %bb.34:                               ;   in Loop: Header=BB72_26 Depth=1
	flat_load_dword v72, v[64:65] offset:16
	s_waitcnt vmcnt(0) lgkmcnt(0)
	v_mul_f32_e32 v151, s12, v72
	s_and_b64 vcc, exec, s[4:5]
	v_lshl_add_u64 v[74:75], v[68:69], 0, v[66:67]
	s_cbranch_vccnz .LBB72_37
.LBB72_35:                              ;   in Loop: Header=BB72_26 Depth=1
	flat_load_dword v72, v[74:75]
	flat_load_dword v73, v[74:75] offset:256
	s_waitcnt vmcnt(0) lgkmcnt(0)
	v_pk_mul_f32 v[72:73], s[12:13], v[72:73]
	s_branch .LBB72_38
.LBB72_36:                              ;   in Loop: Header=BB72_26 Depth=1
	v_mov_b32_e32 v151, 0
	s_and_b64 vcc, exec, s[4:5]
	v_lshl_add_u64 v[74:75], v[68:69], 0, v[66:67]
	s_cbranch_vccz .LBB72_35
.LBB72_37:                              ;   in Loop: Header=BB72_26 Depth=1
	v_mov_b32_e32 v72, 0
	v_mov_b32_e32 v73, 0
.LBB72_38:                              ;   in Loop: Header=BB72_26 Depth=1
	v_pk_add_f32 v[152:153], v[28:29], v[60:61]
	s_and_b64 vcc, exec, s[4:5]
	v_min3_f32 v154, v152, v153, v87
	v_pk_add_f32 v[152:153], v[24:25], v[60:61]
	s_nop 0
	v_min3_f32 v155, v152, v153, v83
	v_pk_add_f32 v[152:153], v[20:21], v[60:61]
	s_nop 0
	v_min3_f32 v152, v152, v153, v86
	v_pk_add_f32 v[86:87], v[16:17], v[60:61]
	s_nop 0
	v_min3_f32 v81, v86, v87, v81
	v_pk_add_f32 v[86:87], v[12:13], v[60:61]
	s_nop 0
	v_min3_f32 v86, v86, v87, v82
	v_pk_add_f32 v[82:83], v[8:9], v[60:61]
	s_nop 0
	v_min3_f32 v84, v82, v83, v84
	v_pk_add_f32 v[82:83], v[4:5], v[60:61]
	v_pk_add_f32 v[60:61], v[0:1], v[60:61]
	v_min3_f32 v82, v82, v83, v85
	v_min3_f32 v83, v60, v61, v148
	v_pk_add_f32 v[60:61], v[28:29], v[56:57]
	s_nop 0
	v_min3_f32 v85, v60, v61, v149
	v_pk_add_f32 v[60:61], v[24:25], v[56:57]
	s_nop 0
	v_min3_f32 v87, v60, v61, v146
	v_pk_add_f32 v[60:61], v[20:21], v[56:57]
	s_nop 0
	v_min3_f32 v146, v60, v61, v147
	v_pk_add_f32 v[60:61], v[16:17], v[56:57]
	s_nop 0
	v_min3_f32 v144, v60, v61, v144
	v_pk_add_f32 v[60:61], v[12:13], v[56:57]
	s_nop 0
	v_min3_f32 v145, v60, v61, v145
	v_pk_add_f32 v[60:61], v[8:9], v[56:57]
	s_nop 0
	v_min3_f32 v142, v60, v61, v142
	v_pk_add_f32 v[60:61], v[4:5], v[56:57]
	v_pk_add_f32 v[56:57], v[0:1], v[56:57]
	v_min3_f32 v143, v60, v61, v143
	v_min3_f32 v139, v56, v57, v139
	v_pk_add_f32 v[56:57], v[28:29], v[52:53]
	s_nop 0
	;; [unrolled: 22-line block ×5, first 2 shown]
	v_min3_f32 v116, v44, v45, v116
	v_pk_add_f32 v[44:45], v[24:25], v[40:41]
	s_nop 0
	v_min3_f32 v113, v44, v45, v113
	v_pk_add_f32 v[44:45], v[20:21], v[40:41]
	s_nop 0
	;; [unrolled: 3-line block ×5, first 2 shown]
	v_min3_f32 v109, v44, v45, v109
	v_pk_add_f32 v[44:45], v[4:5], v[40:41]
	v_pk_add_f32 v[40:41], v[0:1], v[40:41]
	v_min3_f32 v110, v44, v45, v110
	v_min3_f32 v147, v40, v41, v107
	v_pk_add_f32 v[40:41], v[28:29], v[36:37]
	v_pk_add_f32 v[28:29], v[28:29], v[32:33]
	v_min3_f32 v148, v40, v41, v108
	v_pk_add_f32 v[40:41], v[24:25], v[36:37]
	v_pk_add_f32 v[24:25], v[24:25], v[32:33]
	v_min3_f32 v149, v40, v41, v105
	v_pk_add_f32 v[40:41], v[20:21], v[36:37]
	v_min3_f32 v24, v24, v25, v97
	v_min3_f32 v153, v40, v41, v106
	v_pk_add_f32 v[40:41], v[16:17], v[36:37]
	v_pk_add_f32 v[16:17], v[16:17], v[32:33]
	v_min3_f32 v156, v40, v41, v103
	v_pk_add_f32 v[40:41], v[12:13], v[36:37]
	v_min3_f32 v16, v16, v17, v94
	v_min3_f32 v157, v40, v41, v104
	v_pk_add_f32 v[40:41], v[8:9], v[36:37]
	v_pk_add_f32 v[8:9], v[8:9], v[32:33]
	v_min3_f32 v158, v40, v41, v101
	v_pk_add_f32 v[40:41], v[4:5], v[36:37]
	v_pk_add_f32 v[36:37], v[0:1], v[36:37]
	;; [unrolled: 1-line block ×4, first 2 shown]
	v_min3_f32 v4, v4, v5, v93
	v_min3_f32 v5, v0, v1, v96
	v_pk_add_f32 v[0:1], v[30:31], v[62:63]
	v_min3_f32 v159, v40, v41, v102
	v_min3_f32 v40, v0, v1, v154
	v_pk_add_f32 v[0:1], v[26:27], v[62:63]
	;; [unrolled: 3-line block ×3, first 2 shown]
	v_pk_add_f32 v[12:13], v[12:13], v[32:33]
	v_min3_f32 v44, v0, v1, v152
	v_pk_add_f32 v[0:1], v[18:19], v[62:63]
	v_min3_f32 v12, v12, v13, v95
	v_min3_f32 v45, v0, v1, v81
	v_pk_add_f32 v[0:1], v[14:15], v[62:63]
	v_pk_add_f32 v[20:21], v[20:21], v[32:33]
	v_min3_f32 v48, v0, v1, v86
	v_pk_add_f32 v[0:1], v[10:11], v[62:63]
	v_min3_f32 v20, v20, v21, v98
	v_min3_f32 v49, v0, v1, v84
	v_pk_add_f32 v[0:1], v[6:7], v[62:63]
	v_min3_f32 v36, v36, v37, v99
	;; [unrolled: 3-line block ×3, first 2 shown]
	v_min3_f32 v53, v0, v1, v83
	v_pk_add_f32 v[0:1], v[30:31], v[58:59]
	s_nop 0
	v_min3_f32 v56, v0, v1, v85
	v_pk_add_f32 v[0:1], v[26:27], v[58:59]
	s_nop 0
	;; [unrolled: 3-line block ×56, first 2 shown]
	v_min3_f32 v122, v0, v1, v5
	s_cbranch_vccz .LBB72_24
; %bb.39:                               ;   in Loop: Header=BB72_26 Depth=1
	v_mov_b32_e32 v36, 0
	v_mov_b32_e32 v37, 0
	s_branch .LBB72_25
.LBB72_40:
	s_load_dwordx2 s[2:3], s[0:1], 0x78
	s_load_dword s4, s[0:1], 0x58
	s_load_dword s5, s[0:1], 0x70
	ds_read_b128 v[32:35], v78 offset:9216
	ds_read_b128 v[60:63], v79 offset:4096
	s_waitcnt lgkmcnt(0)
	s_mul_i32 s0, s16, s3
	s_mul_hi_u32 s1, s16, s2
	s_add_i32 s1, s1, s0
	s_mul_i32 s0, s16, s2
	s_lshl_b64 s[0:1], s[0:1], 2
	v_pk_add_f32 v[0:1], v[32:33], v[60:61]
	s_add_u32 s0, s10, s0
	v_min3_f32 v2, v0, v1, v87
	v_pk_add_f32 v[0:1], v[34:35], v[62:63]
	v_add_u32_e32 v68, s22, v76
	v_add_u32_e32 v141, s23, v77
	s_addc_u32 s1, s11, s1
	v_min3_f32 v2, v0, v1, v2
	v_add_u32_e32 v64, 8, v68
	v_mad_i64_i32 v[0:1], s[2:3], v141, s5, 0
	v_ashrrev_i32_e32 v69, 31, v68
	v_ashrrev_i32_e32 v65, 31, v64
	v_lshl_add_u64 v[88:89], v[0:1], 2, s[0:1]
	v_mad_i64_i32 v[0:1], s[2:3], v141, s4, 0
	v_max_f32_e32 v2, v2, v2
	s_mov_b64 vcc, s[6:7]
	s_cbranch_vccz .LBB72_42
; %bb.41:
	v_min_f32_e32 v3, 0, v2
	v_lshl_add_u64 v[4:5], v[68:69], 2, v[88:89]
	s_mov_b32 s10, 0
	global_store_dword v[4:5], v3, off
	s_mov_b64 s[2:3], 0
	s_branch .LBB72_43
.LBB72_42:
	s_mov_b64 s[2:3], -1
                                        ; implicit-def: $sgpr10
.LBB72_43:
	ds_read_b128 v[28:31], v78 offset:9344
	ds_read_b128 v[24:27], v78 offset:9472
	v_lshl_add_u64 v[90:91], v[0:1], 2, s[8:9]
	s_andn2_b64 vcc, exec, s[2:3]
	v_lshlrev_b64 v[72:73], 2, v[68:69]
	s_cbranch_vccnz .LBB72_45
; %bb.44:
	v_lshl_add_u64 v[0:1], v[90:91], 0, v[72:73]
	flat_load_dword v3, v[0:1]
	v_lshl_add_u64 v[0:1], v[88:89], 0, v[72:73]
	s_waitcnt vmcnt(0) lgkmcnt(0)
	v_mul_f32_e32 v3, s17, v3
	v_min_f32_e32 v2, v3, v2
	global_store_dword v[0:1], v2, off
	v_lshl_add_u64 v[0:1], v[64:65], 2, v[90:91]
	flat_load_dword v0, v[0:1]
	s_waitcnt vmcnt(0) lgkmcnt(0)
	v_mul_f32_e32 v70, s17, v0
	s_branch .LBB72_46
.LBB72_45:
	v_mov_b32_e32 v70, s10
.LBB72_46:
	ds_read_b128 v[16:19], v78 offset:9728
	ds_read_b128 v[12:15], v78 offset:9856
	ds_read_b128 v[8:11], v78 offset:9984
	ds_read_b128 v[0:3], v78 offset:10112
	ds_read_b128 v[56:59], v79 offset:4608
	ds_read_b128 v[52:55], v79 offset:5120
	ds_read_b128 v[48:51], v79 offset:5632
	ds_read_b128 v[44:47], v79 offset:6144
	ds_read_b128 v[40:43], v79 offset:6656
	ds_read_b128 v[36:39], v79 offset:7168
	ds_read_b128 v[20:23], v78 offset:9600
	ds_read_b128 v[4:7], v79 offset:7680
	s_waitcnt lgkmcnt(13)
	v_pk_add_f32 v[66:67], v[28:29], v[60:61]
	s_mov_b64 vcc, s[6:7]
	v_min3_f32 v71, v66, v67, v83
	s_waitcnt lgkmcnt(12)
	v_pk_add_f32 v[66:67], v[24:25], v[60:61]
	s_nop 0
	v_min3_f32 v74, v66, v67, v86
	v_pk_add_f32 v[66:67], v[30:31], v[62:63]
	s_nop 0
	v_min_f32_e32 v76, v66, v67
	v_pk_add_f32 v[66:67], v[26:27], v[62:63]
	v_min3_f32 v76, v70, v76, v71
	v_min3_f32 v77, v66, v67, v74
	v_add_u32_e32 v74, 16, v68
	v_add_u32_e32 v66, 24, v68
	v_lshl_add_u64 v[70:71], v[64:65], 2, v[88:89]
	v_ashrrev_i32_e32 v75, 31, v74
	v_ashrrev_i32_e32 v67, 31, v66
	global_store_dword v[70:71], v76, off
	v_max_f32_e32 v70, v77, v77
	s_cbranch_vccz .LBB72_49
; %bb.47:
	v_min_f32_e32 v71, 0, v70
	v_lshl_add_u64 v[76:77], v[74:75], 2, v[88:89]
	s_mov_b32 s10, 0
	global_store_dword v[76:77], v71, off
	v_lshlrev_b64 v[78:79], 2, v[74:75]
	s_cbranch_execz .LBB72_50
; %bb.48:
	v_mov_b32_e32 v76, s10
	s_branch .LBB72_51
.LBB72_49:
                                        ; implicit-def: $sgpr10
	v_lshlrev_b64 v[78:79], 2, v[74:75]
.LBB72_50:
	v_lshl_add_u64 v[76:77], v[90:91], 0, v[78:79]
	flat_load_dword v71, v[76:77]
	v_lshl_add_u64 v[76:77], v[88:89], 0, v[78:79]
	s_waitcnt vmcnt(0) lgkmcnt(0)
	v_mul_f32_e32 v71, s17, v71
	v_min_f32_e32 v70, v71, v70
	global_store_dword v[76:77], v70, off
	v_lshl_add_u64 v[70:71], v[66:67], 2, v[90:91]
	flat_load_dword v70, v[70:71]
	s_waitcnt vmcnt(0) lgkmcnt(0)
	v_mul_f32_e32 v76, s17, v70
.LBB72_51:
	s_waitcnt lgkmcnt(1)
	v_pk_add_f32 v[70:71], v[20:21], v[60:61]
	s_mov_b64 vcc, s[6:7]
	v_min3_f32 v77, v70, v71, v81
	v_pk_add_f32 v[70:71], v[16:17], v[60:61]
	s_nop 0
	v_min3_f32 v80, v70, v71, v82
	v_pk_add_f32 v[70:71], v[22:23], v[62:63]
	s_nop 0
	v_min_f32_e32 v82, v70, v71
	v_pk_add_f32 v[70:71], v[18:19], v[62:63]
	v_min3_f32 v82, v76, v82, v77
	v_min3_f32 v83, v70, v71, v80
	v_add_u32_e32 v80, 32, v68
	v_add_u32_e32 v70, 40, v68
	v_lshl_add_u64 v[76:77], v[66:67], 2, v[88:89]
	v_ashrrev_i32_e32 v81, 31, v80
	v_ashrrev_i32_e32 v71, 31, v70
	global_store_dword v[76:77], v82, off
	v_max_f32_e32 v76, v83, v83
	s_cbranch_vccz .LBB72_54
; %bb.52:
	v_min_f32_e32 v77, 0, v76
	v_lshl_add_u64 v[82:83], v[80:81], 2, v[88:89]
	s_mov_b32 s10, 0
	global_store_dword v[82:83], v77, off
	v_lshlrev_b64 v[82:83], 2, v[80:81]
	s_cbranch_execz .LBB72_55
; %bb.53:
	v_mov_b32_e32 v86, s10
	s_branch .LBB72_56
.LBB72_54:
                                        ; implicit-def: $sgpr10
	v_lshlrev_b64 v[82:83], 2, v[80:81]
.LBB72_55:
	v_lshl_add_u64 v[86:87], v[90:91], 0, v[82:83]
	flat_load_dword v77, v[86:87]
	v_lshl_add_u64 v[86:87], v[88:89], 0, v[82:83]
	s_waitcnt vmcnt(0) lgkmcnt(0)
	v_mul_f32_e32 v77, s17, v77
	v_min_f32_e32 v76, v77, v76
	global_store_dword v[86:87], v76, off
	v_lshl_add_u64 v[76:77], v[70:71], 2, v[90:91]
	flat_load_dword v76, v[76:77]
	s_waitcnt vmcnt(0) lgkmcnt(0)
	v_mul_f32_e32 v86, s17, v76
.LBB72_56:
	v_pk_add_f32 v[76:77], v[12:13], v[60:61]
	s_mov_b64 vcc, s[6:7]
	v_min3_f32 v87, v76, v77, v84
	v_pk_add_f32 v[76:77], v[8:9], v[60:61]
	s_nop 0
	v_min3_f32 v84, v76, v77, v85
	v_pk_add_f32 v[76:77], v[14:15], v[62:63]
	s_nop 0
	v_min_f32_e32 v150, v76, v77
	v_pk_add_f32 v[76:77], v[10:11], v[62:63]
	v_min3_f32 v150, v86, v150, v87
	v_min3_f32 v151, v76, v77, v84
	v_add_u32_e32 v84, 48, v68
	v_add_u32_e32 v76, 56, v68
	v_lshl_add_u64 v[86:87], v[70:71], 2, v[88:89]
	v_ashrrev_i32_e32 v85, 31, v84
	v_ashrrev_i32_e32 v77, 31, v76
	global_store_dword v[86:87], v150, off
	v_max_f32_e32 v150, v151, v151
	s_cbranch_vccz .LBB72_59
; %bb.57:
	v_min_f32_e32 v151, 0, v150
	v_lshl_add_u64 v[86:87], v[84:85], 2, v[88:89]
	s_mov_b32 s10, 0
	global_store_dword v[86:87], v151, off
	v_lshlrev_b64 v[86:87], 2, v[84:85]
	s_cbranch_execz .LBB72_60
; %bb.58:
	v_mov_b32_e32 v90, s10
	s_branch .LBB72_61
.LBB72_59:
                                        ; implicit-def: $sgpr10
	v_lshlrev_b64 v[86:87], 2, v[84:85]
.LBB72_60:
	v_lshl_add_u64 v[152:153], v[90:91], 0, v[86:87]
	flat_load_dword v151, v[152:153]
	v_lshl_add_u64 v[152:153], v[88:89], 0, v[86:87]
	v_lshl_add_u64 v[90:91], v[76:77], 2, v[90:91]
	s_waitcnt vmcnt(0) lgkmcnt(0)
	v_mul_f32_e32 v151, s17, v151
	v_min_f32_e32 v150, v151, v150
	global_store_dword v[152:153], v150, off
	flat_load_dword v90, v[90:91]
	s_waitcnt vmcnt(0) lgkmcnt(0)
	v_mul_f32_e32 v90, s17, v90
.LBB72_61:
	v_pk_add_f32 v[60:61], v[0:1], v[60:61]
	s_mov_b64 vcc, s[6:7]
	v_min3_f32 v91, v60, v61, v148
	v_pk_add_f32 v[60:61], v[32:33], v[56:57]
	s_nop 0
	v_min3_f32 v148, v60, v61, v149
	v_pk_add_f32 v[60:61], v[2:3], v[62:63]
	s_nop 0
	v_min_f32_e32 v62, v60, v61
	v_pk_add_f32 v[60:61], v[34:35], v[58:59]
	v_min3_f32 v62, v90, v62, v91
	v_min3_f32 v148, v60, v61, v148
	v_lshl_add_u64 v[60:61], v[76:77], 2, v[88:89]
	global_store_dword v[60:61], v62, off
	v_add_u32_e32 v62, 32, v141
	v_mad_i64_i32 v[60:61], s[2:3], v62, s5, 0
	v_lshl_add_u64 v[60:61], v[60:61], 2, s[0:1]
	v_mad_i64_i32 v[62:63], s[2:3], v62, s4, 0
	v_max_f32_e32 v88, v148, v148
	s_cbranch_vccz .LBB72_64
; %bb.62:
	v_min_f32_e32 v89, 0, v88
	v_lshl_add_u64 v[90:91], v[68:69], 2, v[60:61]
	s_mov_b32 s10, 0
	global_store_dword v[90:91], v89, off
	v_lshl_add_u64 v[62:63], v[62:63], 2, s[8:9]
	s_cbranch_execz .LBB72_65
; %bb.63:
	v_mov_b32_e32 v88, s10
	s_branch .LBB72_66
.LBB72_64:
                                        ; implicit-def: $sgpr10
	v_lshl_add_u64 v[62:63], v[62:63], 2, s[8:9]
.LBB72_65:
	v_lshl_add_u64 v[90:91], v[62:63], 0, v[72:73]
	flat_load_dword v89, v[90:91]
	v_lshl_add_u64 v[90:91], v[60:61], 0, v[72:73]
	s_waitcnt vmcnt(0) lgkmcnt(0)
	v_mul_f32_e32 v89, s17, v89
	v_min_f32_e32 v88, v89, v88
	global_store_dword v[90:91], v88, off
	v_lshl_add_u64 v[88:89], v[64:65], 2, v[62:63]
	flat_load_dword v88, v[88:89]
	s_waitcnt vmcnt(0) lgkmcnt(0)
	v_mul_f32_e32 v88, s17, v88
.LBB72_66:
	v_pk_add_f32 v[90:91], v[28:29], v[56:57]
	s_mov_b64 vcc, s[6:7]
	v_min3_f32 v89, v90, v91, v146
	v_pk_add_f32 v[90:91], v[24:25], v[56:57]
	s_nop 0
	v_min3_f32 v146, v90, v91, v147
	v_pk_add_f32 v[90:91], v[30:31], v[58:59]
	s_nop 0
	v_min_f32_e32 v147, v90, v91
	v_pk_add_f32 v[90:91], v[26:27], v[58:59]
	s_nop 0
	v_min3_f32 v90, v90, v91, v146
	v_min3_f32 v91, v88, v147, v89
	v_lshl_add_u64 v[88:89], v[64:65], 2, v[60:61]
	global_store_dword v[88:89], v91, off
	v_max_f32_e32 v88, v90, v90
	s_cbranch_vccz .LBB72_69
; %bb.67:
	v_min_f32_e32 v89, 0, v88
	v_lshl_add_u64 v[90:91], v[74:75], 2, v[60:61]
	s_mov_b32 s10, 0
	global_store_dword v[90:91], v89, off
	s_cbranch_execz .LBB72_70
; %bb.68:
	v_mov_b32_e32 v88, s10
	s_branch .LBB72_71
.LBB72_69:
                                        ; implicit-def: $sgpr10
.LBB72_70:
	v_lshl_add_u64 v[90:91], v[62:63], 0, v[78:79]
	flat_load_dword v89, v[90:91]
	v_lshl_add_u64 v[90:91], v[60:61], 0, v[78:79]
	s_waitcnt vmcnt(0) lgkmcnt(0)
	v_mul_f32_e32 v89, s17, v89
	v_min_f32_e32 v88, v89, v88
	global_store_dword v[90:91], v88, off
	v_lshl_add_u64 v[88:89], v[66:67], 2, v[62:63]
	flat_load_dword v88, v[88:89]
	s_waitcnt vmcnt(0) lgkmcnt(0)
	v_mul_f32_e32 v88, s17, v88
.LBB72_71:
	v_pk_add_f32 v[90:91], v[20:21], v[56:57]
	s_mov_b64 vcc, s[6:7]
	v_min3_f32 v89, v90, v91, v144
	v_pk_add_f32 v[90:91], v[16:17], v[56:57]
	s_nop 0
	v_min3_f32 v144, v90, v91, v145
	v_pk_add_f32 v[90:91], v[22:23], v[58:59]
	s_nop 0
	v_min_f32_e32 v145, v90, v91
	v_pk_add_f32 v[90:91], v[18:19], v[58:59]
	s_nop 0
	v_min3_f32 v90, v90, v91, v144
	v_min3_f32 v91, v88, v145, v89
	v_lshl_add_u64 v[88:89], v[66:67], 2, v[60:61]
	global_store_dword v[88:89], v91, off
	v_max_f32_e32 v88, v90, v90
	s_cbranch_vccz .LBB72_74
; %bb.72:
	v_min_f32_e32 v89, 0, v88
	v_lshl_add_u64 v[90:91], v[80:81], 2, v[60:61]
	s_mov_b32 s10, 0
	global_store_dword v[90:91], v89, off
	s_cbranch_execz .LBB72_75
; %bb.73:
	v_mov_b32_e32 v88, s10
	s_branch .LBB72_76
.LBB72_74:
                                        ; implicit-def: $sgpr10
.LBB72_75:
	v_lshl_add_u64 v[90:91], v[62:63], 0, v[82:83]
	flat_load_dword v89, v[90:91]
	v_lshl_add_u64 v[90:91], v[60:61], 0, v[82:83]
	s_waitcnt vmcnt(0) lgkmcnt(0)
	v_mul_f32_e32 v89, s17, v89
	v_min_f32_e32 v88, v89, v88
	global_store_dword v[90:91], v88, off
	v_lshl_add_u64 v[88:89], v[70:71], 2, v[62:63]
	flat_load_dword v88, v[88:89]
	s_waitcnt vmcnt(0) lgkmcnt(0)
	v_mul_f32_e32 v88, s17, v88
.LBB72_76:
	v_pk_add_f32 v[90:91], v[12:13], v[56:57]
	s_mov_b64 vcc, s[6:7]
	v_min3_f32 v89, v90, v91, v142
	v_pk_add_f32 v[90:91], v[8:9], v[56:57]
	s_nop 0
	v_min3_f32 v142, v90, v91, v143
	v_pk_add_f32 v[90:91], v[14:15], v[58:59]
	s_nop 0
	v_min_f32_e32 v143, v90, v91
	v_pk_add_f32 v[90:91], v[10:11], v[58:59]
	s_nop 0
	v_min3_f32 v90, v90, v91, v142
	v_min3_f32 v91, v88, v143, v89
	v_lshl_add_u64 v[88:89], v[70:71], 2, v[60:61]
	global_store_dword v[88:89], v91, off
	v_max_f32_e32 v88, v90, v90
	s_cbranch_vccz .LBB72_79
; %bb.77:
	v_min_f32_e32 v89, 0, v88
	v_lshl_add_u64 v[90:91], v[84:85], 2, v[60:61]
	s_mov_b32 s10, 0
	global_store_dword v[90:91], v89, off
	s_cbranch_execz .LBB72_80
; %bb.78:
	v_mov_b32_e32 v62, s10
	s_branch .LBB72_81
.LBB72_79:
                                        ; implicit-def: $sgpr10
.LBB72_80:
	v_lshl_add_u64 v[90:91], v[62:63], 0, v[86:87]
	flat_load_dword v89, v[90:91]
	v_lshl_add_u64 v[90:91], v[60:61], 0, v[86:87]
	v_lshl_add_u64 v[62:63], v[76:77], 2, v[62:63]
	s_waitcnt vmcnt(0) lgkmcnt(0)
	v_mul_f32_e32 v89, s17, v89
	v_min_f32_e32 v88, v89, v88
	global_store_dword v[90:91], v88, off
	flat_load_dword v62, v[62:63]
	s_waitcnt vmcnt(0) lgkmcnt(0)
	v_mul_f32_e32 v62, s17, v62
.LBB72_81:
	v_pk_add_f32 v[56:57], v[0:1], v[56:57]
	s_mov_b64 vcc, s[6:7]
	v_min3_f32 v63, v56, v57, v139
	v_pk_add_f32 v[56:57], v[32:33], v[52:53]
	s_nop 0
	v_min3_f32 v88, v56, v57, v140
	v_pk_add_f32 v[56:57], v[2:3], v[58:59]
	s_nop 0
	v_min_f32_e32 v58, v56, v57
	v_pk_add_f32 v[56:57], v[34:35], v[54:55]
	v_min3_f32 v58, v62, v58, v63
	v_min3_f32 v88, v56, v57, v88
	v_lshl_add_u64 v[56:57], v[76:77], 2, v[60:61]
	global_store_dword v[56:57], v58, off
	v_add_u32_e32 v58, 64, v141
	v_mad_i64_i32 v[56:57], s[2:3], v58, s5, 0
	v_lshl_add_u64 v[56:57], v[56:57], 2, s[0:1]
	v_mad_i64_i32 v[58:59], s[2:3], v58, s4, 0
	v_max_f32_e32 v60, v88, v88
	s_cbranch_vccz .LBB72_84
; %bb.82:
	v_min_f32_e32 v61, 0, v60
	v_lshl_add_u64 v[62:63], v[68:69], 2, v[56:57]
	s_mov_b32 s10, 0
	global_store_dword v[62:63], v61, off
	v_lshl_add_u64 v[58:59], v[58:59], 2, s[8:9]
	s_cbranch_execz .LBB72_85
; %bb.83:
	v_mov_b32_e32 v60, s10
	s_branch .LBB72_86
.LBB72_84:
                                        ; implicit-def: $sgpr10
	v_lshl_add_u64 v[58:59], v[58:59], 2, s[8:9]
.LBB72_85:
	v_lshl_add_u64 v[62:63], v[58:59], 0, v[72:73]
	flat_load_dword v61, v[62:63]
	v_lshl_add_u64 v[62:63], v[56:57], 0, v[72:73]
	s_waitcnt vmcnt(0) lgkmcnt(0)
	v_mul_f32_e32 v61, s17, v61
	v_min_f32_e32 v60, v61, v60
	global_store_dword v[62:63], v60, off
	v_lshl_add_u64 v[60:61], v[64:65], 2, v[58:59]
	flat_load_dword v60, v[60:61]
	s_waitcnt vmcnt(0) lgkmcnt(0)
	v_mul_f32_e32 v60, s17, v60
.LBB72_86:
	v_pk_add_f32 v[62:63], v[28:29], v[52:53]
	s_mov_b64 vcc, s[6:7]
	v_min3_f32 v61, v62, v63, v137
	v_pk_add_f32 v[62:63], v[24:25], v[52:53]
	s_nop 0
	v_min3_f32 v88, v62, v63, v138
	v_pk_add_f32 v[62:63], v[30:31], v[54:55]
	s_nop 0
	v_min_f32_e32 v89, v62, v63
	v_pk_add_f32 v[62:63], v[26:27], v[54:55]
	s_nop 0
	v_min3_f32 v62, v62, v63, v88
	v_min3_f32 v63, v60, v89, v61
	v_lshl_add_u64 v[60:61], v[64:65], 2, v[56:57]
	global_store_dword v[60:61], v63, off
	v_max_f32_e32 v60, v62, v62
	s_cbranch_vccz .LBB72_89
; %bb.87:
	v_min_f32_e32 v61, 0, v60
	v_lshl_add_u64 v[62:63], v[74:75], 2, v[56:57]
	s_mov_b32 s10, 0
	global_store_dword v[62:63], v61, off
	s_cbranch_execz .LBB72_90
; %bb.88:
	v_mov_b32_e32 v60, s10
	s_branch .LBB72_91
.LBB72_89:
                                        ; implicit-def: $sgpr10
.LBB72_90:
	v_lshl_add_u64 v[62:63], v[58:59], 0, v[78:79]
	flat_load_dword v61, v[62:63]
	v_lshl_add_u64 v[62:63], v[56:57], 0, v[78:79]
	s_waitcnt vmcnt(0) lgkmcnt(0)
	v_mul_f32_e32 v61, s17, v61
	v_min_f32_e32 v60, v61, v60
	global_store_dword v[62:63], v60, off
	v_lshl_add_u64 v[60:61], v[66:67], 2, v[58:59]
	flat_load_dword v60, v[60:61]
	s_waitcnt vmcnt(0) lgkmcnt(0)
	v_mul_f32_e32 v60, s17, v60
.LBB72_91:
	v_pk_add_f32 v[62:63], v[20:21], v[52:53]
	s_mov_b64 vcc, s[6:7]
	v_min3_f32 v61, v62, v63, v135
	v_pk_add_f32 v[62:63], v[16:17], v[52:53]
	s_nop 0
	v_min3_f32 v88, v62, v63, v136
	v_pk_add_f32 v[62:63], v[22:23], v[54:55]
	s_nop 0
	v_min_f32_e32 v89, v62, v63
	v_pk_add_f32 v[62:63], v[18:19], v[54:55]
	s_nop 0
	v_min3_f32 v62, v62, v63, v88
	v_min3_f32 v63, v60, v89, v61
	v_lshl_add_u64 v[60:61], v[66:67], 2, v[56:57]
	global_store_dword v[60:61], v63, off
	v_max_f32_e32 v60, v62, v62
	s_cbranch_vccz .LBB72_94
; %bb.92:
	v_min_f32_e32 v61, 0, v60
	v_lshl_add_u64 v[62:63], v[80:81], 2, v[56:57]
	s_mov_b32 s10, 0
	global_store_dword v[62:63], v61, off
	s_cbranch_execz .LBB72_95
; %bb.93:
	v_mov_b32_e32 v60, s10
	s_branch .LBB72_96
.LBB72_94:
                                        ; implicit-def: $sgpr10
.LBB72_95:
	v_lshl_add_u64 v[62:63], v[58:59], 0, v[82:83]
	flat_load_dword v61, v[62:63]
	v_lshl_add_u64 v[62:63], v[56:57], 0, v[82:83]
	s_waitcnt vmcnt(0) lgkmcnt(0)
	v_mul_f32_e32 v61, s17, v61
	v_min_f32_e32 v60, v61, v60
	global_store_dword v[62:63], v60, off
	v_lshl_add_u64 v[60:61], v[70:71], 2, v[58:59]
	flat_load_dword v60, v[60:61]
	s_waitcnt vmcnt(0) lgkmcnt(0)
	v_mul_f32_e32 v60, s17, v60
.LBB72_96:
	v_pk_add_f32 v[62:63], v[12:13], v[52:53]
	s_mov_b64 vcc, s[6:7]
	v_min3_f32 v61, v62, v63, v131
	v_pk_add_f32 v[62:63], v[8:9], v[52:53]
	s_nop 0
	v_min3_f32 v88, v62, v63, v132
	v_pk_add_f32 v[62:63], v[14:15], v[54:55]
	s_nop 0
	v_min_f32_e32 v89, v62, v63
	v_pk_add_f32 v[62:63], v[10:11], v[54:55]
	s_nop 0
	v_min3_f32 v62, v62, v63, v88
	v_min3_f32 v63, v60, v89, v61
	v_lshl_add_u64 v[60:61], v[70:71], 2, v[56:57]
	global_store_dword v[60:61], v63, off
	v_max_f32_e32 v60, v62, v62
	s_cbranch_vccz .LBB72_99
; %bb.97:
	v_min_f32_e32 v61, 0, v60
	v_lshl_add_u64 v[62:63], v[84:85], 2, v[56:57]
	s_mov_b32 s10, 0
	global_store_dword v[62:63], v61, off
	s_cbranch_execz .LBB72_100
; %bb.98:
	v_mov_b32_e32 v58, s10
	s_branch .LBB72_101
.LBB72_99:
                                        ; implicit-def: $sgpr10
.LBB72_100:
	v_lshl_add_u64 v[62:63], v[58:59], 0, v[86:87]
	flat_load_dword v61, v[62:63]
	v_lshl_add_u64 v[62:63], v[56:57], 0, v[86:87]
	v_lshl_add_u64 v[58:59], v[76:77], 2, v[58:59]
	s_waitcnt vmcnt(0) lgkmcnt(0)
	v_mul_f32_e32 v61, s17, v61
	v_min_f32_e32 v60, v61, v60
	global_store_dword v[62:63], v60, off
	flat_load_dword v58, v[58:59]
	s_waitcnt vmcnt(0) lgkmcnt(0)
	v_mul_f32_e32 v58, s17, v58
.LBB72_101:
	v_pk_add_f32 v[52:53], v[0:1], v[52:53]
	s_mov_b64 vcc, s[6:7]
	v_min3_f32 v59, v52, v53, v134
	v_pk_add_f32 v[52:53], v[32:33], v[48:49]
	s_nop 0
	v_min3_f32 v60, v52, v53, v133
	v_pk_add_f32 v[52:53], v[2:3], v[54:55]
	s_nop 0
	v_min_f32_e32 v54, v52, v53
	v_pk_add_f32 v[52:53], v[34:35], v[50:51]
	v_min3_f32 v54, v58, v54, v59
	v_min3_f32 v60, v52, v53, v60
	v_lshl_add_u64 v[52:53], v[76:77], 2, v[56:57]
	global_store_dword v[52:53], v54, off
	v_add_u32_e32 v54, 0x60, v141
	v_mad_i64_i32 v[52:53], s[2:3], v54, s5, 0
	v_lshl_add_u64 v[52:53], v[52:53], 2, s[0:1]
	v_mad_i64_i32 v[54:55], s[2:3], v54, s4, 0
	v_max_f32_e32 v56, v60, v60
	s_cbranch_vccz .LBB72_104
; %bb.102:
	v_min_f32_e32 v57, 0, v56
	v_lshl_add_u64 v[58:59], v[68:69], 2, v[52:53]
	s_mov_b32 s10, 0
	global_store_dword v[58:59], v57, off
	v_lshl_add_u64 v[54:55], v[54:55], 2, s[8:9]
	s_cbranch_execz .LBB72_105
; %bb.103:
	v_mov_b32_e32 v56, s10
	s_branch .LBB72_106
.LBB72_104:
                                        ; implicit-def: $sgpr10
	v_lshl_add_u64 v[54:55], v[54:55], 2, s[8:9]
.LBB72_105:
	v_lshl_add_u64 v[58:59], v[54:55], 0, v[72:73]
	flat_load_dword v57, v[58:59]
	v_lshl_add_u64 v[58:59], v[52:53], 0, v[72:73]
	s_waitcnt vmcnt(0) lgkmcnt(0)
	v_mul_f32_e32 v57, s17, v57
	v_min_f32_e32 v56, v57, v56
	global_store_dword v[58:59], v56, off
	v_lshl_add_u64 v[56:57], v[64:65], 2, v[54:55]
	flat_load_dword v56, v[56:57]
	s_waitcnt vmcnt(0) lgkmcnt(0)
	v_mul_f32_e32 v56, s17, v56
.LBB72_106:
	v_pk_add_f32 v[58:59], v[28:29], v[48:49]
	s_mov_b64 vcc, s[6:7]
	v_min3_f32 v57, v58, v59, v130
	v_pk_add_f32 v[58:59], v[24:25], v[48:49]
	s_nop 0
	v_min3_f32 v60, v58, v59, v129
	v_pk_add_f32 v[58:59], v[30:31], v[50:51]
	s_nop 0
	v_min_f32_e32 v61, v58, v59
	v_pk_add_f32 v[58:59], v[26:27], v[50:51]
	s_nop 0
	v_min3_f32 v58, v58, v59, v60
	v_min3_f32 v59, v56, v61, v57
	v_lshl_add_u64 v[56:57], v[64:65], 2, v[52:53]
	global_store_dword v[56:57], v59, off
	v_max_f32_e32 v56, v58, v58
	s_cbranch_vccz .LBB72_109
; %bb.107:
	v_min_f32_e32 v57, 0, v56
	v_lshl_add_u64 v[58:59], v[74:75], 2, v[52:53]
	s_mov_b32 s10, 0
	global_store_dword v[58:59], v57, off
	s_cbranch_execz .LBB72_110
; %bb.108:
	v_mov_b32_e32 v56, s10
	s_branch .LBB72_111
.LBB72_109:
                                        ; implicit-def: $sgpr10
.LBB72_110:
	v_lshl_add_u64 v[58:59], v[54:55], 0, v[78:79]
	flat_load_dword v57, v[58:59]
	v_lshl_add_u64 v[58:59], v[52:53], 0, v[78:79]
	s_waitcnt vmcnt(0) lgkmcnt(0)
	v_mul_f32_e32 v57, s17, v57
	v_min_f32_e32 v56, v57, v56
	global_store_dword v[58:59], v56, off
	v_lshl_add_u64 v[56:57], v[66:67], 2, v[54:55]
	flat_load_dword v56, v[56:57]
	s_waitcnt vmcnt(0) lgkmcnt(0)
	v_mul_f32_e32 v56, s17, v56
.LBB72_111:
	v_pk_add_f32 v[58:59], v[20:21], v[48:49]
	s_mov_b64 vcc, s[6:7]
	v_min3_f32 v57, v58, v59, v128
	v_pk_add_f32 v[58:59], v[16:17], v[48:49]
	s_nop 0
	v_min3_f32 v60, v58, v59, v127
	v_pk_add_f32 v[58:59], v[22:23], v[50:51]
	s_nop 0
	v_min_f32_e32 v61, v58, v59
	v_pk_add_f32 v[58:59], v[18:19], v[50:51]
	s_nop 0
	v_min3_f32 v58, v58, v59, v60
	v_min3_f32 v59, v56, v61, v57
	v_lshl_add_u64 v[56:57], v[66:67], 2, v[52:53]
	global_store_dword v[56:57], v59, off
	v_max_f32_e32 v56, v58, v58
	s_cbranch_vccz .LBB72_114
; %bb.112:
	v_min_f32_e32 v57, 0, v56
	v_lshl_add_u64 v[58:59], v[80:81], 2, v[52:53]
	s_mov_b32 s10, 0
	global_store_dword v[58:59], v57, off
	s_cbranch_execz .LBB72_115
; %bb.113:
	v_mov_b32_e32 v56, s10
	s_branch .LBB72_116
.LBB72_114:
                                        ; implicit-def: $sgpr10
.LBB72_115:
	v_lshl_add_u64 v[58:59], v[54:55], 0, v[82:83]
	flat_load_dword v57, v[58:59]
	v_lshl_add_u64 v[58:59], v[52:53], 0, v[82:83]
	s_waitcnt vmcnt(0) lgkmcnt(0)
	v_mul_f32_e32 v57, s17, v57
	v_min_f32_e32 v56, v57, v56
	global_store_dword v[58:59], v56, off
	v_lshl_add_u64 v[56:57], v[70:71], 2, v[54:55]
	flat_load_dword v56, v[56:57]
	s_waitcnt vmcnt(0) lgkmcnt(0)
	v_mul_f32_e32 v56, s17, v56
.LBB72_116:
	v_pk_add_f32 v[58:59], v[12:13], v[48:49]
	s_mov_b64 vcc, s[6:7]
	v_min3_f32 v57, v58, v59, v126
	v_pk_add_f32 v[58:59], v[8:9], v[48:49]
	s_nop 0
	v_min3_f32 v60, v58, v59, v125
	v_pk_add_f32 v[58:59], v[14:15], v[50:51]
	s_nop 0
	v_min_f32_e32 v61, v58, v59
	v_pk_add_f32 v[58:59], v[10:11], v[50:51]
	s_nop 0
	v_min3_f32 v58, v58, v59, v60
	v_min3_f32 v59, v56, v61, v57
	v_lshl_add_u64 v[56:57], v[70:71], 2, v[52:53]
	global_store_dword v[56:57], v59, off
	v_max_f32_e32 v56, v58, v58
	s_cbranch_vccz .LBB72_119
; %bb.117:
	v_min_f32_e32 v57, 0, v56
	v_lshl_add_u64 v[58:59], v[84:85], 2, v[52:53]
	s_mov_b32 s10, 0
	global_store_dword v[58:59], v57, off
	s_cbranch_execz .LBB72_120
; %bb.118:
	v_mov_b32_e32 v54, s10
	s_branch .LBB72_121
.LBB72_119:
                                        ; implicit-def: $sgpr10
.LBB72_120:
	v_lshl_add_u64 v[58:59], v[54:55], 0, v[86:87]
	flat_load_dword v57, v[58:59]
	v_lshl_add_u64 v[58:59], v[52:53], 0, v[86:87]
	v_lshl_add_u64 v[54:55], v[76:77], 2, v[54:55]
	s_waitcnt vmcnt(0) lgkmcnt(0)
	v_mul_f32_e32 v57, s17, v57
	v_min_f32_e32 v56, v57, v56
	global_store_dword v[58:59], v56, off
	flat_load_dword v54, v[54:55]
	s_waitcnt vmcnt(0) lgkmcnt(0)
	v_mul_f32_e32 v54, s17, v54
.LBB72_121:
	v_pk_add_f32 v[48:49], v[0:1], v[48:49]
	s_mov_b64 vcc, s[6:7]
	v_min3_f32 v55, v48, v49, v124
	v_pk_add_f32 v[48:49], v[32:33], v[44:45]
	s_nop 0
	v_min3_f32 v56, v48, v49, v123
	v_pk_add_f32 v[48:49], v[2:3], v[50:51]
	s_nop 0
	v_min_f32_e32 v50, v48, v49
	v_pk_add_f32 v[48:49], v[34:35], v[46:47]
	v_min3_f32 v50, v54, v50, v55
	v_min3_f32 v56, v48, v49, v56
	v_lshl_add_u64 v[48:49], v[76:77], 2, v[52:53]
	global_store_dword v[48:49], v50, off
	v_add_u32_e32 v50, 0x80, v141
	v_mad_i64_i32 v[48:49], s[2:3], v50, s5, 0
	v_lshl_add_u64 v[48:49], v[48:49], 2, s[0:1]
	v_mad_i64_i32 v[50:51], s[2:3], v50, s4, 0
	v_max_f32_e32 v52, v56, v56
	s_cbranch_vccz .LBB72_124
; %bb.122:
	v_min_f32_e32 v53, 0, v52
	v_lshl_add_u64 v[54:55], v[68:69], 2, v[48:49]
	s_mov_b32 s10, 0
	global_store_dword v[54:55], v53, off
	v_lshl_add_u64 v[50:51], v[50:51], 2, s[8:9]
	s_cbranch_execz .LBB72_125
; %bb.123:
	v_mov_b32_e32 v52, s10
	s_branch .LBB72_126
.LBB72_124:
                                        ; implicit-def: $sgpr10
	v_lshl_add_u64 v[50:51], v[50:51], 2, s[8:9]
.LBB72_125:
	v_lshl_add_u64 v[54:55], v[50:51], 0, v[72:73]
	flat_load_dword v53, v[54:55]
	v_lshl_add_u64 v[54:55], v[48:49], 0, v[72:73]
	s_waitcnt vmcnt(0) lgkmcnt(0)
	v_mul_f32_e32 v53, s17, v53
	v_min_f32_e32 v52, v53, v52
	global_store_dword v[54:55], v52, off
	v_lshl_add_u64 v[52:53], v[64:65], 2, v[50:51]
	flat_load_dword v52, v[52:53]
	s_waitcnt vmcnt(0) lgkmcnt(0)
	v_mul_f32_e32 v52, s17, v52
.LBB72_126:
	v_pk_add_f32 v[54:55], v[28:29], v[44:45]
	s_mov_b64 vcc, s[6:7]
	v_min3_f32 v53, v54, v55, v122
	v_pk_add_f32 v[54:55], v[24:25], v[44:45]
	s_nop 0
	v_min3_f32 v56, v54, v55, v121
	v_pk_add_f32 v[54:55], v[30:31], v[46:47]
	s_nop 0
	v_min_f32_e32 v57, v54, v55
	v_pk_add_f32 v[54:55], v[26:27], v[46:47]
	s_nop 0
	v_min3_f32 v54, v54, v55, v56
	v_min3_f32 v55, v52, v57, v53
	v_lshl_add_u64 v[52:53], v[64:65], 2, v[48:49]
	global_store_dword v[52:53], v55, off
	v_max_f32_e32 v52, v54, v54
	s_cbranch_vccz .LBB72_129
; %bb.127:
	v_min_f32_e32 v53, 0, v52
	v_lshl_add_u64 v[54:55], v[74:75], 2, v[48:49]
	s_mov_b32 s10, 0
	global_store_dword v[54:55], v53, off
	s_cbranch_execz .LBB72_130
; %bb.128:
	v_mov_b32_e32 v52, s10
	s_branch .LBB72_131
.LBB72_129:
                                        ; implicit-def: $sgpr10
.LBB72_130:
	v_lshl_add_u64 v[54:55], v[50:51], 0, v[78:79]
	flat_load_dword v53, v[54:55]
	v_lshl_add_u64 v[54:55], v[48:49], 0, v[78:79]
	s_waitcnt vmcnt(0) lgkmcnt(0)
	v_mul_f32_e32 v53, s17, v53
	v_min_f32_e32 v52, v53, v52
	global_store_dword v[54:55], v52, off
	v_lshl_add_u64 v[52:53], v[66:67], 2, v[50:51]
	flat_load_dword v52, v[52:53]
	s_waitcnt vmcnt(0) lgkmcnt(0)
	v_mul_f32_e32 v52, s17, v52
.LBB72_131:
	v_pk_add_f32 v[54:55], v[20:21], v[44:45]
	s_mov_b64 vcc, s[6:7]
	v_min3_f32 v53, v54, v55, v120
	v_pk_add_f32 v[54:55], v[16:17], v[44:45]
	s_nop 0
	v_min3_f32 v56, v54, v55, v119
	v_pk_add_f32 v[54:55], v[22:23], v[46:47]
	s_nop 0
	v_min_f32_e32 v57, v54, v55
	v_pk_add_f32 v[54:55], v[18:19], v[46:47]
	s_nop 0
	v_min3_f32 v54, v54, v55, v56
	v_min3_f32 v55, v52, v57, v53
	v_lshl_add_u64 v[52:53], v[66:67], 2, v[48:49]
	global_store_dword v[52:53], v55, off
	v_max_f32_e32 v52, v54, v54
	s_cbranch_vccz .LBB72_134
; %bb.132:
	v_min_f32_e32 v53, 0, v52
	v_lshl_add_u64 v[54:55], v[80:81], 2, v[48:49]
	s_mov_b32 s10, 0
	global_store_dword v[54:55], v53, off
	s_cbranch_execz .LBB72_135
; %bb.133:
	v_mov_b32_e32 v52, s10
	s_branch .LBB72_136
.LBB72_134:
                                        ; implicit-def: $sgpr10
.LBB72_135:
	v_lshl_add_u64 v[54:55], v[50:51], 0, v[82:83]
	flat_load_dword v53, v[54:55]
	v_lshl_add_u64 v[54:55], v[48:49], 0, v[82:83]
	s_waitcnt vmcnt(0) lgkmcnt(0)
	v_mul_f32_e32 v53, s17, v53
	v_min_f32_e32 v52, v53, v52
	global_store_dword v[54:55], v52, off
	v_lshl_add_u64 v[52:53], v[70:71], 2, v[50:51]
	flat_load_dword v52, v[52:53]
	s_waitcnt vmcnt(0) lgkmcnt(0)
	v_mul_f32_e32 v52, s17, v52
.LBB72_136:
	v_pk_add_f32 v[54:55], v[12:13], v[44:45]
	s_mov_b64 vcc, s[6:7]
	v_min3_f32 v53, v54, v55, v118
	v_pk_add_f32 v[54:55], v[8:9], v[44:45]
	s_nop 0
	v_min3_f32 v56, v54, v55, v117
	v_pk_add_f32 v[54:55], v[14:15], v[46:47]
	s_nop 0
	v_min_f32_e32 v57, v54, v55
	v_pk_add_f32 v[54:55], v[10:11], v[46:47]
	s_nop 0
	v_min3_f32 v54, v54, v55, v56
	v_min3_f32 v55, v52, v57, v53
	v_lshl_add_u64 v[52:53], v[70:71], 2, v[48:49]
	global_store_dword v[52:53], v55, off
	v_max_f32_e32 v52, v54, v54
	s_cbranch_vccz .LBB72_139
; %bb.137:
	v_min_f32_e32 v53, 0, v52
	v_lshl_add_u64 v[54:55], v[84:85], 2, v[48:49]
	s_mov_b32 s10, 0
	global_store_dword v[54:55], v53, off
	s_cbranch_execz .LBB72_140
; %bb.138:
	v_mov_b32_e32 v50, s10
	s_branch .LBB72_141
.LBB72_139:
                                        ; implicit-def: $sgpr10
.LBB72_140:
	v_lshl_add_u64 v[54:55], v[50:51], 0, v[86:87]
	flat_load_dword v53, v[54:55]
	v_lshl_add_u64 v[54:55], v[48:49], 0, v[86:87]
	v_lshl_add_u64 v[50:51], v[76:77], 2, v[50:51]
	s_waitcnt vmcnt(0) lgkmcnt(0)
	v_mul_f32_e32 v53, s17, v53
	v_min_f32_e32 v52, v53, v52
	global_store_dword v[54:55], v52, off
	flat_load_dword v50, v[50:51]
	s_waitcnt vmcnt(0) lgkmcnt(0)
	v_mul_f32_e32 v50, s17, v50
.LBB72_141:
	v_pk_add_f32 v[44:45], v[0:1], v[44:45]
	s_mov_b64 vcc, s[6:7]
	v_min3_f32 v51, v44, v45, v115
	v_pk_add_f32 v[44:45], v[32:33], v[40:41]
	s_nop 0
	v_min3_f32 v52, v44, v45, v116
	v_pk_add_f32 v[44:45], v[2:3], v[46:47]
	s_nop 0
	v_min_f32_e32 v46, v44, v45
	v_pk_add_f32 v[44:45], v[34:35], v[42:43]
	v_min3_f32 v46, v50, v46, v51
	v_min3_f32 v52, v44, v45, v52
	v_lshl_add_u64 v[44:45], v[76:77], 2, v[48:49]
	global_store_dword v[44:45], v46, off
	v_add_u32_e32 v46, 0xa0, v141
	v_mad_i64_i32 v[44:45], s[2:3], v46, s5, 0
	v_lshl_add_u64 v[44:45], v[44:45], 2, s[0:1]
	v_mad_i64_i32 v[46:47], s[2:3], v46, s4, 0
	v_max_f32_e32 v48, v52, v52
	s_cbranch_vccz .LBB72_144
; %bb.142:
	v_min_f32_e32 v49, 0, v48
	v_lshl_add_u64 v[50:51], v[68:69], 2, v[44:45]
	s_mov_b32 s10, 0
	global_store_dword v[50:51], v49, off
	v_lshl_add_u64 v[46:47], v[46:47], 2, s[8:9]
	s_cbranch_execz .LBB72_145
; %bb.143:
	v_mov_b32_e32 v48, s10
	s_branch .LBB72_146
.LBB72_144:
                                        ; implicit-def: $sgpr10
	v_lshl_add_u64 v[46:47], v[46:47], 2, s[8:9]
.LBB72_145:
	v_lshl_add_u64 v[50:51], v[46:47], 0, v[72:73]
	flat_load_dword v49, v[50:51]
	v_lshl_add_u64 v[50:51], v[44:45], 0, v[72:73]
	s_waitcnt vmcnt(0) lgkmcnt(0)
	v_mul_f32_e32 v49, s17, v49
	v_min_f32_e32 v48, v49, v48
	global_store_dword v[50:51], v48, off
	v_lshl_add_u64 v[48:49], v[64:65], 2, v[46:47]
	flat_load_dword v48, v[48:49]
	s_waitcnt vmcnt(0) lgkmcnt(0)
	v_mul_f32_e32 v48, s17, v48
.LBB72_146:
	v_pk_add_f32 v[50:51], v[28:29], v[40:41]
	s_mov_b64 vcc, s[6:7]
	v_min3_f32 v49, v50, v51, v113
	v_pk_add_f32 v[50:51], v[24:25], v[40:41]
	s_nop 0
	v_min3_f32 v52, v50, v51, v114
	v_pk_add_f32 v[50:51], v[30:31], v[42:43]
	s_nop 0
	v_min_f32_e32 v53, v50, v51
	v_pk_add_f32 v[50:51], v[26:27], v[42:43]
	s_nop 0
	v_min3_f32 v50, v50, v51, v52
	v_min3_f32 v51, v48, v53, v49
	v_lshl_add_u64 v[48:49], v[64:65], 2, v[44:45]
	global_store_dword v[48:49], v51, off
	v_max_f32_e32 v48, v50, v50
	s_cbranch_vccz .LBB72_149
; %bb.147:
	v_min_f32_e32 v49, 0, v48
	v_lshl_add_u64 v[50:51], v[74:75], 2, v[44:45]
	s_mov_b32 s10, 0
	global_store_dword v[50:51], v49, off
	s_cbranch_execz .LBB72_150
; %bb.148:
	v_mov_b32_e32 v48, s10
	s_branch .LBB72_151
.LBB72_149:
                                        ; implicit-def: $sgpr10
.LBB72_150:
	v_lshl_add_u64 v[50:51], v[46:47], 0, v[78:79]
	flat_load_dword v49, v[50:51]
	v_lshl_add_u64 v[50:51], v[44:45], 0, v[78:79]
	s_waitcnt vmcnt(0) lgkmcnt(0)
	v_mul_f32_e32 v49, s17, v49
	v_min_f32_e32 v48, v49, v48
	global_store_dword v[50:51], v48, off
	v_lshl_add_u64 v[48:49], v[66:67], 2, v[46:47]
	flat_load_dword v48, v[48:49]
	s_waitcnt vmcnt(0) lgkmcnt(0)
	v_mul_f32_e32 v48, s17, v48
.LBB72_151:
	v_pk_add_f32 v[50:51], v[20:21], v[40:41]
	s_mov_b64 vcc, s[6:7]
	v_min3_f32 v49, v50, v51, v111
	v_pk_add_f32 v[50:51], v[16:17], v[40:41]
	s_nop 0
	v_min3_f32 v52, v50, v51, v112
	v_pk_add_f32 v[50:51], v[22:23], v[42:43]
	s_nop 0
	v_min_f32_e32 v53, v50, v51
	v_pk_add_f32 v[50:51], v[18:19], v[42:43]
	s_nop 0
	v_min3_f32 v50, v50, v51, v52
	v_min3_f32 v51, v48, v53, v49
	v_lshl_add_u64 v[48:49], v[66:67], 2, v[44:45]
	global_store_dword v[48:49], v51, off
	v_max_f32_e32 v48, v50, v50
	s_cbranch_vccz .LBB72_154
; %bb.152:
	v_min_f32_e32 v49, 0, v48
	v_lshl_add_u64 v[50:51], v[80:81], 2, v[44:45]
	s_mov_b32 s10, 0
	global_store_dword v[50:51], v49, off
	s_cbranch_execz .LBB72_155
; %bb.153:
	v_mov_b32_e32 v48, s10
	s_branch .LBB72_156
.LBB72_154:
                                        ; implicit-def: $sgpr10
.LBB72_155:
	v_lshl_add_u64 v[50:51], v[46:47], 0, v[82:83]
	flat_load_dword v49, v[50:51]
	v_lshl_add_u64 v[50:51], v[44:45], 0, v[82:83]
	s_waitcnt vmcnt(0) lgkmcnt(0)
	v_mul_f32_e32 v49, s17, v49
	v_min_f32_e32 v48, v49, v48
	global_store_dword v[50:51], v48, off
	v_lshl_add_u64 v[48:49], v[70:71], 2, v[46:47]
	flat_load_dword v48, v[48:49]
	s_waitcnt vmcnt(0) lgkmcnt(0)
	v_mul_f32_e32 v48, s17, v48
.LBB72_156:
	v_pk_add_f32 v[50:51], v[12:13], v[40:41]
	s_mov_b64 vcc, s[6:7]
	v_min3_f32 v49, v50, v51, v109
	v_pk_add_f32 v[50:51], v[8:9], v[40:41]
	s_nop 0
	v_min3_f32 v52, v50, v51, v110
	v_pk_add_f32 v[50:51], v[14:15], v[42:43]
	s_nop 0
	v_min_f32_e32 v53, v50, v51
	v_pk_add_f32 v[50:51], v[10:11], v[42:43]
	s_nop 0
	v_min3_f32 v50, v50, v51, v52
	v_min3_f32 v51, v48, v53, v49
	v_lshl_add_u64 v[48:49], v[70:71], 2, v[44:45]
	global_store_dword v[48:49], v51, off
	v_max_f32_e32 v48, v50, v50
	s_cbranch_vccz .LBB72_159
; %bb.157:
	v_min_f32_e32 v49, 0, v48
	v_lshl_add_u64 v[50:51], v[84:85], 2, v[44:45]
	s_mov_b32 s10, 0
	global_store_dword v[50:51], v49, off
	s_cbranch_execz .LBB72_160
; %bb.158:
	v_mov_b32_e32 v46, s10
	s_branch .LBB72_161
.LBB72_159:
                                        ; implicit-def: $sgpr10
.LBB72_160:
	v_lshl_add_u64 v[50:51], v[46:47], 0, v[86:87]
	flat_load_dword v49, v[50:51]
	v_lshl_add_u64 v[50:51], v[44:45], 0, v[86:87]
	v_lshl_add_u64 v[46:47], v[76:77], 2, v[46:47]
	s_waitcnt vmcnt(0) lgkmcnt(0)
	v_mul_f32_e32 v49, s17, v49
	v_min_f32_e32 v48, v49, v48
	global_store_dword v[50:51], v48, off
	flat_load_dword v46, v[46:47]
	s_waitcnt vmcnt(0) lgkmcnt(0)
	v_mul_f32_e32 v46, s17, v46
.LBB72_161:
	v_pk_add_f32 v[40:41], v[0:1], v[40:41]
	s_mov_b64 vcc, s[6:7]
	v_min3_f32 v47, v40, v41, v107
	v_pk_add_f32 v[40:41], v[32:33], v[36:37]
	s_nop 0
	v_min3_f32 v48, v40, v41, v108
	v_pk_add_f32 v[40:41], v[2:3], v[42:43]
	s_nop 0
	v_min_f32_e32 v42, v40, v41
	v_pk_add_f32 v[40:41], v[34:35], v[38:39]
	v_min3_f32 v42, v46, v42, v47
	v_min3_f32 v48, v40, v41, v48
	v_lshl_add_u64 v[40:41], v[76:77], 2, v[44:45]
	global_store_dword v[40:41], v42, off
	v_add_u32_e32 v42, 0xc0, v141
	v_mad_i64_i32 v[40:41], s[2:3], v42, s5, 0
	v_lshl_add_u64 v[40:41], v[40:41], 2, s[0:1]
	v_mad_i64_i32 v[42:43], s[2:3], v42, s4, 0
	v_max_f32_e32 v44, v48, v48
	s_cbranch_vccz .LBB72_164
; %bb.162:
	v_min_f32_e32 v45, 0, v44
	v_lshl_add_u64 v[46:47], v[68:69], 2, v[40:41]
	s_mov_b32 s10, 0
	global_store_dword v[46:47], v45, off
	v_lshl_add_u64 v[42:43], v[42:43], 2, s[8:9]
	s_cbranch_execz .LBB72_165
; %bb.163:
	v_mov_b32_e32 v44, s10
	s_branch .LBB72_166
.LBB72_164:
                                        ; implicit-def: $sgpr10
	v_lshl_add_u64 v[42:43], v[42:43], 2, s[8:9]
.LBB72_165:
	v_lshl_add_u64 v[46:47], v[42:43], 0, v[72:73]
	flat_load_dword v45, v[46:47]
	v_lshl_add_u64 v[46:47], v[40:41], 0, v[72:73]
	s_waitcnt vmcnt(0) lgkmcnt(0)
	v_mul_f32_e32 v45, s17, v45
	v_min_f32_e32 v44, v45, v44
	global_store_dword v[46:47], v44, off
	v_lshl_add_u64 v[44:45], v[64:65], 2, v[42:43]
	flat_load_dword v44, v[44:45]
	s_waitcnt vmcnt(0) lgkmcnt(0)
	v_mul_f32_e32 v44, s17, v44
.LBB72_166:
	v_pk_add_f32 v[46:47], v[28:29], v[36:37]
	s_mov_b64 vcc, s[6:7]
	v_min3_f32 v45, v46, v47, v105
	v_pk_add_f32 v[46:47], v[24:25], v[36:37]
	s_nop 0
	v_min3_f32 v48, v46, v47, v106
	v_pk_add_f32 v[46:47], v[30:31], v[38:39]
	s_nop 0
	v_min_f32_e32 v49, v46, v47
	v_pk_add_f32 v[46:47], v[26:27], v[38:39]
	s_nop 0
	v_min3_f32 v46, v46, v47, v48
	v_min3_f32 v47, v44, v49, v45
	v_lshl_add_u64 v[44:45], v[64:65], 2, v[40:41]
	global_store_dword v[44:45], v47, off
	v_max_f32_e32 v44, v46, v46
	s_cbranch_vccz .LBB72_169
; %bb.167:
	v_min_f32_e32 v45, 0, v44
	v_lshl_add_u64 v[46:47], v[74:75], 2, v[40:41]
	s_mov_b32 s10, 0
	global_store_dword v[46:47], v45, off
	s_cbranch_execz .LBB72_170
; %bb.168:
	v_mov_b32_e32 v44, s10
	s_branch .LBB72_171
.LBB72_169:
                                        ; implicit-def: $sgpr10
.LBB72_170:
	v_lshl_add_u64 v[46:47], v[42:43], 0, v[78:79]
	flat_load_dword v45, v[46:47]
	v_lshl_add_u64 v[46:47], v[40:41], 0, v[78:79]
	s_waitcnt vmcnt(0) lgkmcnt(0)
	v_mul_f32_e32 v45, s17, v45
	v_min_f32_e32 v44, v45, v44
	global_store_dword v[46:47], v44, off
	v_lshl_add_u64 v[44:45], v[66:67], 2, v[42:43]
	flat_load_dword v44, v[44:45]
	s_waitcnt vmcnt(0) lgkmcnt(0)
	v_mul_f32_e32 v44, s17, v44
.LBB72_171:
	v_pk_add_f32 v[46:47], v[20:21], v[36:37]
	s_mov_b64 vcc, s[6:7]
	v_min3_f32 v45, v46, v47, v103
	v_pk_add_f32 v[46:47], v[16:17], v[36:37]
	s_nop 0
	v_min3_f32 v48, v46, v47, v104
	v_pk_add_f32 v[46:47], v[22:23], v[38:39]
	s_nop 0
	v_min_f32_e32 v49, v46, v47
	v_pk_add_f32 v[46:47], v[18:19], v[38:39]
	s_nop 0
	v_min3_f32 v46, v46, v47, v48
	v_min3_f32 v47, v44, v49, v45
	v_lshl_add_u64 v[44:45], v[66:67], 2, v[40:41]
	global_store_dword v[44:45], v47, off
	v_max_f32_e32 v44, v46, v46
	s_cbranch_vccz .LBB72_174
; %bb.172:
	v_min_f32_e32 v45, 0, v44
	v_lshl_add_u64 v[46:47], v[80:81], 2, v[40:41]
	s_mov_b32 s10, 0
	global_store_dword v[46:47], v45, off
	s_cbranch_execz .LBB72_175
; %bb.173:
	v_mov_b32_e32 v44, s10
	s_branch .LBB72_176
.LBB72_174:
                                        ; implicit-def: $sgpr10
.LBB72_175:
	v_lshl_add_u64 v[46:47], v[42:43], 0, v[82:83]
	flat_load_dword v45, v[46:47]
	v_lshl_add_u64 v[46:47], v[40:41], 0, v[82:83]
	s_waitcnt vmcnt(0) lgkmcnt(0)
	v_mul_f32_e32 v45, s17, v45
	v_min_f32_e32 v44, v45, v44
	global_store_dword v[46:47], v44, off
	v_lshl_add_u64 v[44:45], v[70:71], 2, v[42:43]
	flat_load_dword v44, v[44:45]
	s_waitcnt vmcnt(0) lgkmcnt(0)
	v_mul_f32_e32 v44, s17, v44
.LBB72_176:
	v_pk_add_f32 v[46:47], v[12:13], v[36:37]
	s_mov_b64 vcc, s[6:7]
	v_min3_f32 v45, v46, v47, v101
	v_pk_add_f32 v[46:47], v[8:9], v[36:37]
	s_nop 0
	v_min3_f32 v48, v46, v47, v102
	v_pk_add_f32 v[46:47], v[14:15], v[38:39]
	s_nop 0
	v_min_f32_e32 v49, v46, v47
	v_pk_add_f32 v[46:47], v[10:11], v[38:39]
	s_nop 0
	v_min3_f32 v46, v46, v47, v48
	v_min3_f32 v47, v44, v49, v45
	v_lshl_add_u64 v[44:45], v[70:71], 2, v[40:41]
	global_store_dword v[44:45], v47, off
	v_max_f32_e32 v44, v46, v46
	s_cbranch_vccz .LBB72_179
; %bb.177:
	v_min_f32_e32 v45, 0, v44
	v_lshl_add_u64 v[46:47], v[84:85], 2, v[40:41]
	s_mov_b32 s10, 0
	global_store_dword v[46:47], v45, off
	s_cbranch_execz .LBB72_180
; %bb.178:
	v_mov_b32_e32 v42, s10
	s_branch .LBB72_181
.LBB72_179:
                                        ; implicit-def: $sgpr10
.LBB72_180:
	v_lshl_add_u64 v[46:47], v[42:43], 0, v[86:87]
	flat_load_dword v45, v[46:47]
	v_lshl_add_u64 v[46:47], v[40:41], 0, v[86:87]
	v_lshl_add_u64 v[42:43], v[76:77], 2, v[42:43]
	s_waitcnt vmcnt(0) lgkmcnt(0)
	v_mul_f32_e32 v45, s17, v45
	v_min_f32_e32 v44, v45, v44
	global_store_dword v[46:47], v44, off
	flat_load_dword v42, v[42:43]
	s_waitcnt vmcnt(0) lgkmcnt(0)
	v_mul_f32_e32 v42, s17, v42
.LBB72_181:
	v_pk_add_f32 v[36:37], v[0:1], v[36:37]
	s_waitcnt lgkmcnt(0)
	v_pk_add_f32 v[32:33], v[32:33], v[4:5]
	v_min3_f32 v36, v36, v37, v99
	v_min3_f32 v37, v32, v33, v100
	v_pk_add_f32 v[32:33], v[2:3], v[38:39]
	s_mov_b64 vcc, s[6:7]
	v_min_f32_e32 v38, v32, v33
	v_pk_add_f32 v[32:33], v[34:35], v[6:7]
	v_min3_f32 v34, v42, v38, v36
	v_min3_f32 v37, v32, v33, v37
	v_lshl_add_u64 v[32:33], v[76:77], 2, v[40:41]
	global_store_dword v[32:33], v34, off
	v_add_u32_e32 v34, 0xe0, v141
	v_mad_i64_i32 v[32:33], s[2:3], v34, s5, 0
	v_lshl_add_u64 v[32:33], v[32:33], 2, s[0:1]
	v_mad_i64_i32 v[34:35], s[0:1], v34, s4, 0
	v_max_f32_e32 v36, v37, v37
	s_cbranch_vccz .LBB72_184
; %bb.182:
	v_min_f32_e32 v37, 0, v36
	v_lshl_add_u64 v[38:39], v[68:69], 2, v[32:33]
	s_mov_b32 s2, 0
	global_store_dword v[38:39], v37, off
	v_lshl_add_u64 v[34:35], v[34:35], 2, s[8:9]
	s_cbranch_execz .LBB72_185
; %bb.183:
	v_mov_b32_e32 v36, s2
	s_branch .LBB72_186
.LBB72_184:
                                        ; implicit-def: $sgpr2
	v_lshl_add_u64 v[34:35], v[34:35], 2, s[8:9]
.LBB72_185:
	v_lshl_add_u64 v[38:39], v[34:35], 0, v[72:73]
	flat_load_dword v37, v[38:39]
	v_lshl_add_u64 v[38:39], v[32:33], 0, v[72:73]
	s_waitcnt vmcnt(0) lgkmcnt(0)
	v_mul_f32_e32 v37, s17, v37
	v_min_f32_e32 v36, v37, v36
	global_store_dword v[38:39], v36, off
	v_lshl_add_u64 v[36:37], v[64:65], 2, v[34:35]
	flat_load_dword v36, v[36:37]
	s_waitcnt vmcnt(0) lgkmcnt(0)
	v_mul_f32_e32 v36, s17, v36
.LBB72_186:
	v_pk_add_f32 v[28:29], v[28:29], v[4:5]
	v_pk_add_f32 v[24:25], v[24:25], v[4:5]
	v_min3_f32 v28, v28, v29, v97
	v_min3_f32 v29, v24, v25, v98
	v_pk_add_f32 v[24:25], v[30:31], v[6:7]
	s_mov_b64 vcc, s[6:7]
	v_min_f32_e32 v30, v24, v25
	v_pk_add_f32 v[24:25], v[26:27], v[6:7]
	v_min3_f32 v27, v36, v30, v28
	v_min3_f32 v26, v24, v25, v29
	v_lshl_add_u64 v[24:25], v[64:65], 2, v[32:33]
	global_store_dword v[24:25], v27, off
	v_max_f32_e32 v24, v26, v26
	s_cbranch_vccz .LBB72_189
; %bb.187:
	v_min_f32_e32 v25, 0, v24
	v_lshl_add_u64 v[26:27], v[74:75], 2, v[32:33]
	s_mov_b32 s2, 0
	global_store_dword v[26:27], v25, off
	s_cbranch_execz .LBB72_190
; %bb.188:
	v_mov_b32_e32 v24, s2
	s_branch .LBB72_191
.LBB72_189:
                                        ; implicit-def: $sgpr2
.LBB72_190:
	v_lshl_add_u64 v[26:27], v[34:35], 0, v[78:79]
	flat_load_dword v25, v[26:27]
	v_lshl_add_u64 v[26:27], v[32:33], 0, v[78:79]
	s_waitcnt vmcnt(0) lgkmcnt(0)
	v_mul_f32_e32 v25, s17, v25
	v_min_f32_e32 v24, v25, v24
	global_store_dword v[26:27], v24, off
	v_lshl_add_u64 v[24:25], v[66:67], 2, v[34:35]
	flat_load_dword v24, v[24:25]
	s_waitcnt vmcnt(0) lgkmcnt(0)
	v_mul_f32_e32 v24, s17, v24
.LBB72_191:
	v_pk_add_f32 v[20:21], v[20:21], v[4:5]
	v_pk_add_f32 v[16:17], v[16:17], v[4:5]
	v_min3_f32 v20, v20, v21, v94
	v_min3_f32 v21, v16, v17, v95
	v_pk_add_f32 v[16:17], v[22:23], v[6:7]
	s_mov_b64 vcc, s[6:7]
	v_min_f32_e32 v22, v16, v17
	v_pk_add_f32 v[16:17], v[18:19], v[6:7]
	v_min3_f32 v19, v24, v22, v20
	v_min3_f32 v18, v16, v17, v21
	v_lshl_add_u64 v[16:17], v[66:67], 2, v[32:33]
	global_store_dword v[16:17], v19, off
	v_max_f32_e32 v16, v18, v18
	s_cbranch_vccz .LBB72_194
; %bb.192:
	v_min_f32_e32 v17, 0, v16
	v_lshl_add_u64 v[18:19], v[80:81], 2, v[32:33]
	s_mov_b32 s2, 0
	global_store_dword v[18:19], v17, off
	s_cbranch_execz .LBB72_195
; %bb.193:
	v_mov_b32_e32 v16, s2
	s_branch .LBB72_196
.LBB72_194:
                                        ; implicit-def: $sgpr2
.LBB72_195:
	v_lshl_add_u64 v[18:19], v[34:35], 0, v[82:83]
	flat_load_dword v17, v[18:19]
	v_lshl_add_u64 v[18:19], v[32:33], 0, v[82:83]
	s_waitcnt vmcnt(0) lgkmcnt(0)
	v_mul_f32_e32 v17, s17, v17
	v_min_f32_e32 v16, v17, v16
	global_store_dword v[18:19], v16, off
	v_lshl_add_u64 v[16:17], v[70:71], 2, v[34:35]
	flat_load_dword v16, v[16:17]
	s_waitcnt vmcnt(0) lgkmcnt(0)
	v_mul_f32_e32 v16, s17, v16
.LBB72_196:
	;; [unrolled: 38-line block ×3, first 2 shown]
	v_pk_add_f32 v[2:3], v[2:3], v[6:7]
	v_pk_add_f32 v[0:1], v[0:1], v[4:5]
	v_min_f32_e32 v2, v2, v3
	v_min3_f32 v0, v0, v1, v96
	v_min3_f32 v2, v8, v2, v0
	v_lshl_add_u64 v[0:1], v[76:77], 2, v[32:33]
	global_store_dword v[0:1], v2, off
	s_endpgm
	.section	.rodata,"a",@progbits
	.p2align	6, 0x0
	.amdhsa_kernel _ZN12_GLOBAL__N_120geam_min_plus_kernelIf15HIP_vector_typeIfLj2EEfLi8ELi32ELi64ELi256ELi4ELi4ELi64ELi64ELi4ELc84ELc84ELb0ELb0ELb1EPKfS3_fEEviiiT16_PT17_ilS7_ilS5_S7_ilPT18_ili26rocblas_geam_ex_operation_
		.amdhsa_group_segment_fixed_size 10240
		.amdhsa_private_segment_fixed_size 0
		.amdhsa_kernarg_size 136
		.amdhsa_user_sgpr_count 2
		.amdhsa_user_sgpr_dispatch_ptr 0
		.amdhsa_user_sgpr_queue_ptr 0
		.amdhsa_user_sgpr_kernarg_segment_ptr 1
		.amdhsa_user_sgpr_dispatch_id 0
		.amdhsa_user_sgpr_kernarg_preload_length 0
		.amdhsa_user_sgpr_kernarg_preload_offset 0
		.amdhsa_user_sgpr_private_segment_size 0
		.amdhsa_uses_dynamic_stack 0
		.amdhsa_enable_private_segment 0
		.amdhsa_system_sgpr_workgroup_id_x 1
		.amdhsa_system_sgpr_workgroup_id_y 0
		.amdhsa_system_sgpr_workgroup_id_z 1
		.amdhsa_system_sgpr_workgroup_info 0
		.amdhsa_system_vgpr_workitem_id 1
		.amdhsa_next_free_vgpr 172
		.amdhsa_next_free_sgpr 28
		.amdhsa_accum_offset 172
		.amdhsa_reserve_vcc 1
		.amdhsa_float_round_mode_32 0
		.amdhsa_float_round_mode_16_64 0
		.amdhsa_float_denorm_mode_32 3
		.amdhsa_float_denorm_mode_16_64 3
		.amdhsa_dx10_clamp 1
		.amdhsa_ieee_mode 1
		.amdhsa_fp16_overflow 0
		.amdhsa_tg_split 0
		.amdhsa_exception_fp_ieee_invalid_op 0
		.amdhsa_exception_fp_denorm_src 0
		.amdhsa_exception_fp_ieee_div_zero 0
		.amdhsa_exception_fp_ieee_overflow 0
		.amdhsa_exception_fp_ieee_underflow 0
		.amdhsa_exception_fp_ieee_inexact 0
		.amdhsa_exception_int_div_zero 0
	.end_amdhsa_kernel
	.section	.text._ZN12_GLOBAL__N_120geam_min_plus_kernelIf15HIP_vector_typeIfLj2EEfLi8ELi32ELi64ELi256ELi4ELi4ELi64ELi64ELi4ELc84ELc84ELb0ELb0ELb1EPKfS3_fEEviiiT16_PT17_ilS7_ilS5_S7_ilPT18_ili26rocblas_geam_ex_operation_,"axG",@progbits,_ZN12_GLOBAL__N_120geam_min_plus_kernelIf15HIP_vector_typeIfLj2EEfLi8ELi32ELi64ELi256ELi4ELi4ELi64ELi64ELi4ELc84ELc84ELb0ELb0ELb1EPKfS3_fEEviiiT16_PT17_ilS7_ilS5_S7_ilPT18_ili26rocblas_geam_ex_operation_,comdat
.Lfunc_end72:
	.size	_ZN12_GLOBAL__N_120geam_min_plus_kernelIf15HIP_vector_typeIfLj2EEfLi8ELi32ELi64ELi256ELi4ELi4ELi64ELi64ELi4ELc84ELc84ELb0ELb0ELb1EPKfS3_fEEviiiT16_PT17_ilS7_ilS5_S7_ilPT18_ili26rocblas_geam_ex_operation_, .Lfunc_end72-_ZN12_GLOBAL__N_120geam_min_plus_kernelIf15HIP_vector_typeIfLj2EEfLi8ELi32ELi64ELi256ELi4ELi4ELi64ELi64ELi4ELc84ELc84ELb0ELb0ELb1EPKfS3_fEEviiiT16_PT17_ilS7_ilS5_S7_ilPT18_ili26rocblas_geam_ex_operation_
                                        ; -- End function
	.section	.AMDGPU.csdata,"",@progbits
; Kernel info:
; codeLenInByte = 16420
; NumSgprs: 34
; NumVgprs: 172
; NumAgprs: 0
; TotalNumVgprs: 172
; ScratchSize: 0
; MemoryBound: 0
; FloatMode: 240
; IeeeMode: 1
; LDSByteSize: 10240 bytes/workgroup (compile time only)
; SGPRBlocks: 4
; VGPRBlocks: 21
; NumSGPRsForWavesPerEU: 34
; NumVGPRsForWavesPerEU: 172
; AccumOffset: 172
; Occupancy: 2
; WaveLimiterHint : 1
; COMPUTE_PGM_RSRC2:SCRATCH_EN: 0
; COMPUTE_PGM_RSRC2:USER_SGPR: 2
; COMPUTE_PGM_RSRC2:TRAP_HANDLER: 0
; COMPUTE_PGM_RSRC2:TGID_X_EN: 1
; COMPUTE_PGM_RSRC2:TGID_Y_EN: 0
; COMPUTE_PGM_RSRC2:TGID_Z_EN: 1
; COMPUTE_PGM_RSRC2:TIDIG_COMP_CNT: 1
; COMPUTE_PGM_RSRC3_GFX90A:ACCUM_OFFSET: 42
; COMPUTE_PGM_RSRC3_GFX90A:TG_SPLIT: 0
	.section	.text._ZN12_GLOBAL__N_120geam_min_plus_kernelIf15HIP_vector_typeIfLj2EEfLi8ELi32ELi64ELi256ELi4ELi4ELi64ELi64ELi4ELc84ELc84ELb1ELb0ELb1EfKffEEviiiT16_PT17_ilS6_ilS4_S6_ilPT18_ili26rocblas_geam_ex_operation_,"axG",@progbits,_ZN12_GLOBAL__N_120geam_min_plus_kernelIf15HIP_vector_typeIfLj2EEfLi8ELi32ELi64ELi256ELi4ELi4ELi64ELi64ELi4ELc84ELc84ELb1ELb0ELb1EfKffEEviiiT16_PT17_ilS6_ilS4_S6_ilPT18_ili26rocblas_geam_ex_operation_,comdat
	.globl	_ZN12_GLOBAL__N_120geam_min_plus_kernelIf15HIP_vector_typeIfLj2EEfLi8ELi32ELi64ELi256ELi4ELi4ELi64ELi64ELi4ELc84ELc84ELb1ELb0ELb1EfKffEEviiiT16_PT17_ilS6_ilS4_S6_ilPT18_ili26rocblas_geam_ex_operation_ ; -- Begin function _ZN12_GLOBAL__N_120geam_min_plus_kernelIf15HIP_vector_typeIfLj2EEfLi8ELi32ELi64ELi256ELi4ELi4ELi64ELi64ELi4ELc84ELc84ELb1ELb0ELb1EfKffEEviiiT16_PT17_ilS6_ilS4_S6_ilPT18_ili26rocblas_geam_ex_operation_
	.p2align	8
	.type	_ZN12_GLOBAL__N_120geam_min_plus_kernelIf15HIP_vector_typeIfLj2EEfLi8ELi32ELi64ELi256ELi4ELi4ELi64ELi64ELi4ELc84ELc84ELb1ELb0ELb1EfKffEEviiiT16_PT17_ilS6_ilS4_S6_ilPT18_ili26rocblas_geam_ex_operation_,@function
_ZN12_GLOBAL__N_120geam_min_plus_kernelIf15HIP_vector_typeIfLj2EEfLi8ELi32ELi64ELi256ELi4ELi4ELi64ELi64ELi4ELc84ELc84ELb1ELb0ELb1EfKffEEviiiT16_PT17_ilS6_ilS4_S6_ilPT18_ili26rocblas_geam_ex_operation_: ; @_ZN12_GLOBAL__N_120geam_min_plus_kernelIf15HIP_vector_typeIfLj2EEfLi8ELi32ELi64ELi256ELi4ELi4ELi64ELi64ELi4ELc84ELc84ELb1ELb0ELb1EfKffEEviiiT16_PT17_ilS6_ilS4_S6_ilPT18_ili26rocblas_geam_ex_operation_
; %bb.0:
	s_load_dwordx2 s[14:15], s[0:1], 0x8
	s_load_dwordx4 s[4:7], s[0:1], 0x20
	s_waitcnt lgkmcnt(0)
	v_cmp_eq_f32_e64 s[8:9], s15, 0
	s_and_b64 vcc, exec, s[8:9]
	s_cbranch_vccnz .LBB73_3
; %bb.1:
	s_load_dwordx2 s[10:11], s[0:1], 0x10
	s_mul_i32 s5, s3, s5
	s_mul_hi_u32 s12, s3, s4
	s_add_i32 s5, s12, s5
	s_mul_i32 s4, s3, s4
	s_lshl_b64 s[4:5], s[4:5], 2
	s_waitcnt lgkmcnt(0)
	s_add_u32 s16, s10, s4
	s_addc_u32 s17, s11, s5
	s_andn2_b64 vcc, exec, s[8:9]
	s_cbranch_vccnz .LBB73_4
.LBB73_2:
	s_mov_b32 s13, 0
	s_mov_b64 s[18:19], 0
	s_cbranch_execz .LBB73_5
	s_branch .LBB73_6
.LBB73_3:
	s_mov_b64 s[16:17], 0
	s_andn2_b64 vcc, exec, s[8:9]
	s_cbranch_vccz .LBB73_2
.LBB73_4:
                                        ; implicit-def: $sgpr18_sgpr19
                                        ; implicit-def: $sgpr12_sgpr13
.LBB73_5:
	s_load_dwordx2 s[4:5], s[0:1], 0x38
	s_mov_b32 s13, 0
	s_waitcnt lgkmcnt(0)
	s_mul_i32 s5, s3, s5
	s_mul_hi_u32 s8, s3, s4
	s_add_i32 s5, s8, s5
	s_mul_i32 s4, s3, s4
	s_lshl_b64 s[4:5], s[4:5], 2
	s_add_u32 s18, s6, s4
	s_addc_u32 s19, s7, s5
.LBB73_6:
	s_load_dword s12, s[0:1], 0x40
	s_load_dwordx4 s[8:11], s[0:1], 0x58
	s_waitcnt lgkmcnt(0)
	v_cmp_eq_f32_e64 s[4:5], s12, 0
	s_and_b64 s[4:5], exec, s[4:5]
	s_mov_b64 vcc, s[4:5]
	s_cbranch_vccnz .LBB73_8
; %bb.7:
	s_load_dwordx2 s[6:7], s[0:1], 0x48
	s_mul_i32 s9, s3, s9
	s_mul_hi_u32 s15, s3, s8
	s_add_i32 s9, s15, s9
	s_mul_i32 s15, s13, s8
	s_add_i32 s9, s9, s15
	s_mul_i32 s8, s3, s8
	s_lshl_b64 s[8:9], s[8:9], 2
	s_waitcnt lgkmcnt(0)
	s_add_u32 s6, s6, s8
	s_addc_u32 s7, s7, s9
	s_branch .LBB73_9
.LBB73_8:
	s_mov_b64 s[6:7], 0
.LBB73_9:
	s_load_dword s8, s[0:1], 0x0
	s_load_dword s9, s[0:1], 0x18
	;; [unrolled: 1-line block ×3, first 2 shown]
	v_and_b32_e32 v72, 0x3ff, v0
	v_bfe_u32 v73, v0, 10, 10
	s_waitcnt lgkmcnt(0)
	s_add_i32 s8, s8, -1
	s_ashr_i32 s15, s8, 31
	s_lshr_b32 s15, s15, 26
	s_add_i32 s8, s8, s15
	s_ashr_i32 s8, s8, 6
	s_add_i32 s15, s8, 1
	v_cvt_f32_u32_e32 v1, s15
	s_not_b32 s8, s8
	v_and_b32_e32 v2, 3, v72
	v_lshlrev_b32_e32 v58, 2, v2
	v_rcp_iflag_f32_e32 v0, v1
	v_lshl_add_u32 v1, v73, 3, v72
	v_lshrrev_b32_e32 v6, 2, v1
	v_and_b32_e32 v7, 63, v1
	v_mul_f32_e32 v0, 0x4f7ffffe, v0
	v_cvt_u32_f32_e32 v0, v0
	v_lshrrev_b32_e32 v62, 6, v1
	v_mov_b32_e32 v59, 0
	v_lshlrev_b32_e32 v75, 4, v72
	v_readfirstlane_b32 s21, v0
	s_mul_i32 s8, s8, s21
	s_mul_hi_u32 s8, s21, s8
	s_add_i32 s21, s21, s8
	s_mul_hi_u32 s8, s2, s21
	s_mul_i32 s21, s8, s15
	s_sub_i32 s21, s2, s21
	s_add_i32 s22, s8, 1
	s_sub_i32 s23, s21, s15
	s_cmp_ge_u32 s21, s15
	s_cselect_b32 s8, s22, s8
	s_cselect_b32 s21, s23, s21
	s_add_i32 s22, s8, 1
	s_cmp_ge_u32 s21, s15
	s_cselect_b32 s8, s22, s8
	s_mul_i32 s21, s8, s15
	s_sub_i32 s2, s2, s21
	s_lshl_b32 s15, s8, 8
	s_lshl_b32 s2, s2, 6
	v_add_u32_e32 v0, s2, v6
	v_or_b32_e32 v60, s15, v7
	v_mad_i64_i32 v[56:57], s[8:9], v0, s9, 0
	v_mad_i64_i32 v[2:3], s[8:9], s20, v62, 0
	v_ashrrev_i32_e32 v61, 31, v60
	v_lshl_add_u64 v[2:3], v[2:3], 2, s[18:19]
	v_lshlrev_b64 v[4:5], 2, v[60:61]
	v_lshl_add_u64 v[0:1], v[56:57], 2, s[16:17]
	v_lshl_add_u64 v[2:3], v[2:3], 0, v[4:5]
	;; [unrolled: 1-line block ×3, first 2 shown]
	flat_load_dword v8, v[2:3]
	flat_load_dword v9, v[2:3] offset:256
	flat_load_dword v10, v[2:3] offset:512
	flat_load_dword v11, v[2:3] offset:768
	flat_load_dword v12, v[0:1]
	v_add_u32_e32 v2, 4, v62
	v_lshlrev_b32_e32 v3, 2, v62
	v_lshl_add_u32 v76, v7, 4, v3
	v_mad_i64_i32 v[2:3], s[22:23], s20, v2, 0
	v_lshl_add_u64 v[2:3], v[2:3], 2, s[18:19]
	v_lshl_add_u64 v[2:3], v[2:3], 0, v[4:5]
	v_lshlrev_b32_e32 v74, 4, v73
	v_lshl_or_b32 v63, v6, 4, v58
	flat_load_dword v64, v[2:3]
	flat_load_dword v65, v[2:3] offset:256
	flat_load_dword v66, v[2:3] offset:512
	;; [unrolled: 1-line block ×4, first 2 shown]
	s_mov_b32 s8, 0x7f7fffff
	s_cmp_lt_i32 s14, 9
	s_waitcnt vmcnt(0) lgkmcnt(0)
	ds_write2st64_b32 v76, v8, v9 offset1:4
	ds_write2st64_b32 v76, v10, v11 offset0:8 offset1:12
	ds_write_b32 v63, v12 offset:8192
	s_waitcnt lgkmcnt(0)
	s_barrier
	ds_read_b128 v[28:31], v75 offset:8192
	ds_read_b128 v[24:27], v75 offset:8320
	;; [unrolled: 1-line block ×8, first 2 shown]
	ds_read_b128 v[52:55], v74
	ds_read_b128 v[48:51], v74 offset:512
	ds_read_b128 v[44:47], v74 offset:1024
	;; [unrolled: 1-line block ×5, first 2 shown]
	s_waitcnt lgkmcnt(5)
	v_pk_add_f32 v[70:71], v[28:29], v[52:53]
	v_pk_add_f32 v[80:81], v[20:21], v[52:53]
	s_waitcnt lgkmcnt(4)
	v_pk_add_f32 v[90:91], v[28:29], v[48:49]
	v_pk_add_f32 v[92:93], v[24:25], v[48:49]
	;; [unrolled: 1-line block ×9, first 2 shown]
	v_min3_f32 v69, v70, v71, s8
	v_min3_f32 v71, v80, v81, s8
	;; [unrolled: 1-line block ×4, first 2 shown]
	s_waitcnt lgkmcnt(3)
	v_pk_add_f32 v[48:49], v[20:21], v[44:45]
	v_min3_f32 v80, v88, v89, s8
	v_min3_f32 v89, v96, v97, s8
	;; [unrolled: 1-line block ×3, first 2 shown]
	v_pk_add_f32 v[48:49], v[16:17], v[44:45]
	v_pk_add_f32 v[78:79], v[24:25], v[52:53]
	;; [unrolled: 1-line block ×6, first 2 shown]
	v_min3_f32 v97, v48, v49, s8
	v_pk_add_f32 v[48:49], v[12:13], v[44:45]
	v_min3_f32 v52, v52, v53, s8
	v_min3_f32 v53, v90, v91, s8
	;; [unrolled: 1-line block ×4, first 2 shown]
	v_pk_add_f32 v[48:49], v[8:9], v[44:45]
	v_pk_add_f32 v[104:105], v[28:29], v[44:45]
	;; [unrolled: 1-line block ×3, first 2 shown]
	v_min3_f32 v99, v48, v49, s8
	v_pk_add_f32 v[48:49], v[4:5], v[44:45]
	v_pk_add_f32 v[44:45], v[0:1], v[44:45]
	v_min3_f32 v91, v100, v101, s8
	v_min3_f32 v100, v44, v45, s8
	s_waitcnt lgkmcnt(2)
	v_pk_add_f32 v[44:45], v[28:29], v[40:41]
	v_min3_f32 v92, v102, v103, s8
	v_min3_f32 v101, v44, v45, s8
	v_pk_add_f32 v[44:45], v[24:25], v[40:41]
	v_min3_f32 v77, v82, v83, s8
	v_min3_f32 v102, v44, v45, s8
	;; [unrolled: 3-line block ×6, first 2 shown]
	v_pk_add_f32 v[44:45], v[4:5], v[40:41]
	v_pk_add_f32 v[40:41], v[0:1], v[40:41]
	v_min3_f32 v79, v86, v87, s8
	v_min3_f32 v108, v40, v41, s8
	s_waitcnt lgkmcnt(1)
	v_pk_add_f32 v[40:41], v[28:29], v[36:37]
	v_min3_f32 v78, v84, v85, s8
	v_min3_f32 v109, v40, v41, s8
	v_pk_add_f32 v[40:41], v[24:25], v[36:37]
	v_min3_f32 v48, v48, v49, s8
	v_min3_f32 v110, v40, v41, s8
	v_pk_add_f32 v[40:41], v[20:21], v[36:37]
	v_min3_f32 v107, v44, v45, s8
	v_min3_f32 v111, v40, v41, s8
	v_pk_add_f32 v[40:41], v[16:17], v[36:37]
	s_nop 0
	v_min3_f32 v112, v40, v41, s8
	v_pk_add_f32 v[40:41], v[12:13], v[36:37]
	s_nop 0
	v_min3_f32 v113, v40, v41, s8
	;; [unrolled: 3-line block ×3, first 2 shown]
	v_pk_add_f32 v[40:41], v[4:5], v[36:37]
	v_pk_add_f32 v[36:37], v[0:1], v[36:37]
	v_min3_f32 v115, v40, v41, s8
	v_min3_f32 v116, v36, v37, s8
	s_waitcnt lgkmcnt(0)
	v_pk_add_f32 v[36:37], v[28:29], v[32:33]
	v_pk_add_f32 v[40:41], v[16:17], v[32:33]
	v_min3_f32 v150, v36, v37, s8
	v_pk_add_f32 v[36:37], v[30:31], v[54:55]
	s_nop 0
	v_min3_f32 v88, v36, v37, v69
	v_pk_add_f32 v[36:37], v[26:27], v[54:55]
	s_nop 0
	;; [unrolled: 3-line block ×9, first 2 shown]
	v_min3_f32 v70, v36, v37, s8
	v_pk_add_f32 v[36:37], v[2:3], v[54:55]
	v_min3_f32 v54, v40, v41, s8
	v_min3_f32 v147, v36, v37, v52
	v_pk_add_f32 v[36:37], v[30:31], v[50:51]
	v_pk_add_f32 v[40:41], v[12:13], v[32:33]
	v_min3_f32 v148, v36, v37, v53
	v_pk_add_f32 v[36:37], v[26:27], v[50:51]
	v_min3_f32 v40, v40, v41, s8
	v_min3_f32 v145, v36, v37, v81
	v_pk_add_f32 v[36:37], v[22:23], v[50:51]
	s_nop 0
	v_min3_f32 v146, v36, v37, v82
	v_pk_add_f32 v[36:37], v[18:19], v[50:51]
	s_nop 0
	;; [unrolled: 3-line block ×6, first 2 shown]
	v_min3_f32 v41, v36, v37, s8
	v_pk_add_f32 v[36:37], v[4:5], v[32:33]
	v_pk_add_f32 v[32:33], v[0:1], v[32:33]
	v_min3_f32 v52, v36, v37, s8
	v_pk_add_f32 v[36:37], v[2:3], v[50:51]
	v_min3_f32 v53, v32, v33, s8
	v_min3_f32 v139, v36, v37, v93
	v_pk_add_f32 v[36:37], v[30:31], v[46:47]
	s_nop 0
	v_min3_f32 v140, v36, v37, v94
	v_pk_add_f32 v[36:37], v[26:27], v[46:47]
	s_nop 0
	;; [unrolled: 3-line block ×7, first 2 shown]
	v_min3_f32 v130, v36, v37, v48
	ds_read_b128 v[48:51], v74 offset:3072
	v_pk_add_f32 v[36:37], v[2:3], v[46:47]
	ds_read_b128 v[44:47], v74 offset:3584
	v_min3_f32 v135, v36, v37, v100
	ds_write_b32 v63, v68 offset:9216
	ds_write2st64_b32 v76, v64, v65 offset0:16 offset1:20
	ds_write2st64_b32 v76, v66, v67 offset0:24 offset1:28
	s_waitcnt lgkmcnt(4)
	v_pk_add_f32 v[32:33], v[28:29], v[48:49]
	v_pk_add_f32 v[36:37], v[16:17], v[48:49]
	v_min3_f32 v55, v32, v33, s8
	v_pk_add_f32 v[32:33], v[30:31], v[42:43]
	s_waitcnt lgkmcnt(3)
	v_pk_add_f32 v[28:29], v[28:29], v[44:45]
	v_min3_f32 v138, v32, v33, v101
	v_pk_add_f32 v[32:33], v[26:27], v[42:43]
	v_pk_add_f32 v[16:17], v[16:17], v[44:45]
	v_min3_f32 v131, v32, v33, v102
	v_pk_add_f32 v[32:33], v[22:23], v[42:43]
	v_min3_f32 v16, v16, v17, s8
	v_min3_f32 v132, v32, v33, v103
	v_pk_add_f32 v[32:33], v[18:19], v[42:43]
	s_waitcnt lgkmcnt(0)
	v_min3_f32 v127, v32, v33, v104
	v_pk_add_f32 v[32:33], v[14:15], v[42:43]
	s_barrier
	v_min3_f32 v128, v32, v33, v105
	v_pk_add_f32 v[32:33], v[10:11], v[42:43]
	s_nop 0
	v_min3_f32 v125, v32, v33, v106
	v_pk_add_f32 v[32:33], v[6:7], v[42:43]
	s_nop 0
	v_min3_f32 v126, v32, v33, v107
	v_pk_add_f32 v[32:33], v[24:25], v[48:49]
	v_pk_add_f32 v[24:25], v[24:25], v[44:45]
	v_min3_f32 v71, v32, v33, s8
	v_pk_add_f32 v[32:33], v[20:21], v[48:49]
	v_min3_f32 v24, v24, v25, s8
	v_min3_f32 v77, v32, v33, s8
	v_pk_add_f32 v[32:33], v[2:3], v[42:43]
	v_min3_f32 v42, v36, v37, s8
	v_min3_f32 v123, v32, v33, v108
	v_pk_add_f32 v[32:33], v[30:31], v[38:39]
	v_pk_add_f32 v[36:37], v[12:13], v[48:49]
	v_min3_f32 v124, v32, v33, v109
	v_pk_add_f32 v[32:33], v[26:27], v[38:39]
	v_min3_f32 v36, v36, v37, s8
	v_min3_f32 v121, v32, v33, v110
	v_pk_add_f32 v[32:33], v[22:23], v[38:39]
	v_pk_add_f32 v[12:13], v[12:13], v[44:45]
	v_min3_f32 v122, v32, v33, v111
	v_pk_add_f32 v[32:33], v[18:19], v[38:39]
	v_pk_add_f32 v[20:21], v[20:21], v[44:45]
	v_min3_f32 v119, v32, v33, v112
	v_pk_add_f32 v[32:33], v[14:15], v[38:39]
	v_min3_f32 v12, v12, v13, s8
	v_min3_f32 v120, v32, v33, v113
	v_pk_add_f32 v[32:33], v[10:11], v[38:39]
	v_min3_f32 v25, v20, v21, s8
	v_min3_f32 v117, v32, v33, v114
	v_pk_add_f32 v[32:33], v[6:7], v[38:39]
	v_pk_add_f32 v[20:21], v[2:3], v[50:51]
	v_min3_f32 v118, v32, v33, v115
	v_pk_add_f32 v[32:33], v[8:9], v[48:49]
	v_pk_add_f32 v[8:9], v[8:9], v[44:45]
	v_min3_f32 v37, v32, v33, s8
	v_pk_add_f32 v[32:33], v[4:5], v[48:49]
	v_min3_f32 v8, v8, v9, s8
	v_min3_f32 v43, v32, v33, s8
	v_pk_add_f32 v[32:33], v[2:3], v[38:39]
	v_pk_add_f32 v[4:5], v[4:5], v[44:45]
	v_min3_f32 v115, v32, v33, v116
	v_pk_add_f32 v[32:33], v[30:31], v[34:35]
	v_min3_f32 v9, v4, v5, s8
	v_min3_f32 v116, v32, v33, v150
	v_pk_add_f32 v[32:33], v[26:27], v[34:35]
	v_pk_add_f32 v[4:5], v[30:31], v[46:47]
	v_min3_f32 v113, v32, v33, v69
	v_pk_add_f32 v[32:33], v[22:23], v[34:35]
	s_nop 0
	v_min3_f32 v114, v32, v33, v70
	v_pk_add_f32 v[32:33], v[18:19], v[34:35]
	s_nop 0
	;; [unrolled: 3-line block ×5, first 2 shown]
	v_min3_f32 v110, v32, v33, v52
	v_pk_add_f32 v[32:33], v[2:3], v[34:35]
	v_pk_add_f32 v[34:35], v[0:1], v[48:49]
	v_pk_add_f32 v[0:1], v[0:1], v[44:45]
	v_min3_f32 v34, v34, v35, s8
	v_min3_f32 v35, v28, v29, s8
	v_pk_add_f32 v[28:29], v[30:31], v[50:51]
	v_min3_f32 v13, v0, v1, s8
	v_pk_add_f32 v[0:1], v[26:27], v[46:47]
	;; [unrolled: 2-line block ×14, first 2 shown]
	v_min3_f32 v107, v32, v33, v53
	v_min3_f32 v102, v28, v29, v43
	;; [unrolled: 1-line block ×5, first 2 shown]
	s_cbranch_scc1 .LBB73_12
; %bb.10:
	v_mov_b32_e32 v0, 0x2400
	v_lshl_add_u32 v81, v72, 4, v0
	v_mov_b32_e32 v0, 0x1000
	v_lshl_add_u32 v82, v73, 4, v0
	v_add_u32_e32 v0, 12, v62
	v_mad_i64_i32 v[0:1], s[8:9], v0, s20, 0
	v_lshlrev_b64 v[66:67], 2, v[0:1]
	v_lshl_add_u64 v[0:1], v[56:57], 2, v[58:59]
	v_lshl_add_u64 v[0:1], v[0:1], 0, s[16:17]
	;; [unrolled: 1-line block ×3, first 2 shown]
	v_add_u32_e32 v0, 8, v62
	s_ashr_i32 s21, s20, 31
	v_mad_i64_i32 v[0:1], s[16:17], v0, s20, 0
	v_add_u32_e32 v77, 0x2000, v63
	v_add_u32_e32 v78, 0x2000, v75
	v_add_u32_e32 v79, 0x2400, v63
	v_or_b32_e32 v80, 0x1000, v76
	s_add_i32 s14, s14, -8
	v_lshl_add_u64 v[64:65], v[60:61], 2, s[18:19]
	s_lshl_b64 s[8:9], s[20:21], 5
	v_lshlrev_b64 v[70:71], 2, v[0:1]
	s_mov_b32 s16, 0
.LBB73_11:                              ; =>This Inner Loop Header: Depth=1
	v_lshl_add_u64 v[0:1], v[64:65], 0, v[70:71]
	flat_load_dword v151, v[68:69]
	flat_load_dword v89, v[0:1]
	flat_load_dword v90, v[0:1] offset:256
	flat_load_dword v91, v[0:1] offset:512
	;; [unrolled: 1-line block ×3, first 2 shown]
	ds_read_b128 v[28:31], v81
	ds_read_b128 v[24:27], v81 offset:128
	ds_read_b128 v[20:23], v81 offset:256
	;; [unrolled: 1-line block ×7, first 2 shown]
	ds_read_b128 v[60:63], v82
	ds_read_b128 v[56:59], v82 offset:512
	ds_read_b128 v[52:55], v82 offset:1024
	;; [unrolled: 1-line block ×7, first 2 shown]
	s_waitcnt lgkmcnt(0)
	v_pk_add_f32 v[152:153], v[28:29], v[60:61]
	s_add_i32 s16, s16, 8
	v_min3_f32 v88, v152, v153, v88
	v_pk_add_f32 v[152:153], v[24:25], v[60:61]
	s_cmp_ge_i32 s16, s14
	v_min3_f32 v154, v152, v153, v87
	v_pk_add_f32 v[152:153], v[20:21], v[60:61]
	s_waitcnt vmcnt(0)
	ds_write_b32 v77, v151
	ds_write2st64_b32 v76, v89, v90 offset1:4
	ds_write2st64_b32 v76, v91, v150 offset0:8 offset1:12
	v_min3_f32 v149, v152, v153, v149
	v_pk_add_f32 v[152:153], v[16:17], v[60:61]
	s_waitcnt lgkmcnt(0)
	v_min3_f32 v155, v152, v153, v83
	v_pk_add_f32 v[152:153], v[12:13], v[60:61]
	s_barrier
	v_min3_f32 v152, v152, v153, v86
	v_pk_add_f32 v[86:87], v[8:9], v[60:61]
	s_nop 0
	v_min3_f32 v85, v86, v87, v85
	v_pk_add_f32 v[86:87], v[4:5], v[60:61]
	v_pk_add_f32 v[60:61], v[0:1], v[60:61]
	v_min3_f32 v87, v86, v87, v84
	v_min3_f32 v147, v60, v61, v147
	v_pk_add_f32 v[60:61], v[28:29], v[56:57]
	flat_load_dword v89, v[68:69] offset:16
	v_min3_f32 v148, v60, v61, v148
	v_pk_add_f32 v[60:61], v[24:25], v[56:57]
	v_lshl_add_u64 v[68:69], v[68:69], 0, 32
	v_min3_f32 v153, v60, v61, v145
	v_pk_add_f32 v[60:61], v[20:21], v[56:57]
	s_nop 0
	v_min3_f32 v146, v60, v61, v146
	v_pk_add_f32 v[60:61], v[16:17], v[56:57]
	s_nop 0
	v_min3_f32 v156, v60, v61, v143
	v_pk_add_f32 v[60:61], v[12:13], v[56:57]
	s_nop 0
	v_min3_f32 v157, v60, v61, v144
	v_pk_add_f32 v[60:61], v[8:9], v[56:57]
	s_nop 0
	v_min3_f32 v158, v60, v61, v141
	v_pk_add_f32 v[60:61], v[4:5], v[56:57]
	v_pk_add_f32 v[56:57], v[0:1], v[56:57]
	v_min3_f32 v145, v60, v61, v142
	v_min3_f32 v144, v56, v57, v139
	v_pk_add_f32 v[56:57], v[28:29], v[52:53]
	s_nop 0
	v_min3_f32 v143, v56, v57, v140
	v_pk_add_f32 v[56:57], v[24:25], v[52:53]
	s_nop 0
	v_min3_f32 v142, v56, v57, v136
	v_pk_add_f32 v[56:57], v[20:21], v[52:53]
	s_nop 0
	v_min3_f32 v141, v56, v57, v137
	v_pk_add_f32 v[56:57], v[16:17], v[52:53]
	s_nop 0
	v_min3_f32 v140, v56, v57, v133
	v_pk_add_f32 v[56:57], v[12:13], v[52:53]
	s_nop 0
	v_min3_f32 v139, v56, v57, v134
	v_pk_add_f32 v[56:57], v[8:9], v[52:53]
	s_nop 0
	v_min3_f32 v137, v56, v57, v129
	v_pk_add_f32 v[56:57], v[4:5], v[52:53]
	v_pk_add_f32 v[52:53], v[0:1], v[52:53]
	v_min3_f32 v136, v56, v57, v130
	v_min3_f32 v134, v52, v53, v135
	v_pk_add_f32 v[52:53], v[28:29], v[48:49]
	s_nop 0
	v_min3_f32 v133, v52, v53, v138
	v_pk_add_f32 v[52:53], v[24:25], v[48:49]
	s_nop 0
	;; [unrolled: 22-line block ×4, first 2 shown]
	v_min3_f32 v84, v44, v45, v113
	v_pk_add_f32 v[44:45], v[20:21], v[40:41]
	s_nop 0
	v_min3_f32 v83, v44, v45, v114
	v_pk_add_f32 v[44:45], v[16:17], v[40:41]
	s_nop 0
	;; [unrolled: 3-line block ×4, first 2 shown]
	v_min3_f32 v57, v44, v45, v109
	v_pk_add_f32 v[44:45], v[4:5], v[40:41]
	v_pk_add_f32 v[40:41], v[0:1], v[40:41]
	v_min3_f32 v56, v44, v45, v110
	v_min3_f32 v53, v40, v41, v107
	v_pk_add_f32 v[40:41], v[28:29], v[36:37]
	v_pk_add_f32 v[28:29], v[28:29], v[32:33]
	v_min3_f32 v52, v40, v41, v108
	v_pk_add_f32 v[40:41], v[24:25], v[36:37]
	v_pk_add_f32 v[24:25], v[24:25], v[32:33]
	;; [unrolled: 3-line block ×6, first 2 shown]
	v_pk_add_f32 v[36:37], v[0:1], v[36:37]
	v_pk_add_f32 v[8:9], v[8:9], v[32:33]
	;; [unrolled: 1-line block ×5, first 2 shown]
	v_min3_f32 v24, v24, v25, v96
	v_min3_f32 v96, v32, v33, v88
	v_pk_add_f32 v[32:33], v[26:27], v[62:63]
	v_min3_f32 v12, v12, v13, v95
	v_min3_f32 v95, v32, v33, v154
	v_pk_add_f32 v[32:33], v[22:23], v[62:63]
	;; [unrolled: 3-line block ×11, first 2 shown]
	s_nop 0
	v_min3_f32 v100, v32, v33, v156
	v_pk_add_f32 v[32:33], v[14:15], v[58:59]
	s_nop 0
	v_min3_f32 v101, v32, v33, v157
	v_pk_add_f32 v[32:33], v[10:11], v[58:59]
	;; [unrolled: 3-line block ×37, first 2 shown]
	v_pk_add_f32 v[30:31], v[30:31], v[34:35]
	v_min3_f32 v149, v32, v33, v52
	v_pk_add_f32 v[32:33], v[26:27], v[38:39]
	v_pk_add_f32 v[26:27], v[26:27], v[34:35]
	v_min3_f32 v152, v32, v33, v49
	v_pk_add_f32 v[32:33], v[22:23], v[38:39]
	;; [unrolled: 3-line block ×7, first 2 shown]
	v_pk_add_f32 v[2:3], v[2:3], v[34:35]
	v_min3_f32 v158, v32, v33, v36
	v_min3_f32 v166, v2, v3, v0
	v_lshl_add_u64 v[0:1], v[64:65], 0, v[66:67]
	v_min3_f32 v159, v30, v31, v28
	v_min3_f32 v160, v26, v27, v24
	;; [unrolled: 1-line block ×7, first 2 shown]
	flat_load_dword v90, v[0:1]
	flat_load_dword v91, v[0:1] offset:256
	flat_load_dword v150, v[0:1] offset:512
	;; [unrolled: 1-line block ×3, first 2 shown]
	ds_read_b128 v[28:31], v78
	ds_read_b128 v[24:27], v78 offset:128
	ds_read_b128 v[20:23], v78 offset:256
	;; [unrolled: 1-line block ×7, first 2 shown]
	ds_read_b128 v[60:63], v74
	ds_read_b128 v[56:59], v74 offset:512
	ds_read_b128 v[52:55], v74 offset:1024
	;; [unrolled: 1-line block ×7, first 2 shown]
	s_waitcnt lgkmcnt(0)
	v_pk_add_f32 v[114:115], v[28:29], v[60:61]
	v_lshl_add_u64 v[64:65], v[64:65], 0, s[8:9]
	v_min3_f32 v167, v114, v115, v96
	v_pk_add_f32 v[114:115], v[24:25], v[60:61]
	s_waitcnt vmcnt(0)
	ds_write_b32 v79, v89
	ds_write2st64_b32 v80, v90, v91 offset1:4
	ds_write2st64_b32 v80, v150, v151 offset0:8 offset1:12
	v_min3_f32 v168, v114, v115, v95
	v_pk_add_f32 v[114:115], v[20:21], v[60:61]
	s_waitcnt lgkmcnt(0)
	v_min3_f32 v169, v114, v115, v94
	v_pk_add_f32 v[94:95], v[16:17], v[60:61]
	s_barrier
	v_min3_f32 v170, v94, v95, v93
	v_pk_add_f32 v[94:95], v[12:13], v[60:61]
	s_nop 0
	v_min3_f32 v171, v94, v95, v92
	v_pk_add_f32 v[92:93], v[8:9], v[60:61]
	s_nop 0
	v_min3_f32 v172, v92, v93, v88
	v_pk_add_f32 v[92:93], v[4:5], v[60:61]
	v_pk_add_f32 v[60:61], v[0:1], v[60:61]
	v_min3_f32 v173, v92, v93, v87
	v_min3_f32 v174, v60, v61, v85
	v_pk_add_f32 v[60:61], v[28:29], v[56:57]
	s_nop 0
	v_min3_f32 v138, v60, v61, v97
	v_pk_add_f32 v[60:61], v[24:25], v[56:57]
	s_nop 0
	v_min3_f32 v136, v60, v61, v98
	v_pk_add_f32 v[60:61], v[20:21], v[56:57]
	s_nop 0
	v_min3_f32 v134, v60, v61, v99
	v_pk_add_f32 v[60:61], v[16:17], v[56:57]
	s_nop 0
	v_min3_f32 v132, v60, v61, v100
	v_pk_add_f32 v[60:61], v[12:13], v[56:57]
	s_nop 0
	v_min3_f32 v124, v60, v61, v101
	v_pk_add_f32 v[60:61], v[8:9], v[56:57]
	s_nop 0
	v_min3_f32 v123, v60, v61, v102
	v_pk_add_f32 v[60:61], v[4:5], v[56:57]
	v_pk_add_f32 v[56:57], v[0:1], v[56:57]
	v_min3_f32 v122, v60, v61, v103
	v_min3_f32 v121, v56, v57, v104
	v_pk_add_f32 v[56:57], v[28:29], v[52:53]
	s_nop 0
	v_min3_f32 v120, v56, v57, v105
	v_pk_add_f32 v[56:57], v[24:25], v[52:53]
	s_nop 0
	v_min3_f32 v119, v56, v57, v106
	v_pk_add_f32 v[56:57], v[20:21], v[52:53]
	s_nop 0
	v_min3_f32 v117, v56, v57, v107
	v_pk_add_f32 v[56:57], v[16:17], v[52:53]
	s_nop 0
	;; [unrolled: 22-line block ×4, first 2 shown]
	v_min3_f32 v99, v48, v49, v139
	v_pk_add_f32 v[48:49], v[12:13], v[44:45]
	s_nop 0
	v_min3_f32 v98, v48, v49, v140
	v_pk_add_f32 v[48:49], v[8:9], v[44:45]
	s_nop 0
	v_min3_f32 v97, v48, v49, v141
	v_pk_add_f32 v[48:49], v[4:5], v[44:45]
	v_pk_add_f32 v[44:45], v[0:1], v[44:45]
	v_min3_f32 v96, v48, v49, v142
	v_min3_f32 v95, v44, v45, v143
	v_pk_add_f32 v[44:45], v[28:29], v[40:41]
	s_nop 0
	v_min3_f32 v94, v44, v45, v86
	v_pk_add_f32 v[44:45], v[24:25], v[40:41]
	s_nop 0
	v_min3_f32 v93, v44, v45, v84
	v_pk_add_f32 v[44:45], v[20:21], v[40:41]
	v_pk_add_f32 v[84:85], v[4:5], v[36:37]
	v_min3_f32 v92, v44, v45, v83
	v_pk_add_f32 v[44:45], v[16:17], v[40:41]
	s_nop 0
	v_min3_f32 v61, v44, v45, v144
	v_pk_add_f32 v[44:45], v[12:13], v[40:41]
	s_nop 0
	;; [unrolled: 3-line block ×3, first 2 shown]
	v_min3_f32 v57, v44, v45, v146
	v_pk_add_f32 v[44:45], v[4:5], v[40:41]
	v_pk_add_f32 v[40:41], v[0:1], v[40:41]
	v_min3_f32 v56, v44, v45, v147
	v_min3_f32 v53, v40, v41, v148
	v_pk_add_f32 v[40:41], v[28:29], v[36:37]
	v_pk_add_f32 v[28:29], v[28:29], v[32:33]
	v_min3_f32 v52, v40, v41, v149
	v_pk_add_f32 v[40:41], v[24:25], v[36:37]
	v_pk_add_f32 v[24:25], v[24:25], v[32:33]
	;; [unrolled: 3-line block ×6, first 2 shown]
	v_pk_add_f32 v[8:9], v[8:9], v[32:33]
	v_pk_add_f32 v[4:5], v[4:5], v[32:33]
	;; [unrolled: 1-line block ×4, first 2 shown]
	v_min3_f32 v41, v40, v41, v156
	v_min3_f32 v88, v32, v33, v167
	v_pk_add_f32 v[32:33], v[26:27], v[62:63]
	v_min3_f32 v40, v84, v85, v157
	v_min3_f32 v87, v32, v33, v168
	v_pk_add_f32 v[32:33], v[22:23], v[62:63]
	;; [unrolled: 3-line block ×11, first 2 shown]
	s_nop 0
	v_min3_f32 v143, v32, v33, v132
	v_pk_add_f32 v[32:33], v[14:15], v[58:59]
	s_nop 0
	v_min3_f32 v144, v32, v33, v124
	v_pk_add_f32 v[32:33], v[10:11], v[58:59]
	s_nop 0
	v_min3_f32 v141, v32, v33, v123
	v_pk_add_f32 v[32:33], v[6:7], v[58:59]
	s_nop 0
	v_min3_f32 v142, v32, v33, v122
	v_pk_add_f32 v[32:33], v[2:3], v[58:59]
	s_nop 0
	v_min3_f32 v139, v32, v33, v121
	v_pk_add_f32 v[32:33], v[30:31], v[54:55]
	s_nop 0
	v_min3_f32 v140, v32, v33, v120
	v_pk_add_f32 v[32:33], v[26:27], v[54:55]
	s_nop 0
	v_min3_f32 v136, v32, v33, v119
	v_pk_add_f32 v[32:33], v[22:23], v[54:55]
	s_nop 0
	v_min3_f32 v137, v32, v33, v117
	v_pk_add_f32 v[32:33], v[18:19], v[54:55]
	s_nop 0
	v_min3_f32 v133, v32, v33, v116
	v_pk_add_f32 v[32:33], v[14:15], v[54:55]
	s_nop 0
	v_min3_f32 v134, v32, v33, v115
	v_pk_add_f32 v[32:33], v[10:11], v[54:55]
	s_nop 0
	v_min3_f32 v129, v32, v33, v114
	v_pk_add_f32 v[32:33], v[6:7], v[54:55]
	s_nop 0
	v_min3_f32 v130, v32, v33, v113
	v_pk_add_f32 v[32:33], v[2:3], v[54:55]
	s_nop 0
	v_min3_f32 v135, v32, v33, v111
	v_pk_add_f32 v[32:33], v[30:31], v[50:51]
	s_nop 0
	v_min3_f32 v138, v32, v33, v110
	v_pk_add_f32 v[32:33], v[26:27], v[50:51]
	s_nop 0
	v_min3_f32 v131, v32, v33, v109
	v_pk_add_f32 v[32:33], v[22:23], v[50:51]
	s_nop 0
	v_min3_f32 v132, v32, v33, v108
	v_pk_add_f32 v[32:33], v[18:19], v[50:51]
	s_nop 0
	v_min3_f32 v127, v32, v33, v107
	v_pk_add_f32 v[32:33], v[14:15], v[50:51]
	s_nop 0
	v_min3_f32 v128, v32, v33, v106
	v_pk_add_f32 v[32:33], v[10:11], v[50:51]
	s_nop 0
	v_min3_f32 v125, v32, v33, v105
	v_pk_add_f32 v[32:33], v[6:7], v[50:51]
	s_nop 0
	v_min3_f32 v126, v32, v33, v104
	v_pk_add_f32 v[32:33], v[2:3], v[50:51]
	s_nop 0
	v_min3_f32 v123, v32, v33, v103
	v_pk_add_f32 v[32:33], v[30:31], v[46:47]
	s_nop 0
	v_min3_f32 v124, v32, v33, v102
	v_pk_add_f32 v[32:33], v[26:27], v[46:47]
	s_nop 0
	v_min3_f32 v121, v32, v33, v101
	v_pk_add_f32 v[32:33], v[22:23], v[46:47]
	s_nop 0
	v_min3_f32 v122, v32, v33, v100
	v_pk_add_f32 v[32:33], v[18:19], v[46:47]
	s_nop 0
	v_min3_f32 v119, v32, v33, v99
	v_pk_add_f32 v[32:33], v[14:15], v[46:47]
	s_nop 0
	v_min3_f32 v120, v32, v33, v98
	v_pk_add_f32 v[32:33], v[10:11], v[46:47]
	s_nop 0
	v_min3_f32 v117, v32, v33, v97
	v_pk_add_f32 v[32:33], v[6:7], v[46:47]
	s_nop 0
	v_min3_f32 v118, v32, v33, v96
	v_pk_add_f32 v[32:33], v[2:3], v[46:47]
	s_nop 0
	v_min3_f32 v115, v32, v33, v95
	v_pk_add_f32 v[32:33], v[30:31], v[42:43]
	s_nop 0
	v_min3_f32 v116, v32, v33, v94
	v_pk_add_f32 v[32:33], v[26:27], v[42:43]
	s_nop 0
	v_min3_f32 v113, v32, v33, v93
	v_pk_add_f32 v[32:33], v[22:23], v[42:43]
	s_nop 0
	v_min3_f32 v114, v32, v33, v92
	v_pk_add_f32 v[32:33], v[18:19], v[42:43]
	s_nop 0
	v_min3_f32 v111, v32, v33, v61
	v_pk_add_f32 v[32:33], v[14:15], v[42:43]
	s_nop 0
	v_min3_f32 v112, v32, v33, v60
	v_pk_add_f32 v[32:33], v[10:11], v[42:43]
	s_nop 0
	v_min3_f32 v109, v32, v33, v57
	v_pk_add_f32 v[32:33], v[6:7], v[42:43]
	s_nop 0
	v_min3_f32 v110, v32, v33, v56
	v_pk_add_f32 v[32:33], v[2:3], v[42:43]
	s_nop 0
	v_min3_f32 v107, v32, v33, v53
	v_pk_add_f32 v[32:33], v[30:31], v[38:39]
	v_pk_add_f32 v[30:31], v[30:31], v[34:35]
	v_min3_f32 v108, v32, v33, v52
	v_pk_add_f32 v[32:33], v[26:27], v[38:39]
	v_pk_add_f32 v[26:27], v[26:27], v[34:35]
	v_min3_f32 v105, v32, v33, v49
	v_pk_add_f32 v[32:33], v[22:23], v[38:39]
	;; [unrolled: 3-line block ×7, first 2 shown]
	v_pk_add_f32 v[2:3], v[2:3], v[34:35]
	v_min3_f32 v99, v32, v33, v36
	v_min3_f32 v100, v30, v31, v28
	;; [unrolled: 1-line block ×9, first 2 shown]
	s_cbranch_scc0 .LBB73_11
.LBB73_12:
	s_load_dwordx2 s[16:17], s[0:1], 0x70
	s_load_dword s8, s[0:1], 0x50
	s_load_dword s9, s[0:1], 0x68
	ds_read_b128 v[32:35], v75 offset:9216
	ds_read_b128 v[60:63], v74 offset:4096
	v_add_u32_e32 v68, s2, v72
	s_waitcnt lgkmcnt(0)
	s_mul_i32 s0, s3, s17
	s_mul_hi_u32 s1, s3, s16
	s_mul_i32 s13, s13, s16
	s_add_i32 s0, s1, s0
	s_add_i32 s1, s0, s13
	s_mul_i32 s0, s3, s16
	s_lshl_b64 s[0:1], s[0:1], 2
	v_pk_add_f32 v[0:1], v[32:33], v[60:61]
	s_add_u32 s0, s10, s0
	v_min3_f32 v2, v0, v1, v88
	v_pk_add_f32 v[0:1], v[34:35], v[62:63]
	v_add_u32_e32 v150, s15, v73
	s_addc_u32 s1, s11, s1
	v_min3_f32 v2, v0, v1, v2
	v_add_u32_e32 v64, 8, v68
	v_mad_i64_i32 v[0:1], s[2:3], v150, s9, 0
	v_ashrrev_i32_e32 v69, 31, v68
	v_ashrrev_i32_e32 v65, 31, v64
	v_lshl_add_u64 v[88:89], v[0:1], 2, s[0:1]
	v_mad_i64_i32 v[0:1], s[2:3], v150, s8, 0
	v_max_f32_e32 v2, v2, v2
	s_mov_b64 vcc, s[4:5]
	s_cbranch_vccz .LBB73_14
; %bb.13:
	v_min_f32_e32 v3, 0, v2
	v_lshl_add_u64 v[4:5], v[68:69], 2, v[88:89]
	s_mov_b32 s10, 0
	global_store_dword v[4:5], v3, off
	s_mov_b64 s[2:3], 0
	s_branch .LBB73_15
.LBB73_14:
	s_mov_b64 s[2:3], -1
                                        ; implicit-def: $sgpr10
.LBB73_15:
	ds_read_b128 v[28:31], v75 offset:9344
	ds_read_b128 v[24:27], v75 offset:9472
	v_lshl_add_u64 v[90:91], v[0:1], 2, s[6:7]
	s_andn2_b64 vcc, exec, s[2:3]
	v_lshlrev_b64 v[72:73], 2, v[68:69]
	s_cbranch_vccnz .LBB73_17
; %bb.16:
	v_lshl_add_u64 v[0:1], v[90:91], 0, v[72:73]
	flat_load_dword v3, v[0:1]
	v_lshl_add_u64 v[0:1], v[88:89], 0, v[72:73]
	s_waitcnt vmcnt(0) lgkmcnt(0)
	v_mul_f32_e32 v3, s12, v3
	v_min_f32_e32 v2, v3, v2
	global_store_dword v[0:1], v2, off
	v_lshl_add_u64 v[0:1], v[64:65], 2, v[90:91]
	flat_load_dword v0, v[0:1]
	s_waitcnt vmcnt(0) lgkmcnt(0)
	v_mul_f32_e32 v70, s12, v0
	s_branch .LBB73_18
.LBB73_17:
	v_mov_b32_e32 v70, s10
.LBB73_18:
	ds_read_b128 v[16:19], v75 offset:9728
	ds_read_b128 v[12:15], v75 offset:9856
	ds_read_b128 v[8:11], v75 offset:9984
	ds_read_b128 v[0:3], v75 offset:10112
	ds_read_b128 v[56:59], v74 offset:4608
	ds_read_b128 v[52:55], v74 offset:5120
	ds_read_b128 v[48:51], v74 offset:5632
	ds_read_b128 v[44:47], v74 offset:6144
	ds_read_b128 v[40:43], v74 offset:6656
	ds_read_b128 v[36:39], v74 offset:7168
	ds_read_b128 v[20:23], v75 offset:9600
	ds_read_b128 v[4:7], v74 offset:7680
	s_waitcnt lgkmcnt(13)
	v_pk_add_f32 v[66:67], v[28:29], v[60:61]
	s_mov_b64 vcc, s[4:5]
	v_min3_f32 v71, v66, v67, v87
	s_waitcnt lgkmcnt(12)
	v_pk_add_f32 v[66:67], v[24:25], v[60:61]
	s_nop 0
	v_min3_f32 v74, v66, v67, v149
	v_pk_add_f32 v[66:67], v[30:31], v[62:63]
	s_nop 0
	v_min_f32_e32 v76, v66, v67
	v_pk_add_f32 v[66:67], v[26:27], v[62:63]
	v_min3_f32 v76, v70, v76, v71
	v_min3_f32 v77, v66, v67, v74
	v_add_u32_e32 v74, 16, v68
	v_add_u32_e32 v66, 24, v68
	v_lshl_add_u64 v[70:71], v[64:65], 2, v[88:89]
	v_ashrrev_i32_e32 v75, 31, v74
	v_ashrrev_i32_e32 v67, 31, v66
	global_store_dword v[70:71], v76, off
	v_max_f32_e32 v70, v77, v77
	s_cbranch_vccz .LBB73_21
; %bb.19:
	v_min_f32_e32 v71, 0, v70
	v_lshl_add_u64 v[76:77], v[74:75], 2, v[88:89]
	s_mov_b32 s10, 0
	global_store_dword v[76:77], v71, off
	v_lshlrev_b64 v[78:79], 2, v[74:75]
	s_cbranch_execz .LBB73_22
; %bb.20:
	v_mov_b32_e32 v76, s10
	s_branch .LBB73_23
.LBB73_21:
                                        ; implicit-def: $sgpr10
	v_lshlrev_b64 v[78:79], 2, v[74:75]
.LBB73_22:
	v_lshl_add_u64 v[76:77], v[90:91], 0, v[78:79]
	flat_load_dword v71, v[76:77]
	v_lshl_add_u64 v[76:77], v[88:89], 0, v[78:79]
	s_waitcnt vmcnt(0) lgkmcnt(0)
	v_mul_f32_e32 v71, s12, v71
	v_min_f32_e32 v70, v71, v70
	global_store_dword v[76:77], v70, off
	v_lshl_add_u64 v[70:71], v[66:67], 2, v[90:91]
	flat_load_dword v70, v[70:71]
	s_waitcnt vmcnt(0) lgkmcnt(0)
	v_mul_f32_e32 v76, s12, v70
.LBB73_23:
	s_waitcnt lgkmcnt(1)
	v_pk_add_f32 v[70:71], v[20:21], v[60:61]
	s_mov_b64 vcc, s[4:5]
	v_min3_f32 v77, v70, v71, v83
	v_pk_add_f32 v[70:71], v[16:17], v[60:61]
	s_nop 0
	v_min3_f32 v80, v70, v71, v86
	v_pk_add_f32 v[70:71], v[22:23], v[62:63]
	s_nop 0
	v_min_f32_e32 v82, v70, v71
	v_pk_add_f32 v[70:71], v[18:19], v[62:63]
	v_min3_f32 v82, v76, v82, v77
	v_min3_f32 v83, v70, v71, v80
	v_add_u32_e32 v80, 32, v68
	v_add_u32_e32 v70, 40, v68
	v_lshl_add_u64 v[76:77], v[66:67], 2, v[88:89]
	v_ashrrev_i32_e32 v81, 31, v80
	v_ashrrev_i32_e32 v71, 31, v70
	global_store_dword v[76:77], v82, off
	v_max_f32_e32 v76, v83, v83
	s_cbranch_vccz .LBB73_26
; %bb.24:
	v_min_f32_e32 v77, 0, v76
	v_lshl_add_u64 v[82:83], v[80:81], 2, v[88:89]
	s_mov_b32 s10, 0
	global_store_dword v[82:83], v77, off
	v_lshlrev_b64 v[82:83], 2, v[80:81]
	s_cbranch_execz .LBB73_27
; %bb.25:
	v_mov_b32_e32 v86, s10
	s_branch .LBB73_28
.LBB73_26:
                                        ; implicit-def: $sgpr10
	v_lshlrev_b64 v[82:83], 2, v[80:81]
.LBB73_27:
	v_lshl_add_u64 v[86:87], v[90:91], 0, v[82:83]
	flat_load_dword v77, v[86:87]
	v_lshl_add_u64 v[86:87], v[88:89], 0, v[82:83]
	s_waitcnt vmcnt(0) lgkmcnt(0)
	v_mul_f32_e32 v77, s12, v77
	v_min_f32_e32 v76, v77, v76
	global_store_dword v[86:87], v76, off
	v_lshl_add_u64 v[76:77], v[70:71], 2, v[90:91]
	flat_load_dword v76, v[76:77]
	s_waitcnt vmcnt(0) lgkmcnt(0)
	v_mul_f32_e32 v86, s12, v76
.LBB73_28:
	v_pk_add_f32 v[76:77], v[12:13], v[60:61]
	s_mov_b64 vcc, s[4:5]
	v_min3_f32 v87, v76, v77, v85
	v_pk_add_f32 v[76:77], v[8:9], v[60:61]
	s_nop 0
	v_min3_f32 v84, v76, v77, v84
	v_pk_add_f32 v[76:77], v[14:15], v[62:63]
	s_nop 0
	v_min_f32_e32 v149, v76, v77
	v_pk_add_f32 v[76:77], v[10:11], v[62:63]
	v_min3_f32 v149, v86, v149, v87
	v_min3_f32 v151, v76, v77, v84
	v_add_u32_e32 v84, 48, v68
	v_add_u32_e32 v76, 56, v68
	v_lshl_add_u64 v[86:87], v[70:71], 2, v[88:89]
	v_ashrrev_i32_e32 v85, 31, v84
	v_ashrrev_i32_e32 v77, 31, v76
	global_store_dword v[86:87], v149, off
	v_max_f32_e32 v149, v151, v151
	s_cbranch_vccz .LBB73_31
; %bb.29:
	v_min_f32_e32 v151, 0, v149
	v_lshl_add_u64 v[86:87], v[84:85], 2, v[88:89]
	s_mov_b32 s10, 0
	global_store_dword v[86:87], v151, off
	v_lshlrev_b64 v[86:87], 2, v[84:85]
	s_cbranch_execz .LBB73_32
; %bb.30:
	v_mov_b32_e32 v90, s10
	s_branch .LBB73_33
.LBB73_31:
                                        ; implicit-def: $sgpr10
	v_lshlrev_b64 v[86:87], 2, v[84:85]
.LBB73_32:
	v_lshl_add_u64 v[152:153], v[90:91], 0, v[86:87]
	flat_load_dword v151, v[152:153]
	v_lshl_add_u64 v[152:153], v[88:89], 0, v[86:87]
	v_lshl_add_u64 v[90:91], v[76:77], 2, v[90:91]
	s_waitcnt vmcnt(0) lgkmcnt(0)
	v_mul_f32_e32 v151, s12, v151
	v_min_f32_e32 v149, v151, v149
	global_store_dword v[152:153], v149, off
	flat_load_dword v90, v[90:91]
	s_waitcnt vmcnt(0) lgkmcnt(0)
	v_mul_f32_e32 v90, s12, v90
.LBB73_33:
	v_pk_add_f32 v[60:61], v[0:1], v[60:61]
	s_mov_b64 vcc, s[4:5]
	v_min3_f32 v91, v60, v61, v147
	v_pk_add_f32 v[60:61], v[32:33], v[56:57]
	s_nop 0
	v_min3_f32 v147, v60, v61, v148
	v_pk_add_f32 v[60:61], v[2:3], v[62:63]
	s_nop 0
	v_min_f32_e32 v62, v60, v61
	v_pk_add_f32 v[60:61], v[34:35], v[58:59]
	v_min3_f32 v62, v90, v62, v91
	v_min3_f32 v147, v60, v61, v147
	v_lshl_add_u64 v[60:61], v[76:77], 2, v[88:89]
	global_store_dword v[60:61], v62, off
	v_add_u32_e32 v62, 32, v150
	v_mad_i64_i32 v[60:61], s[2:3], v62, s9, 0
	v_lshl_add_u64 v[60:61], v[60:61], 2, s[0:1]
	v_mad_i64_i32 v[62:63], s[2:3], v62, s8, 0
	v_max_f32_e32 v88, v147, v147
	s_cbranch_vccz .LBB73_36
; %bb.34:
	v_min_f32_e32 v89, 0, v88
	v_lshl_add_u64 v[90:91], v[68:69], 2, v[60:61]
	s_mov_b32 s10, 0
	global_store_dword v[90:91], v89, off
	v_lshl_add_u64 v[62:63], v[62:63], 2, s[6:7]
	s_cbranch_execz .LBB73_37
; %bb.35:
	v_mov_b32_e32 v88, s10
	s_branch .LBB73_38
.LBB73_36:
                                        ; implicit-def: $sgpr10
	v_lshl_add_u64 v[62:63], v[62:63], 2, s[6:7]
.LBB73_37:
	v_lshl_add_u64 v[90:91], v[62:63], 0, v[72:73]
	flat_load_dword v89, v[90:91]
	v_lshl_add_u64 v[90:91], v[60:61], 0, v[72:73]
	s_waitcnt vmcnt(0) lgkmcnt(0)
	v_mul_f32_e32 v89, s12, v89
	v_min_f32_e32 v88, v89, v88
	global_store_dword v[90:91], v88, off
	v_lshl_add_u64 v[88:89], v[64:65], 2, v[62:63]
	flat_load_dword v88, v[88:89]
	s_waitcnt vmcnt(0) lgkmcnt(0)
	v_mul_f32_e32 v88, s12, v88
.LBB73_38:
	v_pk_add_f32 v[90:91], v[28:29], v[56:57]
	s_mov_b64 vcc, s[4:5]
	v_min3_f32 v89, v90, v91, v145
	v_pk_add_f32 v[90:91], v[24:25], v[56:57]
	s_nop 0
	v_min3_f32 v145, v90, v91, v146
	v_pk_add_f32 v[90:91], v[30:31], v[58:59]
	s_nop 0
	v_min_f32_e32 v146, v90, v91
	v_pk_add_f32 v[90:91], v[26:27], v[58:59]
	s_nop 0
	v_min3_f32 v90, v90, v91, v145
	v_min3_f32 v91, v88, v146, v89
	v_lshl_add_u64 v[88:89], v[64:65], 2, v[60:61]
	global_store_dword v[88:89], v91, off
	v_max_f32_e32 v88, v90, v90
	s_cbranch_vccz .LBB73_41
; %bb.39:
	v_min_f32_e32 v89, 0, v88
	v_lshl_add_u64 v[90:91], v[74:75], 2, v[60:61]
	s_mov_b32 s10, 0
	global_store_dword v[90:91], v89, off
	s_cbranch_execz .LBB73_42
; %bb.40:
	v_mov_b32_e32 v88, s10
	s_branch .LBB73_43
.LBB73_41:
                                        ; implicit-def: $sgpr10
.LBB73_42:
	v_lshl_add_u64 v[90:91], v[62:63], 0, v[78:79]
	flat_load_dword v89, v[90:91]
	v_lshl_add_u64 v[90:91], v[60:61], 0, v[78:79]
	s_waitcnt vmcnt(0) lgkmcnt(0)
	v_mul_f32_e32 v89, s12, v89
	v_min_f32_e32 v88, v89, v88
	global_store_dword v[90:91], v88, off
	v_lshl_add_u64 v[88:89], v[66:67], 2, v[62:63]
	flat_load_dword v88, v[88:89]
	s_waitcnt vmcnt(0) lgkmcnt(0)
	v_mul_f32_e32 v88, s12, v88
.LBB73_43:
	v_pk_add_f32 v[90:91], v[20:21], v[56:57]
	s_mov_b64 vcc, s[4:5]
	v_min3_f32 v89, v90, v91, v143
	v_pk_add_f32 v[90:91], v[16:17], v[56:57]
	s_nop 0
	v_min3_f32 v143, v90, v91, v144
	v_pk_add_f32 v[90:91], v[22:23], v[58:59]
	s_nop 0
	v_min_f32_e32 v144, v90, v91
	v_pk_add_f32 v[90:91], v[18:19], v[58:59]
	s_nop 0
	v_min3_f32 v90, v90, v91, v143
	v_min3_f32 v91, v88, v144, v89
	v_lshl_add_u64 v[88:89], v[66:67], 2, v[60:61]
	global_store_dword v[88:89], v91, off
	v_max_f32_e32 v88, v90, v90
	s_cbranch_vccz .LBB73_46
; %bb.44:
	v_min_f32_e32 v89, 0, v88
	v_lshl_add_u64 v[90:91], v[80:81], 2, v[60:61]
	s_mov_b32 s10, 0
	global_store_dword v[90:91], v89, off
	s_cbranch_execz .LBB73_47
; %bb.45:
	v_mov_b32_e32 v88, s10
	s_branch .LBB73_48
.LBB73_46:
                                        ; implicit-def: $sgpr10
.LBB73_47:
	v_lshl_add_u64 v[90:91], v[62:63], 0, v[82:83]
	flat_load_dword v89, v[90:91]
	v_lshl_add_u64 v[90:91], v[60:61], 0, v[82:83]
	s_waitcnt vmcnt(0) lgkmcnt(0)
	v_mul_f32_e32 v89, s12, v89
	v_min_f32_e32 v88, v89, v88
	global_store_dword v[90:91], v88, off
	v_lshl_add_u64 v[88:89], v[70:71], 2, v[62:63]
	flat_load_dword v88, v[88:89]
	s_waitcnt vmcnt(0) lgkmcnt(0)
	v_mul_f32_e32 v88, s12, v88
.LBB73_48:
	v_pk_add_f32 v[90:91], v[12:13], v[56:57]
	s_mov_b64 vcc, s[4:5]
	v_min3_f32 v89, v90, v91, v141
	v_pk_add_f32 v[90:91], v[8:9], v[56:57]
	s_nop 0
	v_min3_f32 v141, v90, v91, v142
	v_pk_add_f32 v[90:91], v[14:15], v[58:59]
	s_nop 0
	v_min_f32_e32 v142, v90, v91
	v_pk_add_f32 v[90:91], v[10:11], v[58:59]
	s_nop 0
	v_min3_f32 v90, v90, v91, v141
	v_min3_f32 v91, v88, v142, v89
	v_lshl_add_u64 v[88:89], v[70:71], 2, v[60:61]
	global_store_dword v[88:89], v91, off
	v_max_f32_e32 v88, v90, v90
	s_cbranch_vccz .LBB73_51
; %bb.49:
	v_min_f32_e32 v89, 0, v88
	v_lshl_add_u64 v[90:91], v[84:85], 2, v[60:61]
	s_mov_b32 s10, 0
	global_store_dword v[90:91], v89, off
	s_cbranch_execz .LBB73_52
; %bb.50:
	v_mov_b32_e32 v62, s10
	s_branch .LBB73_53
.LBB73_51:
                                        ; implicit-def: $sgpr10
.LBB73_52:
	v_lshl_add_u64 v[90:91], v[62:63], 0, v[86:87]
	flat_load_dword v89, v[90:91]
	v_lshl_add_u64 v[90:91], v[60:61], 0, v[86:87]
	v_lshl_add_u64 v[62:63], v[76:77], 2, v[62:63]
	s_waitcnt vmcnt(0) lgkmcnt(0)
	v_mul_f32_e32 v89, s12, v89
	v_min_f32_e32 v88, v89, v88
	global_store_dword v[90:91], v88, off
	flat_load_dword v62, v[62:63]
	s_waitcnt vmcnt(0) lgkmcnt(0)
	v_mul_f32_e32 v62, s12, v62
.LBB73_53:
	v_pk_add_f32 v[56:57], v[0:1], v[56:57]
	s_mov_b64 vcc, s[4:5]
	v_min3_f32 v63, v56, v57, v139
	v_pk_add_f32 v[56:57], v[32:33], v[52:53]
	s_nop 0
	v_min3_f32 v88, v56, v57, v140
	v_pk_add_f32 v[56:57], v[2:3], v[58:59]
	s_nop 0
	v_min_f32_e32 v58, v56, v57
	v_pk_add_f32 v[56:57], v[34:35], v[54:55]
	v_min3_f32 v58, v62, v58, v63
	v_min3_f32 v88, v56, v57, v88
	v_lshl_add_u64 v[56:57], v[76:77], 2, v[60:61]
	global_store_dword v[56:57], v58, off
	v_add_u32_e32 v58, 64, v150
	v_mad_i64_i32 v[56:57], s[2:3], v58, s9, 0
	v_lshl_add_u64 v[56:57], v[56:57], 2, s[0:1]
	v_mad_i64_i32 v[58:59], s[2:3], v58, s8, 0
	v_max_f32_e32 v60, v88, v88
	s_cbranch_vccz .LBB73_56
; %bb.54:
	v_min_f32_e32 v61, 0, v60
	v_lshl_add_u64 v[62:63], v[68:69], 2, v[56:57]
	s_mov_b32 s10, 0
	global_store_dword v[62:63], v61, off
	v_lshl_add_u64 v[58:59], v[58:59], 2, s[6:7]
	s_cbranch_execz .LBB73_57
; %bb.55:
	v_mov_b32_e32 v60, s10
	s_branch .LBB73_58
.LBB73_56:
                                        ; implicit-def: $sgpr10
	v_lshl_add_u64 v[58:59], v[58:59], 2, s[6:7]
.LBB73_57:
	v_lshl_add_u64 v[62:63], v[58:59], 0, v[72:73]
	flat_load_dword v61, v[62:63]
	v_lshl_add_u64 v[62:63], v[56:57], 0, v[72:73]
	s_waitcnt vmcnt(0) lgkmcnt(0)
	v_mul_f32_e32 v61, s12, v61
	v_min_f32_e32 v60, v61, v60
	global_store_dword v[62:63], v60, off
	v_lshl_add_u64 v[60:61], v[64:65], 2, v[58:59]
	flat_load_dword v60, v[60:61]
	s_waitcnt vmcnt(0) lgkmcnt(0)
	v_mul_f32_e32 v60, s12, v60
.LBB73_58:
	v_pk_add_f32 v[62:63], v[28:29], v[52:53]
	s_mov_b64 vcc, s[4:5]
	v_min3_f32 v61, v62, v63, v136
	v_pk_add_f32 v[62:63], v[24:25], v[52:53]
	s_nop 0
	v_min3_f32 v88, v62, v63, v137
	v_pk_add_f32 v[62:63], v[30:31], v[54:55]
	s_nop 0
	v_min_f32_e32 v89, v62, v63
	v_pk_add_f32 v[62:63], v[26:27], v[54:55]
	s_nop 0
	v_min3_f32 v62, v62, v63, v88
	v_min3_f32 v63, v60, v89, v61
	v_lshl_add_u64 v[60:61], v[64:65], 2, v[56:57]
	global_store_dword v[60:61], v63, off
	v_max_f32_e32 v60, v62, v62
	s_cbranch_vccz .LBB73_61
; %bb.59:
	v_min_f32_e32 v61, 0, v60
	v_lshl_add_u64 v[62:63], v[74:75], 2, v[56:57]
	s_mov_b32 s10, 0
	global_store_dword v[62:63], v61, off
	s_cbranch_execz .LBB73_62
; %bb.60:
	v_mov_b32_e32 v60, s10
	s_branch .LBB73_63
.LBB73_61:
                                        ; implicit-def: $sgpr10
.LBB73_62:
	v_lshl_add_u64 v[62:63], v[58:59], 0, v[78:79]
	flat_load_dword v61, v[62:63]
	v_lshl_add_u64 v[62:63], v[56:57], 0, v[78:79]
	s_waitcnt vmcnt(0) lgkmcnt(0)
	v_mul_f32_e32 v61, s12, v61
	v_min_f32_e32 v60, v61, v60
	global_store_dword v[62:63], v60, off
	v_lshl_add_u64 v[60:61], v[66:67], 2, v[58:59]
	flat_load_dword v60, v[60:61]
	s_waitcnt vmcnt(0) lgkmcnt(0)
	v_mul_f32_e32 v60, s12, v60
.LBB73_63:
	v_pk_add_f32 v[62:63], v[20:21], v[52:53]
	s_mov_b64 vcc, s[4:5]
	v_min3_f32 v61, v62, v63, v133
	v_pk_add_f32 v[62:63], v[16:17], v[52:53]
	s_nop 0
	v_min3_f32 v88, v62, v63, v134
	v_pk_add_f32 v[62:63], v[22:23], v[54:55]
	s_nop 0
	v_min_f32_e32 v89, v62, v63
	v_pk_add_f32 v[62:63], v[18:19], v[54:55]
	s_nop 0
	v_min3_f32 v62, v62, v63, v88
	v_min3_f32 v63, v60, v89, v61
	v_lshl_add_u64 v[60:61], v[66:67], 2, v[56:57]
	global_store_dword v[60:61], v63, off
	v_max_f32_e32 v60, v62, v62
	s_cbranch_vccz .LBB73_66
; %bb.64:
	v_min_f32_e32 v61, 0, v60
	v_lshl_add_u64 v[62:63], v[80:81], 2, v[56:57]
	s_mov_b32 s10, 0
	global_store_dword v[62:63], v61, off
	s_cbranch_execz .LBB73_67
; %bb.65:
	v_mov_b32_e32 v60, s10
	s_branch .LBB73_68
.LBB73_66:
                                        ; implicit-def: $sgpr10
.LBB73_67:
	v_lshl_add_u64 v[62:63], v[58:59], 0, v[82:83]
	flat_load_dword v61, v[62:63]
	v_lshl_add_u64 v[62:63], v[56:57], 0, v[82:83]
	s_waitcnt vmcnt(0) lgkmcnt(0)
	v_mul_f32_e32 v61, s12, v61
	v_min_f32_e32 v60, v61, v60
	global_store_dword v[62:63], v60, off
	v_lshl_add_u64 v[60:61], v[70:71], 2, v[58:59]
	flat_load_dword v60, v[60:61]
	s_waitcnt vmcnt(0) lgkmcnt(0)
	v_mul_f32_e32 v60, s12, v60
.LBB73_68:
	v_pk_add_f32 v[62:63], v[12:13], v[52:53]
	s_mov_b64 vcc, s[4:5]
	v_min3_f32 v61, v62, v63, v129
	v_pk_add_f32 v[62:63], v[8:9], v[52:53]
	s_nop 0
	v_min3_f32 v88, v62, v63, v130
	v_pk_add_f32 v[62:63], v[14:15], v[54:55]
	s_nop 0
	v_min_f32_e32 v89, v62, v63
	v_pk_add_f32 v[62:63], v[10:11], v[54:55]
	s_nop 0
	v_min3_f32 v62, v62, v63, v88
	v_min3_f32 v63, v60, v89, v61
	v_lshl_add_u64 v[60:61], v[70:71], 2, v[56:57]
	global_store_dword v[60:61], v63, off
	v_max_f32_e32 v60, v62, v62
	s_cbranch_vccz .LBB73_71
; %bb.69:
	v_min_f32_e32 v61, 0, v60
	v_lshl_add_u64 v[62:63], v[84:85], 2, v[56:57]
	s_mov_b32 s10, 0
	global_store_dword v[62:63], v61, off
	s_cbranch_execz .LBB73_72
; %bb.70:
	v_mov_b32_e32 v58, s10
	s_branch .LBB73_73
.LBB73_71:
                                        ; implicit-def: $sgpr10
.LBB73_72:
	v_lshl_add_u64 v[62:63], v[58:59], 0, v[86:87]
	flat_load_dword v61, v[62:63]
	v_lshl_add_u64 v[62:63], v[56:57], 0, v[86:87]
	v_lshl_add_u64 v[58:59], v[76:77], 2, v[58:59]
	s_waitcnt vmcnt(0) lgkmcnt(0)
	v_mul_f32_e32 v61, s12, v61
	v_min_f32_e32 v60, v61, v60
	global_store_dword v[62:63], v60, off
	flat_load_dword v58, v[58:59]
	s_waitcnt vmcnt(0) lgkmcnt(0)
	v_mul_f32_e32 v58, s12, v58
.LBB73_73:
	v_pk_add_f32 v[52:53], v[0:1], v[52:53]
	s_mov_b64 vcc, s[4:5]
	v_min3_f32 v59, v52, v53, v135
	v_pk_add_f32 v[52:53], v[32:33], v[48:49]
	s_nop 0
	v_min3_f32 v60, v52, v53, v138
	v_pk_add_f32 v[52:53], v[2:3], v[54:55]
	s_nop 0
	v_min_f32_e32 v54, v52, v53
	v_pk_add_f32 v[52:53], v[34:35], v[50:51]
	v_min3_f32 v54, v58, v54, v59
	v_min3_f32 v60, v52, v53, v60
	v_lshl_add_u64 v[52:53], v[76:77], 2, v[56:57]
	global_store_dword v[52:53], v54, off
	v_add_u32_e32 v54, 0x60, v150
	v_mad_i64_i32 v[52:53], s[2:3], v54, s9, 0
	v_lshl_add_u64 v[52:53], v[52:53], 2, s[0:1]
	v_mad_i64_i32 v[54:55], s[2:3], v54, s8, 0
	v_max_f32_e32 v56, v60, v60
	s_cbranch_vccz .LBB73_76
; %bb.74:
	v_min_f32_e32 v57, 0, v56
	v_lshl_add_u64 v[58:59], v[68:69], 2, v[52:53]
	s_mov_b32 s10, 0
	global_store_dword v[58:59], v57, off
	v_lshl_add_u64 v[54:55], v[54:55], 2, s[6:7]
	s_cbranch_execz .LBB73_77
; %bb.75:
	v_mov_b32_e32 v56, s10
	s_branch .LBB73_78
.LBB73_76:
                                        ; implicit-def: $sgpr10
	v_lshl_add_u64 v[54:55], v[54:55], 2, s[6:7]
.LBB73_77:
	v_lshl_add_u64 v[58:59], v[54:55], 0, v[72:73]
	flat_load_dword v57, v[58:59]
	v_lshl_add_u64 v[58:59], v[52:53], 0, v[72:73]
	s_waitcnt vmcnt(0) lgkmcnt(0)
	v_mul_f32_e32 v57, s12, v57
	v_min_f32_e32 v56, v57, v56
	global_store_dword v[58:59], v56, off
	v_lshl_add_u64 v[56:57], v[64:65], 2, v[54:55]
	flat_load_dword v56, v[56:57]
	s_waitcnt vmcnt(0) lgkmcnt(0)
	v_mul_f32_e32 v56, s12, v56
.LBB73_78:
	v_pk_add_f32 v[58:59], v[28:29], v[48:49]
	s_mov_b64 vcc, s[4:5]
	v_min3_f32 v57, v58, v59, v131
	v_pk_add_f32 v[58:59], v[24:25], v[48:49]
	s_nop 0
	v_min3_f32 v60, v58, v59, v132
	v_pk_add_f32 v[58:59], v[30:31], v[50:51]
	s_nop 0
	v_min_f32_e32 v61, v58, v59
	v_pk_add_f32 v[58:59], v[26:27], v[50:51]
	s_nop 0
	v_min3_f32 v58, v58, v59, v60
	v_min3_f32 v59, v56, v61, v57
	v_lshl_add_u64 v[56:57], v[64:65], 2, v[52:53]
	global_store_dword v[56:57], v59, off
	v_max_f32_e32 v56, v58, v58
	s_cbranch_vccz .LBB73_81
; %bb.79:
	v_min_f32_e32 v57, 0, v56
	v_lshl_add_u64 v[58:59], v[74:75], 2, v[52:53]
	s_mov_b32 s10, 0
	global_store_dword v[58:59], v57, off
	s_cbranch_execz .LBB73_82
; %bb.80:
	v_mov_b32_e32 v56, s10
	s_branch .LBB73_83
.LBB73_81:
                                        ; implicit-def: $sgpr10
.LBB73_82:
	v_lshl_add_u64 v[58:59], v[54:55], 0, v[78:79]
	flat_load_dword v57, v[58:59]
	v_lshl_add_u64 v[58:59], v[52:53], 0, v[78:79]
	s_waitcnt vmcnt(0) lgkmcnt(0)
	v_mul_f32_e32 v57, s12, v57
	v_min_f32_e32 v56, v57, v56
	global_store_dword v[58:59], v56, off
	v_lshl_add_u64 v[56:57], v[66:67], 2, v[54:55]
	flat_load_dword v56, v[56:57]
	s_waitcnt vmcnt(0) lgkmcnt(0)
	v_mul_f32_e32 v56, s12, v56
.LBB73_83:
	v_pk_add_f32 v[58:59], v[20:21], v[48:49]
	s_mov_b64 vcc, s[4:5]
	v_min3_f32 v57, v58, v59, v127
	v_pk_add_f32 v[58:59], v[16:17], v[48:49]
	s_nop 0
	v_min3_f32 v60, v58, v59, v128
	v_pk_add_f32 v[58:59], v[22:23], v[50:51]
	s_nop 0
	v_min_f32_e32 v61, v58, v59
	v_pk_add_f32 v[58:59], v[18:19], v[50:51]
	s_nop 0
	v_min3_f32 v58, v58, v59, v60
	v_min3_f32 v59, v56, v61, v57
	v_lshl_add_u64 v[56:57], v[66:67], 2, v[52:53]
	global_store_dword v[56:57], v59, off
	v_max_f32_e32 v56, v58, v58
	s_cbranch_vccz .LBB73_86
; %bb.84:
	v_min_f32_e32 v57, 0, v56
	v_lshl_add_u64 v[58:59], v[80:81], 2, v[52:53]
	s_mov_b32 s10, 0
	global_store_dword v[58:59], v57, off
	s_cbranch_execz .LBB73_87
; %bb.85:
	v_mov_b32_e32 v56, s10
	s_branch .LBB73_88
.LBB73_86:
                                        ; implicit-def: $sgpr10
.LBB73_87:
	v_lshl_add_u64 v[58:59], v[54:55], 0, v[82:83]
	flat_load_dword v57, v[58:59]
	v_lshl_add_u64 v[58:59], v[52:53], 0, v[82:83]
	s_waitcnt vmcnt(0) lgkmcnt(0)
	v_mul_f32_e32 v57, s12, v57
	v_min_f32_e32 v56, v57, v56
	global_store_dword v[58:59], v56, off
	v_lshl_add_u64 v[56:57], v[70:71], 2, v[54:55]
	flat_load_dword v56, v[56:57]
	s_waitcnt vmcnt(0) lgkmcnt(0)
	v_mul_f32_e32 v56, s12, v56
.LBB73_88:
	v_pk_add_f32 v[58:59], v[12:13], v[48:49]
	s_mov_b64 vcc, s[4:5]
	v_min3_f32 v57, v58, v59, v125
	v_pk_add_f32 v[58:59], v[8:9], v[48:49]
	s_nop 0
	v_min3_f32 v60, v58, v59, v126
	v_pk_add_f32 v[58:59], v[14:15], v[50:51]
	s_nop 0
	v_min_f32_e32 v61, v58, v59
	v_pk_add_f32 v[58:59], v[10:11], v[50:51]
	s_nop 0
	v_min3_f32 v58, v58, v59, v60
	v_min3_f32 v59, v56, v61, v57
	v_lshl_add_u64 v[56:57], v[70:71], 2, v[52:53]
	global_store_dword v[56:57], v59, off
	v_max_f32_e32 v56, v58, v58
	s_cbranch_vccz .LBB73_91
; %bb.89:
	v_min_f32_e32 v57, 0, v56
	v_lshl_add_u64 v[58:59], v[84:85], 2, v[52:53]
	s_mov_b32 s10, 0
	global_store_dword v[58:59], v57, off
	s_cbranch_execz .LBB73_92
; %bb.90:
	v_mov_b32_e32 v54, s10
	s_branch .LBB73_93
.LBB73_91:
                                        ; implicit-def: $sgpr10
.LBB73_92:
	v_lshl_add_u64 v[58:59], v[54:55], 0, v[86:87]
	flat_load_dword v57, v[58:59]
	v_lshl_add_u64 v[58:59], v[52:53], 0, v[86:87]
	v_lshl_add_u64 v[54:55], v[76:77], 2, v[54:55]
	s_waitcnt vmcnt(0) lgkmcnt(0)
	v_mul_f32_e32 v57, s12, v57
	v_min_f32_e32 v56, v57, v56
	global_store_dword v[58:59], v56, off
	flat_load_dword v54, v[54:55]
	s_waitcnt vmcnt(0) lgkmcnt(0)
	v_mul_f32_e32 v54, s12, v54
.LBB73_93:
	v_pk_add_f32 v[48:49], v[0:1], v[48:49]
	s_mov_b64 vcc, s[4:5]
	v_min3_f32 v55, v48, v49, v123
	v_pk_add_f32 v[48:49], v[32:33], v[44:45]
	s_nop 0
	v_min3_f32 v56, v48, v49, v124
	v_pk_add_f32 v[48:49], v[2:3], v[50:51]
	s_nop 0
	v_min_f32_e32 v50, v48, v49
	v_pk_add_f32 v[48:49], v[34:35], v[46:47]
	v_min3_f32 v50, v54, v50, v55
	v_min3_f32 v56, v48, v49, v56
	v_lshl_add_u64 v[48:49], v[76:77], 2, v[52:53]
	global_store_dword v[48:49], v50, off
	v_add_u32_e32 v50, 0x80, v150
	v_mad_i64_i32 v[48:49], s[2:3], v50, s9, 0
	v_lshl_add_u64 v[48:49], v[48:49], 2, s[0:1]
	v_mad_i64_i32 v[50:51], s[2:3], v50, s8, 0
	v_max_f32_e32 v52, v56, v56
	s_cbranch_vccz .LBB73_96
; %bb.94:
	v_min_f32_e32 v53, 0, v52
	v_lshl_add_u64 v[54:55], v[68:69], 2, v[48:49]
	s_mov_b32 s10, 0
	global_store_dword v[54:55], v53, off
	v_lshl_add_u64 v[50:51], v[50:51], 2, s[6:7]
	s_cbranch_execz .LBB73_97
; %bb.95:
	v_mov_b32_e32 v52, s10
	s_branch .LBB73_98
.LBB73_96:
                                        ; implicit-def: $sgpr10
	v_lshl_add_u64 v[50:51], v[50:51], 2, s[6:7]
.LBB73_97:
	v_lshl_add_u64 v[54:55], v[50:51], 0, v[72:73]
	flat_load_dword v53, v[54:55]
	v_lshl_add_u64 v[54:55], v[48:49], 0, v[72:73]
	s_waitcnt vmcnt(0) lgkmcnt(0)
	v_mul_f32_e32 v53, s12, v53
	v_min_f32_e32 v52, v53, v52
	global_store_dword v[54:55], v52, off
	v_lshl_add_u64 v[52:53], v[64:65], 2, v[50:51]
	flat_load_dword v52, v[52:53]
	s_waitcnt vmcnt(0) lgkmcnt(0)
	v_mul_f32_e32 v52, s12, v52
.LBB73_98:
	v_pk_add_f32 v[54:55], v[28:29], v[44:45]
	s_mov_b64 vcc, s[4:5]
	v_min3_f32 v53, v54, v55, v121
	v_pk_add_f32 v[54:55], v[24:25], v[44:45]
	s_nop 0
	v_min3_f32 v56, v54, v55, v122
	v_pk_add_f32 v[54:55], v[30:31], v[46:47]
	s_nop 0
	v_min_f32_e32 v57, v54, v55
	v_pk_add_f32 v[54:55], v[26:27], v[46:47]
	s_nop 0
	v_min3_f32 v54, v54, v55, v56
	v_min3_f32 v55, v52, v57, v53
	v_lshl_add_u64 v[52:53], v[64:65], 2, v[48:49]
	global_store_dword v[52:53], v55, off
	v_max_f32_e32 v52, v54, v54
	s_cbranch_vccz .LBB73_101
; %bb.99:
	v_min_f32_e32 v53, 0, v52
	v_lshl_add_u64 v[54:55], v[74:75], 2, v[48:49]
	s_mov_b32 s10, 0
	global_store_dword v[54:55], v53, off
	s_cbranch_execz .LBB73_102
; %bb.100:
	v_mov_b32_e32 v52, s10
	s_branch .LBB73_103
.LBB73_101:
                                        ; implicit-def: $sgpr10
.LBB73_102:
	v_lshl_add_u64 v[54:55], v[50:51], 0, v[78:79]
	flat_load_dword v53, v[54:55]
	v_lshl_add_u64 v[54:55], v[48:49], 0, v[78:79]
	s_waitcnt vmcnt(0) lgkmcnt(0)
	v_mul_f32_e32 v53, s12, v53
	v_min_f32_e32 v52, v53, v52
	global_store_dword v[54:55], v52, off
	v_lshl_add_u64 v[52:53], v[66:67], 2, v[50:51]
	flat_load_dword v52, v[52:53]
	s_waitcnt vmcnt(0) lgkmcnt(0)
	v_mul_f32_e32 v52, s12, v52
.LBB73_103:
	v_pk_add_f32 v[54:55], v[20:21], v[44:45]
	s_mov_b64 vcc, s[4:5]
	v_min3_f32 v53, v54, v55, v119
	v_pk_add_f32 v[54:55], v[16:17], v[44:45]
	s_nop 0
	v_min3_f32 v56, v54, v55, v120
	v_pk_add_f32 v[54:55], v[22:23], v[46:47]
	s_nop 0
	v_min_f32_e32 v57, v54, v55
	v_pk_add_f32 v[54:55], v[18:19], v[46:47]
	s_nop 0
	v_min3_f32 v54, v54, v55, v56
	v_min3_f32 v55, v52, v57, v53
	v_lshl_add_u64 v[52:53], v[66:67], 2, v[48:49]
	global_store_dword v[52:53], v55, off
	v_max_f32_e32 v52, v54, v54
	s_cbranch_vccz .LBB73_106
; %bb.104:
	v_min_f32_e32 v53, 0, v52
	v_lshl_add_u64 v[54:55], v[80:81], 2, v[48:49]
	s_mov_b32 s10, 0
	global_store_dword v[54:55], v53, off
	s_cbranch_execz .LBB73_107
; %bb.105:
	v_mov_b32_e32 v52, s10
	s_branch .LBB73_108
.LBB73_106:
                                        ; implicit-def: $sgpr10
.LBB73_107:
	v_lshl_add_u64 v[54:55], v[50:51], 0, v[82:83]
	flat_load_dword v53, v[54:55]
	v_lshl_add_u64 v[54:55], v[48:49], 0, v[82:83]
	s_waitcnt vmcnt(0) lgkmcnt(0)
	v_mul_f32_e32 v53, s12, v53
	v_min_f32_e32 v52, v53, v52
	global_store_dword v[54:55], v52, off
	v_lshl_add_u64 v[52:53], v[70:71], 2, v[50:51]
	flat_load_dword v52, v[52:53]
	s_waitcnt vmcnt(0) lgkmcnt(0)
	v_mul_f32_e32 v52, s12, v52
.LBB73_108:
	v_pk_add_f32 v[54:55], v[12:13], v[44:45]
	s_mov_b64 vcc, s[4:5]
	v_min3_f32 v53, v54, v55, v117
	v_pk_add_f32 v[54:55], v[8:9], v[44:45]
	s_nop 0
	v_min3_f32 v56, v54, v55, v118
	v_pk_add_f32 v[54:55], v[14:15], v[46:47]
	s_nop 0
	v_min_f32_e32 v57, v54, v55
	v_pk_add_f32 v[54:55], v[10:11], v[46:47]
	s_nop 0
	v_min3_f32 v54, v54, v55, v56
	v_min3_f32 v55, v52, v57, v53
	v_lshl_add_u64 v[52:53], v[70:71], 2, v[48:49]
	global_store_dword v[52:53], v55, off
	v_max_f32_e32 v52, v54, v54
	s_cbranch_vccz .LBB73_111
; %bb.109:
	v_min_f32_e32 v53, 0, v52
	v_lshl_add_u64 v[54:55], v[84:85], 2, v[48:49]
	s_mov_b32 s10, 0
	global_store_dword v[54:55], v53, off
	s_cbranch_execz .LBB73_112
; %bb.110:
	v_mov_b32_e32 v50, s10
	s_branch .LBB73_113
.LBB73_111:
                                        ; implicit-def: $sgpr10
.LBB73_112:
	v_lshl_add_u64 v[54:55], v[50:51], 0, v[86:87]
	flat_load_dword v53, v[54:55]
	v_lshl_add_u64 v[54:55], v[48:49], 0, v[86:87]
	v_lshl_add_u64 v[50:51], v[76:77], 2, v[50:51]
	s_waitcnt vmcnt(0) lgkmcnt(0)
	v_mul_f32_e32 v53, s12, v53
	v_min_f32_e32 v52, v53, v52
	global_store_dword v[54:55], v52, off
	flat_load_dword v50, v[50:51]
	s_waitcnt vmcnt(0) lgkmcnt(0)
	v_mul_f32_e32 v50, s12, v50
.LBB73_113:
	v_pk_add_f32 v[44:45], v[0:1], v[44:45]
	s_mov_b64 vcc, s[4:5]
	v_min3_f32 v51, v44, v45, v115
	v_pk_add_f32 v[44:45], v[32:33], v[40:41]
	s_nop 0
	v_min3_f32 v52, v44, v45, v116
	v_pk_add_f32 v[44:45], v[2:3], v[46:47]
	s_nop 0
	v_min_f32_e32 v46, v44, v45
	v_pk_add_f32 v[44:45], v[34:35], v[42:43]
	v_min3_f32 v46, v50, v46, v51
	v_min3_f32 v52, v44, v45, v52
	v_lshl_add_u64 v[44:45], v[76:77], 2, v[48:49]
	global_store_dword v[44:45], v46, off
	v_add_u32_e32 v46, 0xa0, v150
	v_mad_i64_i32 v[44:45], s[2:3], v46, s9, 0
	v_lshl_add_u64 v[44:45], v[44:45], 2, s[0:1]
	v_mad_i64_i32 v[46:47], s[2:3], v46, s8, 0
	v_max_f32_e32 v48, v52, v52
	s_cbranch_vccz .LBB73_116
; %bb.114:
	v_min_f32_e32 v49, 0, v48
	v_lshl_add_u64 v[50:51], v[68:69], 2, v[44:45]
	s_mov_b32 s10, 0
	global_store_dword v[50:51], v49, off
	v_lshl_add_u64 v[46:47], v[46:47], 2, s[6:7]
	s_cbranch_execz .LBB73_117
; %bb.115:
	v_mov_b32_e32 v48, s10
	s_branch .LBB73_118
.LBB73_116:
                                        ; implicit-def: $sgpr10
	v_lshl_add_u64 v[46:47], v[46:47], 2, s[6:7]
.LBB73_117:
	v_lshl_add_u64 v[50:51], v[46:47], 0, v[72:73]
	flat_load_dword v49, v[50:51]
	v_lshl_add_u64 v[50:51], v[44:45], 0, v[72:73]
	s_waitcnt vmcnt(0) lgkmcnt(0)
	v_mul_f32_e32 v49, s12, v49
	v_min_f32_e32 v48, v49, v48
	global_store_dword v[50:51], v48, off
	v_lshl_add_u64 v[48:49], v[64:65], 2, v[46:47]
	flat_load_dword v48, v[48:49]
	s_waitcnt vmcnt(0) lgkmcnt(0)
	v_mul_f32_e32 v48, s12, v48
.LBB73_118:
	v_pk_add_f32 v[50:51], v[28:29], v[40:41]
	s_mov_b64 vcc, s[4:5]
	v_min3_f32 v49, v50, v51, v113
	v_pk_add_f32 v[50:51], v[24:25], v[40:41]
	s_nop 0
	v_min3_f32 v52, v50, v51, v114
	v_pk_add_f32 v[50:51], v[30:31], v[42:43]
	s_nop 0
	v_min_f32_e32 v53, v50, v51
	v_pk_add_f32 v[50:51], v[26:27], v[42:43]
	s_nop 0
	v_min3_f32 v50, v50, v51, v52
	v_min3_f32 v51, v48, v53, v49
	v_lshl_add_u64 v[48:49], v[64:65], 2, v[44:45]
	global_store_dword v[48:49], v51, off
	v_max_f32_e32 v48, v50, v50
	s_cbranch_vccz .LBB73_121
; %bb.119:
	v_min_f32_e32 v49, 0, v48
	v_lshl_add_u64 v[50:51], v[74:75], 2, v[44:45]
	s_mov_b32 s10, 0
	global_store_dword v[50:51], v49, off
	s_cbranch_execz .LBB73_122
; %bb.120:
	v_mov_b32_e32 v48, s10
	s_branch .LBB73_123
.LBB73_121:
                                        ; implicit-def: $sgpr10
.LBB73_122:
	v_lshl_add_u64 v[50:51], v[46:47], 0, v[78:79]
	flat_load_dword v49, v[50:51]
	v_lshl_add_u64 v[50:51], v[44:45], 0, v[78:79]
	s_waitcnt vmcnt(0) lgkmcnt(0)
	v_mul_f32_e32 v49, s12, v49
	v_min_f32_e32 v48, v49, v48
	global_store_dword v[50:51], v48, off
	v_lshl_add_u64 v[48:49], v[66:67], 2, v[46:47]
	flat_load_dword v48, v[48:49]
	s_waitcnt vmcnt(0) lgkmcnt(0)
	v_mul_f32_e32 v48, s12, v48
.LBB73_123:
	v_pk_add_f32 v[50:51], v[20:21], v[40:41]
	s_mov_b64 vcc, s[4:5]
	v_min3_f32 v49, v50, v51, v111
	v_pk_add_f32 v[50:51], v[16:17], v[40:41]
	s_nop 0
	v_min3_f32 v52, v50, v51, v112
	v_pk_add_f32 v[50:51], v[22:23], v[42:43]
	s_nop 0
	v_min_f32_e32 v53, v50, v51
	v_pk_add_f32 v[50:51], v[18:19], v[42:43]
	s_nop 0
	v_min3_f32 v50, v50, v51, v52
	v_min3_f32 v51, v48, v53, v49
	v_lshl_add_u64 v[48:49], v[66:67], 2, v[44:45]
	global_store_dword v[48:49], v51, off
	v_max_f32_e32 v48, v50, v50
	s_cbranch_vccz .LBB73_126
; %bb.124:
	v_min_f32_e32 v49, 0, v48
	v_lshl_add_u64 v[50:51], v[80:81], 2, v[44:45]
	s_mov_b32 s10, 0
	global_store_dword v[50:51], v49, off
	s_cbranch_execz .LBB73_127
; %bb.125:
	v_mov_b32_e32 v48, s10
	s_branch .LBB73_128
.LBB73_126:
                                        ; implicit-def: $sgpr10
.LBB73_127:
	v_lshl_add_u64 v[50:51], v[46:47], 0, v[82:83]
	flat_load_dword v49, v[50:51]
	v_lshl_add_u64 v[50:51], v[44:45], 0, v[82:83]
	s_waitcnt vmcnt(0) lgkmcnt(0)
	v_mul_f32_e32 v49, s12, v49
	v_min_f32_e32 v48, v49, v48
	global_store_dword v[50:51], v48, off
	v_lshl_add_u64 v[48:49], v[70:71], 2, v[46:47]
	flat_load_dword v48, v[48:49]
	s_waitcnt vmcnt(0) lgkmcnt(0)
	v_mul_f32_e32 v48, s12, v48
.LBB73_128:
	v_pk_add_f32 v[50:51], v[12:13], v[40:41]
	s_mov_b64 vcc, s[4:5]
	v_min3_f32 v49, v50, v51, v109
	v_pk_add_f32 v[50:51], v[8:9], v[40:41]
	s_nop 0
	v_min3_f32 v52, v50, v51, v110
	v_pk_add_f32 v[50:51], v[14:15], v[42:43]
	s_nop 0
	v_min_f32_e32 v53, v50, v51
	v_pk_add_f32 v[50:51], v[10:11], v[42:43]
	s_nop 0
	v_min3_f32 v50, v50, v51, v52
	v_min3_f32 v51, v48, v53, v49
	v_lshl_add_u64 v[48:49], v[70:71], 2, v[44:45]
	global_store_dword v[48:49], v51, off
	v_max_f32_e32 v48, v50, v50
	s_cbranch_vccz .LBB73_131
; %bb.129:
	v_min_f32_e32 v49, 0, v48
	v_lshl_add_u64 v[50:51], v[84:85], 2, v[44:45]
	s_mov_b32 s10, 0
	global_store_dword v[50:51], v49, off
	s_cbranch_execz .LBB73_132
; %bb.130:
	v_mov_b32_e32 v46, s10
	s_branch .LBB73_133
.LBB73_131:
                                        ; implicit-def: $sgpr10
.LBB73_132:
	v_lshl_add_u64 v[50:51], v[46:47], 0, v[86:87]
	flat_load_dword v49, v[50:51]
	v_lshl_add_u64 v[50:51], v[44:45], 0, v[86:87]
	v_lshl_add_u64 v[46:47], v[76:77], 2, v[46:47]
	s_waitcnt vmcnt(0) lgkmcnt(0)
	v_mul_f32_e32 v49, s12, v49
	v_min_f32_e32 v48, v49, v48
	global_store_dword v[50:51], v48, off
	flat_load_dword v46, v[46:47]
	s_waitcnt vmcnt(0) lgkmcnt(0)
	v_mul_f32_e32 v46, s12, v46
.LBB73_133:
	v_pk_add_f32 v[40:41], v[0:1], v[40:41]
	s_mov_b64 vcc, s[4:5]
	v_min3_f32 v47, v40, v41, v107
	v_pk_add_f32 v[40:41], v[32:33], v[36:37]
	s_nop 0
	v_min3_f32 v48, v40, v41, v108
	v_pk_add_f32 v[40:41], v[2:3], v[42:43]
	s_nop 0
	v_min_f32_e32 v42, v40, v41
	v_pk_add_f32 v[40:41], v[34:35], v[38:39]
	v_min3_f32 v42, v46, v42, v47
	v_min3_f32 v48, v40, v41, v48
	v_lshl_add_u64 v[40:41], v[76:77], 2, v[44:45]
	global_store_dword v[40:41], v42, off
	v_add_u32_e32 v42, 0xc0, v150
	v_mad_i64_i32 v[40:41], s[2:3], v42, s9, 0
	v_lshl_add_u64 v[40:41], v[40:41], 2, s[0:1]
	v_mad_i64_i32 v[42:43], s[2:3], v42, s8, 0
	v_max_f32_e32 v44, v48, v48
	s_cbranch_vccz .LBB73_136
; %bb.134:
	v_min_f32_e32 v45, 0, v44
	v_lshl_add_u64 v[46:47], v[68:69], 2, v[40:41]
	s_mov_b32 s10, 0
	global_store_dword v[46:47], v45, off
	v_lshl_add_u64 v[42:43], v[42:43], 2, s[6:7]
	s_cbranch_execz .LBB73_137
; %bb.135:
	v_mov_b32_e32 v44, s10
	s_branch .LBB73_138
.LBB73_136:
                                        ; implicit-def: $sgpr10
	v_lshl_add_u64 v[42:43], v[42:43], 2, s[6:7]
.LBB73_137:
	v_lshl_add_u64 v[46:47], v[42:43], 0, v[72:73]
	flat_load_dword v45, v[46:47]
	v_lshl_add_u64 v[46:47], v[40:41], 0, v[72:73]
	s_waitcnt vmcnt(0) lgkmcnt(0)
	v_mul_f32_e32 v45, s12, v45
	v_min_f32_e32 v44, v45, v44
	global_store_dword v[46:47], v44, off
	v_lshl_add_u64 v[44:45], v[64:65], 2, v[42:43]
	flat_load_dword v44, v[44:45]
	s_waitcnt vmcnt(0) lgkmcnt(0)
	v_mul_f32_e32 v44, s12, v44
.LBB73_138:
	v_pk_add_f32 v[46:47], v[28:29], v[36:37]
	s_mov_b64 vcc, s[4:5]
	v_min3_f32 v45, v46, v47, v105
	v_pk_add_f32 v[46:47], v[24:25], v[36:37]
	s_nop 0
	v_min3_f32 v48, v46, v47, v106
	v_pk_add_f32 v[46:47], v[30:31], v[38:39]
	s_nop 0
	v_min_f32_e32 v49, v46, v47
	v_pk_add_f32 v[46:47], v[26:27], v[38:39]
	s_nop 0
	v_min3_f32 v46, v46, v47, v48
	v_min3_f32 v47, v44, v49, v45
	v_lshl_add_u64 v[44:45], v[64:65], 2, v[40:41]
	global_store_dword v[44:45], v47, off
	v_max_f32_e32 v44, v46, v46
	s_cbranch_vccz .LBB73_141
; %bb.139:
	v_min_f32_e32 v45, 0, v44
	v_lshl_add_u64 v[46:47], v[74:75], 2, v[40:41]
	s_mov_b32 s10, 0
	global_store_dword v[46:47], v45, off
	s_cbranch_execz .LBB73_142
; %bb.140:
	v_mov_b32_e32 v44, s10
	s_branch .LBB73_143
.LBB73_141:
                                        ; implicit-def: $sgpr10
.LBB73_142:
	v_lshl_add_u64 v[46:47], v[42:43], 0, v[78:79]
	flat_load_dword v45, v[46:47]
	v_lshl_add_u64 v[46:47], v[40:41], 0, v[78:79]
	s_waitcnt vmcnt(0) lgkmcnt(0)
	v_mul_f32_e32 v45, s12, v45
	v_min_f32_e32 v44, v45, v44
	global_store_dword v[46:47], v44, off
	v_lshl_add_u64 v[44:45], v[66:67], 2, v[42:43]
	flat_load_dword v44, v[44:45]
	s_waitcnt vmcnt(0) lgkmcnt(0)
	v_mul_f32_e32 v44, s12, v44
.LBB73_143:
	v_pk_add_f32 v[46:47], v[20:21], v[36:37]
	s_mov_b64 vcc, s[4:5]
	v_min3_f32 v45, v46, v47, v103
	v_pk_add_f32 v[46:47], v[16:17], v[36:37]
	s_nop 0
	v_min3_f32 v48, v46, v47, v104
	v_pk_add_f32 v[46:47], v[22:23], v[38:39]
	s_nop 0
	v_min_f32_e32 v49, v46, v47
	v_pk_add_f32 v[46:47], v[18:19], v[38:39]
	s_nop 0
	v_min3_f32 v46, v46, v47, v48
	v_min3_f32 v47, v44, v49, v45
	v_lshl_add_u64 v[44:45], v[66:67], 2, v[40:41]
	global_store_dword v[44:45], v47, off
	v_max_f32_e32 v44, v46, v46
	s_cbranch_vccz .LBB73_146
; %bb.144:
	v_min_f32_e32 v45, 0, v44
	v_lshl_add_u64 v[46:47], v[80:81], 2, v[40:41]
	s_mov_b32 s10, 0
	global_store_dword v[46:47], v45, off
	s_cbranch_execz .LBB73_147
; %bb.145:
	v_mov_b32_e32 v44, s10
	s_branch .LBB73_148
.LBB73_146:
                                        ; implicit-def: $sgpr10
.LBB73_147:
	v_lshl_add_u64 v[46:47], v[42:43], 0, v[82:83]
	flat_load_dword v45, v[46:47]
	v_lshl_add_u64 v[46:47], v[40:41], 0, v[82:83]
	s_waitcnt vmcnt(0) lgkmcnt(0)
	v_mul_f32_e32 v45, s12, v45
	v_min_f32_e32 v44, v45, v44
	global_store_dword v[46:47], v44, off
	v_lshl_add_u64 v[44:45], v[70:71], 2, v[42:43]
	flat_load_dword v44, v[44:45]
	s_waitcnt vmcnt(0) lgkmcnt(0)
	v_mul_f32_e32 v44, s12, v44
.LBB73_148:
	v_pk_add_f32 v[46:47], v[12:13], v[36:37]
	s_mov_b64 vcc, s[4:5]
	v_min3_f32 v45, v46, v47, v101
	v_pk_add_f32 v[46:47], v[8:9], v[36:37]
	s_nop 0
	v_min3_f32 v48, v46, v47, v102
	v_pk_add_f32 v[46:47], v[14:15], v[38:39]
	s_nop 0
	v_min_f32_e32 v49, v46, v47
	v_pk_add_f32 v[46:47], v[10:11], v[38:39]
	s_nop 0
	v_min3_f32 v46, v46, v47, v48
	v_min3_f32 v47, v44, v49, v45
	v_lshl_add_u64 v[44:45], v[70:71], 2, v[40:41]
	global_store_dword v[44:45], v47, off
	v_max_f32_e32 v44, v46, v46
	s_cbranch_vccz .LBB73_151
; %bb.149:
	v_min_f32_e32 v45, 0, v44
	v_lshl_add_u64 v[46:47], v[84:85], 2, v[40:41]
	s_mov_b32 s10, 0
	global_store_dword v[46:47], v45, off
	s_cbranch_execz .LBB73_152
; %bb.150:
	v_mov_b32_e32 v42, s10
	s_branch .LBB73_153
.LBB73_151:
                                        ; implicit-def: $sgpr10
.LBB73_152:
	v_lshl_add_u64 v[46:47], v[42:43], 0, v[86:87]
	flat_load_dword v45, v[46:47]
	v_lshl_add_u64 v[46:47], v[40:41], 0, v[86:87]
	v_lshl_add_u64 v[42:43], v[76:77], 2, v[42:43]
	s_waitcnt vmcnt(0) lgkmcnt(0)
	v_mul_f32_e32 v45, s12, v45
	v_min_f32_e32 v44, v45, v44
	global_store_dword v[46:47], v44, off
	flat_load_dword v42, v[42:43]
	s_waitcnt vmcnt(0) lgkmcnt(0)
	v_mul_f32_e32 v42, s12, v42
.LBB73_153:
	v_pk_add_f32 v[36:37], v[0:1], v[36:37]
	s_waitcnt lgkmcnt(0)
	v_pk_add_f32 v[32:33], v[32:33], v[4:5]
	v_min3_f32 v36, v36, v37, v99
	v_min3_f32 v37, v32, v33, v100
	v_pk_add_f32 v[32:33], v[2:3], v[38:39]
	s_mov_b64 vcc, s[4:5]
	v_min_f32_e32 v38, v32, v33
	v_pk_add_f32 v[32:33], v[34:35], v[6:7]
	v_min3_f32 v34, v42, v38, v36
	v_min3_f32 v37, v32, v33, v37
	v_lshl_add_u64 v[32:33], v[76:77], 2, v[40:41]
	global_store_dword v[32:33], v34, off
	v_add_u32_e32 v34, 0xe0, v150
	v_mad_i64_i32 v[32:33], s[2:3], v34, s9, 0
	v_lshl_add_u64 v[32:33], v[32:33], 2, s[0:1]
	v_mad_i64_i32 v[34:35], s[0:1], v34, s8, 0
	v_max_f32_e32 v36, v37, v37
	s_cbranch_vccz .LBB73_156
; %bb.154:
	v_min_f32_e32 v37, 0, v36
	v_lshl_add_u64 v[38:39], v[68:69], 2, v[32:33]
	s_mov_b32 s2, 0
	global_store_dword v[38:39], v37, off
	v_lshl_add_u64 v[34:35], v[34:35], 2, s[6:7]
	s_cbranch_execz .LBB73_157
; %bb.155:
	v_mov_b32_e32 v36, s2
	s_branch .LBB73_158
.LBB73_156:
                                        ; implicit-def: $sgpr2
	v_lshl_add_u64 v[34:35], v[34:35], 2, s[6:7]
.LBB73_157:
	v_lshl_add_u64 v[38:39], v[34:35], 0, v[72:73]
	flat_load_dword v37, v[38:39]
	v_lshl_add_u64 v[38:39], v[32:33], 0, v[72:73]
	s_waitcnt vmcnt(0) lgkmcnt(0)
	v_mul_f32_e32 v37, s12, v37
	v_min_f32_e32 v36, v37, v36
	global_store_dword v[38:39], v36, off
	v_lshl_add_u64 v[36:37], v[64:65], 2, v[34:35]
	flat_load_dword v36, v[36:37]
	s_waitcnt vmcnt(0) lgkmcnt(0)
	v_mul_f32_e32 v36, s12, v36
.LBB73_158:
	v_pk_add_f32 v[28:29], v[28:29], v[4:5]
	v_pk_add_f32 v[24:25], v[24:25], v[4:5]
	v_min3_f32 v28, v28, v29, v96
	v_min3_f32 v29, v24, v25, v97
	v_pk_add_f32 v[24:25], v[30:31], v[6:7]
	s_mov_b64 vcc, s[4:5]
	v_min_f32_e32 v30, v24, v25
	v_pk_add_f32 v[24:25], v[26:27], v[6:7]
	v_min3_f32 v27, v36, v30, v28
	v_min3_f32 v26, v24, v25, v29
	v_lshl_add_u64 v[24:25], v[64:65], 2, v[32:33]
	global_store_dword v[24:25], v27, off
	v_max_f32_e32 v24, v26, v26
	s_cbranch_vccz .LBB73_161
; %bb.159:
	v_min_f32_e32 v25, 0, v24
	v_lshl_add_u64 v[26:27], v[74:75], 2, v[32:33]
	s_mov_b32 s2, 0
	global_store_dword v[26:27], v25, off
	s_cbranch_execz .LBB73_162
; %bb.160:
	v_mov_b32_e32 v24, s2
	s_branch .LBB73_163
.LBB73_161:
                                        ; implicit-def: $sgpr2
.LBB73_162:
	v_lshl_add_u64 v[26:27], v[34:35], 0, v[78:79]
	flat_load_dword v25, v[26:27]
	v_lshl_add_u64 v[26:27], v[32:33], 0, v[78:79]
	s_waitcnt vmcnt(0) lgkmcnt(0)
	v_mul_f32_e32 v25, s12, v25
	v_min_f32_e32 v24, v25, v24
	global_store_dword v[26:27], v24, off
	v_lshl_add_u64 v[24:25], v[66:67], 2, v[34:35]
	flat_load_dword v24, v[24:25]
	s_waitcnt vmcnt(0) lgkmcnt(0)
	v_mul_f32_e32 v24, s12, v24
.LBB73_163:
	v_pk_add_f32 v[20:21], v[20:21], v[4:5]
	v_pk_add_f32 v[16:17], v[16:17], v[4:5]
	v_min3_f32 v20, v20, v21, v94
	v_min3_f32 v21, v16, v17, v95
	v_pk_add_f32 v[16:17], v[22:23], v[6:7]
	s_mov_b64 vcc, s[4:5]
	v_min_f32_e32 v22, v16, v17
	v_pk_add_f32 v[16:17], v[18:19], v[6:7]
	v_min3_f32 v19, v24, v22, v20
	v_min3_f32 v18, v16, v17, v21
	v_lshl_add_u64 v[16:17], v[66:67], 2, v[32:33]
	global_store_dword v[16:17], v19, off
	v_max_f32_e32 v16, v18, v18
	s_cbranch_vccz .LBB73_166
; %bb.164:
	v_min_f32_e32 v17, 0, v16
	v_lshl_add_u64 v[18:19], v[80:81], 2, v[32:33]
	s_mov_b32 s2, 0
	global_store_dword v[18:19], v17, off
	s_cbranch_execz .LBB73_167
; %bb.165:
	v_mov_b32_e32 v16, s2
	s_branch .LBB73_168
.LBB73_166:
                                        ; implicit-def: $sgpr2
.LBB73_167:
	v_lshl_add_u64 v[18:19], v[34:35], 0, v[82:83]
	flat_load_dword v17, v[18:19]
	v_lshl_add_u64 v[18:19], v[32:33], 0, v[82:83]
	s_waitcnt vmcnt(0) lgkmcnt(0)
	v_mul_f32_e32 v17, s12, v17
	v_min_f32_e32 v16, v17, v16
	global_store_dword v[18:19], v16, off
	v_lshl_add_u64 v[16:17], v[70:71], 2, v[34:35]
	flat_load_dword v16, v[16:17]
	s_waitcnt vmcnt(0) lgkmcnt(0)
	v_mul_f32_e32 v16, s12, v16
.LBB73_168:
	;; [unrolled: 38-line block ×3, first 2 shown]
	v_pk_add_f32 v[2:3], v[2:3], v[6:7]
	v_pk_add_f32 v[0:1], v[0:1], v[4:5]
	v_min_f32_e32 v2, v2, v3
	v_min3_f32 v0, v0, v1, v98
	v_min3_f32 v2, v8, v2, v0
	v_lshl_add_u64 v[0:1], v[76:77], 2, v[32:33]
	global_store_dword v[0:1], v2, off
	s_endpgm
	.section	.rodata,"a",@progbits
	.p2align	6, 0x0
	.amdhsa_kernel _ZN12_GLOBAL__N_120geam_min_plus_kernelIf15HIP_vector_typeIfLj2EEfLi8ELi32ELi64ELi256ELi4ELi4ELi64ELi64ELi4ELc84ELc84ELb1ELb0ELb1EfKffEEviiiT16_PT17_ilS6_ilS4_S6_ilPT18_ili26rocblas_geam_ex_operation_
		.amdhsa_group_segment_fixed_size 10240
		.amdhsa_private_segment_fixed_size 0
		.amdhsa_kernarg_size 128
		.amdhsa_user_sgpr_count 2
		.amdhsa_user_sgpr_dispatch_ptr 0
		.amdhsa_user_sgpr_queue_ptr 0
		.amdhsa_user_sgpr_kernarg_segment_ptr 1
		.amdhsa_user_sgpr_dispatch_id 0
		.amdhsa_user_sgpr_kernarg_preload_length 0
		.amdhsa_user_sgpr_kernarg_preload_offset 0
		.amdhsa_user_sgpr_private_segment_size 0
		.amdhsa_uses_dynamic_stack 0
		.amdhsa_enable_private_segment 0
		.amdhsa_system_sgpr_workgroup_id_x 1
		.amdhsa_system_sgpr_workgroup_id_y 0
		.amdhsa_system_sgpr_workgroup_id_z 1
		.amdhsa_system_sgpr_workgroup_info 0
		.amdhsa_system_vgpr_workitem_id 1
		.amdhsa_next_free_vgpr 175
		.amdhsa_next_free_sgpr 24
		.amdhsa_accum_offset 176
		.amdhsa_reserve_vcc 1
		.amdhsa_float_round_mode_32 0
		.amdhsa_float_round_mode_16_64 0
		.amdhsa_float_denorm_mode_32 3
		.amdhsa_float_denorm_mode_16_64 3
		.amdhsa_dx10_clamp 1
		.amdhsa_ieee_mode 1
		.amdhsa_fp16_overflow 0
		.amdhsa_tg_split 0
		.amdhsa_exception_fp_ieee_invalid_op 0
		.amdhsa_exception_fp_denorm_src 0
		.amdhsa_exception_fp_ieee_div_zero 0
		.amdhsa_exception_fp_ieee_overflow 0
		.amdhsa_exception_fp_ieee_underflow 0
		.amdhsa_exception_fp_ieee_inexact 0
		.amdhsa_exception_int_div_zero 0
	.end_amdhsa_kernel
	.section	.text._ZN12_GLOBAL__N_120geam_min_plus_kernelIf15HIP_vector_typeIfLj2EEfLi8ELi32ELi64ELi256ELi4ELi4ELi64ELi64ELi4ELc84ELc84ELb1ELb0ELb1EfKffEEviiiT16_PT17_ilS6_ilS4_S6_ilPT18_ili26rocblas_geam_ex_operation_,"axG",@progbits,_ZN12_GLOBAL__N_120geam_min_plus_kernelIf15HIP_vector_typeIfLj2EEfLi8ELi32ELi64ELi256ELi4ELi4ELi64ELi64ELi4ELc84ELc84ELb1ELb0ELb1EfKffEEviiiT16_PT17_ilS6_ilS4_S6_ilPT18_ili26rocblas_geam_ex_operation_,comdat
.Lfunc_end73:
	.size	_ZN12_GLOBAL__N_120geam_min_plus_kernelIf15HIP_vector_typeIfLj2EEfLi8ELi32ELi64ELi256ELi4ELi4ELi64ELi64ELi4ELc84ELc84ELb1ELb0ELb1EfKffEEviiiT16_PT17_ilS6_ilS4_S6_ilPT18_ili26rocblas_geam_ex_operation_, .Lfunc_end73-_ZN12_GLOBAL__N_120geam_min_plus_kernelIf15HIP_vector_typeIfLj2EEfLi8ELi32ELi64ELi256ELi4ELi4ELi64ELi64ELi4ELc84ELc84ELb1ELb0ELb1EfKffEEviiiT16_PT17_ilS6_ilS4_S6_ilPT18_ili26rocblas_geam_ex_operation_
                                        ; -- End function
	.section	.AMDGPU.csdata,"",@progbits
; Kernel info:
; codeLenInByte = 15720
; NumSgprs: 30
; NumVgprs: 175
; NumAgprs: 0
; TotalNumVgprs: 175
; ScratchSize: 0
; MemoryBound: 0
; FloatMode: 240
; IeeeMode: 1
; LDSByteSize: 10240 bytes/workgroup (compile time only)
; SGPRBlocks: 3
; VGPRBlocks: 21
; NumSGPRsForWavesPerEU: 30
; NumVGPRsForWavesPerEU: 175
; AccumOffset: 176
; Occupancy: 2
; WaveLimiterHint : 1
; COMPUTE_PGM_RSRC2:SCRATCH_EN: 0
; COMPUTE_PGM_RSRC2:USER_SGPR: 2
; COMPUTE_PGM_RSRC2:TRAP_HANDLER: 0
; COMPUTE_PGM_RSRC2:TGID_X_EN: 1
; COMPUTE_PGM_RSRC2:TGID_Y_EN: 0
; COMPUTE_PGM_RSRC2:TGID_Z_EN: 1
; COMPUTE_PGM_RSRC2:TIDIG_COMP_CNT: 1
; COMPUTE_PGM_RSRC3_GFX90A:ACCUM_OFFSET: 43
; COMPUTE_PGM_RSRC3_GFX90A:TG_SPLIT: 0
	.section	.text._ZN12_GLOBAL__N_120geam_min_plus_kernelIf15HIP_vector_typeIfLj2EEfLi8ELi32ELi64ELi256ELi4ELi4ELi64ELi64ELi4ELc84ELc84ELb0ELb0ELb1EfKffEEviiiT16_PT17_ilS6_ilS4_S6_ilPT18_ili26rocblas_geam_ex_operation_,"axG",@progbits,_ZN12_GLOBAL__N_120geam_min_plus_kernelIf15HIP_vector_typeIfLj2EEfLi8ELi32ELi64ELi256ELi4ELi4ELi64ELi64ELi4ELc84ELc84ELb0ELb0ELb1EfKffEEviiiT16_PT17_ilS6_ilS4_S6_ilPT18_ili26rocblas_geam_ex_operation_,comdat
	.globl	_ZN12_GLOBAL__N_120geam_min_plus_kernelIf15HIP_vector_typeIfLj2EEfLi8ELi32ELi64ELi256ELi4ELi4ELi64ELi64ELi4ELc84ELc84ELb0ELb0ELb1EfKffEEviiiT16_PT17_ilS6_ilS4_S6_ilPT18_ili26rocblas_geam_ex_operation_ ; -- Begin function _ZN12_GLOBAL__N_120geam_min_plus_kernelIf15HIP_vector_typeIfLj2EEfLi8ELi32ELi64ELi256ELi4ELi4ELi64ELi64ELi4ELc84ELc84ELb0ELb0ELb1EfKffEEviiiT16_PT17_ilS6_ilS4_S6_ilPT18_ili26rocblas_geam_ex_operation_
	.p2align	8
	.type	_ZN12_GLOBAL__N_120geam_min_plus_kernelIf15HIP_vector_typeIfLj2EEfLi8ELi32ELi64ELi256ELi4ELi4ELi64ELi64ELi4ELc84ELc84ELb0ELb0ELb1EfKffEEviiiT16_PT17_ilS6_ilS4_S6_ilPT18_ili26rocblas_geam_ex_operation_,@function
_ZN12_GLOBAL__N_120geam_min_plus_kernelIf15HIP_vector_typeIfLj2EEfLi8ELi32ELi64ELi256ELi4ELi4ELi64ELi64ELi4ELc84ELc84ELb0ELb0ELb1EfKffEEviiiT16_PT17_ilS6_ilS4_S6_ilPT18_ili26rocblas_geam_ex_operation_: ; @_ZN12_GLOBAL__N_120geam_min_plus_kernelIf15HIP_vector_typeIfLj2EEfLi8ELi32ELi64ELi256ELi4ELi4ELi64ELi64ELi4ELc84ELc84ELb0ELb0ELb1EfKffEEviiiT16_PT17_ilS6_ilS4_S6_ilPT18_ili26rocblas_geam_ex_operation_
; %bb.0:
	s_load_dwordx2 s[14:15], s[0:1], 0x8
	s_load_dwordx4 s[4:7], s[0:1], 0x20
	s_waitcnt lgkmcnt(0)
	v_cmp_eq_f32_e64 s[8:9], s15, 0
	s_and_b64 vcc, exec, s[8:9]
	s_cbranch_vccnz .LBB74_3
; %bb.1:
	s_load_dwordx2 s[10:11], s[0:1], 0x10
	s_mul_i32 s5, s3, s5
	s_mul_hi_u32 s12, s3, s4
	s_add_i32 s5, s12, s5
	s_mul_i32 s4, s3, s4
	s_lshl_b64 s[4:5], s[4:5], 2
	s_waitcnt lgkmcnt(0)
	s_add_u32 s16, s10, s4
	s_addc_u32 s17, s11, s5
	s_andn2_b64 vcc, exec, s[8:9]
	s_cbranch_vccnz .LBB74_4
.LBB74_2:
	s_mov_b32 s13, 0
	s_mov_b64 s[18:19], 0
	s_cbranch_execz .LBB74_5
	s_branch .LBB74_6
.LBB74_3:
	s_mov_b64 s[16:17], 0
	s_andn2_b64 vcc, exec, s[8:9]
	s_cbranch_vccz .LBB74_2
.LBB74_4:
                                        ; implicit-def: $sgpr18_sgpr19
                                        ; implicit-def: $sgpr12_sgpr13
.LBB74_5:
	s_load_dwordx2 s[4:5], s[0:1], 0x38
	s_mov_b32 s13, 0
	s_waitcnt lgkmcnt(0)
	s_mul_i32 s5, s3, s5
	s_mul_hi_u32 s8, s3, s4
	s_add_i32 s5, s8, s5
	s_mul_i32 s4, s3, s4
	s_lshl_b64 s[4:5], s[4:5], 2
	s_add_u32 s18, s6, s4
	s_addc_u32 s19, s7, s5
.LBB74_6:
	s_load_dword s12, s[0:1], 0x40
	s_load_dwordx4 s[8:11], s[0:1], 0x58
	v_cmp_neq_f32_e64 s[20:21], s15, 0
	s_waitcnt lgkmcnt(0)
	v_cmp_eq_f32_e64 s[4:5], s12, 0
	s_and_b64 s[6:7], exec, s[4:5]
	s_mov_b64 vcc, s[6:7]
	s_cbranch_vccnz .LBB74_8
; %bb.7:
	s_load_dwordx2 s[4:5], s[0:1], 0x48
	s_mul_i32 s9, s3, s9
	s_mul_hi_u32 s22, s3, s8
	s_add_i32 s9, s22, s9
	s_mul_i32 s22, s13, s8
	s_add_i32 s9, s9, s22
	s_mul_i32 s8, s3, s8
	s_lshl_b64 s[8:9], s[8:9], 2
	s_waitcnt lgkmcnt(0)
	s_add_u32 s8, s4, s8
	s_addc_u32 s9, s5, s9
	s_branch .LBB74_9
.LBB74_8:
	s_mov_b64 s[8:9], 0
.LBB74_9:
	s_load_dword s4, s[0:1], 0x0
	s_load_dword s24, s[0:1], 0x18
	v_and_b32_e32 v76, 0x3ff, v0
	v_bfe_u32 v77, v0, 10, 10
	v_cndmask_b32_e64 v2, 0, 1, s[20:21]
	s_waitcnt lgkmcnt(0)
	s_add_i32 s4, s4, -1
	s_ashr_i32 s5, s4, 31
	s_lshr_b32 s5, s5, 26
	s_add_i32 s4, s4, s5
	s_ashr_i32 s22, s4, 6
	s_add_i32 s25, s22, 1
	v_cvt_f32_u32_e32 v1, s25
	s_not_b32 s22, s22
	v_lshl_add_u32 v0, v77, 3, v76
	v_and_b32_e32 v3, 3, v76
	v_rcp_iflag_f32_e32 v1, v1
	v_lshrrev_b32_e32 v62, 2, v0
	v_cmp_ne_u32_e64 s[4:5], 1, v2
	v_lshlrev_b32_e32 v56, 2, v3
	v_mul_f32_e32 v1, 0x4f7ffffe, v1
	v_cvt_u32_f32_e32 v1, v1
	s_nop 0
	v_readfirstlane_b32 s23, v1
	s_mul_i32 s22, s22, s23
	s_mul_hi_u32 s22, s23, s22
	s_add_i32 s23, s23, s22
	s_mul_hi_u32 s22, s2, s23
	s_mul_i32 s23, s22, s25
	s_sub_i32 s23, s2, s23
	s_add_i32 s26, s22, 1
	s_sub_i32 s27, s23, s25
	s_cmp_ge_u32 s23, s25
	s_cselect_b32 s22, s26, s22
	s_cselect_b32 s23, s27, s23
	s_add_i32 s26, s22, 1
	s_cmp_ge_u32 s23, s25
	s_cselect_b32 s23, s26, s22
	s_mul_i32 s26, s23, s25
	s_andn2_b64 vcc, exec, s[20:21]
	s_sub_i32 s20, s2, s26
	s_lshl_b32 s22, s20, 6
	v_add_u32_e32 v6, s22, v62
	s_cbranch_vccnz .LBB74_11
; %bb.10:
	v_mad_i64_i32 v[2:3], s[20:21], v6, s24, 0
	v_lshl_add_u64 v[2:3], v[2:3], 2, s[16:17]
	v_mov_b32_e32 v57, 0
	v_lshl_add_u64 v[2:3], v[2:3], 0, v[56:57]
	flat_load_dword v1, v[2:3]
	s_waitcnt vmcnt(0) lgkmcnt(0)
	v_mul_f32_e32 v8, s15, v1
	s_branch .LBB74_12
.LBB74_11:
	v_mov_b32_e32 v8, 0
.LBB74_12:
	s_load_dword s20, s[0:1], 0x30
	v_and_b32_e32 v68, 63, v0
	v_lshrrev_b32_e32 v63, 6, v0
	s_lshl_b32 s23, s23, 8
	v_or_b32_e32 v2, s23, v68
	s_waitcnt lgkmcnt(0)
	v_mad_i64_i32 v[0:1], s[28:29], s20, v63, 0
	s_ashr_i32 s21, s20, 31
	v_lshl_add_u64 v[4:5], v[0:1], 2, s[18:19]
	s_and_b64 vcc, exec, s[4:5]
	v_ashrrev_i32_e32 v3, 31, v2
	s_cbranch_vccnz .LBB74_16
; %bb.13:
	v_lshl_add_u64 v[0:1], v[2:3], 2, v[4:5]
	flat_load_dword v10, v[0:1]
	flat_load_dword v11, v[0:1] offset:256
	s_mov_b32 s28, s15
	s_waitcnt vmcnt(0) lgkmcnt(0)
	v_pk_mul_f32 v[0:1], v[10:11], s[28:29] op_sel_hi:[1,0]
	s_and_b64 vcc, exec, s[4:5]
	s_cbranch_vccnz .LBB74_17
.LBB74_14:
	v_lshl_add_u64 v[4:5], v[2:3], 2, v[4:5]
	flat_load_dword v10, v[4:5] offset:512
	flat_load_dword v11, v[4:5] offset:768
	s_mov_b32 s28, s15
	s_waitcnt vmcnt(0) lgkmcnt(0)
	v_pk_mul_f32 v[4:5], v[10:11], s[28:29] op_sel_hi:[1,0]
	s_and_b64 vcc, exec, s[4:5]
	s_cbranch_vccnz .LBB74_18
.LBB74_15:
	v_mad_i64_i32 v[6:7], s[28:29], v6, s24, 0
	v_lshl_add_u64 v[6:7], v[6:7], 2, s[16:17]
	v_mov_b32_e32 v57, 0
	v_lshl_add_u64 v[6:7], v[6:7], 0, v[56:57]
	flat_load_dword v6, v[6:7] offset:16
	s_waitcnt vmcnt(0) lgkmcnt(0)
	v_mul_f32_e32 v57, s15, v6
	s_branch .LBB74_19
.LBB74_16:
	v_mov_b32_e32 v0, 0
	v_mov_b32_e32 v1, 0
	s_and_b64 vcc, exec, s[4:5]
	s_cbranch_vccz .LBB74_14
.LBB74_17:
	v_mov_b32_e32 v4, 0
	v_mov_b32_e32 v5, 0
	s_and_b64 vcc, exec, s[4:5]
	s_cbranch_vccz .LBB74_15
.LBB74_18:
	v_mov_b32_e32 v57, 0
.LBB74_19:
	v_add_u32_e32 v6, 4, v63
	v_mad_i64_i32 v[6:7], s[28:29], s20, v6, 0
	s_and_b64 vcc, exec, s[4:5]
	v_lshl_add_u64 v[6:7], v[6:7], 2, s[18:19]
	s_cbranch_vccnz .LBB74_22
; %bb.20:
	v_lshl_add_u64 v[10:11], v[2:3], 2, v[6:7]
	flat_load_dword v12, v[10:11]
	flat_load_dword v13, v[10:11] offset:256
	s_mov_b32 s28, s15
	s_waitcnt vmcnt(0) lgkmcnt(0)
	v_pk_mul_f32 v[58:59], v[12:13], s[28:29] op_sel_hi:[1,0]
	s_and_b64 vcc, exec, s[4:5]
	s_cbranch_vccnz .LBB74_23
.LBB74_21:
	v_lshl_add_u64 v[2:3], v[2:3], 2, v[6:7]
	flat_load_dword v6, v[2:3] offset:512
	flat_load_dword v7, v[2:3] offset:768
	s_mov_b32 s28, s15
	s_waitcnt vmcnt(0) lgkmcnt(0)
	v_pk_mul_f32 v[60:61], v[6:7], s[28:29] op_sel_hi:[1,0]
	s_branch .LBB74_24
.LBB74_22:
	v_mov_b32_e32 v58, 0
	v_mov_b32_e32 v59, 0
	s_and_b64 vcc, exec, s[4:5]
	s_cbranch_vccz .LBB74_21
.LBB74_23:
	v_mov_b32_e32 v60, 0
	v_mov_b32_e32 v61, 0
.LBB74_24:
	v_lshlrev_b32_e32 v2, 2, v63
	v_lshl_or_b32 v64, v62, 4, v56
	v_lshl_add_u32 v80, v68, 4, v2
	v_lshlrev_b32_e32 v78, 4, v76
	v_lshlrev_b32_e32 v79, 4, v77
	ds_write_b32 v64, v8 offset:8192
	ds_write2st64_b32 v80, v0, v1 offset1:4
	ds_write2st64_b32 v80, v4, v5 offset0:8 offset1:12
	s_waitcnt lgkmcnt(0)
	s_barrier
	ds_read_b128 v[12:15], v78 offset:8192
	ds_read_b128 v[20:23], v78 offset:8320
	;; [unrolled: 1-line block ×8, first 2 shown]
	ds_read_b128 v[52:55], v79
	ds_read_b128 v[48:51], v79 offset:512
	ds_read_b128 v[44:47], v79 offset:1024
	;; [unrolled: 1-line block ×5, first 2 shown]
	s_waitcnt lgkmcnt(5)
	v_pk_add_f32 v[66:67], v[12:13], v[52:53]
	s_mov_b32 s25, 0x7f7fffff
	v_min3_f32 v65, v66, v67, s25
	v_pk_add_f32 v[66:67], v[20:21], v[52:53]
	s_cmp_lt_i32 s14, 9
	v_min3_f32 v69, v66, v67, s25
	v_pk_add_f32 v[66:67], v[24:25], v[52:53]
	s_nop 0
	v_min3_f32 v70, v66, v67, s25
	v_pk_add_f32 v[66:67], v[28:29], v[52:53]
	s_nop 0
	v_min3_f32 v71, v66, v67, s25
	v_pk_add_f32 v[66:67], v[16:17], v[52:53]
	s_nop 0
	v_min3_f32 v72, v66, v67, s25
	v_pk_add_f32 v[66:67], v[8:9], v[52:53]
	s_nop 0
	v_min3_f32 v73, v66, v67, s25
	v_pk_add_f32 v[66:67], v[4:5], v[52:53]
	v_pk_add_f32 v[52:53], v[0:1], v[52:53]
	v_min3_f32 v66, v66, v67, s25
	v_min3_f32 v67, v52, v53, s25
	s_waitcnt lgkmcnt(4)
	v_pk_add_f32 v[52:53], v[12:13], v[48:49]
	s_nop 0
	v_min3_f32 v74, v52, v53, s25
	v_pk_add_f32 v[52:53], v[20:21], v[48:49]
	s_nop 0
	v_min3_f32 v75, v52, v53, s25
	v_pk_add_f32 v[52:53], v[24:25], v[48:49]
	s_nop 0
	v_min3_f32 v88, v52, v53, s25
	v_pk_add_f32 v[52:53], v[28:29], v[48:49]
	s_nop 0
	v_min3_f32 v89, v52, v53, s25
	v_pk_add_f32 v[52:53], v[16:17], v[48:49]
	s_nop 0
	v_min3_f32 v90, v52, v53, s25
	v_pk_add_f32 v[52:53], v[8:9], v[48:49]
	s_nop 0
	v_min3_f32 v91, v52, v53, s25
	v_pk_add_f32 v[52:53], v[4:5], v[48:49]
	v_pk_add_f32 v[48:49], v[0:1], v[48:49]
	v_min3_f32 v52, v52, v53, s25
	v_min3_f32 v53, v48, v49, s25
	s_waitcnt lgkmcnt(3)
	v_pk_add_f32 v[48:49], v[12:13], v[44:45]
	s_nop 0
	v_min3_f32 v92, v48, v49, s25
	v_pk_add_f32 v[48:49], v[20:21], v[44:45]
	s_nop 0
	;; [unrolled: 23-line block ×4, first 2 shown]
	v_min3_f32 v107, v40, v41, s25
	v_pk_add_f32 v[40:41], v[24:25], v[36:37]
	s_nop 0
	v_min3_f32 v108, v40, v41, s25
	v_pk_add_f32 v[40:41], v[28:29], v[36:37]
	s_nop 0
	;; [unrolled: 3-line block ×4, first 2 shown]
	v_min3_f32 v111, v40, v41, s25
	v_pk_add_f32 v[40:41], v[4:5], v[36:37]
	v_pk_add_f32 v[36:37], v[0:1], v[36:37]
	v_min3_f32 v112, v40, v41, s25
	v_min3_f32 v113, v36, v37, s25
	s_waitcnt lgkmcnt(0)
	v_pk_add_f32 v[36:37], v[12:13], v[32:33]
	v_pk_add_f32 v[40:41], v[8:9], v[32:33]
	v_min3_f32 v114, v36, v37, s25
	v_pk_add_f32 v[36:37], v[20:21], v[32:33]
	s_nop 0
	v_min3_f32 v141, v36, v37, s25
	v_pk_add_f32 v[36:37], v[24:25], v[32:33]
	s_nop 0
	;; [unrolled: 3-line block ×4, first 2 shown]
	v_min3_f32 v83, v36, v37, v69
	v_pk_add_f32 v[36:37], v[26:27], v[54:55]
	v_min3_f32 v69, v40, v41, s25
	v_min3_f32 v86, v36, v37, v70
	v_pk_add_f32 v[36:37], v[30:31], v[54:55]
	v_pk_add_f32 v[40:41], v[4:5], v[32:33]
	v_min3_f32 v81, v36, v37, v71
	v_pk_add_f32 v[36:37], v[18:19], v[54:55]
	v_min3_f32 v40, v40, v41, s25
	v_min3_f32 v82, v36, v37, v72
	v_pk_add_f32 v[36:37], v[10:11], v[54:55]
	s_nop 0
	v_min3_f32 v84, v36, v37, v73
	v_pk_add_f32 v[36:37], v[6:7], v[54:55]
	s_nop 0
	;; [unrolled: 3-line block ×3, first 2 shown]
	v_min3_f32 v65, v36, v37, s25
	v_pk_add_f32 v[36:37], v[16:17], v[32:33]
	v_pk_add_f32 v[32:33], v[0:1], v[32:33]
	v_min3_f32 v66, v36, v37, s25
	v_pk_add_f32 v[36:37], v[2:3], v[54:55]
	v_min3_f32 v41, v32, v33, s25
	v_min3_f32 v148, v36, v37, v67
	v_pk_add_f32 v[36:37], v[14:15], v[50:51]
	s_nop 0
	v_min3_f32 v149, v36, v37, v74
	v_pk_add_f32 v[36:37], v[22:23], v[50:51]
	s_nop 0
	;; [unrolled: 3-line block ×7, first 2 shown]
	v_min3_f32 v143, v36, v37, v52
	v_pk_add_f32 v[36:37], v[2:3], v[50:51]
	ds_read_b128 v[48:51], v79 offset:3072
	v_min3_f32 v139, v36, v37, v53
	ds_read_b128 v[52:55], v79 offset:3584
	v_pk_add_f32 v[36:37], v[14:15], v[46:47]
	ds_write_b32 v64, v57 offset:9216
	ds_write2st64_b32 v80, v58, v59 offset0:16 offset1:20
	ds_write2st64_b32 v80, v60, v61 offset0:24 offset1:28
	s_waitcnt lgkmcnt(4)
	v_pk_add_f32 v[32:33], v[12:13], v[48:49]
	v_min3_f32 v140, v36, v37, v92
	v_min3_f32 v67, v32, v33, s25
	v_pk_add_f32 v[32:33], v[2:3], v[46:47]
	v_pk_add_f32 v[36:37], v[22:23], v[46:47]
	v_min3_f32 v134, v32, v33, v99
	v_pk_add_f32 v[32:33], v[14:15], v[42:43]
	v_min3_f32 v137, v36, v37, v93
	v_min3_f32 v133, v32, v33, v100
	v_pk_add_f32 v[32:33], v[22:23], v[42:43]
	v_pk_add_f32 v[36:37], v[26:27], v[46:47]
	v_min3_f32 v130, v32, v33, v101
	;; [unrolled: 6-line block ×5, first 2 shown]
	v_pk_add_f32 v[32:33], v[16:17], v[48:49]
	s_waitcnt lgkmcnt(3)
	v_pk_add_f32 v[12:13], v[12:13], v[52:53]
	v_min3_f32 v70, v32, v33, s25
	v_pk_add_f32 v[32:33], v[2:3], v[42:43]
	v_min3_f32 v131, v36, v37, v97
	v_min3_f32 v124, v32, v33, v45
	v_pk_add_f32 v[32:33], v[14:15], v[38:39]
	v_pk_add_f32 v[36:37], v[6:7], v[46:47]
	v_min3_f32 v123, v32, v33, v106
	v_pk_add_f32 v[32:33], v[22:23], v[38:39]
	v_min3_f32 v132, v36, v37, v98
	v_min3_f32 v122, v32, v33, v107
	v_pk_add_f32 v[32:33], v[26:27], v[38:39]
	;; [unrolled: 6-line block ×5, first 2 shown]
	v_pk_add_f32 v[36:37], v[4:5], v[48:49]
	v_min3_f32 v116, v32, v33, v114
	v_pk_add_f32 v[32:33], v[22:23], v[34:35]
	v_pk_add_f32 v[4:5], v[4:5], v[52:53]
	v_min3_f32 v113, v32, v33, v141
	v_pk_add_f32 v[32:33], v[26:27], v[34:35]
	;; [unrolled: 3-line block ×3, first 2 shown]
	v_min3_f32 v4, v4, v5, s25
	v_min3_f32 v111, v32, v33, v65
	v_pk_add_f32 v[32:33], v[18:19], v[34:35]
	v_min3_f32 v36, v36, v37, s25
	v_min3_f32 v112, v32, v33, v66
	v_pk_add_f32 v[32:33], v[10:11], v[34:35]
	v_pk_add_f32 v[8:9], v[8:9], v[52:53]
	v_min3_f32 v109, v32, v33, v69
	v_pk_add_f32 v[32:33], v[6:7], v[34:35]
	v_min3_f32 v8, v8, v9, s25
	v_min3_f32 v110, v32, v33, v40
	v_pk_add_f32 v[32:33], v[0:1], v[48:49]
	v_pk_add_f32 v[0:1], v[0:1], v[52:53]
	v_min3_f32 v32, v32, v33, s25
	v_min3_f32 v33, v12, v13, s25
	v_pk_add_f32 v[12:13], v[2:3], v[34:35]
	v_min3_f32 v5, v0, v1, s25
	v_min3_f32 v107, v12, v13, v41
	v_pk_add_f32 v[12:13], v[14:15], v[50:51]
	v_pk_add_f32 v[0:1], v[14:15], v[54:55]
	v_min3_f32 v108, v12, v13, v67
	v_pk_add_f32 v[12:13], v[22:23], v[50:51]
	v_min3_f32 v34, v20, v21, s25
	v_min3_f32 v105, v12, v13, v46
	v_pk_add_f32 v[12:13], v[26:27], v[50:51]
	v_pk_add_f32 v[20:21], v[24:25], v[52:53]
	;; [unrolled: 6-line block ×3, first 2 shown]
	v_min3_f32 v104, v12, v13, v70
	v_pk_add_f32 v[12:13], v[10:11], v[50:51]
	v_min3_f32 v20, v20, v21, s25
	v_min3_f32 v101, v12, v13, v42
	v_pk_add_f32 v[12:13], v[6:7], v[50:51]
	v_min3_f32 v97, v0, v1, v34
	v_min3_f32 v102, v12, v13, v36
	v_pk_add_f32 v[12:13], v[28:29], v[52:53]
	v_pk_add_f32 v[0:1], v[26:27], v[54:55]
	v_min3_f32 v21, v12, v13, s25
	v_pk_add_f32 v[12:13], v[16:17], v[52:53]
	v_min3_f32 v98, v0, v1, v20
	v_pk_add_f32 v[0:1], v[30:31], v[54:55]
	v_min3_f32 v16, v12, v13, s25
	v_min3_f32 v94, v0, v1, v21
	v_pk_add_f32 v[0:1], v[18:19], v[54:55]
	v_pk_add_f32 v[12:13], v[2:3], v[50:51]
	v_min3_f32 v95, v0, v1, v16
	v_pk_add_f32 v[0:1], v[10:11], v[54:55]
	v_min3_f32 v99, v12, v13, v32
	v_min3_f32 v92, v0, v1, v8
	v_pk_add_f32 v[0:1], v[6:7], v[54:55]
	s_waitcnt lgkmcnt(0)
	v_min3_f32 v93, v0, v1, v4
	v_pk_add_f32 v[0:1], v[2:3], v[54:55]
	s_barrier
	v_min3_f32 v96, v0, v1, v5
	s_cbranch_scc1 .LBB74_42
; %bb.25:
	v_mov_b32_e32 v0, 0x2400
	v_lshl_add_u32 v141, v76, 4, v0
	v_mov_b32_e32 v0, 0x1000
	v_lshl_add_u32 v150, v77, 4, v0
	v_lshl_add_u32 v0, s2, 6, v62
	s_lshl_b32 s2, s26, 6
	v_subrev_u32_e32 v0, s2, v0
	v_mad_i64_i32 v[0:1], s[26:27], s24, v0, 0
	v_mov_b32_e32 v57, 0
	v_lshl_add_u64 v[0:1], v[0:1], 2, v[56:57]
	v_lshl_add_u64 v[0:1], v[0:1], 0, s[16:17]
	v_add_u32_e32 v88, 0x2000, v64
	v_add_u32_e32 v90, 0x2400, v64
	v_lshl_add_u64 v[64:65], v[0:1], 0, 32
	v_add_u32_e32 v0, 12, v63
	v_mad_i64_i32 v[0:1], s[16:17], v0, s20, 0
	v_lshlrev_b64 v[66:67], 2, v[0:1]
	v_add_u32_e32 v0, s23, v68
	v_ashrrev_i32_e32 v1, 31, v0
	v_lshl_add_u64 v[68:69], v[0:1], 2, s[18:19]
	v_add_u32_e32 v0, 8, v63
	v_mad_i64_i32 v[0:1], s[18:19], v0, s20, 0
	v_add_u32_e32 v89, 0x2000, v78
	v_or_b32_e32 v91, 0x1000, v80
	s_add_i32 s25, s14, -8
	s_mov_b32 s14, s15
	s_lshl_b64 s[16:17], s[20:21], 5
	v_lshlrev_b64 v[70:71], 2, v[0:1]
	s_mov_b32 s2, 0
	s_branch .LBB74_28
.LBB74_26:                              ;   in Loop: Header=BB74_28 Depth=1
	flat_load_dword v0, v[74:75] offset:512
	flat_load_dword v1, v[74:75] offset:768
	s_waitcnt vmcnt(0) lgkmcnt(0)
	v_pk_mul_f32 v[36:37], v[0:1], s[14:15]
.LBB74_27:                              ;   in Loop: Header=BB74_28 Depth=1
	ds_read_b128 v[0:3], v89
	ds_read_b128 v[4:7], v89 offset:128
	ds_read_b128 v[8:11], v89 offset:256
	;; [unrolled: 1-line block ×7, first 2 shown]
	ds_read_b128 v[124:127], v79
	ds_read_b128 v[128:131], v79 offset:512
	ds_read_b128 v[152:155], v79 offset:1024
	;; [unrolled: 1-line block ×7, first 2 shown]
	s_waitcnt lgkmcnt(7)
	v_pk_add_f32 v[74:75], v[0:1], v[124:125]
	s_add_i32 s2, s2, 8
	v_min3_f32 v123, v74, v75, v40
	v_pk_add_f32 v[74:75], v[4:5], v[124:125]
	v_lshl_add_u64 v[64:65], v[64:65], 0, 32
	v_min3_f32 v74, v74, v75, v41
	v_pk_add_f32 v[40:41], v[8:9], v[124:125]
	s_cmp_ge_i32 s2, s25
	v_min3_f32 v44, v40, v41, v44
	v_pk_add_f32 v[40:41], v[12:13], v[124:125]
	v_lshl_add_u64 v[68:69], v[68:69], 0, s[16:17]
	v_min3_f32 v45, v40, v41, v45
	v_pk_add_f32 v[40:41], v[16:17], v[124:125]
	ds_write_b32 v90, v151
	ds_write2st64_b32 v91, v72, v73 offset1:4
	ds_write2st64_b32 v91, v36, v37 offset0:8 offset1:12
	v_min3_f32 v48, v40, v41, v48
	v_pk_add_f32 v[40:41], v[20:21], v[124:125]
	s_waitcnt lgkmcnt(0)
	v_min3_f32 v49, v40, v41, v49
	v_pk_add_f32 v[40:41], v[24:25], v[124:125]
	s_barrier
	v_min3_f32 v52, v40, v41, v52
	v_pk_add_f32 v[40:41], v[28:29], v[124:125]
	s_nop 0
	v_min3_f32 v53, v40, v41, v53
	v_pk_add_f32 v[40:41], v[0:1], v[128:129]
	s_nop 0
	;; [unrolled: 3-line block ×41, first 2 shown]
	v_min3_f32 v42, v40, v41, v42
	v_pk_add_f32 v[40:41], v[0:1], v[168:169]
	v_pk_add_f32 v[0:1], v[0:1], v[32:33]
	v_min3_f32 v43, v40, v41, v43
	v_min3_f32 v39, v0, v1, v39
	v_pk_add_f32 v[0:1], v[4:5], v[32:33]
	v_pk_add_f32 v[40:41], v[4:5], v[168:169]
	v_min3_f32 v4, v0, v1, v116
	v_pk_add_f32 v[0:1], v[8:9], v[32:33]
	v_min3_f32 v153, v40, v41, v110
	v_min3_f32 v5, v0, v1, v117
	v_pk_add_f32 v[0:1], v[12:13], v[32:33]
	v_pk_add_f32 v[40:41], v[8:9], v[168:169]
	v_min3_f32 v8, v0, v1, v118
	;; [unrolled: 6-line block ×7, first 2 shown]
	v_pk_add_f32 v[0:1], v[26:27], v[126:127]
	v_min3_f32 v38, v40, v41, v38
	v_min3_f32 v85, v0, v1, v52
	v_pk_add_f32 v[0:1], v[30:31], v[126:127]
	s_nop 0
	v_min3_f32 v148, v0, v1, v53
	v_pk_add_f32 v[0:1], v[2:3], v[130:131]
	s_nop 0
	;; [unrolled: 3-line block ×57, first 2 shown]
	v_min3_f32 v96, v0, v1, v16
	s_cbranch_scc1 .LBB74_42
.LBB74_28:                              ; =>This Inner Loop Header: Depth=1
	s_and_b64 vcc, exec, s[4:5]
	v_mov_b32_e32 v151, 0
	s_cbranch_vccnz .LBB74_30
; %bb.29:                               ;   in Loop: Header=BB74_28 Depth=1
	flat_load_dword v0, v[64:65]
	s_waitcnt vmcnt(0) lgkmcnt(0)
	v_mul_f32_e32 v151, s15, v0
.LBB74_30:                              ;   in Loop: Header=BB74_28 Depth=1
	s_and_b64 vcc, exec, s[4:5]
	v_lshl_add_u64 v[0:1], v[68:69], 0, v[70:71]
	s_cbranch_vccnz .LBB74_33
; %bb.31:                               ;   in Loop: Header=BB74_28 Depth=1
	flat_load_dword v2, v[0:1]
	flat_load_dword v3, v[0:1] offset:256
	s_waitcnt vmcnt(0) lgkmcnt(0)
	v_pk_mul_f32 v[72:73], v[2:3], s[14:15]
	s_and_b64 vcc, exec, s[4:5]
	s_cbranch_vccnz .LBB74_34
.LBB74_32:                              ;   in Loop: Header=BB74_28 Depth=1
	flat_load_dword v2, v[0:1] offset:512
	flat_load_dword v3, v[0:1] offset:768
	s_waitcnt vmcnt(0) lgkmcnt(0)
	v_pk_mul_f32 v[74:75], v[2:3], s[14:15]
	s_branch .LBB74_35
.LBB74_33:                              ;   in Loop: Header=BB74_28 Depth=1
	v_mov_b32_e32 v72, 0
	v_mov_b32_e32 v73, 0
	s_and_b64 vcc, exec, s[4:5]
	s_cbranch_vccz .LBB74_32
.LBB74_34:                              ;   in Loop: Header=BB74_28 Depth=1
	v_mov_b32_e32 v74, 0
	v_mov_b32_e32 v75, 0
.LBB74_35:                              ;   in Loop: Header=BB74_28 Depth=1
	ds_read_b128 v[28:31], v141
	ds_read_b128 v[24:27], v141 offset:128
	ds_read_b128 v[20:23], v141 offset:256
	;; [unrolled: 1-line block ×7, first 2 shown]
	ds_read_b128 v[60:63], v150
	ds_read_b128 v[56:59], v150 offset:512
	ds_read_b128 v[52:55], v150 offset:1024
	;; [unrolled: 1-line block ×7, first 2 shown]
	s_and_b64 vcc, exec, s[4:5]
	ds_write_b32 v88, v151
	ds_write2st64_b32 v80, v72, v73 offset1:4
	ds_write2st64_b32 v80, v74, v75 offset0:8 offset1:12
	s_waitcnt lgkmcnt(0)
	s_barrier
	s_cbranch_vccnz .LBB74_38
; %bb.36:                               ;   in Loop: Header=BB74_28 Depth=1
	flat_load_dword v72, v[64:65] offset:16
	s_waitcnt vmcnt(0) lgkmcnt(0)
	v_mul_f32_e32 v151, s15, v72
	s_and_b64 vcc, exec, s[4:5]
	v_lshl_add_u64 v[74:75], v[68:69], 0, v[66:67]
	s_cbranch_vccnz .LBB74_39
.LBB74_37:                              ;   in Loop: Header=BB74_28 Depth=1
	flat_load_dword v72, v[74:75]
	flat_load_dword v73, v[74:75] offset:256
	s_waitcnt vmcnt(0) lgkmcnt(0)
	v_pk_mul_f32 v[72:73], v[72:73], s[14:15]
	s_branch .LBB74_40
.LBB74_38:                              ;   in Loop: Header=BB74_28 Depth=1
	v_mov_b32_e32 v151, 0
	s_and_b64 vcc, exec, s[4:5]
	v_lshl_add_u64 v[74:75], v[68:69], 0, v[66:67]
	s_cbranch_vccz .LBB74_37
.LBB74_39:                              ;   in Loop: Header=BB74_28 Depth=1
	v_mov_b32_e32 v72, 0
	v_mov_b32_e32 v73, 0
.LBB74_40:                              ;   in Loop: Header=BB74_28 Depth=1
	v_pk_add_f32 v[152:153], v[28:29], v[60:61]
	s_and_b64 vcc, exec, s[4:5]
	v_min3_f32 v154, v152, v153, v87
	v_pk_add_f32 v[152:153], v[24:25], v[60:61]
	s_nop 0
	v_min3_f32 v155, v152, v153, v83
	v_pk_add_f32 v[152:153], v[20:21], v[60:61]
	s_nop 0
	v_min3_f32 v152, v152, v153, v86
	v_pk_add_f32 v[86:87], v[16:17], v[60:61]
	s_nop 0
	v_min3_f32 v81, v86, v87, v81
	v_pk_add_f32 v[86:87], v[12:13], v[60:61]
	s_nop 0
	v_min3_f32 v86, v86, v87, v82
	v_pk_add_f32 v[82:83], v[8:9], v[60:61]
	s_nop 0
	v_min3_f32 v84, v82, v83, v84
	v_pk_add_f32 v[82:83], v[4:5], v[60:61]
	v_pk_add_f32 v[60:61], v[0:1], v[60:61]
	v_min3_f32 v82, v82, v83, v85
	v_min3_f32 v83, v60, v61, v148
	v_pk_add_f32 v[60:61], v[28:29], v[56:57]
	s_nop 0
	v_min3_f32 v85, v60, v61, v149
	v_pk_add_f32 v[60:61], v[24:25], v[56:57]
	s_nop 0
	v_min3_f32 v87, v60, v61, v146
	v_pk_add_f32 v[60:61], v[20:21], v[56:57]
	s_nop 0
	v_min3_f32 v146, v60, v61, v147
	v_pk_add_f32 v[60:61], v[16:17], v[56:57]
	s_nop 0
	v_min3_f32 v144, v60, v61, v144
	v_pk_add_f32 v[60:61], v[12:13], v[56:57]
	s_nop 0
	v_min3_f32 v145, v60, v61, v145
	v_pk_add_f32 v[60:61], v[8:9], v[56:57]
	s_nop 0
	v_min3_f32 v142, v60, v61, v142
	v_pk_add_f32 v[60:61], v[4:5], v[56:57]
	v_pk_add_f32 v[56:57], v[0:1], v[56:57]
	v_min3_f32 v143, v60, v61, v143
	v_min3_f32 v139, v56, v57, v139
	v_pk_add_f32 v[56:57], v[28:29], v[52:53]
	s_nop 0
	;; [unrolled: 22-line block ×5, first 2 shown]
	v_min3_f32 v116, v44, v45, v116
	v_pk_add_f32 v[44:45], v[24:25], v[40:41]
	s_nop 0
	v_min3_f32 v113, v44, v45, v113
	v_pk_add_f32 v[44:45], v[20:21], v[40:41]
	s_nop 0
	;; [unrolled: 3-line block ×5, first 2 shown]
	v_min3_f32 v109, v44, v45, v109
	v_pk_add_f32 v[44:45], v[4:5], v[40:41]
	v_pk_add_f32 v[40:41], v[0:1], v[40:41]
	v_min3_f32 v110, v44, v45, v110
	v_min3_f32 v147, v40, v41, v107
	v_pk_add_f32 v[40:41], v[28:29], v[36:37]
	v_pk_add_f32 v[28:29], v[28:29], v[32:33]
	v_min3_f32 v148, v40, v41, v108
	v_pk_add_f32 v[40:41], v[24:25], v[36:37]
	v_pk_add_f32 v[24:25], v[24:25], v[32:33]
	v_min3_f32 v149, v40, v41, v105
	v_pk_add_f32 v[40:41], v[20:21], v[36:37]
	v_min3_f32 v24, v24, v25, v97
	v_min3_f32 v153, v40, v41, v106
	v_pk_add_f32 v[40:41], v[16:17], v[36:37]
	v_pk_add_f32 v[16:17], v[16:17], v[32:33]
	v_min3_f32 v156, v40, v41, v103
	v_pk_add_f32 v[40:41], v[12:13], v[36:37]
	v_min3_f32 v16, v16, v17, v94
	v_min3_f32 v157, v40, v41, v104
	v_pk_add_f32 v[40:41], v[8:9], v[36:37]
	v_pk_add_f32 v[8:9], v[8:9], v[32:33]
	v_min3_f32 v158, v40, v41, v101
	v_pk_add_f32 v[40:41], v[4:5], v[36:37]
	v_pk_add_f32 v[36:37], v[0:1], v[36:37]
	;; [unrolled: 1-line block ×4, first 2 shown]
	v_min3_f32 v4, v4, v5, v93
	v_min3_f32 v5, v0, v1, v96
	v_pk_add_f32 v[0:1], v[30:31], v[62:63]
	v_min3_f32 v159, v40, v41, v102
	v_min3_f32 v40, v0, v1, v154
	v_pk_add_f32 v[0:1], v[26:27], v[62:63]
	;; [unrolled: 3-line block ×3, first 2 shown]
	v_pk_add_f32 v[12:13], v[12:13], v[32:33]
	v_min3_f32 v44, v0, v1, v152
	v_pk_add_f32 v[0:1], v[18:19], v[62:63]
	v_min3_f32 v12, v12, v13, v95
	v_min3_f32 v45, v0, v1, v81
	v_pk_add_f32 v[0:1], v[14:15], v[62:63]
	v_pk_add_f32 v[20:21], v[20:21], v[32:33]
	v_min3_f32 v48, v0, v1, v86
	v_pk_add_f32 v[0:1], v[10:11], v[62:63]
	v_min3_f32 v20, v20, v21, v98
	v_min3_f32 v49, v0, v1, v84
	v_pk_add_f32 v[0:1], v[6:7], v[62:63]
	v_min3_f32 v36, v36, v37, v99
	;; [unrolled: 3-line block ×3, first 2 shown]
	v_min3_f32 v53, v0, v1, v83
	v_pk_add_f32 v[0:1], v[30:31], v[58:59]
	s_nop 0
	v_min3_f32 v56, v0, v1, v85
	v_pk_add_f32 v[0:1], v[26:27], v[58:59]
	s_nop 0
	;; [unrolled: 3-line block ×56, first 2 shown]
	v_min3_f32 v122, v0, v1, v5
	s_cbranch_vccz .LBB74_26
; %bb.41:                               ;   in Loop: Header=BB74_28 Depth=1
	v_mov_b32_e32 v36, 0
	v_mov_b32_e32 v37, 0
	s_branch .LBB74_27
.LBB74_42:
	s_load_dwordx2 s[14:15], s[0:1], 0x70
	s_load_dword s4, s[0:1], 0x50
	s_load_dword s5, s[0:1], 0x68
	ds_read_b128 v[32:35], v78 offset:9216
	ds_read_b128 v[60:63], v79 offset:4096
	v_add_u32_e32 v68, s22, v76
	s_waitcnt lgkmcnt(0)
	s_mul_i32 s0, s3, s15
	s_mul_hi_u32 s1, s3, s14
	s_mul_i32 s2, s13, s14
	s_add_i32 s0, s1, s0
	s_add_i32 s1, s0, s2
	s_mul_i32 s0, s3, s14
	s_lshl_b64 s[0:1], s[0:1], 2
	v_pk_add_f32 v[0:1], v[32:33], v[60:61]
	s_add_u32 s0, s10, s0
	v_min3_f32 v2, v0, v1, v87
	v_pk_add_f32 v[0:1], v[34:35], v[62:63]
	v_add_u32_e32 v141, s23, v77
	s_addc_u32 s1, s11, s1
	v_min3_f32 v2, v0, v1, v2
	v_add_u32_e32 v64, 8, v68
	v_mad_i64_i32 v[0:1], s[2:3], v141, s5, 0
	v_ashrrev_i32_e32 v69, 31, v68
	v_ashrrev_i32_e32 v65, 31, v64
	v_lshl_add_u64 v[88:89], v[0:1], 2, s[0:1]
	v_mad_i64_i32 v[0:1], s[2:3], v141, s4, 0
	v_max_f32_e32 v2, v2, v2
	s_mov_b64 vcc, s[6:7]
	s_cbranch_vccz .LBB74_44
; %bb.43:
	v_min_f32_e32 v3, 0, v2
	v_lshl_add_u64 v[4:5], v[68:69], 2, v[88:89]
	s_mov_b32 s10, 0
	global_store_dword v[4:5], v3, off
	s_mov_b64 s[2:3], 0
	s_branch .LBB74_45
.LBB74_44:
	s_mov_b64 s[2:3], -1
                                        ; implicit-def: $sgpr10
.LBB74_45:
	ds_read_b128 v[28:31], v78 offset:9344
	ds_read_b128 v[24:27], v78 offset:9472
	v_lshl_add_u64 v[90:91], v[0:1], 2, s[8:9]
	s_andn2_b64 vcc, exec, s[2:3]
	v_lshlrev_b64 v[72:73], 2, v[68:69]
	s_cbranch_vccnz .LBB74_47
; %bb.46:
	v_lshl_add_u64 v[0:1], v[90:91], 0, v[72:73]
	flat_load_dword v3, v[0:1]
	v_lshl_add_u64 v[0:1], v[88:89], 0, v[72:73]
	s_waitcnt vmcnt(0) lgkmcnt(0)
	v_mul_f32_e32 v3, s12, v3
	v_min_f32_e32 v2, v3, v2
	global_store_dword v[0:1], v2, off
	v_lshl_add_u64 v[0:1], v[64:65], 2, v[90:91]
	flat_load_dword v0, v[0:1]
	s_waitcnt vmcnt(0) lgkmcnt(0)
	v_mul_f32_e32 v70, s12, v0
	s_branch .LBB74_48
.LBB74_47:
	v_mov_b32_e32 v70, s10
.LBB74_48:
	ds_read_b128 v[16:19], v78 offset:9728
	ds_read_b128 v[12:15], v78 offset:9856
	;; [unrolled: 1-line block ×12, first 2 shown]
	s_waitcnt lgkmcnt(13)
	v_pk_add_f32 v[66:67], v[28:29], v[60:61]
	s_mov_b64 vcc, s[6:7]
	v_min3_f32 v71, v66, v67, v83
	s_waitcnt lgkmcnt(12)
	v_pk_add_f32 v[66:67], v[24:25], v[60:61]
	s_nop 0
	v_min3_f32 v74, v66, v67, v86
	v_pk_add_f32 v[66:67], v[30:31], v[62:63]
	s_nop 0
	v_min_f32_e32 v76, v66, v67
	v_pk_add_f32 v[66:67], v[26:27], v[62:63]
	v_min3_f32 v76, v70, v76, v71
	v_min3_f32 v77, v66, v67, v74
	v_add_u32_e32 v74, 16, v68
	v_add_u32_e32 v66, 24, v68
	v_lshl_add_u64 v[70:71], v[64:65], 2, v[88:89]
	v_ashrrev_i32_e32 v75, 31, v74
	v_ashrrev_i32_e32 v67, 31, v66
	global_store_dword v[70:71], v76, off
	v_max_f32_e32 v70, v77, v77
	s_cbranch_vccz .LBB74_51
; %bb.49:
	v_min_f32_e32 v71, 0, v70
	v_lshl_add_u64 v[76:77], v[74:75], 2, v[88:89]
	s_mov_b32 s10, 0
	global_store_dword v[76:77], v71, off
	v_lshlrev_b64 v[78:79], 2, v[74:75]
	s_cbranch_execz .LBB74_52
; %bb.50:
	v_mov_b32_e32 v76, s10
	s_branch .LBB74_53
.LBB74_51:
                                        ; implicit-def: $sgpr10
	v_lshlrev_b64 v[78:79], 2, v[74:75]
.LBB74_52:
	v_lshl_add_u64 v[76:77], v[90:91], 0, v[78:79]
	flat_load_dword v71, v[76:77]
	v_lshl_add_u64 v[76:77], v[88:89], 0, v[78:79]
	s_waitcnt vmcnt(0) lgkmcnt(0)
	v_mul_f32_e32 v71, s12, v71
	v_min_f32_e32 v70, v71, v70
	global_store_dword v[76:77], v70, off
	v_lshl_add_u64 v[70:71], v[66:67], 2, v[90:91]
	flat_load_dword v70, v[70:71]
	s_waitcnt vmcnt(0) lgkmcnt(0)
	v_mul_f32_e32 v76, s12, v70
.LBB74_53:
	s_waitcnt lgkmcnt(1)
	v_pk_add_f32 v[70:71], v[20:21], v[60:61]
	s_mov_b64 vcc, s[6:7]
	v_min3_f32 v77, v70, v71, v81
	v_pk_add_f32 v[70:71], v[16:17], v[60:61]
	s_nop 0
	v_min3_f32 v80, v70, v71, v82
	v_pk_add_f32 v[70:71], v[22:23], v[62:63]
	s_nop 0
	v_min_f32_e32 v82, v70, v71
	v_pk_add_f32 v[70:71], v[18:19], v[62:63]
	v_min3_f32 v82, v76, v82, v77
	v_min3_f32 v83, v70, v71, v80
	v_add_u32_e32 v80, 32, v68
	v_add_u32_e32 v70, 40, v68
	v_lshl_add_u64 v[76:77], v[66:67], 2, v[88:89]
	v_ashrrev_i32_e32 v81, 31, v80
	v_ashrrev_i32_e32 v71, 31, v70
	global_store_dword v[76:77], v82, off
	v_max_f32_e32 v76, v83, v83
	s_cbranch_vccz .LBB74_56
; %bb.54:
	v_min_f32_e32 v77, 0, v76
	v_lshl_add_u64 v[82:83], v[80:81], 2, v[88:89]
	s_mov_b32 s10, 0
	global_store_dword v[82:83], v77, off
	v_lshlrev_b64 v[82:83], 2, v[80:81]
	s_cbranch_execz .LBB74_57
; %bb.55:
	v_mov_b32_e32 v86, s10
	s_branch .LBB74_58
.LBB74_56:
                                        ; implicit-def: $sgpr10
	v_lshlrev_b64 v[82:83], 2, v[80:81]
.LBB74_57:
	v_lshl_add_u64 v[86:87], v[90:91], 0, v[82:83]
	flat_load_dword v77, v[86:87]
	v_lshl_add_u64 v[86:87], v[88:89], 0, v[82:83]
	s_waitcnt vmcnt(0) lgkmcnt(0)
	v_mul_f32_e32 v77, s12, v77
	v_min_f32_e32 v76, v77, v76
	global_store_dword v[86:87], v76, off
	v_lshl_add_u64 v[76:77], v[70:71], 2, v[90:91]
	flat_load_dword v76, v[76:77]
	s_waitcnt vmcnt(0) lgkmcnt(0)
	v_mul_f32_e32 v86, s12, v76
.LBB74_58:
	v_pk_add_f32 v[76:77], v[12:13], v[60:61]
	s_mov_b64 vcc, s[6:7]
	v_min3_f32 v87, v76, v77, v84
	v_pk_add_f32 v[76:77], v[8:9], v[60:61]
	s_nop 0
	v_min3_f32 v84, v76, v77, v85
	v_pk_add_f32 v[76:77], v[14:15], v[62:63]
	s_nop 0
	v_min_f32_e32 v150, v76, v77
	v_pk_add_f32 v[76:77], v[10:11], v[62:63]
	v_min3_f32 v150, v86, v150, v87
	v_min3_f32 v151, v76, v77, v84
	v_add_u32_e32 v84, 48, v68
	v_add_u32_e32 v76, 56, v68
	v_lshl_add_u64 v[86:87], v[70:71], 2, v[88:89]
	v_ashrrev_i32_e32 v85, 31, v84
	v_ashrrev_i32_e32 v77, 31, v76
	global_store_dword v[86:87], v150, off
	v_max_f32_e32 v150, v151, v151
	s_cbranch_vccz .LBB74_61
; %bb.59:
	v_min_f32_e32 v151, 0, v150
	v_lshl_add_u64 v[86:87], v[84:85], 2, v[88:89]
	s_mov_b32 s10, 0
	global_store_dword v[86:87], v151, off
	v_lshlrev_b64 v[86:87], 2, v[84:85]
	s_cbranch_execz .LBB74_62
; %bb.60:
	v_mov_b32_e32 v90, s10
	s_branch .LBB74_63
.LBB74_61:
                                        ; implicit-def: $sgpr10
	v_lshlrev_b64 v[86:87], 2, v[84:85]
.LBB74_62:
	v_lshl_add_u64 v[152:153], v[90:91], 0, v[86:87]
	flat_load_dword v151, v[152:153]
	v_lshl_add_u64 v[152:153], v[88:89], 0, v[86:87]
	v_lshl_add_u64 v[90:91], v[76:77], 2, v[90:91]
	s_waitcnt vmcnt(0) lgkmcnt(0)
	v_mul_f32_e32 v151, s12, v151
	v_min_f32_e32 v150, v151, v150
	global_store_dword v[152:153], v150, off
	flat_load_dword v90, v[90:91]
	s_waitcnt vmcnt(0) lgkmcnt(0)
	v_mul_f32_e32 v90, s12, v90
.LBB74_63:
	v_pk_add_f32 v[60:61], v[0:1], v[60:61]
	s_mov_b64 vcc, s[6:7]
	v_min3_f32 v91, v60, v61, v148
	v_pk_add_f32 v[60:61], v[32:33], v[56:57]
	s_nop 0
	v_min3_f32 v148, v60, v61, v149
	v_pk_add_f32 v[60:61], v[2:3], v[62:63]
	s_nop 0
	v_min_f32_e32 v62, v60, v61
	v_pk_add_f32 v[60:61], v[34:35], v[58:59]
	v_min3_f32 v62, v90, v62, v91
	v_min3_f32 v148, v60, v61, v148
	v_lshl_add_u64 v[60:61], v[76:77], 2, v[88:89]
	global_store_dword v[60:61], v62, off
	v_add_u32_e32 v62, 32, v141
	v_mad_i64_i32 v[60:61], s[2:3], v62, s5, 0
	v_lshl_add_u64 v[60:61], v[60:61], 2, s[0:1]
	v_mad_i64_i32 v[62:63], s[2:3], v62, s4, 0
	v_max_f32_e32 v88, v148, v148
	s_cbranch_vccz .LBB74_66
; %bb.64:
	v_min_f32_e32 v89, 0, v88
	v_lshl_add_u64 v[90:91], v[68:69], 2, v[60:61]
	s_mov_b32 s10, 0
	global_store_dword v[90:91], v89, off
	v_lshl_add_u64 v[62:63], v[62:63], 2, s[8:9]
	s_cbranch_execz .LBB74_67
; %bb.65:
	v_mov_b32_e32 v88, s10
	s_branch .LBB74_68
.LBB74_66:
                                        ; implicit-def: $sgpr10
	v_lshl_add_u64 v[62:63], v[62:63], 2, s[8:9]
.LBB74_67:
	v_lshl_add_u64 v[90:91], v[62:63], 0, v[72:73]
	flat_load_dword v89, v[90:91]
	v_lshl_add_u64 v[90:91], v[60:61], 0, v[72:73]
	s_waitcnt vmcnt(0) lgkmcnt(0)
	v_mul_f32_e32 v89, s12, v89
	v_min_f32_e32 v88, v89, v88
	global_store_dword v[90:91], v88, off
	v_lshl_add_u64 v[88:89], v[64:65], 2, v[62:63]
	flat_load_dword v88, v[88:89]
	s_waitcnt vmcnt(0) lgkmcnt(0)
	v_mul_f32_e32 v88, s12, v88
.LBB74_68:
	v_pk_add_f32 v[90:91], v[28:29], v[56:57]
	s_mov_b64 vcc, s[6:7]
	v_min3_f32 v89, v90, v91, v146
	v_pk_add_f32 v[90:91], v[24:25], v[56:57]
	s_nop 0
	v_min3_f32 v146, v90, v91, v147
	v_pk_add_f32 v[90:91], v[30:31], v[58:59]
	s_nop 0
	v_min_f32_e32 v147, v90, v91
	v_pk_add_f32 v[90:91], v[26:27], v[58:59]
	s_nop 0
	v_min3_f32 v90, v90, v91, v146
	v_min3_f32 v91, v88, v147, v89
	v_lshl_add_u64 v[88:89], v[64:65], 2, v[60:61]
	global_store_dword v[88:89], v91, off
	v_max_f32_e32 v88, v90, v90
	s_cbranch_vccz .LBB74_71
; %bb.69:
	v_min_f32_e32 v89, 0, v88
	v_lshl_add_u64 v[90:91], v[74:75], 2, v[60:61]
	s_mov_b32 s10, 0
	global_store_dword v[90:91], v89, off
	s_cbranch_execz .LBB74_72
; %bb.70:
	v_mov_b32_e32 v88, s10
	s_branch .LBB74_73
.LBB74_71:
                                        ; implicit-def: $sgpr10
.LBB74_72:
	v_lshl_add_u64 v[90:91], v[62:63], 0, v[78:79]
	flat_load_dword v89, v[90:91]
	v_lshl_add_u64 v[90:91], v[60:61], 0, v[78:79]
	s_waitcnt vmcnt(0) lgkmcnt(0)
	v_mul_f32_e32 v89, s12, v89
	v_min_f32_e32 v88, v89, v88
	global_store_dword v[90:91], v88, off
	v_lshl_add_u64 v[88:89], v[66:67], 2, v[62:63]
	flat_load_dword v88, v[88:89]
	s_waitcnt vmcnt(0) lgkmcnt(0)
	v_mul_f32_e32 v88, s12, v88
.LBB74_73:
	v_pk_add_f32 v[90:91], v[20:21], v[56:57]
	s_mov_b64 vcc, s[6:7]
	v_min3_f32 v89, v90, v91, v144
	v_pk_add_f32 v[90:91], v[16:17], v[56:57]
	s_nop 0
	v_min3_f32 v144, v90, v91, v145
	v_pk_add_f32 v[90:91], v[22:23], v[58:59]
	s_nop 0
	v_min_f32_e32 v145, v90, v91
	v_pk_add_f32 v[90:91], v[18:19], v[58:59]
	s_nop 0
	v_min3_f32 v90, v90, v91, v144
	v_min3_f32 v91, v88, v145, v89
	v_lshl_add_u64 v[88:89], v[66:67], 2, v[60:61]
	global_store_dword v[88:89], v91, off
	v_max_f32_e32 v88, v90, v90
	s_cbranch_vccz .LBB74_76
; %bb.74:
	v_min_f32_e32 v89, 0, v88
	v_lshl_add_u64 v[90:91], v[80:81], 2, v[60:61]
	s_mov_b32 s10, 0
	global_store_dword v[90:91], v89, off
	s_cbranch_execz .LBB74_77
; %bb.75:
	v_mov_b32_e32 v88, s10
	s_branch .LBB74_78
.LBB74_76:
                                        ; implicit-def: $sgpr10
.LBB74_77:
	v_lshl_add_u64 v[90:91], v[62:63], 0, v[82:83]
	flat_load_dword v89, v[90:91]
	v_lshl_add_u64 v[90:91], v[60:61], 0, v[82:83]
	s_waitcnt vmcnt(0) lgkmcnt(0)
	v_mul_f32_e32 v89, s12, v89
	v_min_f32_e32 v88, v89, v88
	global_store_dword v[90:91], v88, off
	v_lshl_add_u64 v[88:89], v[70:71], 2, v[62:63]
	flat_load_dword v88, v[88:89]
	s_waitcnt vmcnt(0) lgkmcnt(0)
	v_mul_f32_e32 v88, s12, v88
.LBB74_78:
	v_pk_add_f32 v[90:91], v[12:13], v[56:57]
	s_mov_b64 vcc, s[6:7]
	v_min3_f32 v89, v90, v91, v142
	v_pk_add_f32 v[90:91], v[8:9], v[56:57]
	s_nop 0
	v_min3_f32 v142, v90, v91, v143
	v_pk_add_f32 v[90:91], v[14:15], v[58:59]
	s_nop 0
	v_min_f32_e32 v143, v90, v91
	v_pk_add_f32 v[90:91], v[10:11], v[58:59]
	s_nop 0
	v_min3_f32 v90, v90, v91, v142
	v_min3_f32 v91, v88, v143, v89
	v_lshl_add_u64 v[88:89], v[70:71], 2, v[60:61]
	global_store_dword v[88:89], v91, off
	v_max_f32_e32 v88, v90, v90
	s_cbranch_vccz .LBB74_81
; %bb.79:
	v_min_f32_e32 v89, 0, v88
	v_lshl_add_u64 v[90:91], v[84:85], 2, v[60:61]
	s_mov_b32 s10, 0
	global_store_dword v[90:91], v89, off
	s_cbranch_execz .LBB74_82
; %bb.80:
	v_mov_b32_e32 v62, s10
	s_branch .LBB74_83
.LBB74_81:
                                        ; implicit-def: $sgpr10
.LBB74_82:
	v_lshl_add_u64 v[90:91], v[62:63], 0, v[86:87]
	flat_load_dword v89, v[90:91]
	v_lshl_add_u64 v[90:91], v[60:61], 0, v[86:87]
	v_lshl_add_u64 v[62:63], v[76:77], 2, v[62:63]
	s_waitcnt vmcnt(0) lgkmcnt(0)
	v_mul_f32_e32 v89, s12, v89
	v_min_f32_e32 v88, v89, v88
	global_store_dword v[90:91], v88, off
	flat_load_dword v62, v[62:63]
	s_waitcnt vmcnt(0) lgkmcnt(0)
	v_mul_f32_e32 v62, s12, v62
.LBB74_83:
	v_pk_add_f32 v[56:57], v[0:1], v[56:57]
	s_mov_b64 vcc, s[6:7]
	v_min3_f32 v63, v56, v57, v139
	v_pk_add_f32 v[56:57], v[32:33], v[52:53]
	s_nop 0
	v_min3_f32 v88, v56, v57, v140
	v_pk_add_f32 v[56:57], v[2:3], v[58:59]
	s_nop 0
	v_min_f32_e32 v58, v56, v57
	v_pk_add_f32 v[56:57], v[34:35], v[54:55]
	v_min3_f32 v58, v62, v58, v63
	v_min3_f32 v88, v56, v57, v88
	v_lshl_add_u64 v[56:57], v[76:77], 2, v[60:61]
	global_store_dword v[56:57], v58, off
	v_add_u32_e32 v58, 64, v141
	v_mad_i64_i32 v[56:57], s[2:3], v58, s5, 0
	v_lshl_add_u64 v[56:57], v[56:57], 2, s[0:1]
	v_mad_i64_i32 v[58:59], s[2:3], v58, s4, 0
	v_max_f32_e32 v60, v88, v88
	s_cbranch_vccz .LBB74_86
; %bb.84:
	v_min_f32_e32 v61, 0, v60
	v_lshl_add_u64 v[62:63], v[68:69], 2, v[56:57]
	s_mov_b32 s10, 0
	global_store_dword v[62:63], v61, off
	v_lshl_add_u64 v[58:59], v[58:59], 2, s[8:9]
	s_cbranch_execz .LBB74_87
; %bb.85:
	v_mov_b32_e32 v60, s10
	s_branch .LBB74_88
.LBB74_86:
                                        ; implicit-def: $sgpr10
	v_lshl_add_u64 v[58:59], v[58:59], 2, s[8:9]
.LBB74_87:
	v_lshl_add_u64 v[62:63], v[58:59], 0, v[72:73]
	flat_load_dword v61, v[62:63]
	v_lshl_add_u64 v[62:63], v[56:57], 0, v[72:73]
	s_waitcnt vmcnt(0) lgkmcnt(0)
	v_mul_f32_e32 v61, s12, v61
	v_min_f32_e32 v60, v61, v60
	global_store_dword v[62:63], v60, off
	v_lshl_add_u64 v[60:61], v[64:65], 2, v[58:59]
	flat_load_dword v60, v[60:61]
	s_waitcnt vmcnt(0) lgkmcnt(0)
	v_mul_f32_e32 v60, s12, v60
.LBB74_88:
	v_pk_add_f32 v[62:63], v[28:29], v[52:53]
	s_mov_b64 vcc, s[6:7]
	v_min3_f32 v61, v62, v63, v137
	v_pk_add_f32 v[62:63], v[24:25], v[52:53]
	s_nop 0
	v_min3_f32 v88, v62, v63, v138
	v_pk_add_f32 v[62:63], v[30:31], v[54:55]
	s_nop 0
	v_min_f32_e32 v89, v62, v63
	v_pk_add_f32 v[62:63], v[26:27], v[54:55]
	s_nop 0
	v_min3_f32 v62, v62, v63, v88
	v_min3_f32 v63, v60, v89, v61
	v_lshl_add_u64 v[60:61], v[64:65], 2, v[56:57]
	global_store_dword v[60:61], v63, off
	v_max_f32_e32 v60, v62, v62
	s_cbranch_vccz .LBB74_91
; %bb.89:
	v_min_f32_e32 v61, 0, v60
	v_lshl_add_u64 v[62:63], v[74:75], 2, v[56:57]
	s_mov_b32 s10, 0
	global_store_dword v[62:63], v61, off
	s_cbranch_execz .LBB74_92
; %bb.90:
	v_mov_b32_e32 v60, s10
	s_branch .LBB74_93
.LBB74_91:
                                        ; implicit-def: $sgpr10
.LBB74_92:
	v_lshl_add_u64 v[62:63], v[58:59], 0, v[78:79]
	flat_load_dword v61, v[62:63]
	v_lshl_add_u64 v[62:63], v[56:57], 0, v[78:79]
	s_waitcnt vmcnt(0) lgkmcnt(0)
	v_mul_f32_e32 v61, s12, v61
	v_min_f32_e32 v60, v61, v60
	global_store_dword v[62:63], v60, off
	v_lshl_add_u64 v[60:61], v[66:67], 2, v[58:59]
	flat_load_dword v60, v[60:61]
	s_waitcnt vmcnt(0) lgkmcnt(0)
	v_mul_f32_e32 v60, s12, v60
.LBB74_93:
	v_pk_add_f32 v[62:63], v[20:21], v[52:53]
	s_mov_b64 vcc, s[6:7]
	v_min3_f32 v61, v62, v63, v135
	v_pk_add_f32 v[62:63], v[16:17], v[52:53]
	s_nop 0
	v_min3_f32 v88, v62, v63, v136
	v_pk_add_f32 v[62:63], v[22:23], v[54:55]
	s_nop 0
	v_min_f32_e32 v89, v62, v63
	v_pk_add_f32 v[62:63], v[18:19], v[54:55]
	s_nop 0
	v_min3_f32 v62, v62, v63, v88
	v_min3_f32 v63, v60, v89, v61
	v_lshl_add_u64 v[60:61], v[66:67], 2, v[56:57]
	global_store_dword v[60:61], v63, off
	v_max_f32_e32 v60, v62, v62
	s_cbranch_vccz .LBB74_96
; %bb.94:
	v_min_f32_e32 v61, 0, v60
	v_lshl_add_u64 v[62:63], v[80:81], 2, v[56:57]
	s_mov_b32 s10, 0
	global_store_dword v[62:63], v61, off
	s_cbranch_execz .LBB74_97
; %bb.95:
	v_mov_b32_e32 v60, s10
	s_branch .LBB74_98
.LBB74_96:
                                        ; implicit-def: $sgpr10
.LBB74_97:
	v_lshl_add_u64 v[62:63], v[58:59], 0, v[82:83]
	flat_load_dword v61, v[62:63]
	v_lshl_add_u64 v[62:63], v[56:57], 0, v[82:83]
	s_waitcnt vmcnt(0) lgkmcnt(0)
	v_mul_f32_e32 v61, s12, v61
	v_min_f32_e32 v60, v61, v60
	global_store_dword v[62:63], v60, off
	v_lshl_add_u64 v[60:61], v[70:71], 2, v[58:59]
	flat_load_dword v60, v[60:61]
	s_waitcnt vmcnt(0) lgkmcnt(0)
	v_mul_f32_e32 v60, s12, v60
.LBB74_98:
	v_pk_add_f32 v[62:63], v[12:13], v[52:53]
	s_mov_b64 vcc, s[6:7]
	v_min3_f32 v61, v62, v63, v131
	v_pk_add_f32 v[62:63], v[8:9], v[52:53]
	s_nop 0
	v_min3_f32 v88, v62, v63, v132
	v_pk_add_f32 v[62:63], v[14:15], v[54:55]
	s_nop 0
	v_min_f32_e32 v89, v62, v63
	v_pk_add_f32 v[62:63], v[10:11], v[54:55]
	s_nop 0
	v_min3_f32 v62, v62, v63, v88
	v_min3_f32 v63, v60, v89, v61
	v_lshl_add_u64 v[60:61], v[70:71], 2, v[56:57]
	global_store_dword v[60:61], v63, off
	v_max_f32_e32 v60, v62, v62
	s_cbranch_vccz .LBB74_101
; %bb.99:
	v_min_f32_e32 v61, 0, v60
	v_lshl_add_u64 v[62:63], v[84:85], 2, v[56:57]
	s_mov_b32 s10, 0
	global_store_dword v[62:63], v61, off
	s_cbranch_execz .LBB74_102
; %bb.100:
	v_mov_b32_e32 v58, s10
	s_branch .LBB74_103
.LBB74_101:
                                        ; implicit-def: $sgpr10
.LBB74_102:
	v_lshl_add_u64 v[62:63], v[58:59], 0, v[86:87]
	flat_load_dword v61, v[62:63]
	v_lshl_add_u64 v[62:63], v[56:57], 0, v[86:87]
	v_lshl_add_u64 v[58:59], v[76:77], 2, v[58:59]
	s_waitcnt vmcnt(0) lgkmcnt(0)
	v_mul_f32_e32 v61, s12, v61
	v_min_f32_e32 v60, v61, v60
	global_store_dword v[62:63], v60, off
	flat_load_dword v58, v[58:59]
	s_waitcnt vmcnt(0) lgkmcnt(0)
	v_mul_f32_e32 v58, s12, v58
.LBB74_103:
	v_pk_add_f32 v[52:53], v[0:1], v[52:53]
	s_mov_b64 vcc, s[6:7]
	v_min3_f32 v59, v52, v53, v134
	v_pk_add_f32 v[52:53], v[32:33], v[48:49]
	s_nop 0
	v_min3_f32 v60, v52, v53, v133
	v_pk_add_f32 v[52:53], v[2:3], v[54:55]
	s_nop 0
	v_min_f32_e32 v54, v52, v53
	v_pk_add_f32 v[52:53], v[34:35], v[50:51]
	v_min3_f32 v54, v58, v54, v59
	v_min3_f32 v60, v52, v53, v60
	v_lshl_add_u64 v[52:53], v[76:77], 2, v[56:57]
	global_store_dword v[52:53], v54, off
	v_add_u32_e32 v54, 0x60, v141
	v_mad_i64_i32 v[52:53], s[2:3], v54, s5, 0
	v_lshl_add_u64 v[52:53], v[52:53], 2, s[0:1]
	v_mad_i64_i32 v[54:55], s[2:3], v54, s4, 0
	v_max_f32_e32 v56, v60, v60
	s_cbranch_vccz .LBB74_106
; %bb.104:
	v_min_f32_e32 v57, 0, v56
	v_lshl_add_u64 v[58:59], v[68:69], 2, v[52:53]
	s_mov_b32 s10, 0
	global_store_dword v[58:59], v57, off
	v_lshl_add_u64 v[54:55], v[54:55], 2, s[8:9]
	s_cbranch_execz .LBB74_107
; %bb.105:
	v_mov_b32_e32 v56, s10
	s_branch .LBB74_108
.LBB74_106:
                                        ; implicit-def: $sgpr10
	v_lshl_add_u64 v[54:55], v[54:55], 2, s[8:9]
.LBB74_107:
	v_lshl_add_u64 v[58:59], v[54:55], 0, v[72:73]
	flat_load_dword v57, v[58:59]
	v_lshl_add_u64 v[58:59], v[52:53], 0, v[72:73]
	s_waitcnt vmcnt(0) lgkmcnt(0)
	v_mul_f32_e32 v57, s12, v57
	v_min_f32_e32 v56, v57, v56
	global_store_dword v[58:59], v56, off
	v_lshl_add_u64 v[56:57], v[64:65], 2, v[54:55]
	flat_load_dword v56, v[56:57]
	s_waitcnt vmcnt(0) lgkmcnt(0)
	v_mul_f32_e32 v56, s12, v56
.LBB74_108:
	v_pk_add_f32 v[58:59], v[28:29], v[48:49]
	s_mov_b64 vcc, s[6:7]
	v_min3_f32 v57, v58, v59, v130
	v_pk_add_f32 v[58:59], v[24:25], v[48:49]
	s_nop 0
	v_min3_f32 v60, v58, v59, v129
	v_pk_add_f32 v[58:59], v[30:31], v[50:51]
	s_nop 0
	v_min_f32_e32 v61, v58, v59
	v_pk_add_f32 v[58:59], v[26:27], v[50:51]
	s_nop 0
	v_min3_f32 v58, v58, v59, v60
	v_min3_f32 v59, v56, v61, v57
	v_lshl_add_u64 v[56:57], v[64:65], 2, v[52:53]
	global_store_dword v[56:57], v59, off
	v_max_f32_e32 v56, v58, v58
	s_cbranch_vccz .LBB74_111
; %bb.109:
	v_min_f32_e32 v57, 0, v56
	v_lshl_add_u64 v[58:59], v[74:75], 2, v[52:53]
	s_mov_b32 s10, 0
	global_store_dword v[58:59], v57, off
	s_cbranch_execz .LBB74_112
; %bb.110:
	v_mov_b32_e32 v56, s10
	s_branch .LBB74_113
.LBB74_111:
                                        ; implicit-def: $sgpr10
.LBB74_112:
	v_lshl_add_u64 v[58:59], v[54:55], 0, v[78:79]
	flat_load_dword v57, v[58:59]
	v_lshl_add_u64 v[58:59], v[52:53], 0, v[78:79]
	s_waitcnt vmcnt(0) lgkmcnt(0)
	v_mul_f32_e32 v57, s12, v57
	v_min_f32_e32 v56, v57, v56
	global_store_dword v[58:59], v56, off
	v_lshl_add_u64 v[56:57], v[66:67], 2, v[54:55]
	flat_load_dword v56, v[56:57]
	s_waitcnt vmcnt(0) lgkmcnt(0)
	v_mul_f32_e32 v56, s12, v56
.LBB74_113:
	v_pk_add_f32 v[58:59], v[20:21], v[48:49]
	s_mov_b64 vcc, s[6:7]
	v_min3_f32 v57, v58, v59, v128
	v_pk_add_f32 v[58:59], v[16:17], v[48:49]
	s_nop 0
	v_min3_f32 v60, v58, v59, v127
	v_pk_add_f32 v[58:59], v[22:23], v[50:51]
	s_nop 0
	v_min_f32_e32 v61, v58, v59
	v_pk_add_f32 v[58:59], v[18:19], v[50:51]
	s_nop 0
	v_min3_f32 v58, v58, v59, v60
	v_min3_f32 v59, v56, v61, v57
	v_lshl_add_u64 v[56:57], v[66:67], 2, v[52:53]
	global_store_dword v[56:57], v59, off
	v_max_f32_e32 v56, v58, v58
	s_cbranch_vccz .LBB74_116
; %bb.114:
	v_min_f32_e32 v57, 0, v56
	v_lshl_add_u64 v[58:59], v[80:81], 2, v[52:53]
	s_mov_b32 s10, 0
	global_store_dword v[58:59], v57, off
	s_cbranch_execz .LBB74_117
; %bb.115:
	v_mov_b32_e32 v56, s10
	s_branch .LBB74_118
.LBB74_116:
                                        ; implicit-def: $sgpr10
.LBB74_117:
	v_lshl_add_u64 v[58:59], v[54:55], 0, v[82:83]
	flat_load_dword v57, v[58:59]
	v_lshl_add_u64 v[58:59], v[52:53], 0, v[82:83]
	s_waitcnt vmcnt(0) lgkmcnt(0)
	v_mul_f32_e32 v57, s12, v57
	v_min_f32_e32 v56, v57, v56
	global_store_dword v[58:59], v56, off
	v_lshl_add_u64 v[56:57], v[70:71], 2, v[54:55]
	flat_load_dword v56, v[56:57]
	s_waitcnt vmcnt(0) lgkmcnt(0)
	v_mul_f32_e32 v56, s12, v56
.LBB74_118:
	v_pk_add_f32 v[58:59], v[12:13], v[48:49]
	s_mov_b64 vcc, s[6:7]
	v_min3_f32 v57, v58, v59, v126
	v_pk_add_f32 v[58:59], v[8:9], v[48:49]
	s_nop 0
	v_min3_f32 v60, v58, v59, v125
	v_pk_add_f32 v[58:59], v[14:15], v[50:51]
	s_nop 0
	v_min_f32_e32 v61, v58, v59
	v_pk_add_f32 v[58:59], v[10:11], v[50:51]
	s_nop 0
	v_min3_f32 v58, v58, v59, v60
	v_min3_f32 v59, v56, v61, v57
	v_lshl_add_u64 v[56:57], v[70:71], 2, v[52:53]
	global_store_dword v[56:57], v59, off
	v_max_f32_e32 v56, v58, v58
	s_cbranch_vccz .LBB74_121
; %bb.119:
	v_min_f32_e32 v57, 0, v56
	v_lshl_add_u64 v[58:59], v[84:85], 2, v[52:53]
	s_mov_b32 s10, 0
	global_store_dword v[58:59], v57, off
	s_cbranch_execz .LBB74_122
; %bb.120:
	v_mov_b32_e32 v54, s10
	s_branch .LBB74_123
.LBB74_121:
                                        ; implicit-def: $sgpr10
.LBB74_122:
	v_lshl_add_u64 v[58:59], v[54:55], 0, v[86:87]
	flat_load_dword v57, v[58:59]
	v_lshl_add_u64 v[58:59], v[52:53], 0, v[86:87]
	v_lshl_add_u64 v[54:55], v[76:77], 2, v[54:55]
	s_waitcnt vmcnt(0) lgkmcnt(0)
	v_mul_f32_e32 v57, s12, v57
	v_min_f32_e32 v56, v57, v56
	global_store_dword v[58:59], v56, off
	flat_load_dword v54, v[54:55]
	s_waitcnt vmcnt(0) lgkmcnt(0)
	v_mul_f32_e32 v54, s12, v54
.LBB74_123:
	v_pk_add_f32 v[48:49], v[0:1], v[48:49]
	s_mov_b64 vcc, s[6:7]
	v_min3_f32 v55, v48, v49, v124
	v_pk_add_f32 v[48:49], v[32:33], v[44:45]
	s_nop 0
	v_min3_f32 v56, v48, v49, v123
	v_pk_add_f32 v[48:49], v[2:3], v[50:51]
	s_nop 0
	v_min_f32_e32 v50, v48, v49
	v_pk_add_f32 v[48:49], v[34:35], v[46:47]
	v_min3_f32 v50, v54, v50, v55
	v_min3_f32 v56, v48, v49, v56
	v_lshl_add_u64 v[48:49], v[76:77], 2, v[52:53]
	global_store_dword v[48:49], v50, off
	v_add_u32_e32 v50, 0x80, v141
	v_mad_i64_i32 v[48:49], s[2:3], v50, s5, 0
	v_lshl_add_u64 v[48:49], v[48:49], 2, s[0:1]
	v_mad_i64_i32 v[50:51], s[2:3], v50, s4, 0
	v_max_f32_e32 v52, v56, v56
	s_cbranch_vccz .LBB74_126
; %bb.124:
	v_min_f32_e32 v53, 0, v52
	v_lshl_add_u64 v[54:55], v[68:69], 2, v[48:49]
	s_mov_b32 s10, 0
	global_store_dword v[54:55], v53, off
	v_lshl_add_u64 v[50:51], v[50:51], 2, s[8:9]
	s_cbranch_execz .LBB74_127
; %bb.125:
	v_mov_b32_e32 v52, s10
	s_branch .LBB74_128
.LBB74_126:
                                        ; implicit-def: $sgpr10
	v_lshl_add_u64 v[50:51], v[50:51], 2, s[8:9]
.LBB74_127:
	v_lshl_add_u64 v[54:55], v[50:51], 0, v[72:73]
	flat_load_dword v53, v[54:55]
	v_lshl_add_u64 v[54:55], v[48:49], 0, v[72:73]
	s_waitcnt vmcnt(0) lgkmcnt(0)
	v_mul_f32_e32 v53, s12, v53
	v_min_f32_e32 v52, v53, v52
	global_store_dword v[54:55], v52, off
	v_lshl_add_u64 v[52:53], v[64:65], 2, v[50:51]
	flat_load_dword v52, v[52:53]
	s_waitcnt vmcnt(0) lgkmcnt(0)
	v_mul_f32_e32 v52, s12, v52
.LBB74_128:
	v_pk_add_f32 v[54:55], v[28:29], v[44:45]
	s_mov_b64 vcc, s[6:7]
	v_min3_f32 v53, v54, v55, v122
	v_pk_add_f32 v[54:55], v[24:25], v[44:45]
	s_nop 0
	v_min3_f32 v56, v54, v55, v121
	v_pk_add_f32 v[54:55], v[30:31], v[46:47]
	s_nop 0
	v_min_f32_e32 v57, v54, v55
	v_pk_add_f32 v[54:55], v[26:27], v[46:47]
	s_nop 0
	v_min3_f32 v54, v54, v55, v56
	v_min3_f32 v55, v52, v57, v53
	v_lshl_add_u64 v[52:53], v[64:65], 2, v[48:49]
	global_store_dword v[52:53], v55, off
	v_max_f32_e32 v52, v54, v54
	s_cbranch_vccz .LBB74_131
; %bb.129:
	v_min_f32_e32 v53, 0, v52
	v_lshl_add_u64 v[54:55], v[74:75], 2, v[48:49]
	s_mov_b32 s10, 0
	global_store_dword v[54:55], v53, off
	s_cbranch_execz .LBB74_132
; %bb.130:
	v_mov_b32_e32 v52, s10
	s_branch .LBB74_133
.LBB74_131:
                                        ; implicit-def: $sgpr10
.LBB74_132:
	v_lshl_add_u64 v[54:55], v[50:51], 0, v[78:79]
	flat_load_dword v53, v[54:55]
	v_lshl_add_u64 v[54:55], v[48:49], 0, v[78:79]
	s_waitcnt vmcnt(0) lgkmcnt(0)
	v_mul_f32_e32 v53, s12, v53
	v_min_f32_e32 v52, v53, v52
	global_store_dword v[54:55], v52, off
	v_lshl_add_u64 v[52:53], v[66:67], 2, v[50:51]
	flat_load_dword v52, v[52:53]
	s_waitcnt vmcnt(0) lgkmcnt(0)
	v_mul_f32_e32 v52, s12, v52
.LBB74_133:
	v_pk_add_f32 v[54:55], v[20:21], v[44:45]
	s_mov_b64 vcc, s[6:7]
	v_min3_f32 v53, v54, v55, v120
	v_pk_add_f32 v[54:55], v[16:17], v[44:45]
	s_nop 0
	v_min3_f32 v56, v54, v55, v119
	v_pk_add_f32 v[54:55], v[22:23], v[46:47]
	s_nop 0
	v_min_f32_e32 v57, v54, v55
	v_pk_add_f32 v[54:55], v[18:19], v[46:47]
	s_nop 0
	v_min3_f32 v54, v54, v55, v56
	v_min3_f32 v55, v52, v57, v53
	v_lshl_add_u64 v[52:53], v[66:67], 2, v[48:49]
	global_store_dword v[52:53], v55, off
	v_max_f32_e32 v52, v54, v54
	s_cbranch_vccz .LBB74_136
; %bb.134:
	v_min_f32_e32 v53, 0, v52
	v_lshl_add_u64 v[54:55], v[80:81], 2, v[48:49]
	s_mov_b32 s10, 0
	global_store_dword v[54:55], v53, off
	s_cbranch_execz .LBB74_137
; %bb.135:
	v_mov_b32_e32 v52, s10
	s_branch .LBB74_138
.LBB74_136:
                                        ; implicit-def: $sgpr10
.LBB74_137:
	v_lshl_add_u64 v[54:55], v[50:51], 0, v[82:83]
	flat_load_dword v53, v[54:55]
	v_lshl_add_u64 v[54:55], v[48:49], 0, v[82:83]
	s_waitcnt vmcnt(0) lgkmcnt(0)
	v_mul_f32_e32 v53, s12, v53
	v_min_f32_e32 v52, v53, v52
	global_store_dword v[54:55], v52, off
	v_lshl_add_u64 v[52:53], v[70:71], 2, v[50:51]
	flat_load_dword v52, v[52:53]
	s_waitcnt vmcnt(0) lgkmcnt(0)
	v_mul_f32_e32 v52, s12, v52
.LBB74_138:
	v_pk_add_f32 v[54:55], v[12:13], v[44:45]
	s_mov_b64 vcc, s[6:7]
	v_min3_f32 v53, v54, v55, v118
	v_pk_add_f32 v[54:55], v[8:9], v[44:45]
	s_nop 0
	v_min3_f32 v56, v54, v55, v117
	v_pk_add_f32 v[54:55], v[14:15], v[46:47]
	s_nop 0
	v_min_f32_e32 v57, v54, v55
	v_pk_add_f32 v[54:55], v[10:11], v[46:47]
	s_nop 0
	v_min3_f32 v54, v54, v55, v56
	v_min3_f32 v55, v52, v57, v53
	v_lshl_add_u64 v[52:53], v[70:71], 2, v[48:49]
	global_store_dword v[52:53], v55, off
	v_max_f32_e32 v52, v54, v54
	s_cbranch_vccz .LBB74_141
; %bb.139:
	v_min_f32_e32 v53, 0, v52
	v_lshl_add_u64 v[54:55], v[84:85], 2, v[48:49]
	s_mov_b32 s10, 0
	global_store_dword v[54:55], v53, off
	s_cbranch_execz .LBB74_142
; %bb.140:
	v_mov_b32_e32 v50, s10
	s_branch .LBB74_143
.LBB74_141:
                                        ; implicit-def: $sgpr10
.LBB74_142:
	v_lshl_add_u64 v[54:55], v[50:51], 0, v[86:87]
	flat_load_dword v53, v[54:55]
	v_lshl_add_u64 v[54:55], v[48:49], 0, v[86:87]
	v_lshl_add_u64 v[50:51], v[76:77], 2, v[50:51]
	s_waitcnt vmcnt(0) lgkmcnt(0)
	v_mul_f32_e32 v53, s12, v53
	v_min_f32_e32 v52, v53, v52
	global_store_dword v[54:55], v52, off
	flat_load_dword v50, v[50:51]
	s_waitcnt vmcnt(0) lgkmcnt(0)
	v_mul_f32_e32 v50, s12, v50
.LBB74_143:
	v_pk_add_f32 v[44:45], v[0:1], v[44:45]
	s_mov_b64 vcc, s[6:7]
	v_min3_f32 v51, v44, v45, v115
	v_pk_add_f32 v[44:45], v[32:33], v[40:41]
	s_nop 0
	v_min3_f32 v52, v44, v45, v116
	v_pk_add_f32 v[44:45], v[2:3], v[46:47]
	s_nop 0
	v_min_f32_e32 v46, v44, v45
	v_pk_add_f32 v[44:45], v[34:35], v[42:43]
	v_min3_f32 v46, v50, v46, v51
	v_min3_f32 v52, v44, v45, v52
	v_lshl_add_u64 v[44:45], v[76:77], 2, v[48:49]
	global_store_dword v[44:45], v46, off
	v_add_u32_e32 v46, 0xa0, v141
	v_mad_i64_i32 v[44:45], s[2:3], v46, s5, 0
	v_lshl_add_u64 v[44:45], v[44:45], 2, s[0:1]
	v_mad_i64_i32 v[46:47], s[2:3], v46, s4, 0
	v_max_f32_e32 v48, v52, v52
	s_cbranch_vccz .LBB74_146
; %bb.144:
	v_min_f32_e32 v49, 0, v48
	v_lshl_add_u64 v[50:51], v[68:69], 2, v[44:45]
	s_mov_b32 s10, 0
	global_store_dword v[50:51], v49, off
	v_lshl_add_u64 v[46:47], v[46:47], 2, s[8:9]
	s_cbranch_execz .LBB74_147
; %bb.145:
	v_mov_b32_e32 v48, s10
	s_branch .LBB74_148
.LBB74_146:
                                        ; implicit-def: $sgpr10
	v_lshl_add_u64 v[46:47], v[46:47], 2, s[8:9]
.LBB74_147:
	v_lshl_add_u64 v[50:51], v[46:47], 0, v[72:73]
	flat_load_dword v49, v[50:51]
	v_lshl_add_u64 v[50:51], v[44:45], 0, v[72:73]
	s_waitcnt vmcnt(0) lgkmcnt(0)
	v_mul_f32_e32 v49, s12, v49
	v_min_f32_e32 v48, v49, v48
	global_store_dword v[50:51], v48, off
	v_lshl_add_u64 v[48:49], v[64:65], 2, v[46:47]
	flat_load_dword v48, v[48:49]
	s_waitcnt vmcnt(0) lgkmcnt(0)
	v_mul_f32_e32 v48, s12, v48
.LBB74_148:
	v_pk_add_f32 v[50:51], v[28:29], v[40:41]
	s_mov_b64 vcc, s[6:7]
	v_min3_f32 v49, v50, v51, v113
	v_pk_add_f32 v[50:51], v[24:25], v[40:41]
	s_nop 0
	v_min3_f32 v52, v50, v51, v114
	v_pk_add_f32 v[50:51], v[30:31], v[42:43]
	s_nop 0
	v_min_f32_e32 v53, v50, v51
	v_pk_add_f32 v[50:51], v[26:27], v[42:43]
	s_nop 0
	v_min3_f32 v50, v50, v51, v52
	v_min3_f32 v51, v48, v53, v49
	v_lshl_add_u64 v[48:49], v[64:65], 2, v[44:45]
	global_store_dword v[48:49], v51, off
	v_max_f32_e32 v48, v50, v50
	s_cbranch_vccz .LBB74_151
; %bb.149:
	v_min_f32_e32 v49, 0, v48
	v_lshl_add_u64 v[50:51], v[74:75], 2, v[44:45]
	s_mov_b32 s10, 0
	global_store_dword v[50:51], v49, off
	s_cbranch_execz .LBB74_152
; %bb.150:
	v_mov_b32_e32 v48, s10
	s_branch .LBB74_153
.LBB74_151:
                                        ; implicit-def: $sgpr10
.LBB74_152:
	v_lshl_add_u64 v[50:51], v[46:47], 0, v[78:79]
	flat_load_dword v49, v[50:51]
	v_lshl_add_u64 v[50:51], v[44:45], 0, v[78:79]
	s_waitcnt vmcnt(0) lgkmcnt(0)
	v_mul_f32_e32 v49, s12, v49
	v_min_f32_e32 v48, v49, v48
	global_store_dword v[50:51], v48, off
	v_lshl_add_u64 v[48:49], v[66:67], 2, v[46:47]
	flat_load_dword v48, v[48:49]
	s_waitcnt vmcnt(0) lgkmcnt(0)
	v_mul_f32_e32 v48, s12, v48
.LBB74_153:
	v_pk_add_f32 v[50:51], v[20:21], v[40:41]
	s_mov_b64 vcc, s[6:7]
	v_min3_f32 v49, v50, v51, v111
	v_pk_add_f32 v[50:51], v[16:17], v[40:41]
	s_nop 0
	v_min3_f32 v52, v50, v51, v112
	v_pk_add_f32 v[50:51], v[22:23], v[42:43]
	s_nop 0
	v_min_f32_e32 v53, v50, v51
	v_pk_add_f32 v[50:51], v[18:19], v[42:43]
	s_nop 0
	v_min3_f32 v50, v50, v51, v52
	v_min3_f32 v51, v48, v53, v49
	v_lshl_add_u64 v[48:49], v[66:67], 2, v[44:45]
	global_store_dword v[48:49], v51, off
	v_max_f32_e32 v48, v50, v50
	s_cbranch_vccz .LBB74_156
; %bb.154:
	v_min_f32_e32 v49, 0, v48
	v_lshl_add_u64 v[50:51], v[80:81], 2, v[44:45]
	s_mov_b32 s10, 0
	global_store_dword v[50:51], v49, off
	s_cbranch_execz .LBB74_157
; %bb.155:
	v_mov_b32_e32 v48, s10
	s_branch .LBB74_158
.LBB74_156:
                                        ; implicit-def: $sgpr10
.LBB74_157:
	v_lshl_add_u64 v[50:51], v[46:47], 0, v[82:83]
	flat_load_dword v49, v[50:51]
	v_lshl_add_u64 v[50:51], v[44:45], 0, v[82:83]
	s_waitcnt vmcnt(0) lgkmcnt(0)
	v_mul_f32_e32 v49, s12, v49
	v_min_f32_e32 v48, v49, v48
	global_store_dword v[50:51], v48, off
	v_lshl_add_u64 v[48:49], v[70:71], 2, v[46:47]
	flat_load_dword v48, v[48:49]
	s_waitcnt vmcnt(0) lgkmcnt(0)
	v_mul_f32_e32 v48, s12, v48
.LBB74_158:
	v_pk_add_f32 v[50:51], v[12:13], v[40:41]
	s_mov_b64 vcc, s[6:7]
	v_min3_f32 v49, v50, v51, v109
	v_pk_add_f32 v[50:51], v[8:9], v[40:41]
	s_nop 0
	v_min3_f32 v52, v50, v51, v110
	v_pk_add_f32 v[50:51], v[14:15], v[42:43]
	s_nop 0
	v_min_f32_e32 v53, v50, v51
	v_pk_add_f32 v[50:51], v[10:11], v[42:43]
	s_nop 0
	v_min3_f32 v50, v50, v51, v52
	v_min3_f32 v51, v48, v53, v49
	v_lshl_add_u64 v[48:49], v[70:71], 2, v[44:45]
	global_store_dword v[48:49], v51, off
	v_max_f32_e32 v48, v50, v50
	s_cbranch_vccz .LBB74_161
; %bb.159:
	v_min_f32_e32 v49, 0, v48
	v_lshl_add_u64 v[50:51], v[84:85], 2, v[44:45]
	s_mov_b32 s10, 0
	global_store_dword v[50:51], v49, off
	s_cbranch_execz .LBB74_162
; %bb.160:
	v_mov_b32_e32 v46, s10
	s_branch .LBB74_163
.LBB74_161:
                                        ; implicit-def: $sgpr10
.LBB74_162:
	v_lshl_add_u64 v[50:51], v[46:47], 0, v[86:87]
	flat_load_dword v49, v[50:51]
	v_lshl_add_u64 v[50:51], v[44:45], 0, v[86:87]
	v_lshl_add_u64 v[46:47], v[76:77], 2, v[46:47]
	s_waitcnt vmcnt(0) lgkmcnt(0)
	v_mul_f32_e32 v49, s12, v49
	v_min_f32_e32 v48, v49, v48
	global_store_dword v[50:51], v48, off
	flat_load_dword v46, v[46:47]
	s_waitcnt vmcnt(0) lgkmcnt(0)
	v_mul_f32_e32 v46, s12, v46
.LBB74_163:
	v_pk_add_f32 v[40:41], v[0:1], v[40:41]
	s_mov_b64 vcc, s[6:7]
	v_min3_f32 v47, v40, v41, v107
	v_pk_add_f32 v[40:41], v[32:33], v[36:37]
	s_nop 0
	v_min3_f32 v48, v40, v41, v108
	v_pk_add_f32 v[40:41], v[2:3], v[42:43]
	s_nop 0
	v_min_f32_e32 v42, v40, v41
	v_pk_add_f32 v[40:41], v[34:35], v[38:39]
	v_min3_f32 v42, v46, v42, v47
	v_min3_f32 v48, v40, v41, v48
	v_lshl_add_u64 v[40:41], v[76:77], 2, v[44:45]
	global_store_dword v[40:41], v42, off
	v_add_u32_e32 v42, 0xc0, v141
	v_mad_i64_i32 v[40:41], s[2:3], v42, s5, 0
	v_lshl_add_u64 v[40:41], v[40:41], 2, s[0:1]
	v_mad_i64_i32 v[42:43], s[2:3], v42, s4, 0
	v_max_f32_e32 v44, v48, v48
	s_cbranch_vccz .LBB74_166
; %bb.164:
	v_min_f32_e32 v45, 0, v44
	v_lshl_add_u64 v[46:47], v[68:69], 2, v[40:41]
	s_mov_b32 s10, 0
	global_store_dword v[46:47], v45, off
	v_lshl_add_u64 v[42:43], v[42:43], 2, s[8:9]
	s_cbranch_execz .LBB74_167
; %bb.165:
	v_mov_b32_e32 v44, s10
	s_branch .LBB74_168
.LBB74_166:
                                        ; implicit-def: $sgpr10
	v_lshl_add_u64 v[42:43], v[42:43], 2, s[8:9]
.LBB74_167:
	v_lshl_add_u64 v[46:47], v[42:43], 0, v[72:73]
	flat_load_dword v45, v[46:47]
	v_lshl_add_u64 v[46:47], v[40:41], 0, v[72:73]
	s_waitcnt vmcnt(0) lgkmcnt(0)
	v_mul_f32_e32 v45, s12, v45
	v_min_f32_e32 v44, v45, v44
	global_store_dword v[46:47], v44, off
	v_lshl_add_u64 v[44:45], v[64:65], 2, v[42:43]
	flat_load_dword v44, v[44:45]
	s_waitcnt vmcnt(0) lgkmcnt(0)
	v_mul_f32_e32 v44, s12, v44
.LBB74_168:
	v_pk_add_f32 v[46:47], v[28:29], v[36:37]
	s_mov_b64 vcc, s[6:7]
	v_min3_f32 v45, v46, v47, v105
	v_pk_add_f32 v[46:47], v[24:25], v[36:37]
	s_nop 0
	v_min3_f32 v48, v46, v47, v106
	v_pk_add_f32 v[46:47], v[30:31], v[38:39]
	s_nop 0
	v_min_f32_e32 v49, v46, v47
	v_pk_add_f32 v[46:47], v[26:27], v[38:39]
	s_nop 0
	v_min3_f32 v46, v46, v47, v48
	v_min3_f32 v47, v44, v49, v45
	v_lshl_add_u64 v[44:45], v[64:65], 2, v[40:41]
	global_store_dword v[44:45], v47, off
	v_max_f32_e32 v44, v46, v46
	s_cbranch_vccz .LBB74_171
; %bb.169:
	v_min_f32_e32 v45, 0, v44
	v_lshl_add_u64 v[46:47], v[74:75], 2, v[40:41]
	s_mov_b32 s10, 0
	global_store_dword v[46:47], v45, off
	s_cbranch_execz .LBB74_172
; %bb.170:
	v_mov_b32_e32 v44, s10
	s_branch .LBB74_173
.LBB74_171:
                                        ; implicit-def: $sgpr10
.LBB74_172:
	v_lshl_add_u64 v[46:47], v[42:43], 0, v[78:79]
	flat_load_dword v45, v[46:47]
	v_lshl_add_u64 v[46:47], v[40:41], 0, v[78:79]
	s_waitcnt vmcnt(0) lgkmcnt(0)
	v_mul_f32_e32 v45, s12, v45
	v_min_f32_e32 v44, v45, v44
	global_store_dword v[46:47], v44, off
	v_lshl_add_u64 v[44:45], v[66:67], 2, v[42:43]
	flat_load_dword v44, v[44:45]
	s_waitcnt vmcnt(0) lgkmcnt(0)
	v_mul_f32_e32 v44, s12, v44
.LBB74_173:
	v_pk_add_f32 v[46:47], v[20:21], v[36:37]
	s_mov_b64 vcc, s[6:7]
	v_min3_f32 v45, v46, v47, v103
	v_pk_add_f32 v[46:47], v[16:17], v[36:37]
	s_nop 0
	v_min3_f32 v48, v46, v47, v104
	v_pk_add_f32 v[46:47], v[22:23], v[38:39]
	s_nop 0
	v_min_f32_e32 v49, v46, v47
	v_pk_add_f32 v[46:47], v[18:19], v[38:39]
	s_nop 0
	v_min3_f32 v46, v46, v47, v48
	v_min3_f32 v47, v44, v49, v45
	v_lshl_add_u64 v[44:45], v[66:67], 2, v[40:41]
	global_store_dword v[44:45], v47, off
	v_max_f32_e32 v44, v46, v46
	s_cbranch_vccz .LBB74_176
; %bb.174:
	v_min_f32_e32 v45, 0, v44
	v_lshl_add_u64 v[46:47], v[80:81], 2, v[40:41]
	s_mov_b32 s10, 0
	global_store_dword v[46:47], v45, off
	s_cbranch_execz .LBB74_177
; %bb.175:
	v_mov_b32_e32 v44, s10
	s_branch .LBB74_178
.LBB74_176:
                                        ; implicit-def: $sgpr10
.LBB74_177:
	v_lshl_add_u64 v[46:47], v[42:43], 0, v[82:83]
	flat_load_dword v45, v[46:47]
	v_lshl_add_u64 v[46:47], v[40:41], 0, v[82:83]
	s_waitcnt vmcnt(0) lgkmcnt(0)
	v_mul_f32_e32 v45, s12, v45
	v_min_f32_e32 v44, v45, v44
	global_store_dword v[46:47], v44, off
	v_lshl_add_u64 v[44:45], v[70:71], 2, v[42:43]
	flat_load_dword v44, v[44:45]
	s_waitcnt vmcnt(0) lgkmcnt(0)
	v_mul_f32_e32 v44, s12, v44
.LBB74_178:
	v_pk_add_f32 v[46:47], v[12:13], v[36:37]
	s_mov_b64 vcc, s[6:7]
	v_min3_f32 v45, v46, v47, v101
	v_pk_add_f32 v[46:47], v[8:9], v[36:37]
	s_nop 0
	v_min3_f32 v48, v46, v47, v102
	v_pk_add_f32 v[46:47], v[14:15], v[38:39]
	s_nop 0
	v_min_f32_e32 v49, v46, v47
	v_pk_add_f32 v[46:47], v[10:11], v[38:39]
	s_nop 0
	v_min3_f32 v46, v46, v47, v48
	v_min3_f32 v47, v44, v49, v45
	v_lshl_add_u64 v[44:45], v[70:71], 2, v[40:41]
	global_store_dword v[44:45], v47, off
	v_max_f32_e32 v44, v46, v46
	s_cbranch_vccz .LBB74_181
; %bb.179:
	v_min_f32_e32 v45, 0, v44
	v_lshl_add_u64 v[46:47], v[84:85], 2, v[40:41]
	s_mov_b32 s10, 0
	global_store_dword v[46:47], v45, off
	s_cbranch_execz .LBB74_182
; %bb.180:
	v_mov_b32_e32 v42, s10
	s_branch .LBB74_183
.LBB74_181:
                                        ; implicit-def: $sgpr10
.LBB74_182:
	v_lshl_add_u64 v[46:47], v[42:43], 0, v[86:87]
	flat_load_dword v45, v[46:47]
	v_lshl_add_u64 v[46:47], v[40:41], 0, v[86:87]
	v_lshl_add_u64 v[42:43], v[76:77], 2, v[42:43]
	s_waitcnt vmcnt(0) lgkmcnt(0)
	v_mul_f32_e32 v45, s12, v45
	v_min_f32_e32 v44, v45, v44
	global_store_dword v[46:47], v44, off
	flat_load_dword v42, v[42:43]
	s_waitcnt vmcnt(0) lgkmcnt(0)
	v_mul_f32_e32 v42, s12, v42
.LBB74_183:
	v_pk_add_f32 v[36:37], v[0:1], v[36:37]
	s_waitcnt lgkmcnt(0)
	v_pk_add_f32 v[32:33], v[32:33], v[4:5]
	v_min3_f32 v36, v36, v37, v99
	v_min3_f32 v37, v32, v33, v100
	v_pk_add_f32 v[32:33], v[2:3], v[38:39]
	s_mov_b64 vcc, s[6:7]
	v_min_f32_e32 v38, v32, v33
	v_pk_add_f32 v[32:33], v[34:35], v[6:7]
	v_min3_f32 v34, v42, v38, v36
	v_min3_f32 v37, v32, v33, v37
	v_lshl_add_u64 v[32:33], v[76:77], 2, v[40:41]
	global_store_dword v[32:33], v34, off
	v_add_u32_e32 v34, 0xe0, v141
	v_mad_i64_i32 v[32:33], s[2:3], v34, s5, 0
	v_lshl_add_u64 v[32:33], v[32:33], 2, s[0:1]
	v_mad_i64_i32 v[34:35], s[0:1], v34, s4, 0
	v_max_f32_e32 v36, v37, v37
	s_cbranch_vccz .LBB74_186
; %bb.184:
	v_min_f32_e32 v37, 0, v36
	v_lshl_add_u64 v[38:39], v[68:69], 2, v[32:33]
	s_mov_b32 s2, 0
	global_store_dword v[38:39], v37, off
	v_lshl_add_u64 v[34:35], v[34:35], 2, s[8:9]
	s_cbranch_execz .LBB74_187
; %bb.185:
	v_mov_b32_e32 v36, s2
	s_branch .LBB74_188
.LBB74_186:
                                        ; implicit-def: $sgpr2
	v_lshl_add_u64 v[34:35], v[34:35], 2, s[8:9]
.LBB74_187:
	v_lshl_add_u64 v[38:39], v[34:35], 0, v[72:73]
	flat_load_dword v37, v[38:39]
	v_lshl_add_u64 v[38:39], v[32:33], 0, v[72:73]
	s_waitcnt vmcnt(0) lgkmcnt(0)
	v_mul_f32_e32 v37, s12, v37
	v_min_f32_e32 v36, v37, v36
	global_store_dword v[38:39], v36, off
	v_lshl_add_u64 v[36:37], v[64:65], 2, v[34:35]
	flat_load_dword v36, v[36:37]
	s_waitcnt vmcnt(0) lgkmcnt(0)
	v_mul_f32_e32 v36, s12, v36
.LBB74_188:
	v_pk_add_f32 v[28:29], v[28:29], v[4:5]
	v_pk_add_f32 v[24:25], v[24:25], v[4:5]
	v_min3_f32 v28, v28, v29, v97
	v_min3_f32 v29, v24, v25, v98
	v_pk_add_f32 v[24:25], v[30:31], v[6:7]
	s_mov_b64 vcc, s[6:7]
	v_min_f32_e32 v30, v24, v25
	v_pk_add_f32 v[24:25], v[26:27], v[6:7]
	v_min3_f32 v27, v36, v30, v28
	v_min3_f32 v26, v24, v25, v29
	v_lshl_add_u64 v[24:25], v[64:65], 2, v[32:33]
	global_store_dword v[24:25], v27, off
	v_max_f32_e32 v24, v26, v26
	s_cbranch_vccz .LBB74_191
; %bb.189:
	v_min_f32_e32 v25, 0, v24
	v_lshl_add_u64 v[26:27], v[74:75], 2, v[32:33]
	s_mov_b32 s2, 0
	global_store_dword v[26:27], v25, off
	s_cbranch_execz .LBB74_192
; %bb.190:
	v_mov_b32_e32 v24, s2
	s_branch .LBB74_193
.LBB74_191:
                                        ; implicit-def: $sgpr2
.LBB74_192:
	v_lshl_add_u64 v[26:27], v[34:35], 0, v[78:79]
	flat_load_dword v25, v[26:27]
	v_lshl_add_u64 v[26:27], v[32:33], 0, v[78:79]
	s_waitcnt vmcnt(0) lgkmcnt(0)
	v_mul_f32_e32 v25, s12, v25
	v_min_f32_e32 v24, v25, v24
	global_store_dword v[26:27], v24, off
	v_lshl_add_u64 v[24:25], v[66:67], 2, v[34:35]
	flat_load_dword v24, v[24:25]
	s_waitcnt vmcnt(0) lgkmcnt(0)
	v_mul_f32_e32 v24, s12, v24
.LBB74_193:
	v_pk_add_f32 v[20:21], v[20:21], v[4:5]
	v_pk_add_f32 v[16:17], v[16:17], v[4:5]
	v_min3_f32 v20, v20, v21, v94
	v_min3_f32 v21, v16, v17, v95
	v_pk_add_f32 v[16:17], v[22:23], v[6:7]
	s_mov_b64 vcc, s[6:7]
	v_min_f32_e32 v22, v16, v17
	v_pk_add_f32 v[16:17], v[18:19], v[6:7]
	v_min3_f32 v19, v24, v22, v20
	v_min3_f32 v18, v16, v17, v21
	v_lshl_add_u64 v[16:17], v[66:67], 2, v[32:33]
	global_store_dword v[16:17], v19, off
	v_max_f32_e32 v16, v18, v18
	s_cbranch_vccz .LBB74_196
; %bb.194:
	v_min_f32_e32 v17, 0, v16
	v_lshl_add_u64 v[18:19], v[80:81], 2, v[32:33]
	s_mov_b32 s2, 0
	global_store_dword v[18:19], v17, off
	s_cbranch_execz .LBB74_197
; %bb.195:
	v_mov_b32_e32 v16, s2
	s_branch .LBB74_198
.LBB74_196:
                                        ; implicit-def: $sgpr2
.LBB74_197:
	v_lshl_add_u64 v[18:19], v[34:35], 0, v[82:83]
	flat_load_dword v17, v[18:19]
	v_lshl_add_u64 v[18:19], v[32:33], 0, v[82:83]
	s_waitcnt vmcnt(0) lgkmcnt(0)
	v_mul_f32_e32 v17, s12, v17
	v_min_f32_e32 v16, v17, v16
	global_store_dword v[18:19], v16, off
	v_lshl_add_u64 v[16:17], v[70:71], 2, v[34:35]
	flat_load_dword v16, v[16:17]
	s_waitcnt vmcnt(0) lgkmcnt(0)
	v_mul_f32_e32 v16, s12, v16
.LBB74_198:
	;; [unrolled: 38-line block ×3, first 2 shown]
	v_pk_add_f32 v[2:3], v[2:3], v[6:7]
	v_pk_add_f32 v[0:1], v[0:1], v[4:5]
	v_min_f32_e32 v2, v2, v3
	v_min3_f32 v0, v0, v1, v96
	v_min3_f32 v2, v8, v2, v0
	v_lshl_add_u64 v[0:1], v[76:77], 2, v[32:33]
	global_store_dword v[0:1], v2, off
	s_endpgm
	.section	.rodata,"a",@progbits
	.p2align	6, 0x0
	.amdhsa_kernel _ZN12_GLOBAL__N_120geam_min_plus_kernelIf15HIP_vector_typeIfLj2EEfLi8ELi32ELi64ELi256ELi4ELi4ELi64ELi64ELi4ELc84ELc84ELb0ELb0ELb1EfKffEEviiiT16_PT17_ilS6_ilS4_S6_ilPT18_ili26rocblas_geam_ex_operation_
		.amdhsa_group_segment_fixed_size 10240
		.amdhsa_private_segment_fixed_size 0
		.amdhsa_kernarg_size 128
		.amdhsa_user_sgpr_count 2
		.amdhsa_user_sgpr_dispatch_ptr 0
		.amdhsa_user_sgpr_queue_ptr 0
		.amdhsa_user_sgpr_kernarg_segment_ptr 1
		.amdhsa_user_sgpr_dispatch_id 0
		.amdhsa_user_sgpr_kernarg_preload_length 0
		.amdhsa_user_sgpr_kernarg_preload_offset 0
		.amdhsa_user_sgpr_private_segment_size 0
		.amdhsa_uses_dynamic_stack 0
		.amdhsa_enable_private_segment 0
		.amdhsa_system_sgpr_workgroup_id_x 1
		.amdhsa_system_sgpr_workgroup_id_y 0
		.amdhsa_system_sgpr_workgroup_id_z 1
		.amdhsa_system_sgpr_workgroup_info 0
		.amdhsa_system_vgpr_workitem_id 1
		.amdhsa_next_free_vgpr 172
		.amdhsa_next_free_sgpr 30
		.amdhsa_accum_offset 172
		.amdhsa_reserve_vcc 1
		.amdhsa_float_round_mode_32 0
		.amdhsa_float_round_mode_16_64 0
		.amdhsa_float_denorm_mode_32 3
		.amdhsa_float_denorm_mode_16_64 3
		.amdhsa_dx10_clamp 1
		.amdhsa_ieee_mode 1
		.amdhsa_fp16_overflow 0
		.amdhsa_tg_split 0
		.amdhsa_exception_fp_ieee_invalid_op 0
		.amdhsa_exception_fp_denorm_src 0
		.amdhsa_exception_fp_ieee_div_zero 0
		.amdhsa_exception_fp_ieee_overflow 0
		.amdhsa_exception_fp_ieee_underflow 0
		.amdhsa_exception_fp_ieee_inexact 0
		.amdhsa_exception_int_div_zero 0
	.end_amdhsa_kernel
	.section	.text._ZN12_GLOBAL__N_120geam_min_plus_kernelIf15HIP_vector_typeIfLj2EEfLi8ELi32ELi64ELi256ELi4ELi4ELi64ELi64ELi4ELc84ELc84ELb0ELb0ELb1EfKffEEviiiT16_PT17_ilS6_ilS4_S6_ilPT18_ili26rocblas_geam_ex_operation_,"axG",@progbits,_ZN12_GLOBAL__N_120geam_min_plus_kernelIf15HIP_vector_typeIfLj2EEfLi8ELi32ELi64ELi256ELi4ELi4ELi64ELi64ELi4ELc84ELc84ELb0ELb0ELb1EfKffEEviiiT16_PT17_ilS6_ilS4_S6_ilPT18_ili26rocblas_geam_ex_operation_,comdat
.Lfunc_end74:
	.size	_ZN12_GLOBAL__N_120geam_min_plus_kernelIf15HIP_vector_typeIfLj2EEfLi8ELi32ELi64ELi256ELi4ELi4ELi64ELi64ELi4ELc84ELc84ELb0ELb0ELb1EfKffEEviiiT16_PT17_ilS6_ilS4_S6_ilPT18_ili26rocblas_geam_ex_operation_, .Lfunc_end74-_ZN12_GLOBAL__N_120geam_min_plus_kernelIf15HIP_vector_typeIfLj2EEfLi8ELi32ELi64ELi256ELi4ELi4ELi64ELi64ELi4ELc84ELc84ELb0ELb0ELb1EfKffEEviiiT16_PT17_ilS6_ilS4_S6_ilPT18_ili26rocblas_geam_ex_operation_
                                        ; -- End function
	.section	.AMDGPU.csdata,"",@progbits
; Kernel info:
; codeLenInByte = 16468
; NumSgprs: 36
; NumVgprs: 172
; NumAgprs: 0
; TotalNumVgprs: 172
; ScratchSize: 0
; MemoryBound: 0
; FloatMode: 240
; IeeeMode: 1
; LDSByteSize: 10240 bytes/workgroup (compile time only)
; SGPRBlocks: 4
; VGPRBlocks: 21
; NumSGPRsForWavesPerEU: 36
; NumVGPRsForWavesPerEU: 172
; AccumOffset: 172
; Occupancy: 2
; WaveLimiterHint : 1
; COMPUTE_PGM_RSRC2:SCRATCH_EN: 0
; COMPUTE_PGM_RSRC2:USER_SGPR: 2
; COMPUTE_PGM_RSRC2:TRAP_HANDLER: 0
; COMPUTE_PGM_RSRC2:TGID_X_EN: 1
; COMPUTE_PGM_RSRC2:TGID_Y_EN: 0
; COMPUTE_PGM_RSRC2:TGID_Z_EN: 1
; COMPUTE_PGM_RSRC2:TIDIG_COMP_CNT: 1
; COMPUTE_PGM_RSRC3_GFX90A:ACCUM_OFFSET: 42
; COMPUTE_PGM_RSRC3_GFX90A:TG_SPLIT: 0
	.section	.text._ZN12_GLOBAL__N_120geam_min_plus_kernelIf15HIP_vector_typeIfLj2EEfLi8ELi32ELi64ELi256ELi4ELi4ELi64ELi64ELi4ELc84ELc84ELb0ELb1ELb1EPKfS3_fEEviiiT16_PT17_ilS7_ilS5_S7_ilPT18_ili26rocblas_geam_ex_operation_,"axG",@progbits,_ZN12_GLOBAL__N_120geam_min_plus_kernelIf15HIP_vector_typeIfLj2EEfLi8ELi32ELi64ELi256ELi4ELi4ELi64ELi64ELi4ELc84ELc84ELb0ELb1ELb1EPKfS3_fEEviiiT16_PT17_ilS7_ilS5_S7_ilPT18_ili26rocblas_geam_ex_operation_,comdat
	.globl	_ZN12_GLOBAL__N_120geam_min_plus_kernelIf15HIP_vector_typeIfLj2EEfLi8ELi32ELi64ELi256ELi4ELi4ELi64ELi64ELi4ELc84ELc84ELb0ELb1ELb1EPKfS3_fEEviiiT16_PT17_ilS7_ilS5_S7_ilPT18_ili26rocblas_geam_ex_operation_ ; -- Begin function _ZN12_GLOBAL__N_120geam_min_plus_kernelIf15HIP_vector_typeIfLj2EEfLi8ELi32ELi64ELi256ELi4ELi4ELi64ELi64ELi4ELc84ELc84ELb0ELb1ELb1EPKfS3_fEEviiiT16_PT17_ilS7_ilS5_S7_ilPT18_ili26rocblas_geam_ex_operation_
	.p2align	8
	.type	_ZN12_GLOBAL__N_120geam_min_plus_kernelIf15HIP_vector_typeIfLj2EEfLi8ELi32ELi64ELi256ELi4ELi4ELi64ELi64ELi4ELc84ELc84ELb0ELb1ELb1EPKfS3_fEEviiiT16_PT17_ilS7_ilS5_S7_ilPT18_ili26rocblas_geam_ex_operation_,@function
_ZN12_GLOBAL__N_120geam_min_plus_kernelIf15HIP_vector_typeIfLj2EEfLi8ELi32ELi64ELi256ELi4ELi4ELi64ELi64ELi4ELc84ELc84ELb0ELb1ELb1EPKfS3_fEEviiiT16_PT17_ilS7_ilS5_S7_ilPT18_ili26rocblas_geam_ex_operation_: ; @_ZN12_GLOBAL__N_120geam_min_plus_kernelIf15HIP_vector_typeIfLj2EEfLi8ELi32ELi64ELi256ELi4ELi4ELi64ELi64ELi4ELc84ELc84ELb0ELb1ELb1EPKfS3_fEEviiiT16_PT17_ilS7_ilS5_S7_ilPT18_ili26rocblas_geam_ex_operation_
; %bb.0:
	s_load_dwordx4 s[12:15], s[0:1], 0x10
	s_load_dwordx4 s[4:7], s[0:1], 0x28
	s_mov_b32 s16, s3
	s_mov_b32 s17, 0
	s_lshl_b64 s[18:19], s[16:17], 2
	s_waitcnt lgkmcnt(0)
	s_add_u32 s12, s12, s18
	s_load_dwordx4 s[8:11], s[0:1], 0x40
	s_addc_u32 s13, s13, s19
	s_load_dword s35, s[12:13], 0x0
	s_load_dwordx2 s[20:21], s[0:1], 0x50
	s_mov_b64 s[28:29], 0
	s_mov_b64 s[30:31], 0
	s_waitcnt lgkmcnt(0)
	s_add_u32 s10, s10, s18
	s_addc_u32 s11, s11, s19
	v_cmp_eq_f32_e64 s[18:19], s35, 0
	v_cmp_neq_f32_e64 s[12:13], s35, 0
	s_and_b64 vcc, exec, s[18:19]
	s_cbranch_vccnz .LBB75_2
; %bb.1:
	s_mul_i32 s3, s16, s5
	s_mul_hi_u32 s5, s16, s4
	s_add_i32 s5, s5, s3
	s_mul_i32 s4, s16, s4
	s_lshl_b64 s[4:5], s[4:5], 2
	s_add_u32 s30, s14, s4
	s_addc_u32 s31, s15, s5
.LBB75_2:
	s_load_dword s33, s[10:11], 0x0
	s_andn2_b64 vcc, exec, s[12:13]
	s_cbranch_vccnz .LBB75_4
; %bb.3:
	s_mul_i32 s3, s16, s9
	s_mul_hi_u32 s4, s16, s8
	s_add_i32 s5, s4, s3
	s_mul_i32 s4, s16, s8
	s_lshl_b64 s[4:5], s[4:5], 2
	s_add_u32 s28, s6, s4
	s_addc_u32 s29, s7, s5
.LBB75_4:
	s_load_dwordx4 s[12:15], s[0:1], 0x60
	s_waitcnt lgkmcnt(0)
	v_cmp_eq_f32_e64 s[4:5], s33, 0
	v_cmp_neq_f32_e64 s[26:27], s33, 0
	s_and_b64 vcc, exec, s[4:5]
	s_cbranch_vccnz .LBB75_6
; %bb.5:
	s_mul_i32 s3, s16, s13
	s_mul_hi_u32 s4, s16, s12
	s_add_i32 s5, s4, s3
	s_mul_i32 s4, s16, s12
	s_lshl_b64 s[4:5], s[4:5], 2
	s_add_u32 s24, s20, s4
	s_addc_u32 s25, s21, s5
	s_branch .LBB75_7
.LBB75_6:
	s_mov_b64 s[24:25], 0
.LBB75_7:
	s_load_dwordx4 s[20:23], s[0:1], 0x0
	s_load_dword s37, s[0:1], 0x20
	v_and_b32_e32 v70, 0x3ff, v0
	v_bfe_u32 v71, v0, 10, 10
	v_lshl_add_u32 v0, v71, 3, v70
	s_waitcnt lgkmcnt(0)
	s_add_i32 s3, s20, -1
	s_ashr_i32 s4, s3, 31
	s_lshr_b32 s4, s4, 26
	s_add_i32 s4, s3, s4
	s_ashr_i32 s6, s4, 6
	s_add_i32 s7, s6, 1
	v_cvt_f32_u32_e32 v1, s7
	s_not_b32 s6, s6
	v_lshrrev_b32_e32 v2, 2, v0
	v_and_b32_e32 v72, 3, v70
	v_rcp_iflag_f32_e32 v1, v1
	v_cmp_le_i32_e64 s[4:5], s22, v72
	v_mov_b32_e32 v5, 0x7f7fffff
	v_lshlrev_b32_e32 v56, 2, v72
	v_mul_f32_e32 v1, 0x4f7ffffe, v1
	v_cvt_u32_f32_e32 v1, v1
	s_nop 0
	v_readfirstlane_b32 s8, v1
	s_mul_i32 s6, s6, s8
	s_mul_hi_u32 s6, s8, s6
	s_add_i32 s8, s8, s6
	s_mul_hi_u32 s6, s2, s8
	s_mul_i32 s8, s6, s7
	s_sub_i32 s8, s2, s8
	s_add_i32 s9, s6, 1
	s_sub_i32 s10, s8, s7
	s_cmp_ge_u32 s8, s7
	s_cselect_b32 s6, s9, s6
	s_cselect_b32 s8, s10, s8
	s_add_i32 s9, s6, 1
	s_cmp_ge_u32 s8, s7
	s_cselect_b32 s6, s9, s6
	s_mul_i32 s7, s6, s7
	s_sub_i32 s2, s2, s7
	s_lshl_b32 s17, s2, 6
	v_add_u32_e32 v1, s17, v2
	v_cmp_le_i32_e32 vcc, s20, v1
	v_min_i32_e32 v58, s3, v1
	s_or_b64 s[2:3], s[4:5], vcc
	v_cndmask_b32_e64 v3, 0, v5, s[2:3]
	s_or_b64 s[2:3], s[18:19], s[2:3]
	s_xor_b64 s[4:5], s[2:3], -1
	s_and_saveexec_b64 s[2:3], s[4:5]
	s_cbranch_execz .LBB75_9
; %bb.8:
	v_mad_i64_i32 v[6:7], s[4:5], v58, s37, 0
	v_lshl_add_u64 v[6:7], v[6:7], 2, s[30:31]
	v_mov_b32_e32 v57, 0
	v_lshl_add_u64 v[6:7], v[6:7], 0, v[56:57]
	flat_load_dword v1, v[6:7]
	s_waitcnt vmcnt(0) lgkmcnt(0)
	v_mul_f32_e32 v3, s35, v1
.LBB75_9:
	s_or_b64 exec, exec, s[2:3]
	s_load_dword s23, s[0:1], 0x38
	v_lshrrev_b32_e32 v73, 6, v0
	s_add_i32 s36, s22, -1
	v_and_b32_e32 v4, 63, v0
	s_lshl_b32 s34, s6, 8
	v_min_i32_e32 v0, s36, v73
	v_or_b32_e32 v64, s34, v4
	s_waitcnt lgkmcnt(0)
	v_mad_i64_i32 v[0:1], s[2:3], s23, v0, 0
	v_cmp_le_i32_e64 s[10:11], s22, v73
	v_cmp_le_i32_e64 s[2:3], s21, v64
	s_or_b64 s[4:5], s[2:3], s[10:11]
	v_cndmask_b32_e64 v5, 0, v5, s[4:5]
	s_or_b64 s[4:5], s[18:19], s[4:5]
	v_lshl_add_u64 v[0:1], v[0:1], 2, s[28:29]
	s_xor_b64 s[6:7], s[4:5], -1
	v_ashrrev_i32_e32 v65, 31, v64
	s_and_saveexec_b64 s[4:5], s[6:7]
	s_cbranch_execz .LBB75_11
; %bb.10:
	v_lshl_add_u64 v[6:7], v[64:65], 2, v[0:1]
	flat_load_dword v5, v[6:7]
	s_waitcnt vmcnt(0) lgkmcnt(0)
	v_mul_f32_e32 v5, s35, v5
.LBB75_11:
	s_or_b64 exec, exec, s[4:5]
	v_or_b32_e32 v6, 64, v64
	v_cmp_le_i32_e64 s[4:5], s21, v6
	v_mov_b32_e32 v7, 0x7f7fffff
	s_or_b64 s[6:7], s[4:5], s[10:11]
	v_cndmask_b32_e64 v6, 0, v7, s[6:7]
	s_or_b64 s[6:7], s[18:19], s[6:7]
	s_xor_b64 s[8:9], s[6:7], -1
	s_and_saveexec_b64 s[6:7], s[8:9]
	s_cbranch_execz .LBB75_13
; %bb.12:
	v_lshl_add_u64 v[8:9], v[64:65], 2, v[0:1]
	flat_load_dword v6, v[8:9] offset:256
	s_waitcnt vmcnt(0) lgkmcnt(0)
	v_mul_f32_e32 v6, s35, v6
.LBB75_13:
	s_or_b64 exec, exec, s[6:7]
	v_or_b32_e32 v8, 0x80, v64
	v_cmp_le_i32_e64 s[6:7], s21, v8
	s_or_b64 s[8:9], s[6:7], s[10:11]
	v_cndmask_b32_e64 v7, 0, v7, s[8:9]
	s_or_b64 s[8:9], s[18:19], s[8:9]
	s_xor_b64 s[12:13], s[8:9], -1
	s_and_saveexec_b64 s[8:9], s[12:13]
	s_cbranch_execz .LBB75_15
; %bb.14:
	v_lshl_add_u64 v[8:9], v[64:65], 2, v[0:1]
	flat_load_dword v7, v[8:9] offset:512
	s_waitcnt vmcnt(0) lgkmcnt(0)
	v_mul_f32_e32 v7, s35, v7
.LBB75_15:
	s_or_b64 exec, exec, s[8:9]
	v_or_b32_e32 v8, 0xc0, v64
	v_cmp_le_i32_e64 s[8:9], s21, v8
	v_mov_b32_e32 v9, 0x7f7fffff
	s_or_b64 s[10:11], s[8:9], s[10:11]
	v_cndmask_b32_e64 v8, 0, v9, s[10:11]
	s_or_b64 s[10:11], s[18:19], s[10:11]
	s_xor_b64 s[12:13], s[10:11], -1
	s_and_saveexec_b64 s[10:11], s[12:13]
	s_cbranch_execz .LBB75_17
; %bb.16:
	v_lshl_add_u64 v[0:1], v[64:65], 2, v[0:1]
	flat_load_dword v0, v[0:1] offset:768
	s_waitcnt vmcnt(0) lgkmcnt(0)
	v_mul_f32_e32 v8, s35, v0
.LBB75_17:
	s_or_b64 exec, exec, s[10:11]
	v_or_b32_e32 v0, 4, v72
	v_cmp_le_i32_e64 s[10:11], s22, v0
	s_or_b64 s[10:11], s[10:11], vcc
	s_nop 0
	v_cndmask_b32_e64 v57, 0, v9, s[10:11]
	s_or_b64 s[10:11], s[18:19], s[10:11]
	s_xor_b64 s[12:13], s[10:11], -1
	s_and_saveexec_b64 s[10:11], s[12:13]
	s_cbranch_execz .LBB75_19
; %bb.18:
	v_mad_i64_i32 v[0:1], s[12:13], v58, s37, 0
	v_lshl_add_u64 v[0:1], v[0:1], 2, s[30:31]
	v_mov_b32_e32 v57, 0
	v_lshl_add_u64 v[0:1], v[0:1], 0, v[56:57]
	flat_load_dword v0, v[0:1] offset:16
	s_waitcnt vmcnt(0) lgkmcnt(0)
	v_mul_f32_e32 v57, s35, v0
.LBB75_19:
	s_or_b64 exec, exec, s[10:11]
	v_add_u32_e32 v0, 4, v73
	v_cmp_le_i32_e64 s[10:11], s22, v0
	v_min_i32_e32 v0, s36, v0
	v_mad_i64_i32 v[0:1], s[12:13], s23, v0, 0
	v_mov_b32_e32 v9, 0x7f7fffff
	s_or_b64 s[12:13], s[2:3], s[10:11]
	v_cndmask_b32_e64 v59, 0, v9, s[12:13]
	s_or_b64 s[12:13], s[18:19], s[12:13]
	v_lshl_add_u64 v[0:1], v[0:1], 2, s[28:29]
	s_xor_b64 s[38:39], s[12:13], -1
	s_and_saveexec_b64 s[12:13], s[38:39]
	s_cbranch_execz .LBB75_21
; %bb.20:
	v_lshl_add_u64 v[10:11], v[64:65], 2, v[0:1]
	flat_load_dword v10, v[10:11]
	s_waitcnt vmcnt(0) lgkmcnt(0)
	v_mul_f32_e32 v59, s35, v10
.LBB75_21:
	s_or_b64 exec, exec, s[12:13]
	s_or_b64 s[12:13], s[4:5], s[10:11]
	v_cndmask_b32_e64 v60, 0, v9, s[12:13]
	s_or_b64 s[12:13], s[18:19], s[12:13]
	s_xor_b64 s[38:39], s[12:13], -1
	s_and_saveexec_b64 s[12:13], s[38:39]
	s_cbranch_execz .LBB75_23
; %bb.22:
	v_lshl_add_u64 v[10:11], v[64:65], 2, v[0:1]
	flat_load_dword v9, v[10:11] offset:256
	s_waitcnt vmcnt(0) lgkmcnt(0)
	v_mul_f32_e32 v60, s35, v9
.LBB75_23:
	s_or_b64 exec, exec, s[12:13]
	v_mov_b32_e32 v9, 0x7f7fffff
	s_or_b64 s[12:13], s[6:7], s[10:11]
	v_cndmask_b32_e64 v61, 0, v9, s[12:13]
	s_or_b64 s[12:13], s[18:19], s[12:13]
	s_xor_b64 s[38:39], s[12:13], -1
	s_and_saveexec_b64 s[12:13], s[38:39]
	s_cbranch_execz .LBB75_25
; %bb.24:
	v_lshl_add_u64 v[10:11], v[64:65], 2, v[0:1]
	flat_load_dword v10, v[10:11] offset:512
	s_waitcnt vmcnt(0) lgkmcnt(0)
	v_mul_f32_e32 v61, s35, v10
.LBB75_25:
	s_or_b64 exec, exec, s[12:13]
	s_or_b64 s[10:11], s[8:9], s[10:11]
	v_cndmask_b32_e64 v62, 0, v9, s[10:11]
	s_or_b64 s[10:11], s[18:19], s[10:11]
	s_xor_b64 s[38:39], s[10:11], -1
	s_mov_b32 s12, 0x7f7fffff
	s_and_saveexec_b64 s[10:11], s[38:39]
	s_cbranch_execz .LBB75_27
; %bb.26:
	v_lshl_add_u64 v[0:1], v[64:65], 2, v[0:1]
	flat_load_dword v0, v[0:1] offset:768
	s_waitcnt vmcnt(0) lgkmcnt(0)
	v_mul_f32_e32 v62, s35, v0
.LBB75_27:
	s_or_b64 exec, exec, s[10:11]
	v_lshlrev_b32_e32 v0, 2, v73
	v_lshl_or_b32 v63, v2, 4, v56
	v_lshl_add_u32 v76, v4, 4, v0
	v_lshlrev_b32_e32 v74, 4, v70
	v_lshlrev_b32_e32 v75, 4, v71
	ds_write_b32 v63, v3 offset:8192
	ds_write2st64_b32 v76, v5, v6 offset1:4
	ds_write2st64_b32 v76, v7, v8 offset0:8 offset1:12
	s_waitcnt lgkmcnt(0)
	s_barrier
	ds_read_b128 v[12:15], v74 offset:8192
	ds_read_b128 v[20:23], v74 offset:8320
	;; [unrolled: 1-line block ×8, first 2 shown]
	ds_read_b128 v[52:55], v75
	ds_read_b128 v[48:51], v75 offset:512
	ds_read_b128 v[44:47], v75 offset:1024
	;; [unrolled: 1-line block ×5, first 2 shown]
	s_waitcnt lgkmcnt(5)
	v_pk_add_f32 v[66:67], v[12:13], v[52:53]
	s_cmp_lt_i32 s22, 9
	v_min3_f32 v68, v66, v67, s12
	v_pk_add_f32 v[66:67], v[20:21], v[52:53]
	s_nop 0
	v_min3_f32 v69, v66, v67, s12
	v_pk_add_f32 v[66:67], v[24:25], v[52:53]
	s_nop 0
	v_min3_f32 v77, v66, v67, s12
	v_pk_add_f32 v[66:67], v[28:29], v[52:53]
	s_nop 0
	v_min3_f32 v78, v66, v67, s12
	v_pk_add_f32 v[66:67], v[16:17], v[52:53]
	s_nop 0
	v_min3_f32 v79, v66, v67, s12
	v_pk_add_f32 v[66:67], v[8:9], v[52:53]
	s_nop 0
	v_min3_f32 v80, v66, v67, s12
	v_pk_add_f32 v[66:67], v[4:5], v[52:53]
	v_pk_add_f32 v[52:53], v[0:1], v[52:53]
	v_min3_f32 v66, v66, v67, s12
	v_min3_f32 v67, v52, v53, s12
	s_waitcnt lgkmcnt(4)
	v_pk_add_f32 v[52:53], v[12:13], v[48:49]
	s_nop 0
	v_min3_f32 v81, v52, v53, s12
	v_pk_add_f32 v[52:53], v[20:21], v[48:49]
	s_nop 0
	v_min3_f32 v82, v52, v53, s12
	v_pk_add_f32 v[52:53], v[24:25], v[48:49]
	s_nop 0
	v_min3_f32 v83, v52, v53, s12
	v_pk_add_f32 v[52:53], v[28:29], v[48:49]
	s_nop 0
	v_min3_f32 v84, v52, v53, s12
	v_pk_add_f32 v[52:53], v[16:17], v[48:49]
	s_nop 0
	v_min3_f32 v85, v52, v53, s12
	v_pk_add_f32 v[52:53], v[8:9], v[48:49]
	s_nop 0
	v_min3_f32 v86, v52, v53, s12
	v_pk_add_f32 v[52:53], v[4:5], v[48:49]
	v_pk_add_f32 v[48:49], v[0:1], v[48:49]
	v_min3_f32 v52, v52, v53, s12
	v_min3_f32 v87, v48, v49, s12
	s_waitcnt lgkmcnt(3)
	v_pk_add_f32 v[48:49], v[12:13], v[44:45]
	s_nop 0
	;; [unrolled: 23-line block ×5, first 2 shown]
	v_min3_f32 v124, v36, v37, s12
	v_pk_add_f32 v[36:37], v[20:21], v[32:33]
	s_nop 0
	v_min3_f32 v146, v36, v37, s12
	v_pk_add_f32 v[36:37], v[24:25], v[32:33]
	s_nop 0
	v_min3_f32 v147, v36, v37, s12
	v_pk_add_f32 v[36:37], v[28:29], v[32:33]
	s_nop 0
	v_min3_f32 v148, v36, v37, s12
	v_pk_add_f32 v[36:37], v[16:17], v[32:33]
	s_nop 0
	v_min3_f32 v149, v36, v37, s12
	v_pk_add_f32 v[36:37], v[14:15], v[54:55]
	s_nop 0
	v_min3_f32 v145, v36, v37, v68
	v_pk_add_f32 v[36:37], v[22:23], v[54:55]
	s_nop 0
	v_min3_f32 v144, v36, v37, v69
	v_pk_add_f32 v[36:37], v[26:27], v[54:55]
	s_nop 0
	v_min3_f32 v143, v36, v37, v77
	v_pk_add_f32 v[36:37], v[30:31], v[54:55]
	s_nop 0
	v_min3_f32 v142, v36, v37, v78
	v_pk_add_f32 v[36:37], v[18:19], v[54:55]
	s_nop 0
	v_min3_f32 v79, v36, v37, v79
	v_pk_add_f32 v[36:37], v[10:11], v[54:55]
	s_nop 0
	v_min3_f32 v77, v36, v37, v80
	v_pk_add_f32 v[36:37], v[6:7], v[54:55]
	s_nop 0
	v_min3_f32 v78, v36, v37, v66
	v_pk_add_f32 v[36:37], v[8:9], v[32:33]
	s_nop 0
	v_min3_f32 v66, v36, v37, s12
	v_pk_add_f32 v[36:37], v[4:5], v[32:33]
	v_pk_add_f32 v[32:33], v[0:1], v[32:33]
	v_min3_f32 v68, v36, v37, s12
	v_pk_add_f32 v[36:37], v[2:3], v[54:55]
	s_nop 0
	v_min3_f32 v141, v36, v37, v67
	v_pk_add_f32 v[36:37], v[14:15], v[50:51]
	v_min3_f32 v67, v32, v33, s12
	v_min3_f32 v140, v36, v37, v81
	v_pk_add_f32 v[36:37], v[22:23], v[50:51]
	s_nop 0
	v_min3_f32 v139, v36, v37, v82
	v_pk_add_f32 v[36:37], v[26:27], v[50:51]
	s_nop 0
	;; [unrolled: 3-line block ×6, first 2 shown]
	v_min3_f32 v131, v36, v37, v52
	ds_read_b128 v[52:55], v75 offset:3072
	v_pk_add_f32 v[36:37], v[2:3], v[50:51]
	ds_read_b128 v[48:51], v75 offset:3584
	v_min3_f32 v136, v36, v37, v87
	ds_write_b32 v63, v57 offset:9216
	ds_write2st64_b32 v76, v59, v60 offset0:16 offset1:20
	ds_write2st64_b32 v76, v61, v62 offset0:24 offset1:28
	s_waitcnt lgkmcnt(4)
	v_pk_add_f32 v[32:33], v[12:13], v[52:53]
	v_pk_add_f32 v[36:37], v[28:29], v[52:53]
	v_min3_f32 v69, v32, v33, s12
	v_pk_add_f32 v[32:33], v[14:15], v[46:47]
	s_waitcnt lgkmcnt(3)
	v_pk_add_f32 v[12:13], v[12:13], v[48:49]
	v_min3_f32 v134, v32, v33, v88
	v_pk_add_f32 v[32:33], v[22:23], v[46:47]
	s_waitcnt lgkmcnt(0)
	v_min3_f32 v132, v32, v33, v89
	v_pk_add_f32 v[32:33], v[26:27], v[46:47]
	s_barrier
	v_min3_f32 v130, v32, v33, v90
	v_pk_add_f32 v[32:33], v[30:31], v[46:47]
	s_nop 0
	v_min3_f32 v129, v32, v33, v91
	v_pk_add_f32 v[32:33], v[18:19], v[46:47]
	s_nop 0
	;; [unrolled: 3-line block ×6, first 2 shown]
	v_min3_f32 v81, v32, v33, s12
	v_pk_add_f32 v[32:33], v[2:3], v[46:47]
	v_min3_f32 v46, v36, v37, s12
	v_min3_f32 v125, v32, v33, v95
	v_pk_add_f32 v[32:33], v[14:15], v[42:43]
	v_pk_add_f32 v[36:37], v[16:17], v[52:53]
	v_min3_f32 v123, v32, v33, v96
	v_pk_add_f32 v[32:33], v[22:23], v[42:43]
	v_min3_f32 v47, v36, v37, s12
	v_min3_f32 v122, v32, v33, v97
	v_pk_add_f32 v[32:33], v[26:27], v[42:43]
	v_pk_add_f32 v[36:37], v[0:1], v[52:53]
	v_min3_f32 v121, v32, v33, v98
	v_pk_add_f32 v[32:33], v[30:31], v[42:43]
	v_min3_f32 v36, v36, v37, s12
	v_min3_f32 v120, v32, v33, v99
	v_pk_add_f32 v[32:33], v[18:19], v[42:43]
	v_min3_f32 v37, v12, v13, s12
	v_min3_f32 v119, v32, v33, v100
	v_pk_add_f32 v[32:33], v[10:11], v[42:43]
	v_pk_add_f32 v[12:13], v[14:15], v[34:35]
	v_min3_f32 v118, v32, v33, v101
	v_pk_add_f32 v[32:33], v[6:7], v[42:43]
	v_pk_add_f32 v[0:1], v[0:1], v[48:49]
	;; [unrolled: 3-line block ×3, first 2 shown]
	v_min3_f32 v44, v32, v33, s12
	v_pk_add_f32 v[32:33], v[4:5], v[52:53]
	v_min3_f32 v16, v16, v17, s12
	v_min3_f32 v82, v32, v33, s12
	v_pk_add_f32 v[32:33], v[2:3], v[42:43]
	v_pk_add_f32 v[8:9], v[8:9], v[48:49]
	v_min3_f32 v116, v32, v33, v45
	v_pk_add_f32 v[32:33], v[14:15], v[38:39]
	v_min3_f32 v8, v8, v9, s12
	v_min3_f32 v115, v32, v33, v102
	v_pk_add_f32 v[32:33], v[22:23], v[38:39]
	v_pk_add_f32 v[4:5], v[4:5], v[48:49]
	;; [unrolled: 6-line block ×3, first 2 shown]
	v_min3_f32 v112, v32, v33, v105
	v_pk_add_f32 v[32:33], v[18:19], v[38:39]
	v_min3_f32 v92, v4, v5, v36
	v_min3_f32 v111, v32, v33, v106
	v_pk_add_f32 v[32:33], v[10:11], v[38:39]
	s_nop 0
	v_min3_f32 v110, v32, v33, v107
	v_min3_f32 v107, v12, v13, v124
	v_pk_add_f32 v[12:13], v[22:23], v[34:35]
	v_pk_add_f32 v[32:33], v[6:7], v[38:39]
	v_min3_f32 v106, v12, v13, v146
	v_pk_add_f32 v[12:13], v[26:27], v[34:35]
	v_min3_f32 v109, v32, v33, v40
	v_min3_f32 v105, v12, v13, v147
	v_pk_add_f32 v[12:13], v[30:31], v[34:35]
	v_pk_add_f32 v[32:33], v[2:3], v[38:39]
	v_min3_f32 v104, v12, v13, v148
	v_pk_add_f32 v[12:13], v[18:19], v[34:35]
	v_min3_f32 v108, v32, v33, v41
	v_min3_f32 v103, v12, v13, v149
	v_pk_add_f32 v[12:13], v[10:11], v[34:35]
	s_nop 0
	v_min3_f32 v102, v12, v13, v66
	v_pk_add_f32 v[12:13], v[6:7], v[34:35]
	s_nop 0
	v_min3_f32 v101, v12, v13, v68
	v_pk_add_f32 v[12:13], v[20:21], v[48:49]
	v_pk_add_f32 v[20:21], v[28:29], v[48:49]
	v_min3_f32 v32, v12, v13, s12
	v_pk_add_f32 v[12:13], v[24:25], v[48:49]
	v_min3_f32 v20, v20, v21, s12
	v_min3_f32 v24, v12, v13, s12
	v_pk_add_f32 v[12:13], v[2:3], v[34:35]
	s_nop 0
	v_min3_f32 v100, v12, v13, v67
	v_pk_add_f32 v[12:13], v[14:15], v[54:55]
	s_nop 0
	;; [unrolled: 3-line block ×8, first 2 shown]
	v_min3_f32 v93, v12, v13, v82
	v_min3_f32 v12, v0, v1, s12
	v_pk_add_f32 v[0:1], v[14:15], v[50:51]
	s_nop 0
	v_min3_f32 v91, v0, v1, v37
	v_pk_add_f32 v[0:1], v[22:23], v[50:51]
	s_nop 0
	;; [unrolled: 3-line block ×8, first 2 shown]
	v_min3_f32 v88, v0, v1, v12
	s_cbranch_scc1 .LBB75_50
; %bb.28:
	v_mov_b32_e32 v0, 0x2400
	v_lshl_add_u32 v124, v70, 4, v0
	v_mov_b32_e32 v0, 0x1000
	v_lshl_add_u32 v146, v71, 4, v0
	v_mad_i64_i32 v[0:1], s[10:11], v58, s37, 0
	v_mov_b32_e32 v57, 0
	v_lshl_add_u64 v[0:1], v[0:1], 2, v[56:57]
	v_lshl_add_u64 v[0:1], v[0:1], 0, s[30:31]
	v_add_u32_e32 v80, 0x2000, v63
	v_add_u32_e32 v81, 0x2000, v74
	;; [unrolled: 1-line block ×3, first 2 shown]
	v_or_b32_e32 v83, 0x1000, v76
	s_add_i32 s38, s22, -8
	v_lshl_add_u64 v[66:67], v[0:1], 0, 48
	s_mov_b32 s30, 0
	v_mov_b32_e32 v147, 0x7f7fffff
	s_branch .LBB75_30
.LBB75_29:                              ;   in Loop: Header=BB75_30 Depth=1
	s_or_b64 exec, exec, s[10:11]
	ds_read_b128 v[0:3], v81
	ds_read_b128 v[4:7], v81 offset:128
	ds_read_b128 v[8:11], v81 offset:256
	ds_read_b128 v[12:15], v81 offset:384
	ds_read_b128 v[16:19], v81 offset:512
	ds_read_b128 v[20:23], v81 offset:640
	ds_read_b128 v[24:27], v81 offset:768
	ds_read_b128 v[28:31], v81 offset:896
	ds_read_b128 v[118:121], v75
	ds_read_b128 v[126:129], v75 offset:512
	ds_read_b128 v[152:155], v75 offset:1024
	;; [unrolled: 1-line block ×7, first 2 shown]
	s_waitcnt lgkmcnt(7)
	v_pk_add_f32 v[68:69], v[0:1], v[118:119]
	s_add_i32 s30, s30, 8
	v_min3_f32 v37, v68, v69, v37
	v_pk_add_f32 v[68:69], v[4:5], v[118:119]
	s_cmp_ge_i32 s30, s38
	v_min3_f32 v122, v68, v69, v40
	v_pk_add_f32 v[68:69], v[8:9], v[118:119]
	v_lshl_add_u64 v[66:67], v[66:67], 0, 32
	v_min3_f32 v68, v68, v69, v41
	v_pk_add_f32 v[40:41], v[12:13], v[118:119]
	ds_write_b32 v82, v148
	ds_write2st64_b32 v83, v149, v150 offset1:4
	ds_write2st64_b32 v83, v151, v36 offset0:8 offset1:12
	v_min3_f32 v44, v40, v41, v44
	v_pk_add_f32 v[40:41], v[16:17], v[118:119]
	s_waitcnt lgkmcnt(0)
	v_min3_f32 v45, v40, v41, v45
	v_pk_add_f32 v[40:41], v[20:21], v[118:119]
	s_barrier
	v_min3_f32 v48, v40, v41, v48
	v_pk_add_f32 v[40:41], v[24:25], v[118:119]
	s_nop 0
	v_min3_f32 v49, v40, v41, v49
	v_pk_add_f32 v[40:41], v[28:29], v[118:119]
	s_nop 0
	;; [unrolled: 3-line block ×42, first 2 shown]
	v_min3_f32 v42, v40, v41, v42
	v_pk_add_f32 v[40:41], v[0:1], v[168:169]
	v_pk_add_f32 v[0:1], v[0:1], v[32:33]
	v_min3_f32 v43, v40, v41, v43
	v_min3_f32 v39, v0, v1, v39
	v_pk_add_f32 v[0:1], v[4:5], v[32:33]
	v_pk_add_f32 v[40:41], v[4:5], v[168:169]
	v_min3_f32 v4, v0, v1, v111
	v_pk_add_f32 v[0:1], v[8:9], v[32:33]
	v_min3_f32 v156, v40, v41, v105
	v_min3_f32 v5, v0, v1, v112
	v_pk_add_f32 v[0:1], v[12:13], v[32:33]
	v_pk_add_f32 v[40:41], v[8:9], v[168:169]
	v_min3_f32 v8, v0, v1, v113
	;; [unrolled: 6-line block ×7, first 2 shown]
	v_pk_add_f32 v[0:1], v[26:27], v[120:121]
	v_min3_f32 v38, v40, v41, v38
	v_min3_f32 v78, v0, v1, v49
	v_pk_add_f32 v[0:1], v[30:31], v[120:121]
	s_nop 0
	v_min3_f32 v141, v0, v1, v52
	v_pk_add_f32 v[0:1], v[2:3], v[128:129]
	s_nop 0
	;; [unrolled: 3-line block ×57, first 2 shown]
	v_min3_f32 v88, v0, v1, v16
	s_cbranch_scc1 .LBB75_50
.LBB75_30:                              ; =>This Inner Loop Header: Depth=1
	v_add_u32_e32 v68, s30, v72
	v_add_u32_e32 v0, 8, v68
	v_cmp_le_i32_e64 s[10:11], s22, v0
	s_or_b64 s[10:11], s[10:11], vcc
	s_nop 0
	v_cndmask_b32_e64 v148, 0, v147, s[10:11]
	s_or_b64 s[10:11], s[18:19], s[10:11]
	s_xor_b64 s[10:11], s[10:11], -1
	s_and_saveexec_b64 s[12:13], s[10:11]
	s_cbranch_execz .LBB75_32
; %bb.31:                               ;   in Loop: Header=BB75_30 Depth=1
	v_add_co_u32_e64 v0, s[10:11], -16, v66
	s_nop 1
	v_addc_co_u32_e64 v1, s[10:11], -1, v67, s[10:11]
	flat_load_dword v0, v[0:1]
	s_waitcnt vmcnt(0) lgkmcnt(0)
	v_mul_f32_e32 v148, s35, v0
.LBB75_32:                              ;   in Loop: Header=BB75_30 Depth=1
	s_or_b64 exec, exec, s[12:13]
	v_add_u32_e32 v69, s30, v73
	v_add_u32_e32 v0, 8, v69
	v_cmp_le_i32_e64 s[10:11], s22, v0
	v_min_i32_e32 v0, s36, v0
	v_mad_i64_i32 v[0:1], s[12:13], v0, s23, 0
	s_or_b64 s[12:13], s[2:3], s[10:11]
	v_lshl_add_u64 v[0:1], v[0:1], 2, s[28:29]
	v_cndmask_b32_e64 v149, 0, v147, s[12:13]
	s_or_b64 s[12:13], s[18:19], s[12:13]
	s_xor_b64 s[40:41], s[12:13], -1
	v_lshl_add_u64 v[0:1], v[64:65], 2, v[0:1]
	s_and_saveexec_b64 s[12:13], s[40:41]
	s_cbranch_execz .LBB75_34
; %bb.33:                               ;   in Loop: Header=BB75_30 Depth=1
	flat_load_dword v2, v[0:1]
	s_waitcnt vmcnt(0) lgkmcnt(0)
	v_mul_f32_e32 v149, s35, v2
.LBB75_34:                              ;   in Loop: Header=BB75_30 Depth=1
	s_or_b64 exec, exec, s[12:13]
	s_or_b64 s[12:13], s[4:5], s[10:11]
	v_cndmask_b32_e64 v150, 0, v147, s[12:13]
	s_or_b64 s[12:13], s[18:19], s[12:13]
	s_xor_b64 s[40:41], s[12:13], -1
	s_and_saveexec_b64 s[12:13], s[40:41]
	s_cbranch_execz .LBB75_36
; %bb.35:                               ;   in Loop: Header=BB75_30 Depth=1
	flat_load_dword v2, v[0:1] offset:256
	s_waitcnt vmcnt(0) lgkmcnt(0)
	v_mul_f32_e32 v150, s35, v2
.LBB75_36:                              ;   in Loop: Header=BB75_30 Depth=1
	s_or_b64 exec, exec, s[12:13]
	s_or_b64 s[12:13], s[6:7], s[10:11]
	v_cndmask_b32_e64 v151, 0, v147, s[12:13]
	s_or_b64 s[12:13], s[18:19], s[12:13]
	s_xor_b64 s[40:41], s[12:13], -1
	s_and_saveexec_b64 s[12:13], s[40:41]
	s_cbranch_execz .LBB75_38
; %bb.37:                               ;   in Loop: Header=BB75_30 Depth=1
	flat_load_dword v2, v[0:1] offset:512
	s_waitcnt vmcnt(0) lgkmcnt(0)
	v_mul_f32_e32 v151, s35, v2
.LBB75_38:                              ;   in Loop: Header=BB75_30 Depth=1
	s_or_b64 exec, exec, s[12:13]
	s_or_b64 s[10:11], s[8:9], s[10:11]
	v_cndmask_b32_e64 v152, 0, v147, s[10:11]
	s_or_b64 s[10:11], s[18:19], s[10:11]
	s_xor_b64 s[12:13], s[10:11], -1
	s_and_saveexec_b64 s[10:11], s[12:13]
	s_cbranch_execz .LBB75_40
; %bb.39:                               ;   in Loop: Header=BB75_30 Depth=1
	flat_load_dword v0, v[0:1] offset:768
	s_waitcnt vmcnt(0) lgkmcnt(0)
	v_mul_f32_e32 v152, s35, v0
.LBB75_40:                              ;   in Loop: Header=BB75_30 Depth=1
	s_or_b64 exec, exec, s[10:11]
	ds_read_b128 v[28:31], v124
	ds_read_b128 v[24:27], v124 offset:128
	ds_read_b128 v[20:23], v124 offset:256
	;; [unrolled: 1-line block ×7, first 2 shown]
	ds_read_b128 v[60:63], v146
	ds_read_b128 v[56:59], v146 offset:512
	ds_read_b128 v[52:55], v146 offset:1024
	;; [unrolled: 1-line block ×7, first 2 shown]
	v_add_u32_e32 v68, 12, v68
	v_cmp_le_i32_e64 s[10:11], s22, v68
	s_or_b64 s[10:11], s[10:11], vcc
	ds_write_b32 v80, v148
	ds_write2st64_b32 v76, v149, v150 offset1:4
	ds_write2st64_b32 v76, v151, v152 offset0:8 offset1:12
	v_cndmask_b32_e64 v148, 0, v147, s[10:11]
	s_or_b64 s[10:11], s[18:19], s[10:11]
	s_xor_b64 s[12:13], s[10:11], -1
	s_waitcnt lgkmcnt(0)
	s_barrier
	s_and_saveexec_b64 s[10:11], s[12:13]
	s_cbranch_execz .LBB75_42
; %bb.41:                               ;   in Loop: Header=BB75_30 Depth=1
	flat_load_dword v68, v[66:67]
	s_waitcnt vmcnt(0) lgkmcnt(0)
	v_mul_f32_e32 v148, s35, v68
.LBB75_42:                              ;   in Loop: Header=BB75_30 Depth=1
	s_or_b64 exec, exec, s[10:11]
	v_add_u32_e32 v68, 12, v69
	v_cmp_le_i32_e64 s[10:11], s22, v68
	v_min_i32_e32 v68, s36, v68
	v_mad_i64_i32 v[68:69], s[12:13], v68, s23, 0
	s_or_b64 s[12:13], s[2:3], s[10:11]
	v_lshl_add_u64 v[68:69], v[68:69], 2, s[28:29]
	v_cndmask_b32_e64 v149, 0, v147, s[12:13]
	s_or_b64 s[12:13], s[18:19], s[12:13]
	s_xor_b64 s[40:41], s[12:13], -1
	v_lshl_add_u64 v[68:69], v[64:65], 2, v[68:69]
	s_and_saveexec_b64 s[12:13], s[40:41]
	s_cbranch_execz .LBB75_44
; %bb.43:                               ;   in Loop: Header=BB75_30 Depth=1
	flat_load_dword v149, v[68:69]
	s_waitcnt vmcnt(0) lgkmcnt(0)
	v_mul_f32_e32 v149, s35, v149
.LBB75_44:                              ;   in Loop: Header=BB75_30 Depth=1
	s_or_b64 exec, exec, s[12:13]
	s_or_b64 s[12:13], s[4:5], s[10:11]
	v_cndmask_b32_e64 v150, 0, v147, s[12:13]
	s_or_b64 s[12:13], s[18:19], s[12:13]
	s_xor_b64 s[40:41], s[12:13], -1
	s_and_saveexec_b64 s[12:13], s[40:41]
	s_cbranch_execz .LBB75_46
; %bb.45:                               ;   in Loop: Header=BB75_30 Depth=1
	flat_load_dword v150, v[68:69] offset:256
	s_waitcnt vmcnt(0) lgkmcnt(0)
	v_mul_f32_e32 v150, s35, v150
.LBB75_46:                              ;   in Loop: Header=BB75_30 Depth=1
	s_or_b64 exec, exec, s[12:13]
	s_or_b64 s[12:13], s[6:7], s[10:11]
	v_cndmask_b32_e64 v151, 0, v147, s[12:13]
	s_or_b64 s[12:13], s[18:19], s[12:13]
	s_xor_b64 s[40:41], s[12:13], -1
	s_and_saveexec_b64 s[12:13], s[40:41]
	s_cbranch_execz .LBB75_48
; %bb.47:                               ;   in Loop: Header=BB75_30 Depth=1
	flat_load_dword v151, v[68:69] offset:512
	s_waitcnt vmcnt(0) lgkmcnt(0)
	v_mul_f32_e32 v151, s35, v151
.LBB75_48:                              ;   in Loop: Header=BB75_30 Depth=1
	s_or_b64 exec, exec, s[12:13]
	v_pk_add_f32 v[152:153], v[28:29], v[60:61]
	s_or_b64 s[10:11], s[8:9], s[10:11]
	v_min3_f32 v154, v152, v153, v145
	v_pk_add_f32 v[152:153], v[24:25], v[60:61]
	s_nop 0
	v_min3_f32 v152, v152, v153, v144
	v_pk_add_f32 v[144:145], v[20:21], v[60:61]
	s_nop 0
	v_min3_f32 v153, v144, v145, v143
	v_pk_add_f32 v[144:145], v[16:17], v[60:61]
	s_nop 0
	v_min3_f32 v144, v144, v145, v142
	v_pk_add_f32 v[142:143], v[12:13], v[60:61]
	s_nop 0
	v_min3_f32 v79, v142, v143, v79
	v_pk_add_f32 v[142:143], v[8:9], v[60:61]
	s_nop 0
	v_min3_f32 v77, v142, v143, v77
	v_pk_add_f32 v[142:143], v[4:5], v[60:61]
	v_pk_add_f32 v[60:61], v[0:1], v[60:61]
	v_min3_f32 v78, v142, v143, v78
	v_min3_f32 v141, v60, v61, v141
	v_pk_add_f32 v[60:61], v[28:29], v[56:57]
	s_nop 0
	v_min3_f32 v140, v60, v61, v140
	v_pk_add_f32 v[60:61], v[24:25], v[56:57]
	s_nop 0
	v_min3_f32 v139, v60, v61, v139
	v_pk_add_f32 v[60:61], v[20:21], v[56:57]
	s_nop 0
	v_min3_f32 v138, v60, v61, v138
	v_pk_add_f32 v[60:61], v[16:17], v[56:57]
	s_nop 0
	v_min3_f32 v137, v60, v61, v137
	v_pk_add_f32 v[60:61], v[12:13], v[56:57]
	s_nop 0
	v_min3_f32 v135, v60, v61, v135
	v_pk_add_f32 v[60:61], v[8:9], v[56:57]
	s_nop 0
	v_min3_f32 v133, v60, v61, v133
	v_pk_add_f32 v[60:61], v[4:5], v[56:57]
	v_pk_add_f32 v[56:57], v[0:1], v[56:57]
	v_min3_f32 v131, v60, v61, v131
	v_min3_f32 v136, v56, v57, v136
	v_pk_add_f32 v[56:57], v[28:29], v[52:53]
	s_nop 0
	;; [unrolled: 22-line block ×5, first 2 shown]
	v_min3_f32 v107, v44, v45, v107
	v_pk_add_f32 v[44:45], v[24:25], v[40:41]
	s_nop 0
	v_min3_f32 v106, v44, v45, v106
	v_pk_add_f32 v[44:45], v[20:21], v[40:41]
	s_nop 0
	;; [unrolled: 3-line block ×5, first 2 shown]
	v_min3_f32 v142, v44, v45, v102
	v_pk_add_f32 v[44:45], v[4:5], v[40:41]
	v_pk_add_f32 v[40:41], v[0:1], v[40:41]
	v_min3_f32 v143, v44, v45, v101
	v_min3_f32 v145, v40, v41, v100
	v_pk_add_f32 v[40:41], v[28:29], v[36:37]
	v_pk_add_f32 v[28:29], v[28:29], v[32:33]
	v_min3_f32 v155, v40, v41, v99
	v_pk_add_f32 v[40:41], v[24:25], v[36:37]
	v_pk_add_f32 v[24:25], v[24:25], v[32:33]
	;; [unrolled: 3-line block ×7, first 2 shown]
	v_pk_add_f32 v[4:5], v[4:5], v[32:33]
	v_pk_add_f32 v[0:1], v[0:1], v[32:33]
	v_min3_f32 v4, v4, v5, v84
	v_min3_f32 v5, v0, v1, v88
	v_pk_add_f32 v[0:1], v[30:31], v[62:63]
	v_min3_f32 v36, v36, v37, v92
	v_min3_f32 v37, v0, v1, v154
	;; [unrolled: 3-line block ×9, first 2 shown]
	v_pk_add_f32 v[0:1], v[30:31], v[58:59]
	s_nop 0
	v_min3_f32 v53, v0, v1, v140
	v_pk_add_f32 v[0:1], v[26:27], v[58:59]
	s_nop 0
	v_min3_f32 v56, v0, v1, v139
	;; [unrolled: 3-line block ×48, first 2 shown]
	v_pk_add_f32 v[0:1], v[30:31], v[34:35]
	v_cndmask_b32_e64 v36, 0, v147, s[10:11]
	v_min3_f32 v39, v0, v1, v28
	v_pk_add_f32 v[0:1], v[26:27], v[34:35]
	s_or_b64 s[10:11], s[18:19], s[10:11]
	v_min3_f32 v111, v0, v1, v24
	v_pk_add_f32 v[0:1], v[22:23], v[34:35]
	s_xor_b64 s[12:13], s[10:11], -1
	v_min3_f32 v112, v0, v1, v20
	v_pk_add_f32 v[0:1], v[18:19], v[34:35]
	s_nop 0
	v_min3_f32 v113, v0, v1, v16
	v_pk_add_f32 v[0:1], v[14:15], v[34:35]
	s_nop 0
	;; [unrolled: 3-line block ×5, first 2 shown]
	v_min3_f32 v117, v0, v1, v5
	s_and_saveexec_b64 s[10:11], s[12:13]
	s_cbranch_execz .LBB75_29
; %bb.49:                               ;   in Loop: Header=BB75_30 Depth=1
	flat_load_dword v0, v[68:69] offset:768
	s_waitcnt vmcnt(0) lgkmcnt(0)
	v_mul_f32_e32 v36, s35, v0
	s_branch .LBB75_29
.LBB75_50:
	s_load_dwordx2 s[2:3], s[0:1], 0x78
	s_load_dword s29, s[0:1], 0x58
	s_load_dword s28, s[0:1], 0x70
	ds_read_b128 v[32:35], v74 offset:9216
	ds_read_b128 v[28:31], v74 offset:9344
	;; [unrolled: 1-line block ×16, first 2 shown]
	v_add_u32_e32 v124, s34, v71
	s_waitcnt lgkmcnt(0)
	s_mul_i32 s1, s16, s3
	s_mul_hi_u32 s3, s16, s2
	s_mul_i32 s0, s16, s2
	s_add_i32 s1, s3, s1
	s_lshl_b64 s[0:1], s[0:1], 2
	s_add_u32 s22, s14, s0
	s_addc_u32 s23, s15, s1
	v_mad_i64_i32 v[66:67], s[0:1], v124, s29, 0
	v_add_u32_e32 v64, s17, v70
	v_lshl_add_u64 v[82:83], v[66:67], 2, s[24:25]
	v_mad_i64_i32 v[66:67], s[0:1], v124, s28, 0
	v_cmp_gt_i32_e64 s[18:19], s21, v124
	v_lshl_add_u64 v[80:81], v[66:67], 2, s[22:23]
	v_cmp_gt_i32_e64 s[2:3], s20, v64
	v_cndmask_b32_e64 v66, 0, 1, s[26:27]
	s_and_b64 s[6:7], s[2:3], s[18:19]
	v_ashrrev_i32_e32 v65, 31, v64
	v_cmp_ne_u32_e64 s[0:1], 1, v66
	s_and_saveexec_b64 s[4:5], s[6:7]
	s_cbranch_execz .LBB75_55
; %bb.51:
	s_and_b64 vcc, exec, s[0:1]
	s_cbranch_vccnz .LBB75_53
; %bb.52:
	v_lshl_add_u64 v[66:67], v[64:65], 2, v[82:83]
	flat_load_dword v66, v[66:67]
	s_waitcnt vmcnt(0) lgkmcnt(0)
	v_mul_f32_e32 v66, s33, v66
	s_branch .LBB75_54
.LBB75_53:
	v_mov_b32_e32 v66, 0
.LBB75_54:
	v_pk_add_f32 v[68:69], v[32:33], v[60:61]
	s_nop 0
	v_min3_f32 v67, v68, v69, v145
	v_pk_add_f32 v[68:69], v[34:35], v[62:63]
	s_nop 0
	v_min_f32_e32 v68, v68, v69
	v_min3_f32 v68, v66, v68, v67
	v_lshl_add_u64 v[66:67], v[64:65], 2, v[80:81]
	global_store_dword v[66:67], v68, off
.LBB75_55:
	s_or_b64 exec, exec, s[4:5]
	v_add_u32_e32 v66, 8, v64
	v_cmp_gt_i32_e64 s[4:5], s20, v66
	s_and_b64 s[8:9], s[4:5], s[18:19]
	v_ashrrev_i32_e32 v67, 31, v66
	s_and_saveexec_b64 s[6:7], s[8:9]
	s_cbranch_execz .LBB75_60
; %bb.56:
	s_and_b64 vcc, exec, s[0:1]
	s_cbranch_vccnz .LBB75_58
; %bb.57:
	v_lshl_add_u64 v[68:69], v[66:67], 2, v[82:83]
	flat_load_dword v68, v[68:69]
	s_waitcnt vmcnt(0) lgkmcnt(0)
	v_mul_f32_e32 v68, s33, v68
	s_branch .LBB75_59
.LBB75_58:
	v_mov_b32_e32 v68, 0
.LBB75_59:
	v_pk_add_f32 v[70:71], v[28:29], v[60:61]
	s_nop 0
	v_min3_f32 v69, v70, v71, v144
	v_pk_add_f32 v[70:71], v[30:31], v[62:63]
	s_nop 0
	v_min_f32_e32 v70, v70, v71
	v_min3_f32 v70, v68, v70, v69
	v_lshl_add_u64 v[68:69], v[66:67], 2, v[80:81]
	global_store_dword v[68:69], v70, off
.LBB75_60:
	s_or_b64 exec, exec, s[6:7]
	v_add_u32_e32 v68, 16, v64
	v_cmp_gt_i32_e64 s[6:7], s20, v68
	s_and_b64 s[10:11], s[6:7], s[18:19]
	v_ashrrev_i32_e32 v69, 31, v68
	;; [unrolled: 29-line block ×7, first 2 shown]
	s_and_saveexec_b64 s[18:19], s[26:27]
	s_cbranch_execz .LBB75_90
; %bb.86:
	s_and_b64 vcc, exec, s[0:1]
	s_cbranch_vccnz .LBB75_88
; %bb.87:
	v_lshl_add_u64 v[82:83], v[78:79], 2, v[82:83]
	flat_load_dword v82, v[82:83]
	s_waitcnt vmcnt(0) lgkmcnt(0)
	v_mul_f32_e32 v82, s33, v82
	s_branch .LBB75_89
.LBB75_88:
	v_mov_b32_e32 v82, 0
.LBB75_89:
	v_pk_add_f32 v[60:61], v[0:1], v[60:61]
	s_nop 0
	v_min3_f32 v83, v60, v61, v141
	v_pk_add_f32 v[60:61], v[2:3], v[62:63]
	s_nop 0
	v_min_f32_e32 v60, v60, v61
	v_min3_f32 v62, v82, v60, v83
	v_lshl_add_u64 v[60:61], v[78:79], 2, v[80:81]
	global_store_dword v[60:61], v62, off
.LBB75_90:
	s_or_b64 exec, exec, s[18:19]
	v_add_u32_e32 v80, 32, v124
	v_mad_i64_i32 v[60:61], s[26:27], v80, s29, 0
	v_cmp_gt_i32_e64 s[18:19], s21, v80
	v_lshl_add_u64 v[62:63], v[60:61], 2, s[24:25]
	v_mad_i64_i32 v[60:61], s[26:27], v80, s28, 0
	v_lshl_add_u64 v[60:61], v[60:61], 2, s[22:23]
	s_and_b64 s[30:31], s[2:3], s[18:19]
	s_and_saveexec_b64 s[26:27], s[30:31]
	s_cbranch_execnz .LBB75_98
; %bb.91:
	s_or_b64 exec, exec, s[26:27]
	s_and_b64 s[30:31], s[4:5], s[18:19]
	s_and_saveexec_b64 s[26:27], s[30:31]
	s_cbranch_execnz .LBB75_102
.LBB75_92:
	s_or_b64 exec, exec, s[26:27]
	s_and_b64 s[30:31], s[6:7], s[18:19]
	s_and_saveexec_b64 s[26:27], s[30:31]
	s_cbranch_execnz .LBB75_106
.LBB75_93:
	s_or_b64 exec, exec, s[26:27]
	s_and_b64 s[30:31], s[8:9], s[18:19]
	s_and_saveexec_b64 s[26:27], s[30:31]
	s_cbranch_execnz .LBB75_110
.LBB75_94:
	s_or_b64 exec, exec, s[26:27]
	s_and_b64 s[30:31], s[10:11], s[18:19]
	s_and_saveexec_b64 s[26:27], s[30:31]
	s_cbranch_execnz .LBB75_114
.LBB75_95:
	s_or_b64 exec, exec, s[26:27]
	s_and_b64 s[30:31], s[12:13], s[18:19]
	s_and_saveexec_b64 s[26:27], s[30:31]
	s_cbranch_execnz .LBB75_118
.LBB75_96:
	s_or_b64 exec, exec, s[26:27]
	s_and_b64 s[30:31], s[14:15], s[18:19]
	s_and_saveexec_b64 s[26:27], s[30:31]
	s_cbranch_execnz .LBB75_122
.LBB75_97:
	s_or_b64 exec, exec, s[26:27]
	s_and_b64 s[26:27], s[16:17], s[18:19]
	s_and_saveexec_b64 s[18:19], s[26:27]
	s_cbranch_execnz .LBB75_126
	s_branch .LBB75_130
.LBB75_98:
	s_and_b64 vcc, exec, s[0:1]
	s_cbranch_vccnz .LBB75_100
; %bb.99:
	v_lshl_add_u64 v[80:81], v[64:65], 2, v[62:63]
	flat_load_dword v80, v[80:81]
	s_waitcnt vmcnt(0) lgkmcnt(0)
	v_mul_f32_e32 v80, s33, v80
	s_branch .LBB75_101
.LBB75_100:
	v_mov_b32_e32 v80, 0
.LBB75_101:
	v_pk_add_f32 v[82:83], v[32:33], v[56:57]
	s_nop 0
	v_min3_f32 v81, v82, v83, v140
	v_pk_add_f32 v[82:83], v[34:35], v[58:59]
	s_nop 0
	v_min_f32_e32 v82, v82, v83
	v_min3_f32 v82, v80, v82, v81
	v_lshl_add_u64 v[80:81], v[64:65], 2, v[60:61]
	global_store_dword v[80:81], v82, off
	s_or_b64 exec, exec, s[26:27]
	s_and_b64 s[30:31], s[4:5], s[18:19]
	s_and_saveexec_b64 s[26:27], s[30:31]
	s_cbranch_execz .LBB75_92
.LBB75_102:
	s_and_b64 vcc, exec, s[0:1]
	s_cbranch_vccnz .LBB75_104
; %bb.103:
	v_lshl_add_u64 v[80:81], v[66:67], 2, v[62:63]
	flat_load_dword v80, v[80:81]
	s_waitcnt vmcnt(0) lgkmcnt(0)
	v_mul_f32_e32 v80, s33, v80
	s_branch .LBB75_105
.LBB75_104:
	v_mov_b32_e32 v80, 0
.LBB75_105:
	v_pk_add_f32 v[82:83], v[28:29], v[56:57]
	s_nop 0
	v_min3_f32 v81, v82, v83, v139
	v_pk_add_f32 v[82:83], v[30:31], v[58:59]
	s_nop 0
	v_min_f32_e32 v82, v82, v83
	v_min3_f32 v82, v80, v82, v81
	v_lshl_add_u64 v[80:81], v[66:67], 2, v[60:61]
	global_store_dword v[80:81], v82, off
	s_or_b64 exec, exec, s[26:27]
	s_and_b64 s[30:31], s[6:7], s[18:19]
	s_and_saveexec_b64 s[26:27], s[30:31]
	s_cbranch_execz .LBB75_93
.LBB75_106:
	s_and_b64 vcc, exec, s[0:1]
	s_cbranch_vccnz .LBB75_108
; %bb.107:
	v_lshl_add_u64 v[80:81], v[68:69], 2, v[62:63]
	flat_load_dword v80, v[80:81]
	s_waitcnt vmcnt(0) lgkmcnt(0)
	v_mul_f32_e32 v80, s33, v80
	s_branch .LBB75_109
.LBB75_108:
	v_mov_b32_e32 v80, 0
.LBB75_109:
	v_pk_add_f32 v[82:83], v[24:25], v[56:57]
	s_nop 0
	v_min3_f32 v81, v82, v83, v138
	v_pk_add_f32 v[82:83], v[26:27], v[58:59]
	s_nop 0
	v_min_f32_e32 v82, v82, v83
	v_min3_f32 v82, v80, v82, v81
	v_lshl_add_u64 v[80:81], v[68:69], 2, v[60:61]
	global_store_dword v[80:81], v82, off
	s_or_b64 exec, exec, s[26:27]
	s_and_b64 s[30:31], s[8:9], s[18:19]
	s_and_saveexec_b64 s[26:27], s[30:31]
	s_cbranch_execz .LBB75_94
.LBB75_110:
	s_and_b64 vcc, exec, s[0:1]
	s_cbranch_vccnz .LBB75_112
; %bb.111:
	v_lshl_add_u64 v[80:81], v[70:71], 2, v[62:63]
	flat_load_dword v80, v[80:81]
	s_waitcnt vmcnt(0) lgkmcnt(0)
	v_mul_f32_e32 v80, s33, v80
	s_branch .LBB75_113
.LBB75_112:
	v_mov_b32_e32 v80, 0
.LBB75_113:
	v_pk_add_f32 v[82:83], v[20:21], v[56:57]
	s_nop 0
	v_min3_f32 v81, v82, v83, v137
	v_pk_add_f32 v[82:83], v[22:23], v[58:59]
	s_nop 0
	v_min_f32_e32 v82, v82, v83
	v_min3_f32 v82, v80, v82, v81
	v_lshl_add_u64 v[80:81], v[70:71], 2, v[60:61]
	global_store_dword v[80:81], v82, off
	s_or_b64 exec, exec, s[26:27]
	s_and_b64 s[30:31], s[10:11], s[18:19]
	s_and_saveexec_b64 s[26:27], s[30:31]
	s_cbranch_execz .LBB75_95
.LBB75_114:
	s_and_b64 vcc, exec, s[0:1]
	s_cbranch_vccnz .LBB75_116
; %bb.115:
	v_lshl_add_u64 v[80:81], v[72:73], 2, v[62:63]
	flat_load_dword v80, v[80:81]
	s_waitcnt vmcnt(0) lgkmcnt(0)
	v_mul_f32_e32 v80, s33, v80
	s_branch .LBB75_117
.LBB75_116:
	v_mov_b32_e32 v80, 0
.LBB75_117:
	v_pk_add_f32 v[82:83], v[16:17], v[56:57]
	s_nop 0
	v_min3_f32 v81, v82, v83, v135
	v_pk_add_f32 v[82:83], v[18:19], v[58:59]
	s_nop 0
	v_min_f32_e32 v82, v82, v83
	v_min3_f32 v82, v80, v82, v81
	v_lshl_add_u64 v[80:81], v[72:73], 2, v[60:61]
	global_store_dword v[80:81], v82, off
	s_or_b64 exec, exec, s[26:27]
	s_and_b64 s[30:31], s[12:13], s[18:19]
	s_and_saveexec_b64 s[26:27], s[30:31]
	s_cbranch_execz .LBB75_96
.LBB75_118:
	s_and_b64 vcc, exec, s[0:1]
	s_cbranch_vccnz .LBB75_120
; %bb.119:
	v_lshl_add_u64 v[80:81], v[74:75], 2, v[62:63]
	flat_load_dword v80, v[80:81]
	s_waitcnt vmcnt(0) lgkmcnt(0)
	v_mul_f32_e32 v80, s33, v80
	s_branch .LBB75_121
.LBB75_120:
	v_mov_b32_e32 v80, 0
.LBB75_121:
	v_pk_add_f32 v[82:83], v[12:13], v[56:57]
	s_nop 0
	v_min3_f32 v81, v82, v83, v133
	v_pk_add_f32 v[82:83], v[14:15], v[58:59]
	s_nop 0
	v_min_f32_e32 v82, v82, v83
	v_min3_f32 v82, v80, v82, v81
	v_lshl_add_u64 v[80:81], v[74:75], 2, v[60:61]
	global_store_dword v[80:81], v82, off
	s_or_b64 exec, exec, s[26:27]
	s_and_b64 s[30:31], s[14:15], s[18:19]
	s_and_saveexec_b64 s[26:27], s[30:31]
	s_cbranch_execz .LBB75_97
.LBB75_122:
	s_and_b64 vcc, exec, s[0:1]
	s_cbranch_vccnz .LBB75_124
; %bb.123:
	v_lshl_add_u64 v[80:81], v[76:77], 2, v[62:63]
	flat_load_dword v80, v[80:81]
	s_waitcnt vmcnt(0) lgkmcnt(0)
	v_mul_f32_e32 v80, s33, v80
	s_branch .LBB75_125
.LBB75_124:
	v_mov_b32_e32 v80, 0
.LBB75_125:
	v_pk_add_f32 v[82:83], v[8:9], v[56:57]
	s_nop 0
	v_min3_f32 v81, v82, v83, v131
	v_pk_add_f32 v[82:83], v[10:11], v[58:59]
	s_nop 0
	v_min_f32_e32 v82, v82, v83
	v_min3_f32 v82, v80, v82, v81
	v_lshl_add_u64 v[80:81], v[76:77], 2, v[60:61]
	global_store_dword v[80:81], v82, off
	s_or_b64 exec, exec, s[26:27]
	s_and_b64 s[26:27], s[16:17], s[18:19]
	s_and_saveexec_b64 s[18:19], s[26:27]
	s_cbranch_execz .LBB75_130
.LBB75_126:
	s_and_b64 vcc, exec, s[0:1]
	s_cbranch_vccnz .LBB75_128
; %bb.127:
	v_lshl_add_u64 v[62:63], v[78:79], 2, v[62:63]
	flat_load_dword v62, v[62:63]
	s_waitcnt vmcnt(0) lgkmcnt(0)
	v_mul_f32_e32 v62, s33, v62
	s_branch .LBB75_129
.LBB75_128:
	v_mov_b32_e32 v62, 0
.LBB75_129:
	v_pk_add_f32 v[56:57], v[0:1], v[56:57]
	s_nop 0
	v_min3_f32 v63, v56, v57, v136
	v_pk_add_f32 v[56:57], v[2:3], v[58:59]
	s_nop 0
	v_min_f32_e32 v56, v56, v57
	v_min3_f32 v58, v62, v56, v63
	v_lshl_add_u64 v[56:57], v[78:79], 2, v[60:61]
	global_store_dword v[56:57], v58, off
.LBB75_130:
	s_or_b64 exec, exec, s[18:19]
	v_add_u32_e32 v60, 64, v124
	v_mad_i64_i32 v[56:57], s[26:27], v60, s29, 0
	v_cmp_gt_i32_e64 s[18:19], s21, v60
	v_lshl_add_u64 v[58:59], v[56:57], 2, s[24:25]
	v_mad_i64_i32 v[56:57], s[26:27], v60, s28, 0
	v_lshl_add_u64 v[56:57], v[56:57], 2, s[22:23]
	s_and_b64 s[30:31], s[2:3], s[18:19]
	s_and_saveexec_b64 s[26:27], s[30:31]
	s_cbranch_execnz .LBB75_138
; %bb.131:
	s_or_b64 exec, exec, s[26:27]
	s_and_b64 s[30:31], s[4:5], s[18:19]
	s_and_saveexec_b64 s[26:27], s[30:31]
	s_cbranch_execnz .LBB75_142
.LBB75_132:
	s_or_b64 exec, exec, s[26:27]
	s_and_b64 s[30:31], s[6:7], s[18:19]
	s_and_saveexec_b64 s[26:27], s[30:31]
	s_cbranch_execnz .LBB75_146
.LBB75_133:
	s_or_b64 exec, exec, s[26:27]
	s_and_b64 s[30:31], s[8:9], s[18:19]
	s_and_saveexec_b64 s[26:27], s[30:31]
	s_cbranch_execnz .LBB75_150
.LBB75_134:
	s_or_b64 exec, exec, s[26:27]
	s_and_b64 s[30:31], s[10:11], s[18:19]
	s_and_saveexec_b64 s[26:27], s[30:31]
	s_cbranch_execnz .LBB75_154
.LBB75_135:
	s_or_b64 exec, exec, s[26:27]
	s_and_b64 s[30:31], s[12:13], s[18:19]
	s_and_saveexec_b64 s[26:27], s[30:31]
	s_cbranch_execnz .LBB75_158
.LBB75_136:
	s_or_b64 exec, exec, s[26:27]
	s_and_b64 s[30:31], s[14:15], s[18:19]
	s_and_saveexec_b64 s[26:27], s[30:31]
	s_cbranch_execnz .LBB75_162
.LBB75_137:
	s_or_b64 exec, exec, s[26:27]
	s_and_b64 s[26:27], s[16:17], s[18:19]
	s_and_saveexec_b64 s[18:19], s[26:27]
	s_cbranch_execnz .LBB75_166
	s_branch .LBB75_170
.LBB75_138:
	s_and_b64 vcc, exec, s[0:1]
	s_cbranch_vccnz .LBB75_140
; %bb.139:
	v_lshl_add_u64 v[60:61], v[64:65], 2, v[58:59]
	flat_load_dword v60, v[60:61]
	s_waitcnt vmcnt(0) lgkmcnt(0)
	v_mul_f32_e32 v60, s33, v60
	s_branch .LBB75_141
.LBB75_140:
	v_mov_b32_e32 v60, 0
.LBB75_141:
	v_pk_add_f32 v[62:63], v[32:33], v[52:53]
	s_nop 0
	v_min3_f32 v61, v62, v63, v134
	v_pk_add_f32 v[62:63], v[34:35], v[54:55]
	s_nop 0
	v_min_f32_e32 v62, v62, v63
	v_min3_f32 v62, v60, v62, v61
	v_lshl_add_u64 v[60:61], v[64:65], 2, v[56:57]
	global_store_dword v[60:61], v62, off
	s_or_b64 exec, exec, s[26:27]
	s_and_b64 s[30:31], s[4:5], s[18:19]
	s_and_saveexec_b64 s[26:27], s[30:31]
	s_cbranch_execz .LBB75_132
.LBB75_142:
	s_and_b64 vcc, exec, s[0:1]
	s_cbranch_vccnz .LBB75_144
; %bb.143:
	v_lshl_add_u64 v[60:61], v[66:67], 2, v[58:59]
	flat_load_dword v60, v[60:61]
	s_waitcnt vmcnt(0) lgkmcnt(0)
	v_mul_f32_e32 v60, s33, v60
	s_branch .LBB75_145
.LBB75_144:
	v_mov_b32_e32 v60, 0
.LBB75_145:
	v_pk_add_f32 v[62:63], v[28:29], v[52:53]
	s_nop 0
	v_min3_f32 v61, v62, v63, v132
	v_pk_add_f32 v[62:63], v[30:31], v[54:55]
	s_nop 0
	v_min_f32_e32 v62, v62, v63
	v_min3_f32 v62, v60, v62, v61
	v_lshl_add_u64 v[60:61], v[66:67], 2, v[56:57]
	global_store_dword v[60:61], v62, off
	s_or_b64 exec, exec, s[26:27]
	s_and_b64 s[30:31], s[6:7], s[18:19]
	s_and_saveexec_b64 s[26:27], s[30:31]
	s_cbranch_execz .LBB75_133
.LBB75_146:
	s_and_b64 vcc, exec, s[0:1]
	s_cbranch_vccnz .LBB75_148
; %bb.147:
	v_lshl_add_u64 v[60:61], v[68:69], 2, v[58:59]
	flat_load_dword v60, v[60:61]
	s_waitcnt vmcnt(0) lgkmcnt(0)
	v_mul_f32_e32 v60, s33, v60
	s_branch .LBB75_149
.LBB75_148:
	v_mov_b32_e32 v60, 0
.LBB75_149:
	v_pk_add_f32 v[62:63], v[24:25], v[52:53]
	s_nop 0
	v_min3_f32 v61, v62, v63, v130
	v_pk_add_f32 v[62:63], v[26:27], v[54:55]
	s_nop 0
	v_min_f32_e32 v62, v62, v63
	v_min3_f32 v62, v60, v62, v61
	v_lshl_add_u64 v[60:61], v[68:69], 2, v[56:57]
	global_store_dword v[60:61], v62, off
	s_or_b64 exec, exec, s[26:27]
	s_and_b64 s[30:31], s[8:9], s[18:19]
	s_and_saveexec_b64 s[26:27], s[30:31]
	s_cbranch_execz .LBB75_134
.LBB75_150:
	s_and_b64 vcc, exec, s[0:1]
	s_cbranch_vccnz .LBB75_152
; %bb.151:
	v_lshl_add_u64 v[60:61], v[70:71], 2, v[58:59]
	flat_load_dword v60, v[60:61]
	s_waitcnt vmcnt(0) lgkmcnt(0)
	v_mul_f32_e32 v60, s33, v60
	s_branch .LBB75_153
.LBB75_152:
	v_mov_b32_e32 v60, 0
.LBB75_153:
	v_pk_add_f32 v[62:63], v[20:21], v[52:53]
	s_nop 0
	v_min3_f32 v61, v62, v63, v129
	v_pk_add_f32 v[62:63], v[22:23], v[54:55]
	s_nop 0
	v_min_f32_e32 v62, v62, v63
	v_min3_f32 v62, v60, v62, v61
	v_lshl_add_u64 v[60:61], v[70:71], 2, v[56:57]
	global_store_dword v[60:61], v62, off
	s_or_b64 exec, exec, s[26:27]
	s_and_b64 s[30:31], s[10:11], s[18:19]
	s_and_saveexec_b64 s[26:27], s[30:31]
	s_cbranch_execz .LBB75_135
.LBB75_154:
	s_and_b64 vcc, exec, s[0:1]
	s_cbranch_vccnz .LBB75_156
; %bb.155:
	v_lshl_add_u64 v[60:61], v[72:73], 2, v[58:59]
	flat_load_dword v60, v[60:61]
	s_waitcnt vmcnt(0) lgkmcnt(0)
	v_mul_f32_e32 v60, s33, v60
	s_branch .LBB75_157
.LBB75_156:
	v_mov_b32_e32 v60, 0
.LBB75_157:
	v_pk_add_f32 v[62:63], v[16:17], v[52:53]
	s_nop 0
	v_min3_f32 v61, v62, v63, v128
	v_pk_add_f32 v[62:63], v[18:19], v[54:55]
	s_nop 0
	v_min_f32_e32 v62, v62, v63
	v_min3_f32 v62, v60, v62, v61
	v_lshl_add_u64 v[60:61], v[72:73], 2, v[56:57]
	global_store_dword v[60:61], v62, off
	s_or_b64 exec, exec, s[26:27]
	s_and_b64 s[30:31], s[12:13], s[18:19]
	s_and_saveexec_b64 s[26:27], s[30:31]
	s_cbranch_execz .LBB75_136
.LBB75_158:
	s_and_b64 vcc, exec, s[0:1]
	s_cbranch_vccnz .LBB75_160
; %bb.159:
	v_lshl_add_u64 v[60:61], v[74:75], 2, v[58:59]
	flat_load_dword v60, v[60:61]
	s_waitcnt vmcnt(0) lgkmcnt(0)
	v_mul_f32_e32 v60, s33, v60
	s_branch .LBB75_161
.LBB75_160:
	v_mov_b32_e32 v60, 0
.LBB75_161:
	v_pk_add_f32 v[62:63], v[12:13], v[52:53]
	s_nop 0
	v_min3_f32 v61, v62, v63, v127
	v_pk_add_f32 v[62:63], v[14:15], v[54:55]
	s_nop 0
	v_min_f32_e32 v62, v62, v63
	v_min3_f32 v62, v60, v62, v61
	v_lshl_add_u64 v[60:61], v[74:75], 2, v[56:57]
	global_store_dword v[60:61], v62, off
	s_or_b64 exec, exec, s[26:27]
	s_and_b64 s[30:31], s[14:15], s[18:19]
	s_and_saveexec_b64 s[26:27], s[30:31]
	s_cbranch_execz .LBB75_137
.LBB75_162:
	s_and_b64 vcc, exec, s[0:1]
	s_cbranch_vccnz .LBB75_164
; %bb.163:
	v_lshl_add_u64 v[60:61], v[76:77], 2, v[58:59]
	flat_load_dword v60, v[60:61]
	s_waitcnt vmcnt(0) lgkmcnt(0)
	v_mul_f32_e32 v60, s33, v60
	s_branch .LBB75_165
.LBB75_164:
	v_mov_b32_e32 v60, 0
.LBB75_165:
	v_pk_add_f32 v[62:63], v[8:9], v[52:53]
	s_nop 0
	v_min3_f32 v61, v62, v63, v126
	v_pk_add_f32 v[62:63], v[10:11], v[54:55]
	s_nop 0
	v_min_f32_e32 v62, v62, v63
	v_min3_f32 v62, v60, v62, v61
	v_lshl_add_u64 v[60:61], v[76:77], 2, v[56:57]
	global_store_dword v[60:61], v62, off
	s_or_b64 exec, exec, s[26:27]
	s_and_b64 s[26:27], s[16:17], s[18:19]
	s_and_saveexec_b64 s[18:19], s[26:27]
	s_cbranch_execz .LBB75_170
.LBB75_166:
	s_and_b64 vcc, exec, s[0:1]
	s_cbranch_vccnz .LBB75_168
; %bb.167:
	v_lshl_add_u64 v[58:59], v[78:79], 2, v[58:59]
	flat_load_dword v58, v[58:59]
	s_waitcnt vmcnt(0) lgkmcnt(0)
	v_mul_f32_e32 v58, s33, v58
	s_branch .LBB75_169
.LBB75_168:
	v_mov_b32_e32 v58, 0
.LBB75_169:
	v_pk_add_f32 v[52:53], v[0:1], v[52:53]
	s_nop 0
	v_min3_f32 v59, v52, v53, v125
	v_pk_add_f32 v[52:53], v[2:3], v[54:55]
	s_nop 0
	v_min_f32_e32 v52, v52, v53
	v_min3_f32 v54, v58, v52, v59
	v_lshl_add_u64 v[52:53], v[78:79], 2, v[56:57]
	global_store_dword v[52:53], v54, off
.LBB75_170:
	s_or_b64 exec, exec, s[18:19]
	v_add_u32_e32 v56, 0x60, v124
	v_mad_i64_i32 v[52:53], s[26:27], v56, s29, 0
	v_cmp_gt_i32_e64 s[18:19], s21, v56
	v_lshl_add_u64 v[54:55], v[52:53], 2, s[24:25]
	v_mad_i64_i32 v[52:53], s[26:27], v56, s28, 0
	v_lshl_add_u64 v[52:53], v[52:53], 2, s[22:23]
	s_and_b64 s[30:31], s[2:3], s[18:19]
	s_and_saveexec_b64 s[26:27], s[30:31]
	s_cbranch_execnz .LBB75_178
; %bb.171:
	s_or_b64 exec, exec, s[26:27]
	s_and_b64 s[30:31], s[4:5], s[18:19]
	s_and_saveexec_b64 s[26:27], s[30:31]
	s_cbranch_execnz .LBB75_182
.LBB75_172:
	s_or_b64 exec, exec, s[26:27]
	s_and_b64 s[30:31], s[6:7], s[18:19]
	s_and_saveexec_b64 s[26:27], s[30:31]
	s_cbranch_execnz .LBB75_186
.LBB75_173:
	s_or_b64 exec, exec, s[26:27]
	s_and_b64 s[30:31], s[8:9], s[18:19]
	s_and_saveexec_b64 s[26:27], s[30:31]
	s_cbranch_execnz .LBB75_190
.LBB75_174:
	s_or_b64 exec, exec, s[26:27]
	s_and_b64 s[30:31], s[10:11], s[18:19]
	s_and_saveexec_b64 s[26:27], s[30:31]
	s_cbranch_execnz .LBB75_194
.LBB75_175:
	s_or_b64 exec, exec, s[26:27]
	s_and_b64 s[30:31], s[12:13], s[18:19]
	s_and_saveexec_b64 s[26:27], s[30:31]
	s_cbranch_execnz .LBB75_198
.LBB75_176:
	s_or_b64 exec, exec, s[26:27]
	s_and_b64 s[30:31], s[14:15], s[18:19]
	s_and_saveexec_b64 s[26:27], s[30:31]
	s_cbranch_execnz .LBB75_202
.LBB75_177:
	s_or_b64 exec, exec, s[26:27]
	s_and_b64 s[26:27], s[16:17], s[18:19]
	s_and_saveexec_b64 s[18:19], s[26:27]
	s_cbranch_execnz .LBB75_206
	s_branch .LBB75_210
.LBB75_178:
	s_and_b64 vcc, exec, s[0:1]
	s_cbranch_vccnz .LBB75_180
; %bb.179:
	v_lshl_add_u64 v[56:57], v[64:65], 2, v[54:55]
	flat_load_dword v56, v[56:57]
	s_waitcnt vmcnt(0) lgkmcnt(0)
	v_mul_f32_e32 v56, s33, v56
	s_branch .LBB75_181
.LBB75_180:
	v_mov_b32_e32 v56, 0
.LBB75_181:
	v_pk_add_f32 v[58:59], v[32:33], v[48:49]
	s_nop 0
	v_min3_f32 v57, v58, v59, v123
	v_pk_add_f32 v[58:59], v[34:35], v[50:51]
	s_nop 0
	v_min_f32_e32 v58, v58, v59
	v_min3_f32 v58, v56, v58, v57
	v_lshl_add_u64 v[56:57], v[64:65], 2, v[52:53]
	global_store_dword v[56:57], v58, off
	s_or_b64 exec, exec, s[26:27]
	s_and_b64 s[30:31], s[4:5], s[18:19]
	s_and_saveexec_b64 s[26:27], s[30:31]
	s_cbranch_execz .LBB75_172
.LBB75_182:
	s_and_b64 vcc, exec, s[0:1]
	s_cbranch_vccnz .LBB75_184
; %bb.183:
	v_lshl_add_u64 v[56:57], v[66:67], 2, v[54:55]
	flat_load_dword v56, v[56:57]
	s_waitcnt vmcnt(0) lgkmcnt(0)
	v_mul_f32_e32 v56, s33, v56
	s_branch .LBB75_185
.LBB75_184:
	v_mov_b32_e32 v56, 0
.LBB75_185:
	v_pk_add_f32 v[58:59], v[28:29], v[48:49]
	s_nop 0
	v_min3_f32 v57, v58, v59, v122
	v_pk_add_f32 v[58:59], v[30:31], v[50:51]
	s_nop 0
	v_min_f32_e32 v58, v58, v59
	v_min3_f32 v58, v56, v58, v57
	v_lshl_add_u64 v[56:57], v[66:67], 2, v[52:53]
	global_store_dword v[56:57], v58, off
	s_or_b64 exec, exec, s[26:27]
	s_and_b64 s[30:31], s[6:7], s[18:19]
	s_and_saveexec_b64 s[26:27], s[30:31]
	s_cbranch_execz .LBB75_173
.LBB75_186:
	s_and_b64 vcc, exec, s[0:1]
	s_cbranch_vccnz .LBB75_188
; %bb.187:
	v_lshl_add_u64 v[56:57], v[68:69], 2, v[54:55]
	flat_load_dword v56, v[56:57]
	s_waitcnt vmcnt(0) lgkmcnt(0)
	v_mul_f32_e32 v56, s33, v56
	s_branch .LBB75_189
.LBB75_188:
	v_mov_b32_e32 v56, 0
.LBB75_189:
	v_pk_add_f32 v[58:59], v[24:25], v[48:49]
	s_nop 0
	v_min3_f32 v57, v58, v59, v121
	v_pk_add_f32 v[58:59], v[26:27], v[50:51]
	s_nop 0
	v_min_f32_e32 v58, v58, v59
	v_min3_f32 v58, v56, v58, v57
	v_lshl_add_u64 v[56:57], v[68:69], 2, v[52:53]
	global_store_dword v[56:57], v58, off
	s_or_b64 exec, exec, s[26:27]
	s_and_b64 s[30:31], s[8:9], s[18:19]
	s_and_saveexec_b64 s[26:27], s[30:31]
	s_cbranch_execz .LBB75_174
.LBB75_190:
	s_and_b64 vcc, exec, s[0:1]
	s_cbranch_vccnz .LBB75_192
; %bb.191:
	v_lshl_add_u64 v[56:57], v[70:71], 2, v[54:55]
	flat_load_dword v56, v[56:57]
	s_waitcnt vmcnt(0) lgkmcnt(0)
	v_mul_f32_e32 v56, s33, v56
	s_branch .LBB75_193
.LBB75_192:
	v_mov_b32_e32 v56, 0
.LBB75_193:
	v_pk_add_f32 v[58:59], v[20:21], v[48:49]
	s_nop 0
	v_min3_f32 v57, v58, v59, v120
	v_pk_add_f32 v[58:59], v[22:23], v[50:51]
	s_nop 0
	v_min_f32_e32 v58, v58, v59
	v_min3_f32 v58, v56, v58, v57
	v_lshl_add_u64 v[56:57], v[70:71], 2, v[52:53]
	global_store_dword v[56:57], v58, off
	s_or_b64 exec, exec, s[26:27]
	s_and_b64 s[30:31], s[10:11], s[18:19]
	s_and_saveexec_b64 s[26:27], s[30:31]
	s_cbranch_execz .LBB75_175
.LBB75_194:
	s_and_b64 vcc, exec, s[0:1]
	s_cbranch_vccnz .LBB75_196
; %bb.195:
	v_lshl_add_u64 v[56:57], v[72:73], 2, v[54:55]
	flat_load_dword v56, v[56:57]
	s_waitcnt vmcnt(0) lgkmcnt(0)
	v_mul_f32_e32 v56, s33, v56
	s_branch .LBB75_197
.LBB75_196:
	v_mov_b32_e32 v56, 0
.LBB75_197:
	v_pk_add_f32 v[58:59], v[16:17], v[48:49]
	s_nop 0
	v_min3_f32 v57, v58, v59, v119
	v_pk_add_f32 v[58:59], v[18:19], v[50:51]
	s_nop 0
	v_min_f32_e32 v58, v58, v59
	v_min3_f32 v58, v56, v58, v57
	v_lshl_add_u64 v[56:57], v[72:73], 2, v[52:53]
	global_store_dword v[56:57], v58, off
	s_or_b64 exec, exec, s[26:27]
	s_and_b64 s[30:31], s[12:13], s[18:19]
	s_and_saveexec_b64 s[26:27], s[30:31]
	s_cbranch_execz .LBB75_176
.LBB75_198:
	s_and_b64 vcc, exec, s[0:1]
	s_cbranch_vccnz .LBB75_200
; %bb.199:
	v_lshl_add_u64 v[56:57], v[74:75], 2, v[54:55]
	flat_load_dword v56, v[56:57]
	s_waitcnt vmcnt(0) lgkmcnt(0)
	v_mul_f32_e32 v56, s33, v56
	s_branch .LBB75_201
.LBB75_200:
	v_mov_b32_e32 v56, 0
.LBB75_201:
	v_pk_add_f32 v[58:59], v[12:13], v[48:49]
	s_nop 0
	v_min3_f32 v57, v58, v59, v118
	v_pk_add_f32 v[58:59], v[14:15], v[50:51]
	s_nop 0
	v_min_f32_e32 v58, v58, v59
	v_min3_f32 v58, v56, v58, v57
	v_lshl_add_u64 v[56:57], v[74:75], 2, v[52:53]
	global_store_dword v[56:57], v58, off
	s_or_b64 exec, exec, s[26:27]
	s_and_b64 s[30:31], s[14:15], s[18:19]
	s_and_saveexec_b64 s[26:27], s[30:31]
	s_cbranch_execz .LBB75_177
.LBB75_202:
	s_and_b64 vcc, exec, s[0:1]
	s_cbranch_vccnz .LBB75_204
; %bb.203:
	v_lshl_add_u64 v[56:57], v[76:77], 2, v[54:55]
	flat_load_dword v56, v[56:57]
	s_waitcnt vmcnt(0) lgkmcnt(0)
	v_mul_f32_e32 v56, s33, v56
	s_branch .LBB75_205
.LBB75_204:
	v_mov_b32_e32 v56, 0
.LBB75_205:
	v_pk_add_f32 v[58:59], v[8:9], v[48:49]
	s_nop 0
	v_min3_f32 v57, v58, v59, v117
	v_pk_add_f32 v[58:59], v[10:11], v[50:51]
	s_nop 0
	v_min_f32_e32 v58, v58, v59
	v_min3_f32 v58, v56, v58, v57
	v_lshl_add_u64 v[56:57], v[76:77], 2, v[52:53]
	global_store_dword v[56:57], v58, off
	s_or_b64 exec, exec, s[26:27]
	s_and_b64 s[26:27], s[16:17], s[18:19]
	s_and_saveexec_b64 s[18:19], s[26:27]
	s_cbranch_execz .LBB75_210
.LBB75_206:
	s_and_b64 vcc, exec, s[0:1]
	s_cbranch_vccnz .LBB75_208
; %bb.207:
	v_lshl_add_u64 v[54:55], v[78:79], 2, v[54:55]
	flat_load_dword v54, v[54:55]
	s_waitcnt vmcnt(0) lgkmcnt(0)
	v_mul_f32_e32 v54, s33, v54
	s_branch .LBB75_209
.LBB75_208:
	v_mov_b32_e32 v54, 0
.LBB75_209:
	v_pk_add_f32 v[48:49], v[0:1], v[48:49]
	s_nop 0
	v_min3_f32 v55, v48, v49, v116
	v_pk_add_f32 v[48:49], v[2:3], v[50:51]
	s_nop 0
	v_min_f32_e32 v48, v48, v49
	v_min3_f32 v50, v54, v48, v55
	v_lshl_add_u64 v[48:49], v[78:79], 2, v[52:53]
	global_store_dword v[48:49], v50, off
.LBB75_210:
	s_or_b64 exec, exec, s[18:19]
	v_add_u32_e32 v52, 0x80, v124
	v_mad_i64_i32 v[48:49], s[26:27], v52, s29, 0
	v_cmp_gt_i32_e64 s[18:19], s21, v52
	v_lshl_add_u64 v[50:51], v[48:49], 2, s[24:25]
	v_mad_i64_i32 v[48:49], s[26:27], v52, s28, 0
	v_lshl_add_u64 v[48:49], v[48:49], 2, s[22:23]
	s_and_b64 s[30:31], s[2:3], s[18:19]
	s_and_saveexec_b64 s[26:27], s[30:31]
	s_cbranch_execnz .LBB75_218
; %bb.211:
	s_or_b64 exec, exec, s[26:27]
	s_and_b64 s[30:31], s[4:5], s[18:19]
	s_and_saveexec_b64 s[26:27], s[30:31]
	s_cbranch_execnz .LBB75_222
.LBB75_212:
	s_or_b64 exec, exec, s[26:27]
	s_and_b64 s[30:31], s[6:7], s[18:19]
	s_and_saveexec_b64 s[26:27], s[30:31]
	s_cbranch_execnz .LBB75_226
.LBB75_213:
	s_or_b64 exec, exec, s[26:27]
	s_and_b64 s[30:31], s[8:9], s[18:19]
	s_and_saveexec_b64 s[26:27], s[30:31]
	s_cbranch_execnz .LBB75_230
.LBB75_214:
	s_or_b64 exec, exec, s[26:27]
	s_and_b64 s[30:31], s[10:11], s[18:19]
	s_and_saveexec_b64 s[26:27], s[30:31]
	s_cbranch_execnz .LBB75_234
.LBB75_215:
	s_or_b64 exec, exec, s[26:27]
	s_and_b64 s[30:31], s[12:13], s[18:19]
	s_and_saveexec_b64 s[26:27], s[30:31]
	s_cbranch_execnz .LBB75_238
.LBB75_216:
	s_or_b64 exec, exec, s[26:27]
	s_and_b64 s[30:31], s[14:15], s[18:19]
	s_and_saveexec_b64 s[26:27], s[30:31]
	s_cbranch_execnz .LBB75_242
.LBB75_217:
	s_or_b64 exec, exec, s[26:27]
	s_and_b64 s[26:27], s[16:17], s[18:19]
	s_and_saveexec_b64 s[18:19], s[26:27]
	s_cbranch_execnz .LBB75_246
	s_branch .LBB75_250
.LBB75_218:
	s_and_b64 vcc, exec, s[0:1]
	s_cbranch_vccnz .LBB75_220
; %bb.219:
	v_lshl_add_u64 v[52:53], v[64:65], 2, v[50:51]
	flat_load_dword v52, v[52:53]
	s_waitcnt vmcnt(0) lgkmcnt(0)
	v_mul_f32_e32 v52, s33, v52
	s_branch .LBB75_221
.LBB75_220:
	v_mov_b32_e32 v52, 0
.LBB75_221:
	v_pk_add_f32 v[54:55], v[32:33], v[44:45]
	s_nop 0
	v_min3_f32 v53, v54, v55, v115
	v_pk_add_f32 v[54:55], v[34:35], v[46:47]
	s_nop 0
	v_min_f32_e32 v54, v54, v55
	v_min3_f32 v54, v52, v54, v53
	v_lshl_add_u64 v[52:53], v[64:65], 2, v[48:49]
	global_store_dword v[52:53], v54, off
	s_or_b64 exec, exec, s[26:27]
	s_and_b64 s[30:31], s[4:5], s[18:19]
	s_and_saveexec_b64 s[26:27], s[30:31]
	s_cbranch_execz .LBB75_212
.LBB75_222:
	s_and_b64 vcc, exec, s[0:1]
	s_cbranch_vccnz .LBB75_224
; %bb.223:
	v_lshl_add_u64 v[52:53], v[66:67], 2, v[50:51]
	flat_load_dword v52, v[52:53]
	s_waitcnt vmcnt(0) lgkmcnt(0)
	v_mul_f32_e32 v52, s33, v52
	s_branch .LBB75_225
.LBB75_224:
	v_mov_b32_e32 v52, 0
.LBB75_225:
	v_pk_add_f32 v[54:55], v[28:29], v[44:45]
	s_nop 0
	v_min3_f32 v53, v54, v55, v114
	v_pk_add_f32 v[54:55], v[30:31], v[46:47]
	s_nop 0
	v_min_f32_e32 v54, v54, v55
	v_min3_f32 v54, v52, v54, v53
	v_lshl_add_u64 v[52:53], v[66:67], 2, v[48:49]
	global_store_dword v[52:53], v54, off
	s_or_b64 exec, exec, s[26:27]
	s_and_b64 s[30:31], s[6:7], s[18:19]
	s_and_saveexec_b64 s[26:27], s[30:31]
	s_cbranch_execz .LBB75_213
.LBB75_226:
	s_and_b64 vcc, exec, s[0:1]
	s_cbranch_vccnz .LBB75_228
; %bb.227:
	v_lshl_add_u64 v[52:53], v[68:69], 2, v[50:51]
	flat_load_dword v52, v[52:53]
	s_waitcnt vmcnt(0) lgkmcnt(0)
	v_mul_f32_e32 v52, s33, v52
	s_branch .LBB75_229
.LBB75_228:
	v_mov_b32_e32 v52, 0
.LBB75_229:
	v_pk_add_f32 v[54:55], v[24:25], v[44:45]
	s_nop 0
	v_min3_f32 v53, v54, v55, v113
	v_pk_add_f32 v[54:55], v[26:27], v[46:47]
	s_nop 0
	v_min_f32_e32 v54, v54, v55
	v_min3_f32 v54, v52, v54, v53
	v_lshl_add_u64 v[52:53], v[68:69], 2, v[48:49]
	global_store_dword v[52:53], v54, off
	s_or_b64 exec, exec, s[26:27]
	s_and_b64 s[30:31], s[8:9], s[18:19]
	s_and_saveexec_b64 s[26:27], s[30:31]
	s_cbranch_execz .LBB75_214
.LBB75_230:
	s_and_b64 vcc, exec, s[0:1]
	s_cbranch_vccnz .LBB75_232
; %bb.231:
	v_lshl_add_u64 v[52:53], v[70:71], 2, v[50:51]
	flat_load_dword v52, v[52:53]
	s_waitcnt vmcnt(0) lgkmcnt(0)
	v_mul_f32_e32 v52, s33, v52
	s_branch .LBB75_233
.LBB75_232:
	v_mov_b32_e32 v52, 0
.LBB75_233:
	v_pk_add_f32 v[54:55], v[20:21], v[44:45]
	s_nop 0
	v_min3_f32 v53, v54, v55, v112
	v_pk_add_f32 v[54:55], v[22:23], v[46:47]
	s_nop 0
	v_min_f32_e32 v54, v54, v55
	v_min3_f32 v54, v52, v54, v53
	v_lshl_add_u64 v[52:53], v[70:71], 2, v[48:49]
	global_store_dword v[52:53], v54, off
	s_or_b64 exec, exec, s[26:27]
	s_and_b64 s[30:31], s[10:11], s[18:19]
	s_and_saveexec_b64 s[26:27], s[30:31]
	s_cbranch_execz .LBB75_215
.LBB75_234:
	s_and_b64 vcc, exec, s[0:1]
	s_cbranch_vccnz .LBB75_236
; %bb.235:
	v_lshl_add_u64 v[52:53], v[72:73], 2, v[50:51]
	flat_load_dword v52, v[52:53]
	s_waitcnt vmcnt(0) lgkmcnt(0)
	v_mul_f32_e32 v52, s33, v52
	s_branch .LBB75_237
.LBB75_236:
	v_mov_b32_e32 v52, 0
.LBB75_237:
	v_pk_add_f32 v[54:55], v[16:17], v[44:45]
	s_nop 0
	v_min3_f32 v53, v54, v55, v111
	v_pk_add_f32 v[54:55], v[18:19], v[46:47]
	s_nop 0
	v_min_f32_e32 v54, v54, v55
	v_min3_f32 v54, v52, v54, v53
	v_lshl_add_u64 v[52:53], v[72:73], 2, v[48:49]
	global_store_dword v[52:53], v54, off
	s_or_b64 exec, exec, s[26:27]
	s_and_b64 s[30:31], s[12:13], s[18:19]
	s_and_saveexec_b64 s[26:27], s[30:31]
	s_cbranch_execz .LBB75_216
.LBB75_238:
	s_and_b64 vcc, exec, s[0:1]
	s_cbranch_vccnz .LBB75_240
; %bb.239:
	v_lshl_add_u64 v[52:53], v[74:75], 2, v[50:51]
	flat_load_dword v52, v[52:53]
	s_waitcnt vmcnt(0) lgkmcnt(0)
	v_mul_f32_e32 v52, s33, v52
	s_branch .LBB75_241
.LBB75_240:
	v_mov_b32_e32 v52, 0
.LBB75_241:
	v_pk_add_f32 v[54:55], v[12:13], v[44:45]
	s_nop 0
	v_min3_f32 v53, v54, v55, v110
	v_pk_add_f32 v[54:55], v[14:15], v[46:47]
	s_nop 0
	v_min_f32_e32 v54, v54, v55
	v_min3_f32 v54, v52, v54, v53
	v_lshl_add_u64 v[52:53], v[74:75], 2, v[48:49]
	global_store_dword v[52:53], v54, off
	s_or_b64 exec, exec, s[26:27]
	s_and_b64 s[30:31], s[14:15], s[18:19]
	s_and_saveexec_b64 s[26:27], s[30:31]
	s_cbranch_execz .LBB75_217
.LBB75_242:
	s_and_b64 vcc, exec, s[0:1]
	s_cbranch_vccnz .LBB75_244
; %bb.243:
	v_lshl_add_u64 v[52:53], v[76:77], 2, v[50:51]
	flat_load_dword v52, v[52:53]
	s_waitcnt vmcnt(0) lgkmcnt(0)
	v_mul_f32_e32 v52, s33, v52
	s_branch .LBB75_245
.LBB75_244:
	v_mov_b32_e32 v52, 0
.LBB75_245:
	v_pk_add_f32 v[54:55], v[8:9], v[44:45]
	s_nop 0
	v_min3_f32 v53, v54, v55, v109
	v_pk_add_f32 v[54:55], v[10:11], v[46:47]
	s_nop 0
	v_min_f32_e32 v54, v54, v55
	v_min3_f32 v54, v52, v54, v53
	v_lshl_add_u64 v[52:53], v[76:77], 2, v[48:49]
	global_store_dword v[52:53], v54, off
	s_or_b64 exec, exec, s[26:27]
	s_and_b64 s[26:27], s[16:17], s[18:19]
	s_and_saveexec_b64 s[18:19], s[26:27]
	s_cbranch_execz .LBB75_250
.LBB75_246:
	s_and_b64 vcc, exec, s[0:1]
	s_cbranch_vccnz .LBB75_248
; %bb.247:
	v_lshl_add_u64 v[50:51], v[78:79], 2, v[50:51]
	flat_load_dword v50, v[50:51]
	s_waitcnt vmcnt(0) lgkmcnt(0)
	v_mul_f32_e32 v50, s33, v50
	s_branch .LBB75_249
.LBB75_248:
	v_mov_b32_e32 v50, 0
.LBB75_249:
	v_pk_add_f32 v[44:45], v[0:1], v[44:45]
	s_nop 0
	v_min3_f32 v51, v44, v45, v108
	v_pk_add_f32 v[44:45], v[2:3], v[46:47]
	s_nop 0
	v_min_f32_e32 v44, v44, v45
	v_min3_f32 v46, v50, v44, v51
	v_lshl_add_u64 v[44:45], v[78:79], 2, v[48:49]
	global_store_dword v[44:45], v46, off
.LBB75_250:
	s_or_b64 exec, exec, s[18:19]
	v_add_u32_e32 v48, 0xa0, v124
	v_mad_i64_i32 v[44:45], s[26:27], v48, s29, 0
	v_cmp_gt_i32_e64 s[18:19], s21, v48
	v_lshl_add_u64 v[46:47], v[44:45], 2, s[24:25]
	v_mad_i64_i32 v[44:45], s[26:27], v48, s28, 0
	v_lshl_add_u64 v[44:45], v[44:45], 2, s[22:23]
	s_and_b64 s[30:31], s[2:3], s[18:19]
	s_and_saveexec_b64 s[26:27], s[30:31]
	s_cbranch_execnz .LBB75_258
; %bb.251:
	s_or_b64 exec, exec, s[26:27]
	s_and_b64 s[30:31], s[4:5], s[18:19]
	s_and_saveexec_b64 s[26:27], s[30:31]
	s_cbranch_execnz .LBB75_262
.LBB75_252:
	s_or_b64 exec, exec, s[26:27]
	s_and_b64 s[30:31], s[6:7], s[18:19]
	s_and_saveexec_b64 s[26:27], s[30:31]
	s_cbranch_execnz .LBB75_266
.LBB75_253:
	s_or_b64 exec, exec, s[26:27]
	s_and_b64 s[30:31], s[8:9], s[18:19]
	s_and_saveexec_b64 s[26:27], s[30:31]
	s_cbranch_execnz .LBB75_270
.LBB75_254:
	s_or_b64 exec, exec, s[26:27]
	s_and_b64 s[30:31], s[10:11], s[18:19]
	s_and_saveexec_b64 s[26:27], s[30:31]
	s_cbranch_execnz .LBB75_274
.LBB75_255:
	s_or_b64 exec, exec, s[26:27]
	s_and_b64 s[30:31], s[12:13], s[18:19]
	s_and_saveexec_b64 s[26:27], s[30:31]
	s_cbranch_execnz .LBB75_278
.LBB75_256:
	s_or_b64 exec, exec, s[26:27]
	s_and_b64 s[30:31], s[14:15], s[18:19]
	s_and_saveexec_b64 s[26:27], s[30:31]
	s_cbranch_execnz .LBB75_282
.LBB75_257:
	s_or_b64 exec, exec, s[26:27]
	s_and_b64 s[26:27], s[16:17], s[18:19]
	s_and_saveexec_b64 s[18:19], s[26:27]
	s_cbranch_execnz .LBB75_286
	s_branch .LBB75_290
.LBB75_258:
	s_and_b64 vcc, exec, s[0:1]
	s_cbranch_vccnz .LBB75_260
; %bb.259:
	v_lshl_add_u64 v[48:49], v[64:65], 2, v[46:47]
	flat_load_dword v48, v[48:49]
	s_waitcnt vmcnt(0) lgkmcnt(0)
	v_mul_f32_e32 v48, s33, v48
	s_branch .LBB75_261
.LBB75_260:
	v_mov_b32_e32 v48, 0
.LBB75_261:
	v_pk_add_f32 v[50:51], v[32:33], v[40:41]
	s_nop 0
	v_min3_f32 v49, v50, v51, v107
	v_pk_add_f32 v[50:51], v[34:35], v[42:43]
	s_nop 0
	v_min_f32_e32 v50, v50, v51
	v_min3_f32 v50, v48, v50, v49
	v_lshl_add_u64 v[48:49], v[64:65], 2, v[44:45]
	global_store_dword v[48:49], v50, off
	s_or_b64 exec, exec, s[26:27]
	s_and_b64 s[30:31], s[4:5], s[18:19]
	s_and_saveexec_b64 s[26:27], s[30:31]
	s_cbranch_execz .LBB75_252
.LBB75_262:
	s_and_b64 vcc, exec, s[0:1]
	s_cbranch_vccnz .LBB75_264
; %bb.263:
	v_lshl_add_u64 v[48:49], v[66:67], 2, v[46:47]
	flat_load_dword v48, v[48:49]
	s_waitcnt vmcnt(0) lgkmcnt(0)
	v_mul_f32_e32 v48, s33, v48
	s_branch .LBB75_265
.LBB75_264:
	v_mov_b32_e32 v48, 0
.LBB75_265:
	v_pk_add_f32 v[50:51], v[28:29], v[40:41]
	s_nop 0
	v_min3_f32 v49, v50, v51, v106
	v_pk_add_f32 v[50:51], v[30:31], v[42:43]
	s_nop 0
	v_min_f32_e32 v50, v50, v51
	v_min3_f32 v50, v48, v50, v49
	v_lshl_add_u64 v[48:49], v[66:67], 2, v[44:45]
	global_store_dword v[48:49], v50, off
	s_or_b64 exec, exec, s[26:27]
	s_and_b64 s[30:31], s[6:7], s[18:19]
	s_and_saveexec_b64 s[26:27], s[30:31]
	s_cbranch_execz .LBB75_253
.LBB75_266:
	s_and_b64 vcc, exec, s[0:1]
	s_cbranch_vccnz .LBB75_268
; %bb.267:
	v_lshl_add_u64 v[48:49], v[68:69], 2, v[46:47]
	flat_load_dword v48, v[48:49]
	s_waitcnt vmcnt(0) lgkmcnt(0)
	v_mul_f32_e32 v48, s33, v48
	s_branch .LBB75_269
.LBB75_268:
	v_mov_b32_e32 v48, 0
.LBB75_269:
	v_pk_add_f32 v[50:51], v[24:25], v[40:41]
	s_nop 0
	v_min3_f32 v49, v50, v51, v105
	v_pk_add_f32 v[50:51], v[26:27], v[42:43]
	s_nop 0
	v_min_f32_e32 v50, v50, v51
	v_min3_f32 v50, v48, v50, v49
	v_lshl_add_u64 v[48:49], v[68:69], 2, v[44:45]
	global_store_dword v[48:49], v50, off
	s_or_b64 exec, exec, s[26:27]
	s_and_b64 s[30:31], s[8:9], s[18:19]
	s_and_saveexec_b64 s[26:27], s[30:31]
	s_cbranch_execz .LBB75_254
.LBB75_270:
	s_and_b64 vcc, exec, s[0:1]
	s_cbranch_vccnz .LBB75_272
; %bb.271:
	v_lshl_add_u64 v[48:49], v[70:71], 2, v[46:47]
	flat_load_dword v48, v[48:49]
	s_waitcnt vmcnt(0) lgkmcnt(0)
	v_mul_f32_e32 v48, s33, v48
	s_branch .LBB75_273
.LBB75_272:
	v_mov_b32_e32 v48, 0
.LBB75_273:
	v_pk_add_f32 v[50:51], v[20:21], v[40:41]
	s_nop 0
	v_min3_f32 v49, v50, v51, v104
	v_pk_add_f32 v[50:51], v[22:23], v[42:43]
	s_nop 0
	v_min_f32_e32 v50, v50, v51
	v_min3_f32 v50, v48, v50, v49
	v_lshl_add_u64 v[48:49], v[70:71], 2, v[44:45]
	global_store_dword v[48:49], v50, off
	s_or_b64 exec, exec, s[26:27]
	s_and_b64 s[30:31], s[10:11], s[18:19]
	s_and_saveexec_b64 s[26:27], s[30:31]
	s_cbranch_execz .LBB75_255
.LBB75_274:
	s_and_b64 vcc, exec, s[0:1]
	s_cbranch_vccnz .LBB75_276
; %bb.275:
	v_lshl_add_u64 v[48:49], v[72:73], 2, v[46:47]
	flat_load_dword v48, v[48:49]
	s_waitcnt vmcnt(0) lgkmcnt(0)
	v_mul_f32_e32 v48, s33, v48
	s_branch .LBB75_277
.LBB75_276:
	v_mov_b32_e32 v48, 0
.LBB75_277:
	v_pk_add_f32 v[50:51], v[16:17], v[40:41]
	s_nop 0
	v_min3_f32 v49, v50, v51, v103
	v_pk_add_f32 v[50:51], v[18:19], v[42:43]
	s_nop 0
	v_min_f32_e32 v50, v50, v51
	v_min3_f32 v50, v48, v50, v49
	v_lshl_add_u64 v[48:49], v[72:73], 2, v[44:45]
	global_store_dword v[48:49], v50, off
	s_or_b64 exec, exec, s[26:27]
	s_and_b64 s[30:31], s[12:13], s[18:19]
	s_and_saveexec_b64 s[26:27], s[30:31]
	s_cbranch_execz .LBB75_256
.LBB75_278:
	s_and_b64 vcc, exec, s[0:1]
	s_cbranch_vccnz .LBB75_280
; %bb.279:
	v_lshl_add_u64 v[48:49], v[74:75], 2, v[46:47]
	flat_load_dword v48, v[48:49]
	s_waitcnt vmcnt(0) lgkmcnt(0)
	v_mul_f32_e32 v48, s33, v48
	s_branch .LBB75_281
.LBB75_280:
	v_mov_b32_e32 v48, 0
.LBB75_281:
	v_pk_add_f32 v[50:51], v[12:13], v[40:41]
	s_nop 0
	v_min3_f32 v49, v50, v51, v102
	v_pk_add_f32 v[50:51], v[14:15], v[42:43]
	s_nop 0
	v_min_f32_e32 v50, v50, v51
	v_min3_f32 v50, v48, v50, v49
	v_lshl_add_u64 v[48:49], v[74:75], 2, v[44:45]
	global_store_dword v[48:49], v50, off
	s_or_b64 exec, exec, s[26:27]
	s_and_b64 s[30:31], s[14:15], s[18:19]
	s_and_saveexec_b64 s[26:27], s[30:31]
	s_cbranch_execz .LBB75_257
.LBB75_282:
	s_and_b64 vcc, exec, s[0:1]
	s_cbranch_vccnz .LBB75_284
; %bb.283:
	v_lshl_add_u64 v[48:49], v[76:77], 2, v[46:47]
	flat_load_dword v48, v[48:49]
	s_waitcnt vmcnt(0) lgkmcnt(0)
	v_mul_f32_e32 v48, s33, v48
	s_branch .LBB75_285
.LBB75_284:
	v_mov_b32_e32 v48, 0
.LBB75_285:
	v_pk_add_f32 v[50:51], v[8:9], v[40:41]
	s_nop 0
	v_min3_f32 v49, v50, v51, v101
	v_pk_add_f32 v[50:51], v[10:11], v[42:43]
	s_nop 0
	v_min_f32_e32 v50, v50, v51
	v_min3_f32 v50, v48, v50, v49
	v_lshl_add_u64 v[48:49], v[76:77], 2, v[44:45]
	global_store_dword v[48:49], v50, off
	s_or_b64 exec, exec, s[26:27]
	s_and_b64 s[26:27], s[16:17], s[18:19]
	s_and_saveexec_b64 s[18:19], s[26:27]
	s_cbranch_execz .LBB75_290
.LBB75_286:
	s_and_b64 vcc, exec, s[0:1]
	s_cbranch_vccnz .LBB75_288
; %bb.287:
	v_lshl_add_u64 v[46:47], v[78:79], 2, v[46:47]
	flat_load_dword v46, v[46:47]
	s_waitcnt vmcnt(0) lgkmcnt(0)
	v_mul_f32_e32 v46, s33, v46
	s_branch .LBB75_289
.LBB75_288:
	v_mov_b32_e32 v46, 0
.LBB75_289:
	v_pk_add_f32 v[40:41], v[0:1], v[40:41]
	s_nop 0
	v_min3_f32 v47, v40, v41, v100
	v_pk_add_f32 v[40:41], v[2:3], v[42:43]
	s_nop 0
	v_min_f32_e32 v40, v40, v41
	v_min3_f32 v42, v46, v40, v47
	v_lshl_add_u64 v[40:41], v[78:79], 2, v[44:45]
	global_store_dword v[40:41], v42, off
.LBB75_290:
	s_or_b64 exec, exec, s[18:19]
	v_add_u32_e32 v44, 0xc0, v124
	v_mad_i64_i32 v[40:41], s[26:27], v44, s29, 0
	v_cmp_gt_i32_e64 s[18:19], s21, v44
	v_lshl_add_u64 v[42:43], v[40:41], 2, s[24:25]
	v_mad_i64_i32 v[40:41], s[26:27], v44, s28, 0
	v_lshl_add_u64 v[40:41], v[40:41], 2, s[22:23]
	s_and_b64 s[30:31], s[2:3], s[18:19]
	s_and_saveexec_b64 s[26:27], s[30:31]
	s_cbranch_execnz .LBB75_298
; %bb.291:
	s_or_b64 exec, exec, s[26:27]
	s_and_b64 s[30:31], s[4:5], s[18:19]
	s_and_saveexec_b64 s[26:27], s[30:31]
	s_cbranch_execnz .LBB75_302
.LBB75_292:
	s_or_b64 exec, exec, s[26:27]
	s_and_b64 s[30:31], s[6:7], s[18:19]
	s_and_saveexec_b64 s[26:27], s[30:31]
	s_cbranch_execnz .LBB75_306
.LBB75_293:
	s_or_b64 exec, exec, s[26:27]
	s_and_b64 s[30:31], s[8:9], s[18:19]
	s_and_saveexec_b64 s[26:27], s[30:31]
	s_cbranch_execnz .LBB75_310
.LBB75_294:
	s_or_b64 exec, exec, s[26:27]
	s_and_b64 s[30:31], s[10:11], s[18:19]
	s_and_saveexec_b64 s[26:27], s[30:31]
	s_cbranch_execnz .LBB75_314
.LBB75_295:
	s_or_b64 exec, exec, s[26:27]
	s_and_b64 s[30:31], s[12:13], s[18:19]
	s_and_saveexec_b64 s[26:27], s[30:31]
	s_cbranch_execnz .LBB75_318
.LBB75_296:
	s_or_b64 exec, exec, s[26:27]
	s_and_b64 s[30:31], s[14:15], s[18:19]
	s_and_saveexec_b64 s[26:27], s[30:31]
	s_cbranch_execnz .LBB75_322
.LBB75_297:
	s_or_b64 exec, exec, s[26:27]
	s_and_b64 s[26:27], s[16:17], s[18:19]
	s_and_saveexec_b64 s[18:19], s[26:27]
	s_cbranch_execnz .LBB75_326
	s_branch .LBB75_330
.LBB75_298:
	s_and_b64 vcc, exec, s[0:1]
	s_cbranch_vccnz .LBB75_300
; %bb.299:
	v_lshl_add_u64 v[44:45], v[64:65], 2, v[42:43]
	flat_load_dword v44, v[44:45]
	s_waitcnt vmcnt(0) lgkmcnt(0)
	v_mul_f32_e32 v44, s33, v44
	s_branch .LBB75_301
.LBB75_300:
	v_mov_b32_e32 v44, 0
.LBB75_301:
	v_pk_add_f32 v[46:47], v[32:33], v[36:37]
	s_nop 0
	v_min3_f32 v45, v46, v47, v99
	v_pk_add_f32 v[46:47], v[34:35], v[38:39]
	s_nop 0
	v_min_f32_e32 v46, v46, v47
	v_min3_f32 v46, v44, v46, v45
	v_lshl_add_u64 v[44:45], v[64:65], 2, v[40:41]
	global_store_dword v[44:45], v46, off
	s_or_b64 exec, exec, s[26:27]
	s_and_b64 s[30:31], s[4:5], s[18:19]
	s_and_saveexec_b64 s[26:27], s[30:31]
	s_cbranch_execz .LBB75_292
.LBB75_302:
	s_and_b64 vcc, exec, s[0:1]
	s_cbranch_vccnz .LBB75_304
; %bb.303:
	v_lshl_add_u64 v[44:45], v[66:67], 2, v[42:43]
	flat_load_dword v44, v[44:45]
	s_waitcnt vmcnt(0) lgkmcnt(0)
	v_mul_f32_e32 v44, s33, v44
	s_branch .LBB75_305
.LBB75_304:
	v_mov_b32_e32 v44, 0
.LBB75_305:
	v_pk_add_f32 v[46:47], v[28:29], v[36:37]
	s_nop 0
	v_min3_f32 v45, v46, v47, v98
	v_pk_add_f32 v[46:47], v[30:31], v[38:39]
	s_nop 0
	v_min_f32_e32 v46, v46, v47
	v_min3_f32 v46, v44, v46, v45
	v_lshl_add_u64 v[44:45], v[66:67], 2, v[40:41]
	global_store_dword v[44:45], v46, off
	s_or_b64 exec, exec, s[26:27]
	s_and_b64 s[30:31], s[6:7], s[18:19]
	s_and_saveexec_b64 s[26:27], s[30:31]
	s_cbranch_execz .LBB75_293
.LBB75_306:
	s_and_b64 vcc, exec, s[0:1]
	s_cbranch_vccnz .LBB75_308
; %bb.307:
	v_lshl_add_u64 v[44:45], v[68:69], 2, v[42:43]
	flat_load_dword v44, v[44:45]
	s_waitcnt vmcnt(0) lgkmcnt(0)
	v_mul_f32_e32 v44, s33, v44
	s_branch .LBB75_309
.LBB75_308:
	v_mov_b32_e32 v44, 0
.LBB75_309:
	v_pk_add_f32 v[46:47], v[24:25], v[36:37]
	s_nop 0
	v_min3_f32 v45, v46, v47, v97
	v_pk_add_f32 v[46:47], v[26:27], v[38:39]
	s_nop 0
	v_min_f32_e32 v46, v46, v47
	v_min3_f32 v46, v44, v46, v45
	v_lshl_add_u64 v[44:45], v[68:69], 2, v[40:41]
	global_store_dword v[44:45], v46, off
	s_or_b64 exec, exec, s[26:27]
	s_and_b64 s[30:31], s[8:9], s[18:19]
	s_and_saveexec_b64 s[26:27], s[30:31]
	s_cbranch_execz .LBB75_294
.LBB75_310:
	s_and_b64 vcc, exec, s[0:1]
	s_cbranch_vccnz .LBB75_312
; %bb.311:
	v_lshl_add_u64 v[44:45], v[70:71], 2, v[42:43]
	flat_load_dword v44, v[44:45]
	s_waitcnt vmcnt(0) lgkmcnt(0)
	v_mul_f32_e32 v44, s33, v44
	s_branch .LBB75_313
.LBB75_312:
	v_mov_b32_e32 v44, 0
.LBB75_313:
	v_pk_add_f32 v[46:47], v[20:21], v[36:37]
	s_nop 0
	v_min3_f32 v45, v46, v47, v96
	v_pk_add_f32 v[46:47], v[22:23], v[38:39]
	s_nop 0
	v_min_f32_e32 v46, v46, v47
	v_min3_f32 v46, v44, v46, v45
	v_lshl_add_u64 v[44:45], v[70:71], 2, v[40:41]
	global_store_dword v[44:45], v46, off
	s_or_b64 exec, exec, s[26:27]
	s_and_b64 s[30:31], s[10:11], s[18:19]
	s_and_saveexec_b64 s[26:27], s[30:31]
	s_cbranch_execz .LBB75_295
.LBB75_314:
	s_and_b64 vcc, exec, s[0:1]
	s_cbranch_vccnz .LBB75_316
; %bb.315:
	v_lshl_add_u64 v[44:45], v[72:73], 2, v[42:43]
	flat_load_dword v44, v[44:45]
	s_waitcnt vmcnt(0) lgkmcnt(0)
	v_mul_f32_e32 v44, s33, v44
	s_branch .LBB75_317
.LBB75_316:
	v_mov_b32_e32 v44, 0
.LBB75_317:
	v_pk_add_f32 v[46:47], v[16:17], v[36:37]
	s_nop 0
	v_min3_f32 v45, v46, v47, v95
	v_pk_add_f32 v[46:47], v[18:19], v[38:39]
	s_nop 0
	v_min_f32_e32 v46, v46, v47
	v_min3_f32 v46, v44, v46, v45
	v_lshl_add_u64 v[44:45], v[72:73], 2, v[40:41]
	global_store_dword v[44:45], v46, off
	s_or_b64 exec, exec, s[26:27]
	s_and_b64 s[30:31], s[12:13], s[18:19]
	s_and_saveexec_b64 s[26:27], s[30:31]
	s_cbranch_execz .LBB75_296
.LBB75_318:
	s_and_b64 vcc, exec, s[0:1]
	s_cbranch_vccnz .LBB75_320
; %bb.319:
	v_lshl_add_u64 v[44:45], v[74:75], 2, v[42:43]
	flat_load_dword v44, v[44:45]
	s_waitcnt vmcnt(0) lgkmcnt(0)
	v_mul_f32_e32 v44, s33, v44
	s_branch .LBB75_321
.LBB75_320:
	v_mov_b32_e32 v44, 0
.LBB75_321:
	v_pk_add_f32 v[46:47], v[12:13], v[36:37]
	s_nop 0
	v_min3_f32 v45, v46, v47, v94
	v_pk_add_f32 v[46:47], v[14:15], v[38:39]
	s_nop 0
	v_min_f32_e32 v46, v46, v47
	v_min3_f32 v46, v44, v46, v45
	v_lshl_add_u64 v[44:45], v[74:75], 2, v[40:41]
	global_store_dword v[44:45], v46, off
	s_or_b64 exec, exec, s[26:27]
	s_and_b64 s[30:31], s[14:15], s[18:19]
	s_and_saveexec_b64 s[26:27], s[30:31]
	s_cbranch_execz .LBB75_297
.LBB75_322:
	s_and_b64 vcc, exec, s[0:1]
	s_cbranch_vccnz .LBB75_324
; %bb.323:
	v_lshl_add_u64 v[44:45], v[76:77], 2, v[42:43]
	flat_load_dword v44, v[44:45]
	s_waitcnt vmcnt(0) lgkmcnt(0)
	v_mul_f32_e32 v44, s33, v44
	s_branch .LBB75_325
.LBB75_324:
	v_mov_b32_e32 v44, 0
.LBB75_325:
	v_pk_add_f32 v[46:47], v[8:9], v[36:37]
	s_nop 0
	v_min3_f32 v45, v46, v47, v93
	v_pk_add_f32 v[46:47], v[10:11], v[38:39]
	s_nop 0
	v_min_f32_e32 v46, v46, v47
	v_min3_f32 v46, v44, v46, v45
	v_lshl_add_u64 v[44:45], v[76:77], 2, v[40:41]
	global_store_dword v[44:45], v46, off
	s_or_b64 exec, exec, s[26:27]
	s_and_b64 s[26:27], s[16:17], s[18:19]
	s_and_saveexec_b64 s[18:19], s[26:27]
	s_cbranch_execz .LBB75_330
.LBB75_326:
	s_and_b64 vcc, exec, s[0:1]
	s_cbranch_vccnz .LBB75_328
; %bb.327:
	v_lshl_add_u64 v[42:43], v[78:79], 2, v[42:43]
	flat_load_dword v42, v[42:43]
	s_waitcnt vmcnt(0) lgkmcnt(0)
	v_mul_f32_e32 v42, s33, v42
	s_branch .LBB75_329
.LBB75_328:
	v_mov_b32_e32 v42, 0
.LBB75_329:
	v_pk_add_f32 v[36:37], v[0:1], v[36:37]
	s_nop 0
	v_min3_f32 v43, v36, v37, v92
	v_pk_add_f32 v[36:37], v[2:3], v[38:39]
	s_nop 0
	v_min_f32_e32 v36, v36, v37
	v_min3_f32 v38, v42, v36, v43
	v_lshl_add_u64 v[36:37], v[78:79], 2, v[40:41]
	global_store_dword v[36:37], v38, off
.LBB75_330:
	s_or_b64 exec, exec, s[18:19]
	v_add_u32_e32 v40, 0xe0, v124
	v_cmp_gt_i32_e64 s[18:19], s21, v40
	v_mad_i64_i32 v[36:37], s[20:21], v40, s29, 0
	v_lshl_add_u64 v[38:39], v[36:37], 2, s[24:25]
	v_mad_i64_i32 v[36:37], s[20:21], v40, s28, 0
	v_lshl_add_u64 v[36:37], v[36:37], 2, s[22:23]
	s_and_b64 s[20:21], s[2:3], s[18:19]
	s_and_saveexec_b64 s[2:3], s[20:21]
	s_cbranch_execnz .LBB75_339
; %bb.331:
	s_or_b64 exec, exec, s[2:3]
	s_and_b64 s[4:5], s[4:5], s[18:19]
	s_and_saveexec_b64 s[2:3], s[4:5]
	s_cbranch_execnz .LBB75_343
.LBB75_332:
	s_or_b64 exec, exec, s[2:3]
	s_and_b64 s[4:5], s[6:7], s[18:19]
	s_and_saveexec_b64 s[2:3], s[4:5]
	s_cbranch_execnz .LBB75_347
.LBB75_333:
	s_or_b64 exec, exec, s[2:3]
	s_and_b64 s[4:5], s[8:9], s[18:19]
	s_and_saveexec_b64 s[2:3], s[4:5]
	s_cbranch_execnz .LBB75_351
.LBB75_334:
	s_or_b64 exec, exec, s[2:3]
	s_and_b64 s[4:5], s[10:11], s[18:19]
	s_and_saveexec_b64 s[2:3], s[4:5]
	s_cbranch_execnz .LBB75_355
.LBB75_335:
	s_or_b64 exec, exec, s[2:3]
	s_and_b64 s[4:5], s[12:13], s[18:19]
	s_and_saveexec_b64 s[2:3], s[4:5]
	s_cbranch_execnz .LBB75_359
.LBB75_336:
	s_or_b64 exec, exec, s[2:3]
	s_and_b64 s[4:5], s[14:15], s[18:19]
	s_and_saveexec_b64 s[2:3], s[4:5]
	s_cbranch_execnz .LBB75_363
.LBB75_337:
	s_or_b64 exec, exec, s[2:3]
	s_and_b64 s[2:3], s[16:17], s[18:19]
	s_and_saveexec_b64 s[4:5], s[2:3]
	s_cbranch_execnz .LBB75_367
.LBB75_338:
	s_endpgm
.LBB75_339:
	s_and_b64 vcc, exec, s[0:1]
	s_cbranch_vccnz .LBB75_341
; %bb.340:
	v_lshl_add_u64 v[40:41], v[64:65], 2, v[38:39]
	flat_load_dword v40, v[40:41]
	s_waitcnt vmcnt(0) lgkmcnt(0)
	v_mul_f32_e32 v40, s33, v40
	s_branch .LBB75_342
.LBB75_341:
	v_mov_b32_e32 v40, 0
.LBB75_342:
	v_pk_add_f32 v[32:33], v[32:33], v[4:5]
	s_nop 0
	v_min3_f32 v41, v32, v33, v91
	v_pk_add_f32 v[32:33], v[34:35], v[6:7]
	s_nop 0
	v_min_f32_e32 v32, v32, v33
	v_min3_f32 v34, v40, v32, v41
	v_lshl_add_u64 v[32:33], v[64:65], 2, v[36:37]
	global_store_dword v[32:33], v34, off
	s_or_b64 exec, exec, s[2:3]
	s_and_b64 s[4:5], s[4:5], s[18:19]
	s_and_saveexec_b64 s[2:3], s[4:5]
	s_cbranch_execz .LBB75_332
.LBB75_343:
	s_and_b64 vcc, exec, s[0:1]
	s_cbranch_vccnz .LBB75_345
; %bb.344:
	v_lshl_add_u64 v[32:33], v[66:67], 2, v[38:39]
	flat_load_dword v32, v[32:33]
	s_waitcnt vmcnt(0) lgkmcnt(0)
	v_mul_f32_e32 v32, s33, v32
	s_branch .LBB75_346
.LBB75_345:
	v_mov_b32_e32 v32, 0
.LBB75_346:
	v_pk_add_f32 v[28:29], v[28:29], v[4:5]
	s_nop 0
	v_min3_f32 v33, v28, v29, v90
	v_pk_add_f32 v[28:29], v[30:31], v[6:7]
	s_nop 0
	v_min_f32_e32 v28, v28, v29
	v_min3_f32 v30, v32, v28, v33
	v_lshl_add_u64 v[28:29], v[66:67], 2, v[36:37]
	global_store_dword v[28:29], v30, off
	s_or_b64 exec, exec, s[2:3]
	s_and_b64 s[4:5], s[6:7], s[18:19]
	s_and_saveexec_b64 s[2:3], s[4:5]
	s_cbranch_execz .LBB75_333
.LBB75_347:
	s_and_b64 vcc, exec, s[0:1]
	s_cbranch_vccnz .LBB75_349
; %bb.348:
	v_lshl_add_u64 v[28:29], v[68:69], 2, v[38:39]
	flat_load_dword v28, v[28:29]
	s_waitcnt vmcnt(0) lgkmcnt(0)
	v_mul_f32_e32 v28, s33, v28
	s_branch .LBB75_350
.LBB75_349:
	v_mov_b32_e32 v28, 0
.LBB75_350:
	v_pk_add_f32 v[24:25], v[24:25], v[4:5]
	s_nop 0
	v_min3_f32 v29, v24, v25, v89
	v_pk_add_f32 v[24:25], v[26:27], v[6:7]
	s_nop 0
	v_min_f32_e32 v24, v24, v25
	v_min3_f32 v26, v28, v24, v29
	v_lshl_add_u64 v[24:25], v[68:69], 2, v[36:37]
	global_store_dword v[24:25], v26, off
	s_or_b64 exec, exec, s[2:3]
	s_and_b64 s[4:5], s[8:9], s[18:19]
	s_and_saveexec_b64 s[2:3], s[4:5]
	s_cbranch_execz .LBB75_334
.LBB75_351:
	s_and_b64 vcc, exec, s[0:1]
	s_cbranch_vccnz .LBB75_353
; %bb.352:
	v_lshl_add_u64 v[24:25], v[70:71], 2, v[38:39]
	flat_load_dword v24, v[24:25]
	s_waitcnt vmcnt(0) lgkmcnt(0)
	v_mul_f32_e32 v24, s33, v24
	s_branch .LBB75_354
.LBB75_353:
	v_mov_b32_e32 v24, 0
.LBB75_354:
	v_pk_add_f32 v[20:21], v[20:21], v[4:5]
	s_nop 0
	v_min3_f32 v25, v20, v21, v87
	v_pk_add_f32 v[20:21], v[22:23], v[6:7]
	s_nop 0
	v_min_f32_e32 v20, v20, v21
	v_min3_f32 v22, v24, v20, v25
	v_lshl_add_u64 v[20:21], v[70:71], 2, v[36:37]
	global_store_dword v[20:21], v22, off
	s_or_b64 exec, exec, s[2:3]
	s_and_b64 s[4:5], s[10:11], s[18:19]
	s_and_saveexec_b64 s[2:3], s[4:5]
	s_cbranch_execz .LBB75_335
.LBB75_355:
	s_and_b64 vcc, exec, s[0:1]
	s_cbranch_vccnz .LBB75_357
; %bb.356:
	v_lshl_add_u64 v[20:21], v[72:73], 2, v[38:39]
	flat_load_dword v20, v[20:21]
	s_waitcnt vmcnt(0) lgkmcnt(0)
	v_mul_f32_e32 v20, s33, v20
	s_branch .LBB75_358
.LBB75_357:
	v_mov_b32_e32 v20, 0
.LBB75_358:
	v_pk_add_f32 v[16:17], v[16:17], v[4:5]
	s_nop 0
	v_min3_f32 v21, v16, v17, v86
	v_pk_add_f32 v[16:17], v[18:19], v[6:7]
	s_nop 0
	v_min_f32_e32 v16, v16, v17
	v_min3_f32 v18, v20, v16, v21
	v_lshl_add_u64 v[16:17], v[72:73], 2, v[36:37]
	global_store_dword v[16:17], v18, off
	s_or_b64 exec, exec, s[2:3]
	s_and_b64 s[4:5], s[12:13], s[18:19]
	s_and_saveexec_b64 s[2:3], s[4:5]
	s_cbranch_execz .LBB75_336
.LBB75_359:
	s_and_b64 vcc, exec, s[0:1]
	s_cbranch_vccnz .LBB75_361
; %bb.360:
	v_lshl_add_u64 v[16:17], v[74:75], 2, v[38:39]
	flat_load_dword v16, v[16:17]
	s_waitcnt vmcnt(0) lgkmcnt(0)
	v_mul_f32_e32 v16, s33, v16
	s_branch .LBB75_362
.LBB75_361:
	v_mov_b32_e32 v16, 0
.LBB75_362:
	v_pk_add_f32 v[12:13], v[12:13], v[4:5]
	s_nop 0
	v_min3_f32 v17, v12, v13, v85
	v_pk_add_f32 v[12:13], v[14:15], v[6:7]
	s_nop 0
	v_min_f32_e32 v12, v12, v13
	v_min3_f32 v14, v16, v12, v17
	v_lshl_add_u64 v[12:13], v[74:75], 2, v[36:37]
	global_store_dword v[12:13], v14, off
	s_or_b64 exec, exec, s[2:3]
	s_and_b64 s[4:5], s[14:15], s[18:19]
	s_and_saveexec_b64 s[2:3], s[4:5]
	s_cbranch_execz .LBB75_337
.LBB75_363:
	s_and_b64 vcc, exec, s[0:1]
	s_cbranch_vccnz .LBB75_365
; %bb.364:
	v_lshl_add_u64 v[12:13], v[76:77], 2, v[38:39]
	flat_load_dword v12, v[12:13]
	s_waitcnt vmcnt(0) lgkmcnt(0)
	v_mul_f32_e32 v12, s33, v12
	s_branch .LBB75_366
.LBB75_365:
	v_mov_b32_e32 v12, 0
.LBB75_366:
	v_pk_add_f32 v[8:9], v[8:9], v[4:5]
	s_nop 0
	v_min3_f32 v13, v8, v9, v84
	v_pk_add_f32 v[8:9], v[10:11], v[6:7]
	s_nop 0
	v_min_f32_e32 v8, v8, v9
	v_min3_f32 v10, v12, v8, v13
	v_lshl_add_u64 v[8:9], v[76:77], 2, v[36:37]
	global_store_dword v[8:9], v10, off
	s_or_b64 exec, exec, s[2:3]
	s_and_b64 s[2:3], s[16:17], s[18:19]
	s_and_saveexec_b64 s[4:5], s[2:3]
	s_cbranch_execz .LBB75_338
.LBB75_367:
	s_and_b64 vcc, exec, s[0:1]
	s_cbranch_vccnz .LBB75_369
; %bb.368:
	v_lshl_add_u64 v[8:9], v[78:79], 2, v[38:39]
	flat_load_dword v8, v[8:9]
	s_waitcnt vmcnt(0) lgkmcnt(0)
	v_mul_f32_e32 v8, s33, v8
	s_branch .LBB75_370
.LBB75_369:
	v_mov_b32_e32 v8, 0
.LBB75_370:
	v_pk_add_f32 v[0:1], v[0:1], v[4:5]
	s_nop 0
	v_min3_f32 v4, v0, v1, v88
	v_pk_add_f32 v[0:1], v[2:3], v[6:7]
	s_nop 0
	v_min_f32_e32 v0, v0, v1
	v_min3_f32 v2, v8, v0, v4
	v_lshl_add_u64 v[0:1], v[78:79], 2, v[36:37]
	global_store_dword v[0:1], v2, off
	s_endpgm
	.section	.rodata,"a",@progbits
	.p2align	6, 0x0
	.amdhsa_kernel _ZN12_GLOBAL__N_120geam_min_plus_kernelIf15HIP_vector_typeIfLj2EEfLi8ELi32ELi64ELi256ELi4ELi4ELi64ELi64ELi4ELc84ELc84ELb0ELb1ELb1EPKfS3_fEEviiiT16_PT17_ilS7_ilS5_S7_ilPT18_ili26rocblas_geam_ex_operation_
		.amdhsa_group_segment_fixed_size 10240
		.amdhsa_private_segment_fixed_size 0
		.amdhsa_kernarg_size 136
		.amdhsa_user_sgpr_count 2
		.amdhsa_user_sgpr_dispatch_ptr 0
		.amdhsa_user_sgpr_queue_ptr 0
		.amdhsa_user_sgpr_kernarg_segment_ptr 1
		.amdhsa_user_sgpr_dispatch_id 0
		.amdhsa_user_sgpr_kernarg_preload_length 0
		.amdhsa_user_sgpr_kernarg_preload_offset 0
		.amdhsa_user_sgpr_private_segment_size 0
		.amdhsa_uses_dynamic_stack 0
		.amdhsa_enable_private_segment 0
		.amdhsa_system_sgpr_workgroup_id_x 1
		.amdhsa_system_sgpr_workgroup_id_y 0
		.amdhsa_system_sgpr_workgroup_id_z 1
		.amdhsa_system_sgpr_workgroup_info 0
		.amdhsa_system_vgpr_workitem_id 1
		.amdhsa_next_free_vgpr 172
		.amdhsa_next_free_sgpr 42
		.amdhsa_accum_offset 172
		.amdhsa_reserve_vcc 1
		.amdhsa_float_round_mode_32 0
		.amdhsa_float_round_mode_16_64 0
		.amdhsa_float_denorm_mode_32 3
		.amdhsa_float_denorm_mode_16_64 3
		.amdhsa_dx10_clamp 1
		.amdhsa_ieee_mode 1
		.amdhsa_fp16_overflow 0
		.amdhsa_tg_split 0
		.amdhsa_exception_fp_ieee_invalid_op 0
		.amdhsa_exception_fp_denorm_src 0
		.amdhsa_exception_fp_ieee_div_zero 0
		.amdhsa_exception_fp_ieee_overflow 0
		.amdhsa_exception_fp_ieee_underflow 0
		.amdhsa_exception_fp_ieee_inexact 0
		.amdhsa_exception_int_div_zero 0
	.end_amdhsa_kernel
	.section	.text._ZN12_GLOBAL__N_120geam_min_plus_kernelIf15HIP_vector_typeIfLj2EEfLi8ELi32ELi64ELi256ELi4ELi4ELi64ELi64ELi4ELc84ELc84ELb0ELb1ELb1EPKfS3_fEEviiiT16_PT17_ilS7_ilS5_S7_ilPT18_ili26rocblas_geam_ex_operation_,"axG",@progbits,_ZN12_GLOBAL__N_120geam_min_plus_kernelIf15HIP_vector_typeIfLj2EEfLi8ELi32ELi64ELi256ELi4ELi4ELi64ELi64ELi4ELc84ELc84ELb0ELb1ELb1EPKfS3_fEEviiiT16_PT17_ilS7_ilS5_S7_ilPT18_ili26rocblas_geam_ex_operation_,comdat
.Lfunc_end75:
	.size	_ZN12_GLOBAL__N_120geam_min_plus_kernelIf15HIP_vector_typeIfLj2EEfLi8ELi32ELi64ELi256ELi4ELi4ELi64ELi64ELi4ELc84ELc84ELb0ELb1ELb1EPKfS3_fEEviiiT16_PT17_ilS7_ilS5_S7_ilPT18_ili26rocblas_geam_ex_operation_, .Lfunc_end75-_ZN12_GLOBAL__N_120geam_min_plus_kernelIf15HIP_vector_typeIfLj2EEfLi8ELi32ELi64ELi256ELi4ELi4ELi64ELi64ELi4ELc84ELc84ELb0ELb1ELb1EPKfS3_fEEviiiT16_PT17_ilS7_ilS5_S7_ilPT18_ili26rocblas_geam_ex_operation_
                                        ; -- End function
	.section	.AMDGPU.csdata,"",@progbits
; Kernel info:
; codeLenInByte = 18732
; NumSgprs: 48
; NumVgprs: 172
; NumAgprs: 0
; TotalNumVgprs: 172
; ScratchSize: 0
; MemoryBound: 0
; FloatMode: 240
; IeeeMode: 1
; LDSByteSize: 10240 bytes/workgroup (compile time only)
; SGPRBlocks: 5
; VGPRBlocks: 21
; NumSGPRsForWavesPerEU: 48
; NumVGPRsForWavesPerEU: 172
; AccumOffset: 172
; Occupancy: 2
; WaveLimiterHint : 0
; COMPUTE_PGM_RSRC2:SCRATCH_EN: 0
; COMPUTE_PGM_RSRC2:USER_SGPR: 2
; COMPUTE_PGM_RSRC2:TRAP_HANDLER: 0
; COMPUTE_PGM_RSRC2:TGID_X_EN: 1
; COMPUTE_PGM_RSRC2:TGID_Y_EN: 0
; COMPUTE_PGM_RSRC2:TGID_Z_EN: 1
; COMPUTE_PGM_RSRC2:TIDIG_COMP_CNT: 1
; COMPUTE_PGM_RSRC3_GFX90A:ACCUM_OFFSET: 42
; COMPUTE_PGM_RSRC3_GFX90A:TG_SPLIT: 0
	.section	.text._ZN12_GLOBAL__N_120geam_min_plus_kernelIf15HIP_vector_typeIfLj2EEfLi8ELi32ELi64ELi256ELi4ELi4ELi64ELi64ELi4ELc84ELc84ELb1ELb1ELb1EfKffEEviiiT16_PT17_ilS6_ilS4_S6_ilPT18_ili26rocblas_geam_ex_operation_,"axG",@progbits,_ZN12_GLOBAL__N_120geam_min_plus_kernelIf15HIP_vector_typeIfLj2EEfLi8ELi32ELi64ELi256ELi4ELi4ELi64ELi64ELi4ELc84ELc84ELb1ELb1ELb1EfKffEEviiiT16_PT17_ilS6_ilS4_S6_ilPT18_ili26rocblas_geam_ex_operation_,comdat
	.globl	_ZN12_GLOBAL__N_120geam_min_plus_kernelIf15HIP_vector_typeIfLj2EEfLi8ELi32ELi64ELi256ELi4ELi4ELi64ELi64ELi4ELc84ELc84ELb1ELb1ELb1EfKffEEviiiT16_PT17_ilS6_ilS4_S6_ilPT18_ili26rocblas_geam_ex_operation_ ; -- Begin function _ZN12_GLOBAL__N_120geam_min_plus_kernelIf15HIP_vector_typeIfLj2EEfLi8ELi32ELi64ELi256ELi4ELi4ELi64ELi64ELi4ELc84ELc84ELb1ELb1ELb1EfKffEEviiiT16_PT17_ilS6_ilS4_S6_ilPT18_ili26rocblas_geam_ex_operation_
	.p2align	8
	.type	_ZN12_GLOBAL__N_120geam_min_plus_kernelIf15HIP_vector_typeIfLj2EEfLi8ELi32ELi64ELi256ELi4ELi4ELi64ELi64ELi4ELc84ELc84ELb1ELb1ELb1EfKffEEviiiT16_PT17_ilS6_ilS4_S6_ilPT18_ili26rocblas_geam_ex_operation_,@function
_ZN12_GLOBAL__N_120geam_min_plus_kernelIf15HIP_vector_typeIfLj2EEfLi8ELi32ELi64ELi256ELi4ELi4ELi64ELi64ELi4ELc84ELc84ELb1ELb1ELb1EfKffEEviiiT16_PT17_ilS6_ilS4_S6_ilPT18_ili26rocblas_geam_ex_operation_: ; @_ZN12_GLOBAL__N_120geam_min_plus_kernelIf15HIP_vector_typeIfLj2EEfLi8ELi32ELi64ELi256ELi4ELi4ELi64ELi64ELi4ELc84ELc84ELb1ELb1ELb1EfKffEEviiiT16_PT17_ilS6_ilS4_S6_ilPT18_ili26rocblas_geam_ex_operation_
; %bb.0:
	s_load_dwordx4 s[20:23], s[0:1], 0x0
	s_load_dwordx4 s[4:7], s[0:1], 0x20
	s_waitcnt lgkmcnt(0)
	v_cmp_eq_f32_e64 s[8:9], s23, 0
	s_and_b64 vcc, exec, s[8:9]
	s_cbranch_vccnz .LBB76_3
; %bb.1:
	s_load_dwordx2 s[10:11], s[0:1], 0x10
	s_mul_i32 s5, s3, s5
	s_mul_hi_u32 s12, s3, s4
	s_add_i32 s5, s12, s5
	s_mul_i32 s4, s3, s4
	s_lshl_b64 s[4:5], s[4:5], 2
	s_waitcnt lgkmcnt(0)
	s_add_u32 s26, s10, s4
	s_addc_u32 s27, s11, s5
	s_andn2_b64 vcc, exec, s[8:9]
	s_cbranch_vccnz .LBB76_4
.LBB76_2:
	s_mov_b32 s19, 0
	s_mov_b64 s[28:29], 0
	s_cbranch_execz .LBB76_5
	s_branch .LBB76_6
.LBB76_3:
	s_mov_b64 s[26:27], 0
	s_andn2_b64 vcc, exec, s[8:9]
	s_cbranch_vccz .LBB76_2
.LBB76_4:
                                        ; implicit-def: $sgpr28_sgpr29
                                        ; implicit-def: $sgpr18_sgpr19
.LBB76_5:
	s_load_dwordx2 s[4:5], s[0:1], 0x38
	s_mov_b32 s19, 0
	s_waitcnt lgkmcnt(0)
	s_mul_i32 s5, s3, s5
	s_mul_hi_u32 s8, s3, s4
	s_add_i32 s5, s8, s5
	s_mul_i32 s4, s3, s4
	s_lshl_b64 s[4:5], s[4:5], 2
	s_add_u32 s28, s6, s4
	s_addc_u32 s29, s7, s5
.LBB76_6:
	s_load_dword s33, s[0:1], 0x40
	s_load_dwordx4 s[12:15], s[0:1], 0x58
	s_waitcnt lgkmcnt(0)
	v_cmp_eq_f32_e64 s[4:5], s33, 0
	v_cmp_neq_f32_e64 s[16:17], s33, 0
	s_and_b64 vcc, exec, s[4:5]
	s_cbranch_vccnz .LBB76_8
; %bb.7:
	s_load_dwordx2 s[4:5], s[0:1], 0x48
	s_mul_i32 s6, s3, s13
	s_mul_hi_u32 s7, s3, s12
	s_add_i32 s6, s7, s6
	s_mul_i32 s7, s19, s12
	s_add_i32 s7, s6, s7
	s_mul_i32 s6, s3, s12
	s_lshl_b64 s[6:7], s[6:7], 2
	s_waitcnt lgkmcnt(0)
	s_add_u32 s24, s4, s6
	s_addc_u32 s25, s5, s7
	s_branch .LBB76_9
.LBB76_8:
	s_mov_b64 s[24:25], 0
.LBB76_9:
	s_add_i32 s4, s20, -1
	s_ashr_i32 s5, s4, 31
	s_lshr_b32 s5, s5, 26
	s_add_i32 s4, s4, s5
	s_ashr_i32 s4, s4, 6
	s_add_i32 s5, s4, 1
	v_cvt_f32_u32_e32 v1, s5
	s_not_b32 s4, s4
	v_and_b32_e32 v74, 0x3ff, v0
	v_bfe_u32 v75, v0, 10, 10
	v_rcp_iflag_f32_e32 v1, v1
	v_lshl_add_u32 v0, v75, 3, v74
	s_load_dword s23, s[0:1], 0x18
	v_lshrrev_b32_e32 v60, 2, v0
	v_mul_f32_e32 v1, 0x4f7ffffe, v1
	v_cvt_u32_f32_e32 v1, v1
	v_and_b32_e32 v76, 3, v74
	v_cmp_gt_i32_e32 vcc, s22, v76
	v_mov_b32_e32 v2, 0x7f7fffff
	v_readfirstlane_b32 s6, v1
	s_mul_i32 s4, s4, s6
	s_mul_hi_u32 s4, s6, s4
	s_add_i32 s6, s6, s4
	s_mul_hi_u32 s4, s2, s6
	s_mul_i32 s6, s4, s5
	s_sub_i32 s6, s2, s6
	s_add_i32 s7, s4, 1
	s_sub_i32 s8, s6, s5
	s_cmp_ge_u32 s6, s5
	s_cselect_b32 s4, s7, s4
	s_cselect_b32 s6, s8, s6
	s_add_i32 s7, s4, 1
	s_cmp_ge_u32 s6, s5
	s_cselect_b32 s6, s7, s4
	s_mul_i32 s37, s6, s5
	s_sub_i32 s4, s2, s37
	s_lshl_b32 s18, s4, 6
	v_add_u32_e32 v7, s18, v60
	v_cmp_le_i32_e64 s[4:5], s20, v7
	s_xor_b64 s[12:13], s[4:5], -1
	s_and_b64 s[8:9], vcc, s[12:13]
	v_lshlrev_b32_e32 v56, 2, v76
	v_mov_b32_e32 v3, 0x7f7fffff
	s_and_saveexec_b64 s[4:5], s[8:9]
	s_cbranch_execz .LBB76_11
; %bb.10:
	s_waitcnt lgkmcnt(0)
	v_mad_i64_i32 v[4:5], s[8:9], v7, s23, 0
	v_lshl_add_u64 v[4:5], v[4:5], 2, s[26:27]
	v_mov_b32_e32 v57, 0
	v_lshl_add_u64 v[4:5], v[4:5], 0, v[56:57]
	flat_load_dword v3, v[4:5]
.LBB76_11:
	s_or_b64 exec, exec, s[4:5]
	s_load_dword s30, s[0:1], 0x30
	v_and_b32_e32 v4, 63, v0
	s_lshl_b32 s36, s6, 8
	v_lshrrev_b32_e32 v79, 6, v0
	v_or_b32_e32 v58, s36, v4
	v_cmp_le_i32_e64 s[8:9], s22, v79
	s_waitcnt lgkmcnt(0)
	v_mad_i64_i32 v[0:1], s[4:5], s30, v79, 0
	v_cmp_le_i32_e32 vcc, s21, v58
	s_or_b64 s[4:5], vcc, s[8:9]
	v_lshl_add_u64 v[0:1], v[0:1], 2, s[28:29]
	s_xor_b64 s[6:7], s[4:5], -1
	v_ashrrev_i32_e32 v59, 31, v58
	s_and_saveexec_b64 s[4:5], s[6:7]
	s_cbranch_execz .LBB76_13
; %bb.12:
	v_lshl_add_u64 v[8:9], v[58:59], 2, v[0:1]
	flat_load_dword v2, v[8:9]
.LBB76_13:
	s_or_b64 exec, exec, s[4:5]
	v_or_b32_e32 v5, 64, v58
	v_cmp_le_i32_e64 s[10:11], s21, v5
	s_or_b64 s[4:5], s[10:11], s[8:9]
	s_xor_b64 s[6:7], s[4:5], -1
	v_mov_b32_e32 v5, 0x7f7fffff
	v_mov_b32_e32 v6, 0x7f7fffff
	s_and_saveexec_b64 s[4:5], s[6:7]
	s_cbranch_execz .LBB76_15
; %bb.14:
	v_lshl_add_u64 v[8:9], v[58:59], 2, v[0:1]
	flat_load_dword v6, v[8:9] offset:256
.LBB76_15:
	s_or_b64 exec, exec, s[4:5]
	v_or_b32_e32 v8, 0x80, v58
	v_cmp_le_i32_e64 s[4:5], s21, v8
	s_or_b64 s[6:7], s[4:5], s[8:9]
	s_ashr_i32 s31, s30, 31
	s_xor_b64 s[34:35], s[6:7], -1
	s_and_saveexec_b64 s[6:7], s[34:35]
	s_cbranch_execz .LBB76_17
; %bb.16:
	v_lshl_add_u64 v[8:9], v[58:59], 2, v[0:1]
	flat_load_dword v5, v[8:9] offset:512
.LBB76_17:
	s_or_b64 exec, exec, s[6:7]
	v_or_b32_e32 v8, 0xc0, v58
	v_cmp_le_i32_e64 s[6:7], s21, v8
	s_or_b64 s[8:9], s[6:7], s[8:9]
	s_xor_b64 s[34:35], s[8:9], -1
	v_mov_b32_e32 v57, 0x7f7fffff
	v_mov_b32_e32 v8, 0x7f7fffff
	s_and_saveexec_b64 s[8:9], s[34:35]
	s_cbranch_execz .LBB76_19
; %bb.18:
	v_lshl_add_u64 v[0:1], v[58:59], 2, v[0:1]
	flat_load_dword v8, v[0:1] offset:768
.LBB76_19:
	s_or_b64 exec, exec, s[8:9]
	v_or_b32_e32 v0, 4, v76
	v_cmp_gt_i32_e64 s[8:9], s22, v0
	s_and_b64 s[34:35], s[8:9], s[12:13]
	s_and_saveexec_b64 s[8:9], s[34:35]
	s_cbranch_execz .LBB76_21
; %bb.20:
	v_mad_i64_i32 v[0:1], s[34:35], v7, s23, 0
	v_lshl_add_u64 v[0:1], v[0:1], 2, s[26:27]
	v_mov_b32_e32 v57, 0
	v_lshl_add_u64 v[0:1], v[0:1], 0, v[56:57]
	flat_load_dword v57, v[0:1] offset:16
.LBB76_21:
	s_or_b64 exec, exec, s[8:9]
	v_add_u32_e32 v0, 4, v79
	v_cmp_le_i32_e64 s[8:9], s22, v0
	v_mad_i64_i32 v[0:1], s[34:35], s30, v0, 0
	s_or_b64 s[34:35], vcc, s[8:9]
	v_lshl_add_u64 v[0:1], v[0:1], 2, s[28:29]
	s_xor_b64 s[38:39], s[34:35], -1
	v_mov_b32_e32 v61, 0x7f7fffff
	v_mov_b32_e32 v62, 0x7f7fffff
	s_and_saveexec_b64 s[34:35], s[38:39]
	s_cbranch_execz .LBB76_23
; %bb.22:
	v_lshl_add_u64 v[10:11], v[58:59], 2, v[0:1]
	flat_load_dword v62, v[10:11]
.LBB76_23:
	s_or_b64 exec, exec, s[34:35]
	s_or_b64 s[34:35], s[10:11], s[8:9]
	s_xor_b64 s[38:39], s[34:35], -1
	s_and_saveexec_b64 s[34:35], s[38:39]
	s_cbranch_execz .LBB76_25
; %bb.24:
	v_lshl_add_u64 v[10:11], v[58:59], 2, v[0:1]
	flat_load_dword v61, v[10:11] offset:256
.LBB76_25:
	s_or_b64 exec, exec, s[34:35]
	s_or_b64 s[34:35], s[4:5], s[8:9]
	s_xor_b64 s[38:39], s[34:35], -1
	v_mov_b32_e32 v63, 0x7f7fffff
	v_mov_b32_e32 v64, 0x7f7fffff
	s_and_saveexec_b64 s[34:35], s[38:39]
	s_cbranch_execz .LBB76_27
; %bb.26:
	v_lshl_add_u64 v[10:11], v[58:59], 2, v[0:1]
	flat_load_dword v64, v[10:11] offset:512
.LBB76_27:
	s_or_b64 exec, exec, s[34:35]
	s_or_b64 s[8:9], s[6:7], s[8:9]
	s_xor_b64 s[34:35], s[8:9], -1
	s_and_saveexec_b64 s[8:9], s[34:35]
	s_cbranch_execz .LBB76_29
; %bb.28:
	v_lshl_add_u64 v[0:1], v[58:59], 2, v[0:1]
	flat_load_dword v63, v[0:1] offset:768
.LBB76_29:
	s_or_b64 exec, exec, s[8:9]
	v_lshlrev_b32_e32 v0, 2, v79
	v_lshl_or_b32 v65, v60, 4, v56
	v_lshl_add_u32 v80, v4, 4, v0
	v_lshlrev_b32_e32 v77, 4, v74
	v_lshlrev_b32_e32 v78, 4, v75
	s_waitcnt vmcnt(0)
	ds_write_b32 v65, v3 offset:8192
	s_waitcnt lgkmcnt(0)
	ds_write2st64_b32 v80, v2, v6 offset1:4
	ds_write2st64_b32 v80, v5, v8 offset0:8 offset1:12
	s_waitcnt lgkmcnt(0)
	s_barrier
	ds_read_b128 v[12:15], v77 offset:8192
	ds_read_b128 v[20:23], v77 offset:8320
	;; [unrolled: 1-line block ×8, first 2 shown]
	ds_read_b128 v[52:55], v78
	ds_read_b128 v[48:51], v78 offset:512
	ds_read_b128 v[44:47], v78 offset:1024
	ds_read_b128 v[40:43], v78 offset:1536
	ds_read_b128 v[36:39], v78 offset:2048
	ds_read_b128 v[32:35], v78 offset:2560
	s_waitcnt lgkmcnt(5)
	v_pk_add_f32 v[66:67], v[12:13], v[52:53]
	s_mov_b32 s8, 0x7f7fffff
	v_min3_f32 v68, v66, v67, s8
	v_pk_add_f32 v[66:67], v[20:21], v[52:53]
	s_cmp_lt_i32 s22, 9
	v_min3_f32 v69, v66, v67, s8
	v_pk_add_f32 v[66:67], v[24:25], v[52:53]
	s_nop 0
	v_min3_f32 v70, v66, v67, s8
	v_pk_add_f32 v[66:67], v[28:29], v[52:53]
	s_nop 0
	v_min3_f32 v71, v66, v67, s8
	v_pk_add_f32 v[66:67], v[16:17], v[52:53]
	s_nop 0
	v_min3_f32 v72, v66, v67, s8
	v_pk_add_f32 v[66:67], v[8:9], v[52:53]
	s_nop 0
	v_min3_f32 v73, v66, v67, s8
	v_pk_add_f32 v[66:67], v[4:5], v[52:53]
	v_pk_add_f32 v[52:53], v[0:1], v[52:53]
	v_min3_f32 v66, v66, v67, s8
	v_min3_f32 v67, v52, v53, s8
	s_waitcnt lgkmcnt(4)
	v_pk_add_f32 v[52:53], v[12:13], v[48:49]
	s_nop 0
	v_min3_f32 v81, v52, v53, s8
	v_pk_add_f32 v[52:53], v[20:21], v[48:49]
	s_nop 0
	v_min3_f32 v82, v52, v53, s8
	v_pk_add_f32 v[52:53], v[24:25], v[48:49]
	s_nop 0
	v_min3_f32 v83, v52, v53, s8
	v_pk_add_f32 v[52:53], v[28:29], v[48:49]
	s_nop 0
	v_min3_f32 v84, v52, v53, s8
	v_pk_add_f32 v[52:53], v[16:17], v[48:49]
	s_nop 0
	v_min3_f32 v85, v52, v53, s8
	v_pk_add_f32 v[52:53], v[8:9], v[48:49]
	s_nop 0
	v_min3_f32 v86, v52, v53, s8
	v_pk_add_f32 v[52:53], v[4:5], v[48:49]
	v_pk_add_f32 v[48:49], v[0:1], v[48:49]
	v_min3_f32 v52, v52, v53, s8
	v_min3_f32 v53, v48, v49, s8
	s_waitcnt lgkmcnt(3)
	v_pk_add_f32 v[48:49], v[12:13], v[44:45]
	s_nop 0
	v_min3_f32 v87, v48, v49, s8
	v_pk_add_f32 v[48:49], v[20:21], v[44:45]
	s_nop 0
	;; [unrolled: 23-line block ×4, first 2 shown]
	v_min3_f32 v102, v40, v41, s8
	v_pk_add_f32 v[40:41], v[24:25], v[36:37]
	s_nop 0
	v_min3_f32 v103, v40, v41, s8
	v_pk_add_f32 v[40:41], v[28:29], v[36:37]
	s_nop 0
	;; [unrolled: 3-line block ×4, first 2 shown]
	v_min3_f32 v106, v40, v41, s8
	v_pk_add_f32 v[40:41], v[4:5], v[36:37]
	v_pk_add_f32 v[36:37], v[0:1], v[36:37]
	v_min3_f32 v107, v40, v41, s8
	v_min3_f32 v108, v36, v37, s8
	s_waitcnt lgkmcnt(0)
	v_pk_add_f32 v[36:37], v[12:13], v[32:33]
	v_pk_add_f32 v[40:41], v[4:5], v[32:33]
	v_min3_f32 v124, v36, v37, s8
	v_pk_add_f32 v[36:37], v[20:21], v[32:33]
	v_min3_f32 v40, v40, v41, s8
	v_min3_f32 v149, v36, v37, s8
	v_pk_add_f32 v[36:37], v[24:25], v[32:33]
	s_nop 0
	v_min3_f32 v150, v36, v37, s8
	v_pk_add_f32 v[36:37], v[28:29], v[32:33]
	s_nop 0
	;; [unrolled: 3-line block ×10, first 2 shown]
	v_min3_f32 v66, v36, v37, s8
	v_pk_add_f32 v[36:37], v[8:9], v[32:33]
	v_pk_add_f32 v[32:33], v[0:1], v[32:33]
	v_min3_f32 v68, v36, v37, s8
	v_min3_f32 v41, v32, v33, s8
	v_pk_add_f32 v[32:33], v[14:15], v[50:51]
	v_pk_add_f32 v[36:37], v[2:3], v[54:55]
	v_min3_f32 v140, v32, v33, v81
	v_pk_add_f32 v[32:33], v[22:23], v[50:51]
	v_min3_f32 v141, v36, v37, v67
	v_min3_f32 v139, v32, v33, v82
	v_pk_add_f32 v[32:33], v[26:27], v[50:51]
	s_nop 0
	v_min3_f32 v138, v32, v33, v83
	v_pk_add_f32 v[32:33], v[30:31], v[50:51]
	s_nop 0
	;; [unrolled: 3-line block ×5, first 2 shown]
	v_min3_f32 v134, v32, v33, v52
	v_pk_add_f32 v[32:33], v[2:3], v[50:51]
	ds_read_b128 v[48:51], v78 offset:3072
	v_min3_f32 v133, v32, v33, v53
	ds_read_b128 v[52:55], v78 offset:3584
	v_pk_add_f32 v[32:33], v[14:15], v[46:47]
	ds_write_b32 v65, v57 offset:9216
	ds_write2st64_b32 v80, v62, v61 offset0:16 offset1:20
	ds_write2st64_b32 v80, v64, v63 offset0:24 offset1:28
	v_min3_f32 v132, v32, v33, v87
	v_pk_add_f32 v[32:33], v[22:23], v[46:47]
	s_waitcnt lgkmcnt(4)
	v_pk_add_f32 v[36:37], v[24:25], v[48:49]
	v_min3_f32 v131, v32, v33, v88
	v_pk_add_f32 v[32:33], v[26:27], v[46:47]
	s_waitcnt lgkmcnt(0)
	v_min3_f32 v130, v32, v33, v89
	v_pk_add_f32 v[32:33], v[30:31], v[46:47]
	s_barrier
	v_min3_f32 v129, v32, v33, v90
	v_pk_add_f32 v[32:33], v[18:19], v[46:47]
	s_nop 0
	v_min3_f32 v128, v32, v33, v91
	v_pk_add_f32 v[32:33], v[10:11], v[46:47]
	s_nop 0
	;; [unrolled: 3-line block ×3, first 2 shown]
	v_min3_f32 v123, v32, v33, v93
	v_pk_add_f32 v[32:33], v[12:13], v[48:49]
	v_pk_add_f32 v[12:13], v[12:13], v[52:53]
	v_min3_f32 v67, v32, v33, s8
	v_pk_add_f32 v[32:33], v[20:21], v[48:49]
	s_nop 0
	v_min3_f32 v69, v32, v33, s8
	v_pk_add_f32 v[32:33], v[2:3], v[46:47]
	v_min3_f32 v46, v36, v37, s8
	v_min3_f32 v127, v32, v33, v94
	v_pk_add_f32 v[32:33], v[14:15], v[42:43]
	v_pk_add_f32 v[36:37], v[28:29], v[48:49]
	v_min3_f32 v125, v32, v33, v95
	v_pk_add_f32 v[32:33], v[22:23], v[42:43]
	v_min3_f32 v47, v36, v37, s8
	v_min3_f32 v122, v32, v33, v96
	v_pk_add_f32 v[32:33], v[26:27], v[42:43]
	v_pk_add_f32 v[36:37], v[4:5], v[48:49]
	v_min3_f32 v121, v32, v33, v97
	v_pk_add_f32 v[32:33], v[30:31], v[42:43]
	v_pk_add_f32 v[4:5], v[4:5], v[52:53]
	v_min3_f32 v120, v32, v33, v98
	v_pk_add_f32 v[32:33], v[18:19], v[42:43]
	v_min3_f32 v4, v4, v5, s8
	v_min3_f32 v119, v32, v33, v99
	v_pk_add_f32 v[32:33], v[10:11], v[42:43]
	s_nop 0
	v_min3_f32 v118, v32, v33, v100
	v_pk_add_f32 v[32:33], v[6:7], v[42:43]
	s_nop 0
	;; [unrolled: 3-line block ×3, first 2 shown]
	v_min3_f32 v44, v32, v33, s8
	v_pk_add_f32 v[32:33], v[8:9], v[48:49]
	v_pk_add_f32 v[8:9], v[8:9], v[52:53]
	v_min3_f32 v70, v32, v33, s8
	v_pk_add_f32 v[32:33], v[2:3], v[42:43]
	v_min3_f32 v42, v36, v37, s8
	v_min3_f32 v116, v32, v33, v45
	v_pk_add_f32 v[32:33], v[14:15], v[38:39]
	v_pk_add_f32 v[36:37], v[0:1], v[48:49]
	v_min3_f32 v115, v32, v33, v101
	v_pk_add_f32 v[32:33], v[22:23], v[38:39]
	v_pk_add_f32 v[0:1], v[0:1], v[52:53]
	v_min3_f32 v114, v32, v33, v102
	v_pk_add_f32 v[32:33], v[26:27], v[38:39]
	v_min3_f32 v5, v0, v1, s8
	v_min3_f32 v113, v32, v33, v103
	v_pk_add_f32 v[32:33], v[30:31], v[38:39]
	v_pk_add_f32 v[0:1], v[14:15], v[54:55]
	v_min3_f32 v112, v32, v33, v104
	v_pk_add_f32 v[32:33], v[18:19], v[38:39]
	v_min3_f32 v36, v36, v37, s8
	v_min3_f32 v111, v32, v33, v105
	v_pk_add_f32 v[32:33], v[10:11], v[38:39]
	s_nop 0
	v_min3_f32 v110, v32, v33, v106
	v_pk_add_f32 v[32:33], v[6:7], v[38:39]
	s_nop 0
	;; [unrolled: 3-line block ×10, first 2 shown]
	v_min3_f32 v101, v32, v33, v40
	v_min3_f32 v32, v12, v13, s8
	v_pk_add_f32 v[12:13], v[20:21], v[52:53]
	v_pk_add_f32 v[20:21], v[24:25], v[52:53]
	v_min3_f32 v33, v12, v13, s8
	v_pk_add_f32 v[12:13], v[2:3], v[34:35]
	v_min3_f32 v91, v0, v1, v32
	v_min3_f32 v100, v12, v13, v41
	v_pk_add_f32 v[12:13], v[14:15], v[50:51]
	v_pk_add_f32 v[0:1], v[22:23], v[54:55]
	v_min3_f32 v99, v12, v13, v67
	v_pk_add_f32 v[12:13], v[22:23], v[50:51]
	;; [unrolled: 6-line block ×4, first 2 shown]
	v_min3_f32 v20, v20, v21, s8
	v_min3_f32 v94, v12, v13, v70
	v_pk_add_f32 v[12:13], v[6:7], v[50:51]
	v_min3_f32 v89, v0, v1, v24
	v_min3_f32 v93, v12, v13, v42
	v_pk_add_f32 v[12:13], v[16:17], v[52:53]
	v_pk_add_f32 v[0:1], v[30:31], v[54:55]
	v_min3_f32 v12, v12, v13, s8
	v_min3_f32 v87, v0, v1, v20
	v_pk_add_f32 v[0:1], v[18:19], v[54:55]
	v_min3_f32 v13, v8, v9, s8
	v_min3_f32 v86, v0, v1, v12
	v_pk_add_f32 v[0:1], v[10:11], v[54:55]
	v_pk_add_f32 v[8:9], v[2:3], v[50:51]
	v_min3_f32 v85, v0, v1, v13
	v_pk_add_f32 v[0:1], v[6:7], v[54:55]
	v_min3_f32 v92, v8, v9, v36
	v_min3_f32 v84, v0, v1, v4
	v_pk_add_f32 v[0:1], v[2:3], v[54:55]
	s_nop 0
	v_min3_f32 v88, v0, v1, v5
	s_cbranch_scc1 .LBB76_52
; %bb.30:
	v_mov_b32_e32 v0, 0x2400
	v_lshl_add_u32 v149, v74, 4, v0
	v_mov_b32_e32 v0, 0x1000
	v_lshl_add_u32 v150, v75, 4, v0
	v_lshl_add_u32 v0, s2, 6, v60
	s_lshl_b32 s2, s37, 6
	v_subrev_u32_e32 v0, s2, v0
	v_mad_i64_i32 v[0:1], s[8:9], s23, v0, 0
	v_mov_b32_e32 v57, 0
	v_lshl_add_u64 v[0:1], v[0:1], 2, v[56:57]
	v_lshl_add_u64 v[0:1], v[0:1], 0, s[26:27]
	v_add_u32_e32 v81, 0x2000, v65
	v_add_u32_e32 v83, 0x2400, v65
	v_lshl_add_u64 v[64:65], v[0:1], 0, 32
	v_add_u32_e32 v0, 8, v79
	v_mad_i64_i32 v[0:1], s[8:9], v0, s30, 0
	v_lshlrev_b64 v[66:67], 2, v[0:1]
	v_add_u32_e32 v0, 12, v79
	v_mad_i64_i32 v[0:1], s[8:9], v0, s30, 0
	v_add_u32_e32 v82, 0x2000, v77
	v_or_b32_e32 v124, 0x1000, v80
	s_add_i32 s34, s22, -8
	v_lshl_add_u64 v[68:69], v[58:59], 2, s[28:29]
	s_lshl_b64 s[26:27], s[30:31], 5
	v_lshlrev_b64 v[70:71], 2, v[0:1]
	s_mov_b32 s2, 0
	s_branch .LBB76_32
.LBB76_31:                              ;   in Loop: Header=BB76_32 Depth=1
	s_or_b64 exec, exec, s[8:9]
	ds_read_b128 v[0:3], v82
	ds_read_b128 v[4:7], v82 offset:128
	ds_read_b128 v[8:11], v82 offset:256
	;; [unrolled: 1-line block ×7, first 2 shown]
	ds_read_b128 v[120:123], v78
	ds_read_b128 v[126:129], v78 offset:512
	ds_read_b128 v[156:159], v78 offset:1024
	;; [unrolled: 1-line block ×7, first 2 shown]
	s_waitcnt lgkmcnt(0)
	v_pk_add_f32 v[72:73], v[0:1], v[120:121]
	s_add_i32 s2, s2, 8
	v_min3_f32 v125, v72, v73, v36
	v_pk_add_f32 v[72:73], v[4:5], v[120:121]
	v_lshl_add_u64 v[64:65], v[64:65], 0, 32
	v_min3_f32 v72, v72, v73, v37
	v_pk_add_f32 v[36:37], v[8:9], v[120:121]
	s_cmp_ge_i32 s2, s34
	v_min3_f32 v40, v36, v37, v40
	v_pk_add_f32 v[36:37], v[12:13], v[120:121]
	v_lshl_add_u64 v[68:69], v[68:69], 0, s[26:27]
	v_min3_f32 v41, v36, v37, v41
	v_pk_add_f32 v[36:37], v[16:17], v[120:121]
	s_waitcnt vmcnt(0)
	ds_write_b32 v83, v151
	ds_write2st64_b32 v124, v153, v152 offset1:4
	ds_write2st64_b32 v124, v155, v154 offset0:8 offset1:12
	v_min3_f32 v44, v36, v37, v44
	v_pk_add_f32 v[36:37], v[20:21], v[120:121]
	s_waitcnt lgkmcnt(0)
	v_min3_f32 v45, v36, v37, v45
	v_pk_add_f32 v[36:37], v[24:25], v[120:121]
	s_barrier
	v_min3_f32 v48, v36, v37, v48
	v_pk_add_f32 v[36:37], v[28:29], v[120:121]
	s_nop 0
	v_min3_f32 v49, v36, v37, v49
	v_pk_add_f32 v[36:37], v[0:1], v[126:127]
	s_nop 0
	;; [unrolled: 3-line block ×41, first 2 shown]
	v_min3_f32 v42, v36, v37, v42
	v_pk_add_f32 v[36:37], v[0:1], v[172:173]
	v_pk_add_f32 v[0:1], v[0:1], v[32:33]
	v_min3_f32 v43, v36, v37, v43
	v_pk_add_f32 v[36:37], v[4:5], v[172:173]
	s_nop 0
	v_min3_f32 v160, v36, v37, v107
	v_pk_add_f32 v[36:37], v[8:9], v[172:173]
	s_nop 0
	;; [unrolled: 3-line block ×7, first 2 shown]
	v_min3_f32 v36, v36, v37, v38
	v_min3_f32 v37, v0, v1, v39
	v_pk_add_f32 v[0:1], v[4:5], v[32:33]
	s_nop 0
	v_min3_f32 v4, v0, v1, v113
	v_pk_add_f32 v[0:1], v[8:9], v[32:33]
	s_nop 0
	;; [unrolled: 3-line block ×71, first 2 shown]
	v_min3_f32 v88, v0, v1, v16
	s_cbranch_scc1 .LBB76_52
.LBB76_32:                              ; =>This Inner Loop Header: Depth=1
	v_add_u32_e32 v72, s2, v76
	v_add_u32_e32 v0, 8, v72
	v_cmp_gt_i32_e64 s[8:9], s22, v0
	s_and_b64 s[28:29], s[8:9], s[12:13]
	v_mov_b32_e32 v152, 0x7f7fffff
	v_mov_b32_e32 v153, 0x7f7fffff
	s_and_saveexec_b64 s[8:9], s[28:29]
	s_cbranch_execz .LBB76_34
; %bb.33:                               ;   in Loop: Header=BB76_32 Depth=1
	flat_load_dword v153, v[64:65]
.LBB76_34:                              ;   in Loop: Header=BB76_32 Depth=1
	s_or_b64 exec, exec, s[8:9]
	v_add_u32_e32 v73, s2, v79
	v_add_u32_e32 v0, 8, v73
	v_cmp_le_i32_e64 s[8:9], s22, v0
	s_or_b64 s[28:29], vcc, s[8:9]
	s_xor_b64 s[30:31], s[28:29], -1
	v_lshl_add_u64 v[0:1], v[68:69], 0, v[66:67]
	s_and_saveexec_b64 s[28:29], s[30:31]
	s_cbranch_execz .LBB76_36
; %bb.35:                               ;   in Loop: Header=BB76_32 Depth=1
	flat_load_dword v152, v[0:1]
.LBB76_36:                              ;   in Loop: Header=BB76_32 Depth=1
	s_or_b64 exec, exec, s[28:29]
	s_or_b64 s[28:29], s[10:11], s[8:9]
	s_xor_b64 s[30:31], s[28:29], -1
	v_mov_b32_e32 v154, 0x7f7fffff
	v_mov_b32_e32 v155, 0x7f7fffff
	s_and_saveexec_b64 s[28:29], s[30:31]
	s_cbranch_execz .LBB76_38
; %bb.37:                               ;   in Loop: Header=BB76_32 Depth=1
	flat_load_dword v155, v[0:1] offset:256
.LBB76_38:                              ;   in Loop: Header=BB76_32 Depth=1
	s_or_b64 exec, exec, s[28:29]
	s_or_b64 s[28:29], s[4:5], s[8:9]
	s_xor_b64 s[30:31], s[28:29], -1
	s_and_saveexec_b64 s[28:29], s[30:31]
	s_cbranch_execz .LBB76_40
; %bb.39:                               ;   in Loop: Header=BB76_32 Depth=1
	flat_load_dword v154, v[0:1] offset:512
.LBB76_40:                              ;   in Loop: Header=BB76_32 Depth=1
	s_or_b64 exec, exec, s[28:29]
	s_or_b64 s[8:9], s[6:7], s[8:9]
	s_xor_b64 s[28:29], s[8:9], -1
	v_mov_b32_e32 v151, 0x7f7fffff
	v_mov_b32_e32 v156, 0x7f7fffff
	s_and_saveexec_b64 s[8:9], s[28:29]
	s_cbranch_execz .LBB76_42
; %bb.41:                               ;   in Loop: Header=BB76_32 Depth=1
	flat_load_dword v156, v[0:1] offset:768
.LBB76_42:                              ;   in Loop: Header=BB76_32 Depth=1
	s_or_b64 exec, exec, s[8:9]
	ds_read_b128 v[28:31], v149
	ds_read_b128 v[24:27], v149 offset:128
	ds_read_b128 v[20:23], v149 offset:256
	ds_read_b128 v[16:19], v149 offset:384
	ds_read_b128 v[12:15], v149 offset:512
	ds_read_b128 v[8:11], v149 offset:640
	ds_read_b128 v[4:7], v149 offset:768
	ds_read_b128 v[0:3], v149 offset:896
	ds_read_b128 v[60:63], v150
	ds_read_b128 v[56:59], v150 offset:512
	ds_read_b128 v[52:55], v150 offset:1024
	ds_read_b128 v[48:51], v150 offset:1536
	ds_read_b128 v[44:47], v150 offset:2048
	ds_read_b128 v[40:43], v150 offset:2560
	ds_read_b128 v[36:39], v150 offset:3072
	ds_read_b128 v[32:35], v150 offset:3584
	v_add_u32_e32 v72, 12, v72
	v_cmp_gt_i32_e64 s[8:9], s22, v72
	s_and_b64 s[28:29], s[8:9], s[12:13]
	s_waitcnt vmcnt(0) lgkmcnt(0)
	ds_write_b32 v81, v153
	ds_write2st64_b32 v80, v152, v155 offset1:4
	ds_write2st64_b32 v80, v154, v156 offset0:8 offset1:12
	s_waitcnt lgkmcnt(0)
	s_barrier
	s_and_saveexec_b64 s[8:9], s[28:29]
	s_cbranch_execz .LBB76_44
; %bb.43:                               ;   in Loop: Header=BB76_32 Depth=1
	flat_load_dword v151, v[64:65] offset:16
.LBB76_44:                              ;   in Loop: Header=BB76_32 Depth=1
	s_or_b64 exec, exec, s[8:9]
	v_add_u32_e32 v72, 12, v73
	v_cmp_le_i32_e64 s[8:9], s22, v72
	s_or_b64 s[28:29], vcc, s[8:9]
	s_xor_b64 s[30:31], s[28:29], -1
	v_mov_b32_e32 v152, 0x7f7fffff
	v_lshl_add_u64 v[72:73], v[68:69], 0, v[70:71]
	v_mov_b32_e32 v153, 0x7f7fffff
	s_and_saveexec_b64 s[28:29], s[30:31]
	s_cbranch_execz .LBB76_46
; %bb.45:                               ;   in Loop: Header=BB76_32 Depth=1
	flat_load_dword v153, v[72:73]
.LBB76_46:                              ;   in Loop: Header=BB76_32 Depth=1
	s_or_b64 exec, exec, s[28:29]
	s_or_b64 s[28:29], s[10:11], s[8:9]
	s_xor_b64 s[30:31], s[28:29], -1
	s_and_saveexec_b64 s[28:29], s[30:31]
	s_cbranch_execz .LBB76_48
; %bb.47:                               ;   in Loop: Header=BB76_32 Depth=1
	flat_load_dword v152, v[72:73] offset:256
.LBB76_48:                              ;   in Loop: Header=BB76_32 Depth=1
	s_or_b64 exec, exec, s[28:29]
	s_or_b64 s[28:29], s[4:5], s[8:9]
	s_xor_b64 s[30:31], s[28:29], -1
	v_mov_b32_e32 v154, 0x7f7fffff
	v_mov_b32_e32 v155, 0x7f7fffff
	s_and_saveexec_b64 s[28:29], s[30:31]
	s_cbranch_execz .LBB76_50
; %bb.49:                               ;   in Loop: Header=BB76_32 Depth=1
	flat_load_dword v155, v[72:73] offset:512
.LBB76_50:                              ;   in Loop: Header=BB76_32 Depth=1
	s_or_b64 exec, exec, s[28:29]
	v_pk_add_f32 v[156:157], v[28:29], v[60:61]
	s_or_b64 s[8:9], s[6:7], s[8:9]
	v_min3_f32 v148, v156, v157, v148
	v_pk_add_f32 v[156:157], v[24:25], v[60:61]
	s_xor_b64 s[28:29], s[8:9], -1
	v_min3_f32 v158, v156, v157, v147
	v_pk_add_f32 v[156:157], v[20:21], v[60:61]
	s_nop 0
	v_min3_f32 v156, v156, v157, v146
	v_pk_add_f32 v[146:147], v[16:17], v[60:61]
	s_nop 0
	v_min3_f32 v157, v146, v147, v145
	v_pk_add_f32 v[146:147], v[12:13], v[60:61]
	s_nop 0
	v_min3_f32 v146, v146, v147, v144
	v_pk_add_f32 v[144:145], v[8:9], v[60:61]
	s_nop 0
	v_min3_f32 v143, v144, v145, v143
	v_pk_add_f32 v[144:145], v[4:5], v[60:61]
	v_pk_add_f32 v[60:61], v[0:1], v[60:61]
	v_min3_f32 v142, v144, v145, v142
	v_min3_f32 v141, v60, v61, v141
	v_pk_add_f32 v[60:61], v[28:29], v[56:57]
	s_nop 0
	v_min3_f32 v140, v60, v61, v140
	v_pk_add_f32 v[60:61], v[24:25], v[56:57]
	s_nop 0
	v_min3_f32 v139, v60, v61, v139
	v_pk_add_f32 v[60:61], v[20:21], v[56:57]
	s_nop 0
	v_min3_f32 v138, v60, v61, v138
	v_pk_add_f32 v[60:61], v[16:17], v[56:57]
	s_nop 0
	v_min3_f32 v137, v60, v61, v137
	v_pk_add_f32 v[60:61], v[12:13], v[56:57]
	s_nop 0
	v_min3_f32 v136, v60, v61, v136
	v_pk_add_f32 v[60:61], v[8:9], v[56:57]
	s_nop 0
	v_min3_f32 v135, v60, v61, v135
	v_pk_add_f32 v[60:61], v[4:5], v[56:57]
	v_pk_add_f32 v[56:57], v[0:1], v[56:57]
	v_min3_f32 v134, v60, v61, v134
	v_min3_f32 v133, v56, v57, v133
	v_pk_add_f32 v[56:57], v[28:29], v[52:53]
	s_nop 0
	v_min3_f32 v132, v56, v57, v132
	v_pk_add_f32 v[56:57], v[24:25], v[52:53]
	s_nop 0
	;; [unrolled: 22-line block ×5, first 2 shown]
	v_min3_f32 v106, v44, v45, v106
	v_pk_add_f32 v[44:45], v[20:21], v[40:41]
	s_nop 0
	v_min3_f32 v105, v44, v45, v105
	v_pk_add_f32 v[44:45], v[16:17], v[40:41]
	s_nop 0
	;; [unrolled: 3-line block ×4, first 2 shown]
	v_min3_f32 v145, v44, v45, v102
	v_pk_add_f32 v[44:45], v[4:5], v[40:41]
	v_pk_add_f32 v[40:41], v[0:1], v[40:41]
	v_min3_f32 v147, v44, v45, v101
	v_min3_f32 v159, v40, v41, v100
	v_pk_add_f32 v[40:41], v[28:29], v[36:37]
	v_pk_add_f32 v[28:29], v[28:29], v[32:33]
	v_min3_f32 v160, v40, v41, v99
	v_pk_add_f32 v[40:41], v[24:25], v[36:37]
	v_pk_add_f32 v[24:25], v[24:25], v[32:33]
	;; [unrolled: 3-line block ×7, first 2 shown]
	v_pk_add_f32 v[4:5], v[4:5], v[32:33]
	v_pk_add_f32 v[0:1], v[0:1], v[32:33]
	v_min3_f32 v4, v4, v5, v84
	v_min3_f32 v5, v0, v1, v88
	v_pk_add_f32 v[0:1], v[30:31], v[62:63]
	v_min3_f32 v167, v36, v37, v92
	v_min3_f32 v36, v0, v1, v148
	;; [unrolled: 3-line block ×9, first 2 shown]
	v_pk_add_f32 v[0:1], v[30:31], v[58:59]
	s_nop 0
	v_min3_f32 v52, v0, v1, v140
	v_pk_add_f32 v[0:1], v[26:27], v[58:59]
	s_nop 0
	v_min3_f32 v53, v0, v1, v139
	;; [unrolled: 3-line block ×56, first 2 shown]
	s_and_saveexec_b64 s[8:9], s[28:29]
	s_cbranch_execz .LBB76_31
; %bb.51:                               ;   in Loop: Header=BB76_32 Depth=1
	flat_load_dword v154, v[72:73] offset:768
	s_branch .LBB76_31
.LBB76_52:
	s_load_dwordx2 s[4:5], s[0:1], 0x70
	s_load_dword s29, s[0:1], 0x50
	s_load_dword s28, s[0:1], 0x68
	ds_read_b128 v[32:35], v77 offset:9216
	ds_read_b128 v[28:31], v77 offset:9344
	ds_read_b128 v[24:27], v77 offset:9472
	ds_read_b128 v[20:23], v77 offset:9600
	ds_read_b128 v[16:19], v77 offset:9728
	ds_read_b128 v[12:15], v77 offset:9856
	ds_read_b128 v[8:11], v77 offset:9984
	ds_read_b128 v[0:3], v77 offset:10112
	ds_read_b128 v[60:63], v78 offset:4096
	ds_read_b128 v[56:59], v78 offset:4608
	ds_read_b128 v[52:55], v78 offset:5120
	ds_read_b128 v[48:51], v78 offset:5632
	ds_read_b128 v[44:47], v78 offset:6144
	ds_read_b128 v[40:43], v78 offset:6656
	ds_read_b128 v[36:39], v78 offset:7168
	ds_read_b128 v[4:7], v78 offset:7680
	v_add_u32_e32 v124, s36, v75
	s_waitcnt lgkmcnt(0)
	s_mul_i32 s0, s3, s5
	s_mul_hi_u32 s1, s3, s4
	s_mul_i32 s2, s19, s4
	s_add_i32 s0, s1, s0
	s_add_i32 s1, s0, s2
	s_mul_i32 s0, s3, s4
	s_lshl_b64 s[0:1], s[0:1], 2
	s_add_u32 s22, s14, s0
	s_addc_u32 s23, s15, s1
	v_mad_i64_i32 v[66:67], s[0:1], v124, s29, 0
	v_add_u32_e32 v64, s18, v74
	v_lshl_add_u64 v[82:83], v[66:67], 2, s[24:25]
	v_mad_i64_i32 v[66:67], s[0:1], v124, s28, 0
	v_cmp_gt_i32_e64 s[18:19], s21, v124
	v_lshl_add_u64 v[80:81], v[66:67], 2, s[22:23]
	v_cmp_gt_i32_e64 s[2:3], s20, v64
	v_cndmask_b32_e64 v66, 0, 1, s[16:17]
	s_and_b64 s[6:7], s[2:3], s[18:19]
	v_ashrrev_i32_e32 v65, 31, v64
	v_cmp_ne_u32_e64 s[0:1], 1, v66
	s_and_saveexec_b64 s[4:5], s[6:7]
	s_cbranch_execz .LBB76_57
; %bb.53:
	s_and_b64 vcc, exec, s[0:1]
	s_cbranch_vccnz .LBB76_55
; %bb.54:
	v_lshl_add_u64 v[66:67], v[64:65], 2, v[82:83]
	flat_load_dword v66, v[66:67]
	s_waitcnt vmcnt(0) lgkmcnt(0)
	v_mul_f32_e32 v66, s33, v66
	s_branch .LBB76_56
.LBB76_55:
	v_mov_b32_e32 v66, 0
.LBB76_56:
	v_pk_add_f32 v[68:69], v[32:33], v[60:61]
	s_nop 0
	v_min3_f32 v67, v68, v69, v148
	v_pk_add_f32 v[68:69], v[34:35], v[62:63]
	s_nop 0
	v_min_f32_e32 v68, v68, v69
	v_min3_f32 v68, v66, v68, v67
	v_lshl_add_u64 v[66:67], v[64:65], 2, v[80:81]
	global_store_dword v[66:67], v68, off
.LBB76_57:
	s_or_b64 exec, exec, s[4:5]
	v_add_u32_e32 v66, 8, v64
	v_cmp_gt_i32_e64 s[4:5], s20, v66
	s_and_b64 s[8:9], s[4:5], s[18:19]
	v_ashrrev_i32_e32 v67, 31, v66
	s_and_saveexec_b64 s[6:7], s[8:9]
	s_cbranch_execz .LBB76_62
; %bb.58:
	s_and_b64 vcc, exec, s[0:1]
	s_cbranch_vccnz .LBB76_60
; %bb.59:
	v_lshl_add_u64 v[68:69], v[66:67], 2, v[82:83]
	flat_load_dword v68, v[68:69]
	s_waitcnt vmcnt(0) lgkmcnt(0)
	v_mul_f32_e32 v68, s33, v68
	s_branch .LBB76_61
.LBB76_60:
	v_mov_b32_e32 v68, 0
.LBB76_61:
	v_pk_add_f32 v[70:71], v[28:29], v[60:61]
	s_nop 0
	v_min3_f32 v69, v70, v71, v147
	v_pk_add_f32 v[70:71], v[30:31], v[62:63]
	s_nop 0
	v_min_f32_e32 v70, v70, v71
	v_min3_f32 v70, v68, v70, v69
	v_lshl_add_u64 v[68:69], v[66:67], 2, v[80:81]
	global_store_dword v[68:69], v70, off
.LBB76_62:
	s_or_b64 exec, exec, s[6:7]
	v_add_u32_e32 v68, 16, v64
	v_cmp_gt_i32_e64 s[6:7], s20, v68
	s_and_b64 s[10:11], s[6:7], s[18:19]
	v_ashrrev_i32_e32 v69, 31, v68
	;; [unrolled: 29-line block ×7, first 2 shown]
	s_and_saveexec_b64 s[18:19], s[26:27]
	s_cbranch_execz .LBB76_92
; %bb.88:
	s_and_b64 vcc, exec, s[0:1]
	s_cbranch_vccnz .LBB76_90
; %bb.89:
	v_lshl_add_u64 v[82:83], v[78:79], 2, v[82:83]
	flat_load_dword v82, v[82:83]
	s_waitcnt vmcnt(0) lgkmcnt(0)
	v_mul_f32_e32 v82, s33, v82
	s_branch .LBB76_91
.LBB76_90:
	v_mov_b32_e32 v82, 0
.LBB76_91:
	v_pk_add_f32 v[60:61], v[0:1], v[60:61]
	s_nop 0
	v_min3_f32 v83, v60, v61, v141
	v_pk_add_f32 v[60:61], v[2:3], v[62:63]
	s_nop 0
	v_min_f32_e32 v60, v60, v61
	v_min3_f32 v62, v82, v60, v83
	v_lshl_add_u64 v[60:61], v[78:79], 2, v[80:81]
	global_store_dword v[60:61], v62, off
.LBB76_92:
	s_or_b64 exec, exec, s[18:19]
	v_add_u32_e32 v80, 32, v124
	v_mad_i64_i32 v[60:61], s[26:27], v80, s29, 0
	v_cmp_gt_i32_e64 s[18:19], s21, v80
	v_lshl_add_u64 v[62:63], v[60:61], 2, s[24:25]
	v_mad_i64_i32 v[60:61], s[26:27], v80, s28, 0
	v_lshl_add_u64 v[60:61], v[60:61], 2, s[22:23]
	s_and_b64 s[30:31], s[2:3], s[18:19]
	s_and_saveexec_b64 s[26:27], s[30:31]
	s_cbranch_execnz .LBB76_100
; %bb.93:
	s_or_b64 exec, exec, s[26:27]
	s_and_b64 s[30:31], s[4:5], s[18:19]
	s_and_saveexec_b64 s[26:27], s[30:31]
	s_cbranch_execnz .LBB76_104
.LBB76_94:
	s_or_b64 exec, exec, s[26:27]
	s_and_b64 s[30:31], s[6:7], s[18:19]
	s_and_saveexec_b64 s[26:27], s[30:31]
	s_cbranch_execnz .LBB76_108
.LBB76_95:
	s_or_b64 exec, exec, s[26:27]
	s_and_b64 s[30:31], s[8:9], s[18:19]
	s_and_saveexec_b64 s[26:27], s[30:31]
	s_cbranch_execnz .LBB76_112
.LBB76_96:
	s_or_b64 exec, exec, s[26:27]
	s_and_b64 s[30:31], s[10:11], s[18:19]
	s_and_saveexec_b64 s[26:27], s[30:31]
	s_cbranch_execnz .LBB76_116
.LBB76_97:
	s_or_b64 exec, exec, s[26:27]
	s_and_b64 s[30:31], s[12:13], s[18:19]
	s_and_saveexec_b64 s[26:27], s[30:31]
	s_cbranch_execnz .LBB76_120
.LBB76_98:
	s_or_b64 exec, exec, s[26:27]
	s_and_b64 s[30:31], s[14:15], s[18:19]
	s_and_saveexec_b64 s[26:27], s[30:31]
	s_cbranch_execnz .LBB76_124
.LBB76_99:
	s_or_b64 exec, exec, s[26:27]
	s_and_b64 s[26:27], s[16:17], s[18:19]
	s_and_saveexec_b64 s[18:19], s[26:27]
	s_cbranch_execnz .LBB76_128
	s_branch .LBB76_132
.LBB76_100:
	s_and_b64 vcc, exec, s[0:1]
	s_cbranch_vccnz .LBB76_102
; %bb.101:
	v_lshl_add_u64 v[80:81], v[64:65], 2, v[62:63]
	flat_load_dword v80, v[80:81]
	s_waitcnt vmcnt(0) lgkmcnt(0)
	v_mul_f32_e32 v80, s33, v80
	s_branch .LBB76_103
.LBB76_102:
	v_mov_b32_e32 v80, 0
.LBB76_103:
	v_pk_add_f32 v[82:83], v[32:33], v[56:57]
	s_nop 0
	v_min3_f32 v81, v82, v83, v140
	v_pk_add_f32 v[82:83], v[34:35], v[58:59]
	s_nop 0
	v_min_f32_e32 v82, v82, v83
	v_min3_f32 v82, v80, v82, v81
	v_lshl_add_u64 v[80:81], v[64:65], 2, v[60:61]
	global_store_dword v[80:81], v82, off
	s_or_b64 exec, exec, s[26:27]
	s_and_b64 s[30:31], s[4:5], s[18:19]
	s_and_saveexec_b64 s[26:27], s[30:31]
	s_cbranch_execz .LBB76_94
.LBB76_104:
	s_and_b64 vcc, exec, s[0:1]
	s_cbranch_vccnz .LBB76_106
; %bb.105:
	v_lshl_add_u64 v[80:81], v[66:67], 2, v[62:63]
	flat_load_dword v80, v[80:81]
	s_waitcnt vmcnt(0) lgkmcnt(0)
	v_mul_f32_e32 v80, s33, v80
	s_branch .LBB76_107
.LBB76_106:
	v_mov_b32_e32 v80, 0
.LBB76_107:
	v_pk_add_f32 v[82:83], v[28:29], v[56:57]
	s_nop 0
	v_min3_f32 v81, v82, v83, v139
	v_pk_add_f32 v[82:83], v[30:31], v[58:59]
	s_nop 0
	v_min_f32_e32 v82, v82, v83
	v_min3_f32 v82, v80, v82, v81
	v_lshl_add_u64 v[80:81], v[66:67], 2, v[60:61]
	global_store_dword v[80:81], v82, off
	s_or_b64 exec, exec, s[26:27]
	s_and_b64 s[30:31], s[6:7], s[18:19]
	s_and_saveexec_b64 s[26:27], s[30:31]
	s_cbranch_execz .LBB76_95
.LBB76_108:
	s_and_b64 vcc, exec, s[0:1]
	s_cbranch_vccnz .LBB76_110
; %bb.109:
	v_lshl_add_u64 v[80:81], v[68:69], 2, v[62:63]
	flat_load_dword v80, v[80:81]
	s_waitcnt vmcnt(0) lgkmcnt(0)
	v_mul_f32_e32 v80, s33, v80
	s_branch .LBB76_111
.LBB76_110:
	v_mov_b32_e32 v80, 0
.LBB76_111:
	v_pk_add_f32 v[82:83], v[24:25], v[56:57]
	s_nop 0
	v_min3_f32 v81, v82, v83, v138
	v_pk_add_f32 v[82:83], v[26:27], v[58:59]
	s_nop 0
	v_min_f32_e32 v82, v82, v83
	v_min3_f32 v82, v80, v82, v81
	v_lshl_add_u64 v[80:81], v[68:69], 2, v[60:61]
	global_store_dword v[80:81], v82, off
	s_or_b64 exec, exec, s[26:27]
	s_and_b64 s[30:31], s[8:9], s[18:19]
	s_and_saveexec_b64 s[26:27], s[30:31]
	s_cbranch_execz .LBB76_96
.LBB76_112:
	s_and_b64 vcc, exec, s[0:1]
	s_cbranch_vccnz .LBB76_114
; %bb.113:
	v_lshl_add_u64 v[80:81], v[70:71], 2, v[62:63]
	flat_load_dword v80, v[80:81]
	s_waitcnt vmcnt(0) lgkmcnt(0)
	v_mul_f32_e32 v80, s33, v80
	s_branch .LBB76_115
.LBB76_114:
	v_mov_b32_e32 v80, 0
.LBB76_115:
	v_pk_add_f32 v[82:83], v[20:21], v[56:57]
	s_nop 0
	v_min3_f32 v81, v82, v83, v137
	v_pk_add_f32 v[82:83], v[22:23], v[58:59]
	s_nop 0
	v_min_f32_e32 v82, v82, v83
	v_min3_f32 v82, v80, v82, v81
	v_lshl_add_u64 v[80:81], v[70:71], 2, v[60:61]
	global_store_dword v[80:81], v82, off
	s_or_b64 exec, exec, s[26:27]
	s_and_b64 s[30:31], s[10:11], s[18:19]
	s_and_saveexec_b64 s[26:27], s[30:31]
	s_cbranch_execz .LBB76_97
.LBB76_116:
	s_and_b64 vcc, exec, s[0:1]
	s_cbranch_vccnz .LBB76_118
; %bb.117:
	v_lshl_add_u64 v[80:81], v[72:73], 2, v[62:63]
	flat_load_dword v80, v[80:81]
	s_waitcnt vmcnt(0) lgkmcnt(0)
	v_mul_f32_e32 v80, s33, v80
	s_branch .LBB76_119
.LBB76_118:
	v_mov_b32_e32 v80, 0
.LBB76_119:
	v_pk_add_f32 v[82:83], v[16:17], v[56:57]
	s_nop 0
	v_min3_f32 v81, v82, v83, v136
	v_pk_add_f32 v[82:83], v[18:19], v[58:59]
	s_nop 0
	v_min_f32_e32 v82, v82, v83
	v_min3_f32 v82, v80, v82, v81
	v_lshl_add_u64 v[80:81], v[72:73], 2, v[60:61]
	global_store_dword v[80:81], v82, off
	s_or_b64 exec, exec, s[26:27]
	s_and_b64 s[30:31], s[12:13], s[18:19]
	s_and_saveexec_b64 s[26:27], s[30:31]
	s_cbranch_execz .LBB76_98
.LBB76_120:
	s_and_b64 vcc, exec, s[0:1]
	s_cbranch_vccnz .LBB76_122
; %bb.121:
	v_lshl_add_u64 v[80:81], v[74:75], 2, v[62:63]
	flat_load_dword v80, v[80:81]
	s_waitcnt vmcnt(0) lgkmcnt(0)
	v_mul_f32_e32 v80, s33, v80
	s_branch .LBB76_123
.LBB76_122:
	v_mov_b32_e32 v80, 0
.LBB76_123:
	v_pk_add_f32 v[82:83], v[12:13], v[56:57]
	s_nop 0
	v_min3_f32 v81, v82, v83, v135
	v_pk_add_f32 v[82:83], v[14:15], v[58:59]
	s_nop 0
	v_min_f32_e32 v82, v82, v83
	v_min3_f32 v82, v80, v82, v81
	v_lshl_add_u64 v[80:81], v[74:75], 2, v[60:61]
	global_store_dword v[80:81], v82, off
	s_or_b64 exec, exec, s[26:27]
	s_and_b64 s[30:31], s[14:15], s[18:19]
	s_and_saveexec_b64 s[26:27], s[30:31]
	s_cbranch_execz .LBB76_99
.LBB76_124:
	s_and_b64 vcc, exec, s[0:1]
	s_cbranch_vccnz .LBB76_126
; %bb.125:
	v_lshl_add_u64 v[80:81], v[76:77], 2, v[62:63]
	flat_load_dword v80, v[80:81]
	s_waitcnt vmcnt(0) lgkmcnt(0)
	v_mul_f32_e32 v80, s33, v80
	s_branch .LBB76_127
.LBB76_126:
	v_mov_b32_e32 v80, 0
.LBB76_127:
	v_pk_add_f32 v[82:83], v[8:9], v[56:57]
	s_nop 0
	v_min3_f32 v81, v82, v83, v134
	v_pk_add_f32 v[82:83], v[10:11], v[58:59]
	s_nop 0
	v_min_f32_e32 v82, v82, v83
	v_min3_f32 v82, v80, v82, v81
	v_lshl_add_u64 v[80:81], v[76:77], 2, v[60:61]
	global_store_dword v[80:81], v82, off
	s_or_b64 exec, exec, s[26:27]
	s_and_b64 s[26:27], s[16:17], s[18:19]
	s_and_saveexec_b64 s[18:19], s[26:27]
	s_cbranch_execz .LBB76_132
.LBB76_128:
	s_and_b64 vcc, exec, s[0:1]
	s_cbranch_vccnz .LBB76_130
; %bb.129:
	v_lshl_add_u64 v[62:63], v[78:79], 2, v[62:63]
	flat_load_dword v62, v[62:63]
	s_waitcnt vmcnt(0) lgkmcnt(0)
	v_mul_f32_e32 v62, s33, v62
	s_branch .LBB76_131
.LBB76_130:
	v_mov_b32_e32 v62, 0
.LBB76_131:
	v_pk_add_f32 v[56:57], v[0:1], v[56:57]
	s_nop 0
	v_min3_f32 v63, v56, v57, v133
	v_pk_add_f32 v[56:57], v[2:3], v[58:59]
	s_nop 0
	v_min_f32_e32 v56, v56, v57
	v_min3_f32 v58, v62, v56, v63
	v_lshl_add_u64 v[56:57], v[78:79], 2, v[60:61]
	global_store_dword v[56:57], v58, off
.LBB76_132:
	s_or_b64 exec, exec, s[18:19]
	v_add_u32_e32 v60, 64, v124
	v_mad_i64_i32 v[56:57], s[26:27], v60, s29, 0
	v_cmp_gt_i32_e64 s[18:19], s21, v60
	v_lshl_add_u64 v[58:59], v[56:57], 2, s[24:25]
	v_mad_i64_i32 v[56:57], s[26:27], v60, s28, 0
	v_lshl_add_u64 v[56:57], v[56:57], 2, s[22:23]
	s_and_b64 s[30:31], s[2:3], s[18:19]
	s_and_saveexec_b64 s[26:27], s[30:31]
	s_cbranch_execnz .LBB76_140
; %bb.133:
	s_or_b64 exec, exec, s[26:27]
	s_and_b64 s[30:31], s[4:5], s[18:19]
	s_and_saveexec_b64 s[26:27], s[30:31]
	s_cbranch_execnz .LBB76_144
.LBB76_134:
	s_or_b64 exec, exec, s[26:27]
	s_and_b64 s[30:31], s[6:7], s[18:19]
	s_and_saveexec_b64 s[26:27], s[30:31]
	s_cbranch_execnz .LBB76_148
.LBB76_135:
	s_or_b64 exec, exec, s[26:27]
	s_and_b64 s[30:31], s[8:9], s[18:19]
	s_and_saveexec_b64 s[26:27], s[30:31]
	s_cbranch_execnz .LBB76_152
.LBB76_136:
	s_or_b64 exec, exec, s[26:27]
	s_and_b64 s[30:31], s[10:11], s[18:19]
	s_and_saveexec_b64 s[26:27], s[30:31]
	s_cbranch_execnz .LBB76_156
.LBB76_137:
	s_or_b64 exec, exec, s[26:27]
	s_and_b64 s[30:31], s[12:13], s[18:19]
	s_and_saveexec_b64 s[26:27], s[30:31]
	s_cbranch_execnz .LBB76_160
.LBB76_138:
	s_or_b64 exec, exec, s[26:27]
	s_and_b64 s[30:31], s[14:15], s[18:19]
	s_and_saveexec_b64 s[26:27], s[30:31]
	s_cbranch_execnz .LBB76_164
.LBB76_139:
	s_or_b64 exec, exec, s[26:27]
	s_and_b64 s[26:27], s[16:17], s[18:19]
	s_and_saveexec_b64 s[18:19], s[26:27]
	s_cbranch_execnz .LBB76_168
	s_branch .LBB76_172
.LBB76_140:
	s_and_b64 vcc, exec, s[0:1]
	s_cbranch_vccnz .LBB76_142
; %bb.141:
	v_lshl_add_u64 v[60:61], v[64:65], 2, v[58:59]
	flat_load_dword v60, v[60:61]
	s_waitcnt vmcnt(0) lgkmcnt(0)
	v_mul_f32_e32 v60, s33, v60
	s_branch .LBB76_143
.LBB76_142:
	v_mov_b32_e32 v60, 0
.LBB76_143:
	v_pk_add_f32 v[62:63], v[32:33], v[52:53]
	s_nop 0
	v_min3_f32 v61, v62, v63, v132
	v_pk_add_f32 v[62:63], v[34:35], v[54:55]
	s_nop 0
	v_min_f32_e32 v62, v62, v63
	v_min3_f32 v62, v60, v62, v61
	v_lshl_add_u64 v[60:61], v[64:65], 2, v[56:57]
	global_store_dword v[60:61], v62, off
	s_or_b64 exec, exec, s[26:27]
	s_and_b64 s[30:31], s[4:5], s[18:19]
	s_and_saveexec_b64 s[26:27], s[30:31]
	s_cbranch_execz .LBB76_134
.LBB76_144:
	s_and_b64 vcc, exec, s[0:1]
	s_cbranch_vccnz .LBB76_146
; %bb.145:
	v_lshl_add_u64 v[60:61], v[66:67], 2, v[58:59]
	flat_load_dword v60, v[60:61]
	s_waitcnt vmcnt(0) lgkmcnt(0)
	v_mul_f32_e32 v60, s33, v60
	s_branch .LBB76_147
.LBB76_146:
	v_mov_b32_e32 v60, 0
.LBB76_147:
	v_pk_add_f32 v[62:63], v[28:29], v[52:53]
	s_nop 0
	v_min3_f32 v61, v62, v63, v131
	v_pk_add_f32 v[62:63], v[30:31], v[54:55]
	s_nop 0
	v_min_f32_e32 v62, v62, v63
	v_min3_f32 v62, v60, v62, v61
	v_lshl_add_u64 v[60:61], v[66:67], 2, v[56:57]
	global_store_dword v[60:61], v62, off
	s_or_b64 exec, exec, s[26:27]
	s_and_b64 s[30:31], s[6:7], s[18:19]
	s_and_saveexec_b64 s[26:27], s[30:31]
	s_cbranch_execz .LBB76_135
.LBB76_148:
	s_and_b64 vcc, exec, s[0:1]
	s_cbranch_vccnz .LBB76_150
; %bb.149:
	v_lshl_add_u64 v[60:61], v[68:69], 2, v[58:59]
	flat_load_dword v60, v[60:61]
	s_waitcnt vmcnt(0) lgkmcnt(0)
	v_mul_f32_e32 v60, s33, v60
	s_branch .LBB76_151
.LBB76_150:
	v_mov_b32_e32 v60, 0
.LBB76_151:
	v_pk_add_f32 v[62:63], v[24:25], v[52:53]
	s_nop 0
	v_min3_f32 v61, v62, v63, v130
	v_pk_add_f32 v[62:63], v[26:27], v[54:55]
	s_nop 0
	v_min_f32_e32 v62, v62, v63
	v_min3_f32 v62, v60, v62, v61
	v_lshl_add_u64 v[60:61], v[68:69], 2, v[56:57]
	global_store_dword v[60:61], v62, off
	s_or_b64 exec, exec, s[26:27]
	s_and_b64 s[30:31], s[8:9], s[18:19]
	s_and_saveexec_b64 s[26:27], s[30:31]
	s_cbranch_execz .LBB76_136
.LBB76_152:
	s_and_b64 vcc, exec, s[0:1]
	s_cbranch_vccnz .LBB76_154
; %bb.153:
	v_lshl_add_u64 v[60:61], v[70:71], 2, v[58:59]
	flat_load_dword v60, v[60:61]
	s_waitcnt vmcnt(0) lgkmcnt(0)
	v_mul_f32_e32 v60, s33, v60
	s_branch .LBB76_155
.LBB76_154:
	v_mov_b32_e32 v60, 0
.LBB76_155:
	v_pk_add_f32 v[62:63], v[20:21], v[52:53]
	s_nop 0
	v_min3_f32 v61, v62, v63, v129
	v_pk_add_f32 v[62:63], v[22:23], v[54:55]
	s_nop 0
	v_min_f32_e32 v62, v62, v63
	v_min3_f32 v62, v60, v62, v61
	v_lshl_add_u64 v[60:61], v[70:71], 2, v[56:57]
	global_store_dword v[60:61], v62, off
	s_or_b64 exec, exec, s[26:27]
	s_and_b64 s[30:31], s[10:11], s[18:19]
	s_and_saveexec_b64 s[26:27], s[30:31]
	s_cbranch_execz .LBB76_137
.LBB76_156:
	s_and_b64 vcc, exec, s[0:1]
	s_cbranch_vccnz .LBB76_158
; %bb.157:
	v_lshl_add_u64 v[60:61], v[72:73], 2, v[58:59]
	flat_load_dword v60, v[60:61]
	s_waitcnt vmcnt(0) lgkmcnt(0)
	v_mul_f32_e32 v60, s33, v60
	s_branch .LBB76_159
.LBB76_158:
	v_mov_b32_e32 v60, 0
.LBB76_159:
	v_pk_add_f32 v[62:63], v[16:17], v[52:53]
	s_nop 0
	v_min3_f32 v61, v62, v63, v128
	v_pk_add_f32 v[62:63], v[18:19], v[54:55]
	s_nop 0
	v_min_f32_e32 v62, v62, v63
	v_min3_f32 v62, v60, v62, v61
	v_lshl_add_u64 v[60:61], v[72:73], 2, v[56:57]
	global_store_dword v[60:61], v62, off
	s_or_b64 exec, exec, s[26:27]
	s_and_b64 s[30:31], s[12:13], s[18:19]
	s_and_saveexec_b64 s[26:27], s[30:31]
	s_cbranch_execz .LBB76_138
.LBB76_160:
	s_and_b64 vcc, exec, s[0:1]
	s_cbranch_vccnz .LBB76_162
; %bb.161:
	v_lshl_add_u64 v[60:61], v[74:75], 2, v[58:59]
	flat_load_dword v60, v[60:61]
	s_waitcnt vmcnt(0) lgkmcnt(0)
	v_mul_f32_e32 v60, s33, v60
	s_branch .LBB76_163
.LBB76_162:
	v_mov_b32_e32 v60, 0
.LBB76_163:
	v_pk_add_f32 v[62:63], v[12:13], v[52:53]
	s_nop 0
	v_min3_f32 v61, v62, v63, v126
	v_pk_add_f32 v[62:63], v[14:15], v[54:55]
	s_nop 0
	v_min_f32_e32 v62, v62, v63
	v_min3_f32 v62, v60, v62, v61
	v_lshl_add_u64 v[60:61], v[74:75], 2, v[56:57]
	global_store_dword v[60:61], v62, off
	s_or_b64 exec, exec, s[26:27]
	s_and_b64 s[30:31], s[14:15], s[18:19]
	s_and_saveexec_b64 s[26:27], s[30:31]
	s_cbranch_execz .LBB76_139
.LBB76_164:
	s_and_b64 vcc, exec, s[0:1]
	s_cbranch_vccnz .LBB76_166
; %bb.165:
	v_lshl_add_u64 v[60:61], v[76:77], 2, v[58:59]
	flat_load_dword v60, v[60:61]
	s_waitcnt vmcnt(0) lgkmcnt(0)
	v_mul_f32_e32 v60, s33, v60
	s_branch .LBB76_167
.LBB76_166:
	v_mov_b32_e32 v60, 0
.LBB76_167:
	v_pk_add_f32 v[62:63], v[8:9], v[52:53]
	s_nop 0
	v_min3_f32 v61, v62, v63, v123
	v_pk_add_f32 v[62:63], v[10:11], v[54:55]
	s_nop 0
	v_min_f32_e32 v62, v62, v63
	v_min3_f32 v62, v60, v62, v61
	v_lshl_add_u64 v[60:61], v[76:77], 2, v[56:57]
	global_store_dword v[60:61], v62, off
	s_or_b64 exec, exec, s[26:27]
	s_and_b64 s[26:27], s[16:17], s[18:19]
	s_and_saveexec_b64 s[18:19], s[26:27]
	s_cbranch_execz .LBB76_172
.LBB76_168:
	s_and_b64 vcc, exec, s[0:1]
	s_cbranch_vccnz .LBB76_170
; %bb.169:
	v_lshl_add_u64 v[58:59], v[78:79], 2, v[58:59]
	flat_load_dword v58, v[58:59]
	s_waitcnt vmcnt(0) lgkmcnt(0)
	v_mul_f32_e32 v58, s33, v58
	s_branch .LBB76_171
.LBB76_170:
	v_mov_b32_e32 v58, 0
.LBB76_171:
	v_pk_add_f32 v[52:53], v[0:1], v[52:53]
	s_nop 0
	v_min3_f32 v59, v52, v53, v127
	v_pk_add_f32 v[52:53], v[2:3], v[54:55]
	s_nop 0
	v_min_f32_e32 v52, v52, v53
	v_min3_f32 v54, v58, v52, v59
	v_lshl_add_u64 v[52:53], v[78:79], 2, v[56:57]
	global_store_dword v[52:53], v54, off
.LBB76_172:
	s_or_b64 exec, exec, s[18:19]
	v_add_u32_e32 v56, 0x60, v124
	v_mad_i64_i32 v[52:53], s[26:27], v56, s29, 0
	v_cmp_gt_i32_e64 s[18:19], s21, v56
	v_lshl_add_u64 v[54:55], v[52:53], 2, s[24:25]
	v_mad_i64_i32 v[52:53], s[26:27], v56, s28, 0
	v_lshl_add_u64 v[52:53], v[52:53], 2, s[22:23]
	s_and_b64 s[30:31], s[2:3], s[18:19]
	s_and_saveexec_b64 s[26:27], s[30:31]
	s_cbranch_execnz .LBB76_180
; %bb.173:
	s_or_b64 exec, exec, s[26:27]
	s_and_b64 s[30:31], s[4:5], s[18:19]
	s_and_saveexec_b64 s[26:27], s[30:31]
	s_cbranch_execnz .LBB76_184
.LBB76_174:
	s_or_b64 exec, exec, s[26:27]
	s_and_b64 s[30:31], s[6:7], s[18:19]
	s_and_saveexec_b64 s[26:27], s[30:31]
	s_cbranch_execnz .LBB76_188
.LBB76_175:
	s_or_b64 exec, exec, s[26:27]
	s_and_b64 s[30:31], s[8:9], s[18:19]
	s_and_saveexec_b64 s[26:27], s[30:31]
	s_cbranch_execnz .LBB76_192
.LBB76_176:
	s_or_b64 exec, exec, s[26:27]
	s_and_b64 s[30:31], s[10:11], s[18:19]
	s_and_saveexec_b64 s[26:27], s[30:31]
	s_cbranch_execnz .LBB76_196
.LBB76_177:
	s_or_b64 exec, exec, s[26:27]
	s_and_b64 s[30:31], s[12:13], s[18:19]
	s_and_saveexec_b64 s[26:27], s[30:31]
	s_cbranch_execnz .LBB76_200
.LBB76_178:
	s_or_b64 exec, exec, s[26:27]
	s_and_b64 s[30:31], s[14:15], s[18:19]
	s_and_saveexec_b64 s[26:27], s[30:31]
	s_cbranch_execnz .LBB76_204
.LBB76_179:
	s_or_b64 exec, exec, s[26:27]
	s_and_b64 s[26:27], s[16:17], s[18:19]
	s_and_saveexec_b64 s[18:19], s[26:27]
	s_cbranch_execnz .LBB76_208
	s_branch .LBB76_212
.LBB76_180:
	s_and_b64 vcc, exec, s[0:1]
	s_cbranch_vccnz .LBB76_182
; %bb.181:
	v_lshl_add_u64 v[56:57], v[64:65], 2, v[54:55]
	flat_load_dword v56, v[56:57]
	s_waitcnt vmcnt(0) lgkmcnt(0)
	v_mul_f32_e32 v56, s33, v56
	s_branch .LBB76_183
.LBB76_182:
	v_mov_b32_e32 v56, 0
.LBB76_183:
	v_pk_add_f32 v[58:59], v[32:33], v[48:49]
	s_nop 0
	v_min3_f32 v57, v58, v59, v125
	v_pk_add_f32 v[58:59], v[34:35], v[50:51]
	s_nop 0
	v_min_f32_e32 v58, v58, v59
	v_min3_f32 v58, v56, v58, v57
	v_lshl_add_u64 v[56:57], v[64:65], 2, v[52:53]
	global_store_dword v[56:57], v58, off
	s_or_b64 exec, exec, s[26:27]
	s_and_b64 s[30:31], s[4:5], s[18:19]
	s_and_saveexec_b64 s[26:27], s[30:31]
	s_cbranch_execz .LBB76_174
.LBB76_184:
	s_and_b64 vcc, exec, s[0:1]
	s_cbranch_vccnz .LBB76_186
; %bb.185:
	v_lshl_add_u64 v[56:57], v[66:67], 2, v[54:55]
	flat_load_dword v56, v[56:57]
	s_waitcnt vmcnt(0) lgkmcnt(0)
	v_mul_f32_e32 v56, s33, v56
	s_branch .LBB76_187
.LBB76_186:
	v_mov_b32_e32 v56, 0
.LBB76_187:
	v_pk_add_f32 v[58:59], v[28:29], v[48:49]
	s_nop 0
	v_min3_f32 v57, v58, v59, v122
	v_pk_add_f32 v[58:59], v[30:31], v[50:51]
	s_nop 0
	v_min_f32_e32 v58, v58, v59
	v_min3_f32 v58, v56, v58, v57
	v_lshl_add_u64 v[56:57], v[66:67], 2, v[52:53]
	global_store_dword v[56:57], v58, off
	s_or_b64 exec, exec, s[26:27]
	s_and_b64 s[30:31], s[6:7], s[18:19]
	s_and_saveexec_b64 s[26:27], s[30:31]
	s_cbranch_execz .LBB76_175
.LBB76_188:
	s_and_b64 vcc, exec, s[0:1]
	s_cbranch_vccnz .LBB76_190
; %bb.189:
	v_lshl_add_u64 v[56:57], v[68:69], 2, v[54:55]
	flat_load_dword v56, v[56:57]
	s_waitcnt vmcnt(0) lgkmcnt(0)
	v_mul_f32_e32 v56, s33, v56
	s_branch .LBB76_191
.LBB76_190:
	v_mov_b32_e32 v56, 0
.LBB76_191:
	v_pk_add_f32 v[58:59], v[24:25], v[48:49]
	s_nop 0
	v_min3_f32 v57, v58, v59, v121
	v_pk_add_f32 v[58:59], v[26:27], v[50:51]
	s_nop 0
	v_min_f32_e32 v58, v58, v59
	v_min3_f32 v58, v56, v58, v57
	v_lshl_add_u64 v[56:57], v[68:69], 2, v[52:53]
	global_store_dword v[56:57], v58, off
	s_or_b64 exec, exec, s[26:27]
	s_and_b64 s[30:31], s[8:9], s[18:19]
	s_and_saveexec_b64 s[26:27], s[30:31]
	s_cbranch_execz .LBB76_176
.LBB76_192:
	s_and_b64 vcc, exec, s[0:1]
	s_cbranch_vccnz .LBB76_194
; %bb.193:
	v_lshl_add_u64 v[56:57], v[70:71], 2, v[54:55]
	flat_load_dword v56, v[56:57]
	s_waitcnt vmcnt(0) lgkmcnt(0)
	v_mul_f32_e32 v56, s33, v56
	s_branch .LBB76_195
.LBB76_194:
	v_mov_b32_e32 v56, 0
.LBB76_195:
	v_pk_add_f32 v[58:59], v[20:21], v[48:49]
	s_nop 0
	v_min3_f32 v57, v58, v59, v120
	v_pk_add_f32 v[58:59], v[22:23], v[50:51]
	s_nop 0
	v_min_f32_e32 v58, v58, v59
	v_min3_f32 v58, v56, v58, v57
	v_lshl_add_u64 v[56:57], v[70:71], 2, v[52:53]
	global_store_dword v[56:57], v58, off
	s_or_b64 exec, exec, s[26:27]
	s_and_b64 s[30:31], s[10:11], s[18:19]
	s_and_saveexec_b64 s[26:27], s[30:31]
	s_cbranch_execz .LBB76_177
.LBB76_196:
	s_and_b64 vcc, exec, s[0:1]
	s_cbranch_vccnz .LBB76_198
; %bb.197:
	v_lshl_add_u64 v[56:57], v[72:73], 2, v[54:55]
	flat_load_dword v56, v[56:57]
	s_waitcnt vmcnt(0) lgkmcnt(0)
	v_mul_f32_e32 v56, s33, v56
	s_branch .LBB76_199
.LBB76_198:
	v_mov_b32_e32 v56, 0
.LBB76_199:
	v_pk_add_f32 v[58:59], v[16:17], v[48:49]
	s_nop 0
	v_min3_f32 v57, v58, v59, v119
	v_pk_add_f32 v[58:59], v[18:19], v[50:51]
	s_nop 0
	v_min_f32_e32 v58, v58, v59
	v_min3_f32 v58, v56, v58, v57
	v_lshl_add_u64 v[56:57], v[72:73], 2, v[52:53]
	global_store_dword v[56:57], v58, off
	s_or_b64 exec, exec, s[26:27]
	s_and_b64 s[30:31], s[12:13], s[18:19]
	s_and_saveexec_b64 s[26:27], s[30:31]
	s_cbranch_execz .LBB76_178
.LBB76_200:
	s_and_b64 vcc, exec, s[0:1]
	s_cbranch_vccnz .LBB76_202
; %bb.201:
	v_lshl_add_u64 v[56:57], v[74:75], 2, v[54:55]
	flat_load_dword v56, v[56:57]
	s_waitcnt vmcnt(0) lgkmcnt(0)
	v_mul_f32_e32 v56, s33, v56
	s_branch .LBB76_203
.LBB76_202:
	v_mov_b32_e32 v56, 0
.LBB76_203:
	v_pk_add_f32 v[58:59], v[12:13], v[48:49]
	s_nop 0
	v_min3_f32 v57, v58, v59, v118
	v_pk_add_f32 v[58:59], v[14:15], v[50:51]
	s_nop 0
	v_min_f32_e32 v58, v58, v59
	v_min3_f32 v58, v56, v58, v57
	v_lshl_add_u64 v[56:57], v[74:75], 2, v[52:53]
	global_store_dword v[56:57], v58, off
	s_or_b64 exec, exec, s[26:27]
	s_and_b64 s[30:31], s[14:15], s[18:19]
	s_and_saveexec_b64 s[26:27], s[30:31]
	s_cbranch_execz .LBB76_179
.LBB76_204:
	s_and_b64 vcc, exec, s[0:1]
	s_cbranch_vccnz .LBB76_206
; %bb.205:
	v_lshl_add_u64 v[56:57], v[76:77], 2, v[54:55]
	flat_load_dword v56, v[56:57]
	s_waitcnt vmcnt(0) lgkmcnt(0)
	v_mul_f32_e32 v56, s33, v56
	s_branch .LBB76_207
.LBB76_206:
	v_mov_b32_e32 v56, 0
.LBB76_207:
	v_pk_add_f32 v[58:59], v[8:9], v[48:49]
	s_nop 0
	v_min3_f32 v57, v58, v59, v117
	v_pk_add_f32 v[58:59], v[10:11], v[50:51]
	s_nop 0
	v_min_f32_e32 v58, v58, v59
	v_min3_f32 v58, v56, v58, v57
	v_lshl_add_u64 v[56:57], v[76:77], 2, v[52:53]
	global_store_dword v[56:57], v58, off
	s_or_b64 exec, exec, s[26:27]
	s_and_b64 s[26:27], s[16:17], s[18:19]
	s_and_saveexec_b64 s[18:19], s[26:27]
	s_cbranch_execz .LBB76_212
.LBB76_208:
	s_and_b64 vcc, exec, s[0:1]
	s_cbranch_vccnz .LBB76_210
; %bb.209:
	v_lshl_add_u64 v[54:55], v[78:79], 2, v[54:55]
	flat_load_dword v54, v[54:55]
	s_waitcnt vmcnt(0) lgkmcnt(0)
	v_mul_f32_e32 v54, s33, v54
	s_branch .LBB76_211
.LBB76_210:
	v_mov_b32_e32 v54, 0
.LBB76_211:
	v_pk_add_f32 v[48:49], v[0:1], v[48:49]
	s_nop 0
	v_min3_f32 v55, v48, v49, v116
	v_pk_add_f32 v[48:49], v[2:3], v[50:51]
	s_nop 0
	v_min_f32_e32 v48, v48, v49
	v_min3_f32 v50, v54, v48, v55
	v_lshl_add_u64 v[48:49], v[78:79], 2, v[52:53]
	global_store_dword v[48:49], v50, off
.LBB76_212:
	s_or_b64 exec, exec, s[18:19]
	v_add_u32_e32 v52, 0x80, v124
	v_mad_i64_i32 v[48:49], s[26:27], v52, s29, 0
	v_cmp_gt_i32_e64 s[18:19], s21, v52
	v_lshl_add_u64 v[50:51], v[48:49], 2, s[24:25]
	v_mad_i64_i32 v[48:49], s[26:27], v52, s28, 0
	v_lshl_add_u64 v[48:49], v[48:49], 2, s[22:23]
	s_and_b64 s[30:31], s[2:3], s[18:19]
	s_and_saveexec_b64 s[26:27], s[30:31]
	s_cbranch_execnz .LBB76_220
; %bb.213:
	s_or_b64 exec, exec, s[26:27]
	s_and_b64 s[30:31], s[4:5], s[18:19]
	s_and_saveexec_b64 s[26:27], s[30:31]
	s_cbranch_execnz .LBB76_224
.LBB76_214:
	s_or_b64 exec, exec, s[26:27]
	s_and_b64 s[30:31], s[6:7], s[18:19]
	s_and_saveexec_b64 s[26:27], s[30:31]
	s_cbranch_execnz .LBB76_228
.LBB76_215:
	s_or_b64 exec, exec, s[26:27]
	s_and_b64 s[30:31], s[8:9], s[18:19]
	s_and_saveexec_b64 s[26:27], s[30:31]
	s_cbranch_execnz .LBB76_232
.LBB76_216:
	s_or_b64 exec, exec, s[26:27]
	s_and_b64 s[30:31], s[10:11], s[18:19]
	s_and_saveexec_b64 s[26:27], s[30:31]
	s_cbranch_execnz .LBB76_236
.LBB76_217:
	s_or_b64 exec, exec, s[26:27]
	s_and_b64 s[30:31], s[12:13], s[18:19]
	s_and_saveexec_b64 s[26:27], s[30:31]
	s_cbranch_execnz .LBB76_240
.LBB76_218:
	s_or_b64 exec, exec, s[26:27]
	s_and_b64 s[30:31], s[14:15], s[18:19]
	s_and_saveexec_b64 s[26:27], s[30:31]
	s_cbranch_execnz .LBB76_244
.LBB76_219:
	s_or_b64 exec, exec, s[26:27]
	s_and_b64 s[26:27], s[16:17], s[18:19]
	s_and_saveexec_b64 s[18:19], s[26:27]
	s_cbranch_execnz .LBB76_248
	s_branch .LBB76_252
.LBB76_220:
	s_and_b64 vcc, exec, s[0:1]
	s_cbranch_vccnz .LBB76_222
; %bb.221:
	v_lshl_add_u64 v[52:53], v[64:65], 2, v[50:51]
	flat_load_dword v52, v[52:53]
	s_waitcnt vmcnt(0) lgkmcnt(0)
	v_mul_f32_e32 v52, s33, v52
	s_branch .LBB76_223
.LBB76_222:
	v_mov_b32_e32 v52, 0
.LBB76_223:
	v_pk_add_f32 v[54:55], v[32:33], v[44:45]
	s_nop 0
	v_min3_f32 v53, v54, v55, v115
	v_pk_add_f32 v[54:55], v[34:35], v[46:47]
	s_nop 0
	v_min_f32_e32 v54, v54, v55
	v_min3_f32 v54, v52, v54, v53
	v_lshl_add_u64 v[52:53], v[64:65], 2, v[48:49]
	global_store_dword v[52:53], v54, off
	s_or_b64 exec, exec, s[26:27]
	s_and_b64 s[30:31], s[4:5], s[18:19]
	s_and_saveexec_b64 s[26:27], s[30:31]
	s_cbranch_execz .LBB76_214
.LBB76_224:
	s_and_b64 vcc, exec, s[0:1]
	s_cbranch_vccnz .LBB76_226
; %bb.225:
	v_lshl_add_u64 v[52:53], v[66:67], 2, v[50:51]
	flat_load_dword v52, v[52:53]
	s_waitcnt vmcnt(0) lgkmcnt(0)
	v_mul_f32_e32 v52, s33, v52
	s_branch .LBB76_227
.LBB76_226:
	v_mov_b32_e32 v52, 0
.LBB76_227:
	v_pk_add_f32 v[54:55], v[28:29], v[44:45]
	s_nop 0
	v_min3_f32 v53, v54, v55, v114
	v_pk_add_f32 v[54:55], v[30:31], v[46:47]
	s_nop 0
	v_min_f32_e32 v54, v54, v55
	v_min3_f32 v54, v52, v54, v53
	v_lshl_add_u64 v[52:53], v[66:67], 2, v[48:49]
	global_store_dword v[52:53], v54, off
	s_or_b64 exec, exec, s[26:27]
	s_and_b64 s[30:31], s[6:7], s[18:19]
	s_and_saveexec_b64 s[26:27], s[30:31]
	s_cbranch_execz .LBB76_215
.LBB76_228:
	s_and_b64 vcc, exec, s[0:1]
	s_cbranch_vccnz .LBB76_230
; %bb.229:
	v_lshl_add_u64 v[52:53], v[68:69], 2, v[50:51]
	flat_load_dword v52, v[52:53]
	s_waitcnt vmcnt(0) lgkmcnt(0)
	v_mul_f32_e32 v52, s33, v52
	s_branch .LBB76_231
.LBB76_230:
	v_mov_b32_e32 v52, 0
.LBB76_231:
	v_pk_add_f32 v[54:55], v[24:25], v[44:45]
	s_nop 0
	v_min3_f32 v53, v54, v55, v113
	v_pk_add_f32 v[54:55], v[26:27], v[46:47]
	s_nop 0
	v_min_f32_e32 v54, v54, v55
	v_min3_f32 v54, v52, v54, v53
	v_lshl_add_u64 v[52:53], v[68:69], 2, v[48:49]
	global_store_dword v[52:53], v54, off
	s_or_b64 exec, exec, s[26:27]
	s_and_b64 s[30:31], s[8:9], s[18:19]
	s_and_saveexec_b64 s[26:27], s[30:31]
	s_cbranch_execz .LBB76_216
.LBB76_232:
	s_and_b64 vcc, exec, s[0:1]
	s_cbranch_vccnz .LBB76_234
; %bb.233:
	v_lshl_add_u64 v[52:53], v[70:71], 2, v[50:51]
	flat_load_dword v52, v[52:53]
	s_waitcnt vmcnt(0) lgkmcnt(0)
	v_mul_f32_e32 v52, s33, v52
	s_branch .LBB76_235
.LBB76_234:
	v_mov_b32_e32 v52, 0
.LBB76_235:
	v_pk_add_f32 v[54:55], v[20:21], v[44:45]
	s_nop 0
	v_min3_f32 v53, v54, v55, v112
	v_pk_add_f32 v[54:55], v[22:23], v[46:47]
	s_nop 0
	v_min_f32_e32 v54, v54, v55
	v_min3_f32 v54, v52, v54, v53
	v_lshl_add_u64 v[52:53], v[70:71], 2, v[48:49]
	global_store_dword v[52:53], v54, off
	s_or_b64 exec, exec, s[26:27]
	s_and_b64 s[30:31], s[10:11], s[18:19]
	s_and_saveexec_b64 s[26:27], s[30:31]
	s_cbranch_execz .LBB76_217
.LBB76_236:
	s_and_b64 vcc, exec, s[0:1]
	s_cbranch_vccnz .LBB76_238
; %bb.237:
	v_lshl_add_u64 v[52:53], v[72:73], 2, v[50:51]
	flat_load_dword v52, v[52:53]
	s_waitcnt vmcnt(0) lgkmcnt(0)
	v_mul_f32_e32 v52, s33, v52
	s_branch .LBB76_239
.LBB76_238:
	v_mov_b32_e32 v52, 0
.LBB76_239:
	v_pk_add_f32 v[54:55], v[16:17], v[44:45]
	s_nop 0
	v_min3_f32 v53, v54, v55, v111
	v_pk_add_f32 v[54:55], v[18:19], v[46:47]
	s_nop 0
	v_min_f32_e32 v54, v54, v55
	v_min3_f32 v54, v52, v54, v53
	v_lshl_add_u64 v[52:53], v[72:73], 2, v[48:49]
	global_store_dword v[52:53], v54, off
	s_or_b64 exec, exec, s[26:27]
	s_and_b64 s[30:31], s[12:13], s[18:19]
	s_and_saveexec_b64 s[26:27], s[30:31]
	s_cbranch_execz .LBB76_218
.LBB76_240:
	s_and_b64 vcc, exec, s[0:1]
	s_cbranch_vccnz .LBB76_242
; %bb.241:
	v_lshl_add_u64 v[52:53], v[74:75], 2, v[50:51]
	flat_load_dword v52, v[52:53]
	s_waitcnt vmcnt(0) lgkmcnt(0)
	v_mul_f32_e32 v52, s33, v52
	s_branch .LBB76_243
.LBB76_242:
	v_mov_b32_e32 v52, 0
.LBB76_243:
	v_pk_add_f32 v[54:55], v[12:13], v[44:45]
	s_nop 0
	v_min3_f32 v53, v54, v55, v110
	v_pk_add_f32 v[54:55], v[14:15], v[46:47]
	s_nop 0
	v_min_f32_e32 v54, v54, v55
	v_min3_f32 v54, v52, v54, v53
	v_lshl_add_u64 v[52:53], v[74:75], 2, v[48:49]
	global_store_dword v[52:53], v54, off
	s_or_b64 exec, exec, s[26:27]
	s_and_b64 s[30:31], s[14:15], s[18:19]
	s_and_saveexec_b64 s[26:27], s[30:31]
	s_cbranch_execz .LBB76_219
.LBB76_244:
	s_and_b64 vcc, exec, s[0:1]
	s_cbranch_vccnz .LBB76_246
; %bb.245:
	v_lshl_add_u64 v[52:53], v[76:77], 2, v[50:51]
	flat_load_dword v52, v[52:53]
	s_waitcnt vmcnt(0) lgkmcnt(0)
	v_mul_f32_e32 v52, s33, v52
	s_branch .LBB76_247
.LBB76_246:
	v_mov_b32_e32 v52, 0
.LBB76_247:
	v_pk_add_f32 v[54:55], v[8:9], v[44:45]
	s_nop 0
	v_min3_f32 v53, v54, v55, v109
	v_pk_add_f32 v[54:55], v[10:11], v[46:47]
	s_nop 0
	v_min_f32_e32 v54, v54, v55
	v_min3_f32 v54, v52, v54, v53
	v_lshl_add_u64 v[52:53], v[76:77], 2, v[48:49]
	global_store_dword v[52:53], v54, off
	s_or_b64 exec, exec, s[26:27]
	s_and_b64 s[26:27], s[16:17], s[18:19]
	s_and_saveexec_b64 s[18:19], s[26:27]
	s_cbranch_execz .LBB76_252
.LBB76_248:
	s_and_b64 vcc, exec, s[0:1]
	s_cbranch_vccnz .LBB76_250
; %bb.249:
	v_lshl_add_u64 v[50:51], v[78:79], 2, v[50:51]
	flat_load_dword v50, v[50:51]
	s_waitcnt vmcnt(0) lgkmcnt(0)
	v_mul_f32_e32 v50, s33, v50
	s_branch .LBB76_251
.LBB76_250:
	v_mov_b32_e32 v50, 0
.LBB76_251:
	v_pk_add_f32 v[44:45], v[0:1], v[44:45]
	s_nop 0
	v_min3_f32 v51, v44, v45, v108
	v_pk_add_f32 v[44:45], v[2:3], v[46:47]
	s_nop 0
	v_min_f32_e32 v44, v44, v45
	v_min3_f32 v46, v50, v44, v51
	v_lshl_add_u64 v[44:45], v[78:79], 2, v[48:49]
	global_store_dword v[44:45], v46, off
.LBB76_252:
	s_or_b64 exec, exec, s[18:19]
	v_add_u32_e32 v48, 0xa0, v124
	v_mad_i64_i32 v[44:45], s[26:27], v48, s29, 0
	v_cmp_gt_i32_e64 s[18:19], s21, v48
	v_lshl_add_u64 v[46:47], v[44:45], 2, s[24:25]
	v_mad_i64_i32 v[44:45], s[26:27], v48, s28, 0
	v_lshl_add_u64 v[44:45], v[44:45], 2, s[22:23]
	s_and_b64 s[30:31], s[2:3], s[18:19]
	s_and_saveexec_b64 s[26:27], s[30:31]
	s_cbranch_execnz .LBB76_260
; %bb.253:
	s_or_b64 exec, exec, s[26:27]
	s_and_b64 s[30:31], s[4:5], s[18:19]
	s_and_saveexec_b64 s[26:27], s[30:31]
	s_cbranch_execnz .LBB76_264
.LBB76_254:
	s_or_b64 exec, exec, s[26:27]
	s_and_b64 s[30:31], s[6:7], s[18:19]
	s_and_saveexec_b64 s[26:27], s[30:31]
	s_cbranch_execnz .LBB76_268
.LBB76_255:
	s_or_b64 exec, exec, s[26:27]
	s_and_b64 s[30:31], s[8:9], s[18:19]
	s_and_saveexec_b64 s[26:27], s[30:31]
	s_cbranch_execnz .LBB76_272
.LBB76_256:
	s_or_b64 exec, exec, s[26:27]
	s_and_b64 s[30:31], s[10:11], s[18:19]
	s_and_saveexec_b64 s[26:27], s[30:31]
	s_cbranch_execnz .LBB76_276
.LBB76_257:
	s_or_b64 exec, exec, s[26:27]
	s_and_b64 s[30:31], s[12:13], s[18:19]
	s_and_saveexec_b64 s[26:27], s[30:31]
	s_cbranch_execnz .LBB76_280
.LBB76_258:
	s_or_b64 exec, exec, s[26:27]
	s_and_b64 s[30:31], s[14:15], s[18:19]
	s_and_saveexec_b64 s[26:27], s[30:31]
	s_cbranch_execnz .LBB76_284
.LBB76_259:
	s_or_b64 exec, exec, s[26:27]
	s_and_b64 s[26:27], s[16:17], s[18:19]
	s_and_saveexec_b64 s[18:19], s[26:27]
	s_cbranch_execnz .LBB76_288
	s_branch .LBB76_292
.LBB76_260:
	s_and_b64 vcc, exec, s[0:1]
	s_cbranch_vccnz .LBB76_262
; %bb.261:
	v_lshl_add_u64 v[48:49], v[64:65], 2, v[46:47]
	flat_load_dword v48, v[48:49]
	s_waitcnt vmcnt(0) lgkmcnt(0)
	v_mul_f32_e32 v48, s33, v48
	s_branch .LBB76_263
.LBB76_262:
	v_mov_b32_e32 v48, 0
.LBB76_263:
	v_pk_add_f32 v[50:51], v[32:33], v[40:41]
	s_nop 0
	v_min3_f32 v49, v50, v51, v107
	v_pk_add_f32 v[50:51], v[34:35], v[42:43]
	s_nop 0
	v_min_f32_e32 v50, v50, v51
	v_min3_f32 v50, v48, v50, v49
	v_lshl_add_u64 v[48:49], v[64:65], 2, v[44:45]
	global_store_dword v[48:49], v50, off
	s_or_b64 exec, exec, s[26:27]
	s_and_b64 s[30:31], s[4:5], s[18:19]
	s_and_saveexec_b64 s[26:27], s[30:31]
	s_cbranch_execz .LBB76_254
.LBB76_264:
	s_and_b64 vcc, exec, s[0:1]
	s_cbranch_vccnz .LBB76_266
; %bb.265:
	v_lshl_add_u64 v[48:49], v[66:67], 2, v[46:47]
	flat_load_dword v48, v[48:49]
	s_waitcnt vmcnt(0) lgkmcnt(0)
	v_mul_f32_e32 v48, s33, v48
	s_branch .LBB76_267
.LBB76_266:
	v_mov_b32_e32 v48, 0
.LBB76_267:
	v_pk_add_f32 v[50:51], v[28:29], v[40:41]
	s_nop 0
	v_min3_f32 v49, v50, v51, v106
	v_pk_add_f32 v[50:51], v[30:31], v[42:43]
	s_nop 0
	v_min_f32_e32 v50, v50, v51
	v_min3_f32 v50, v48, v50, v49
	v_lshl_add_u64 v[48:49], v[66:67], 2, v[44:45]
	global_store_dword v[48:49], v50, off
	s_or_b64 exec, exec, s[26:27]
	s_and_b64 s[30:31], s[6:7], s[18:19]
	s_and_saveexec_b64 s[26:27], s[30:31]
	s_cbranch_execz .LBB76_255
.LBB76_268:
	s_and_b64 vcc, exec, s[0:1]
	s_cbranch_vccnz .LBB76_270
; %bb.269:
	v_lshl_add_u64 v[48:49], v[68:69], 2, v[46:47]
	flat_load_dword v48, v[48:49]
	s_waitcnt vmcnt(0) lgkmcnt(0)
	v_mul_f32_e32 v48, s33, v48
	s_branch .LBB76_271
.LBB76_270:
	v_mov_b32_e32 v48, 0
.LBB76_271:
	v_pk_add_f32 v[50:51], v[24:25], v[40:41]
	s_nop 0
	v_min3_f32 v49, v50, v51, v105
	v_pk_add_f32 v[50:51], v[26:27], v[42:43]
	s_nop 0
	v_min_f32_e32 v50, v50, v51
	v_min3_f32 v50, v48, v50, v49
	v_lshl_add_u64 v[48:49], v[68:69], 2, v[44:45]
	global_store_dword v[48:49], v50, off
	s_or_b64 exec, exec, s[26:27]
	s_and_b64 s[30:31], s[8:9], s[18:19]
	s_and_saveexec_b64 s[26:27], s[30:31]
	s_cbranch_execz .LBB76_256
.LBB76_272:
	s_and_b64 vcc, exec, s[0:1]
	s_cbranch_vccnz .LBB76_274
; %bb.273:
	v_lshl_add_u64 v[48:49], v[70:71], 2, v[46:47]
	flat_load_dword v48, v[48:49]
	s_waitcnt vmcnt(0) lgkmcnt(0)
	v_mul_f32_e32 v48, s33, v48
	s_branch .LBB76_275
.LBB76_274:
	v_mov_b32_e32 v48, 0
.LBB76_275:
	v_pk_add_f32 v[50:51], v[20:21], v[40:41]
	s_nop 0
	v_min3_f32 v49, v50, v51, v104
	v_pk_add_f32 v[50:51], v[22:23], v[42:43]
	s_nop 0
	v_min_f32_e32 v50, v50, v51
	v_min3_f32 v50, v48, v50, v49
	v_lshl_add_u64 v[48:49], v[70:71], 2, v[44:45]
	global_store_dword v[48:49], v50, off
	s_or_b64 exec, exec, s[26:27]
	s_and_b64 s[30:31], s[10:11], s[18:19]
	s_and_saveexec_b64 s[26:27], s[30:31]
	s_cbranch_execz .LBB76_257
.LBB76_276:
	s_and_b64 vcc, exec, s[0:1]
	s_cbranch_vccnz .LBB76_278
; %bb.277:
	v_lshl_add_u64 v[48:49], v[72:73], 2, v[46:47]
	flat_load_dword v48, v[48:49]
	s_waitcnt vmcnt(0) lgkmcnt(0)
	v_mul_f32_e32 v48, s33, v48
	s_branch .LBB76_279
.LBB76_278:
	v_mov_b32_e32 v48, 0
.LBB76_279:
	v_pk_add_f32 v[50:51], v[16:17], v[40:41]
	s_nop 0
	v_min3_f32 v49, v50, v51, v103
	v_pk_add_f32 v[50:51], v[18:19], v[42:43]
	s_nop 0
	v_min_f32_e32 v50, v50, v51
	v_min3_f32 v50, v48, v50, v49
	v_lshl_add_u64 v[48:49], v[72:73], 2, v[44:45]
	global_store_dword v[48:49], v50, off
	s_or_b64 exec, exec, s[26:27]
	s_and_b64 s[30:31], s[12:13], s[18:19]
	s_and_saveexec_b64 s[26:27], s[30:31]
	s_cbranch_execz .LBB76_258
.LBB76_280:
	s_and_b64 vcc, exec, s[0:1]
	s_cbranch_vccnz .LBB76_282
; %bb.281:
	v_lshl_add_u64 v[48:49], v[74:75], 2, v[46:47]
	flat_load_dword v48, v[48:49]
	s_waitcnt vmcnt(0) lgkmcnt(0)
	v_mul_f32_e32 v48, s33, v48
	s_branch .LBB76_283
.LBB76_282:
	v_mov_b32_e32 v48, 0
.LBB76_283:
	v_pk_add_f32 v[50:51], v[12:13], v[40:41]
	s_nop 0
	v_min3_f32 v49, v50, v51, v102
	v_pk_add_f32 v[50:51], v[14:15], v[42:43]
	s_nop 0
	v_min_f32_e32 v50, v50, v51
	v_min3_f32 v50, v48, v50, v49
	v_lshl_add_u64 v[48:49], v[74:75], 2, v[44:45]
	global_store_dword v[48:49], v50, off
	s_or_b64 exec, exec, s[26:27]
	s_and_b64 s[30:31], s[14:15], s[18:19]
	s_and_saveexec_b64 s[26:27], s[30:31]
	s_cbranch_execz .LBB76_259
.LBB76_284:
	s_and_b64 vcc, exec, s[0:1]
	s_cbranch_vccnz .LBB76_286
; %bb.285:
	v_lshl_add_u64 v[48:49], v[76:77], 2, v[46:47]
	flat_load_dword v48, v[48:49]
	s_waitcnt vmcnt(0) lgkmcnt(0)
	v_mul_f32_e32 v48, s33, v48
	s_branch .LBB76_287
.LBB76_286:
	v_mov_b32_e32 v48, 0
.LBB76_287:
	v_pk_add_f32 v[50:51], v[8:9], v[40:41]
	s_nop 0
	v_min3_f32 v49, v50, v51, v101
	v_pk_add_f32 v[50:51], v[10:11], v[42:43]
	s_nop 0
	v_min_f32_e32 v50, v50, v51
	v_min3_f32 v50, v48, v50, v49
	v_lshl_add_u64 v[48:49], v[76:77], 2, v[44:45]
	global_store_dword v[48:49], v50, off
	s_or_b64 exec, exec, s[26:27]
	s_and_b64 s[26:27], s[16:17], s[18:19]
	s_and_saveexec_b64 s[18:19], s[26:27]
	s_cbranch_execz .LBB76_292
.LBB76_288:
	s_and_b64 vcc, exec, s[0:1]
	s_cbranch_vccnz .LBB76_290
; %bb.289:
	v_lshl_add_u64 v[46:47], v[78:79], 2, v[46:47]
	flat_load_dword v46, v[46:47]
	s_waitcnt vmcnt(0) lgkmcnt(0)
	v_mul_f32_e32 v46, s33, v46
	s_branch .LBB76_291
.LBB76_290:
	v_mov_b32_e32 v46, 0
.LBB76_291:
	v_pk_add_f32 v[40:41], v[0:1], v[40:41]
	s_nop 0
	v_min3_f32 v47, v40, v41, v100
	v_pk_add_f32 v[40:41], v[2:3], v[42:43]
	s_nop 0
	v_min_f32_e32 v40, v40, v41
	v_min3_f32 v42, v46, v40, v47
	v_lshl_add_u64 v[40:41], v[78:79], 2, v[44:45]
	global_store_dword v[40:41], v42, off
.LBB76_292:
	s_or_b64 exec, exec, s[18:19]
	v_add_u32_e32 v44, 0xc0, v124
	v_mad_i64_i32 v[40:41], s[26:27], v44, s29, 0
	v_cmp_gt_i32_e64 s[18:19], s21, v44
	v_lshl_add_u64 v[42:43], v[40:41], 2, s[24:25]
	v_mad_i64_i32 v[40:41], s[26:27], v44, s28, 0
	v_lshl_add_u64 v[40:41], v[40:41], 2, s[22:23]
	s_and_b64 s[30:31], s[2:3], s[18:19]
	s_and_saveexec_b64 s[26:27], s[30:31]
	s_cbranch_execnz .LBB76_300
; %bb.293:
	s_or_b64 exec, exec, s[26:27]
	s_and_b64 s[30:31], s[4:5], s[18:19]
	s_and_saveexec_b64 s[26:27], s[30:31]
	s_cbranch_execnz .LBB76_304
.LBB76_294:
	s_or_b64 exec, exec, s[26:27]
	s_and_b64 s[30:31], s[6:7], s[18:19]
	s_and_saveexec_b64 s[26:27], s[30:31]
	s_cbranch_execnz .LBB76_308
.LBB76_295:
	s_or_b64 exec, exec, s[26:27]
	s_and_b64 s[30:31], s[8:9], s[18:19]
	s_and_saveexec_b64 s[26:27], s[30:31]
	s_cbranch_execnz .LBB76_312
.LBB76_296:
	s_or_b64 exec, exec, s[26:27]
	s_and_b64 s[30:31], s[10:11], s[18:19]
	s_and_saveexec_b64 s[26:27], s[30:31]
	s_cbranch_execnz .LBB76_316
.LBB76_297:
	s_or_b64 exec, exec, s[26:27]
	s_and_b64 s[30:31], s[12:13], s[18:19]
	s_and_saveexec_b64 s[26:27], s[30:31]
	s_cbranch_execnz .LBB76_320
.LBB76_298:
	s_or_b64 exec, exec, s[26:27]
	s_and_b64 s[30:31], s[14:15], s[18:19]
	s_and_saveexec_b64 s[26:27], s[30:31]
	s_cbranch_execnz .LBB76_324
.LBB76_299:
	s_or_b64 exec, exec, s[26:27]
	s_and_b64 s[26:27], s[16:17], s[18:19]
	s_and_saveexec_b64 s[18:19], s[26:27]
	s_cbranch_execnz .LBB76_328
	s_branch .LBB76_332
.LBB76_300:
	s_and_b64 vcc, exec, s[0:1]
	s_cbranch_vccnz .LBB76_302
; %bb.301:
	v_lshl_add_u64 v[44:45], v[64:65], 2, v[42:43]
	flat_load_dword v44, v[44:45]
	s_waitcnt vmcnt(0) lgkmcnt(0)
	v_mul_f32_e32 v44, s33, v44
	s_branch .LBB76_303
.LBB76_302:
	v_mov_b32_e32 v44, 0
.LBB76_303:
	v_pk_add_f32 v[46:47], v[32:33], v[36:37]
	s_nop 0
	v_min3_f32 v45, v46, v47, v99
	v_pk_add_f32 v[46:47], v[34:35], v[38:39]
	s_nop 0
	v_min_f32_e32 v46, v46, v47
	v_min3_f32 v46, v44, v46, v45
	v_lshl_add_u64 v[44:45], v[64:65], 2, v[40:41]
	global_store_dword v[44:45], v46, off
	s_or_b64 exec, exec, s[26:27]
	s_and_b64 s[30:31], s[4:5], s[18:19]
	s_and_saveexec_b64 s[26:27], s[30:31]
	s_cbranch_execz .LBB76_294
.LBB76_304:
	s_and_b64 vcc, exec, s[0:1]
	s_cbranch_vccnz .LBB76_306
; %bb.305:
	v_lshl_add_u64 v[44:45], v[66:67], 2, v[42:43]
	flat_load_dword v44, v[44:45]
	s_waitcnt vmcnt(0) lgkmcnt(0)
	v_mul_f32_e32 v44, s33, v44
	s_branch .LBB76_307
.LBB76_306:
	v_mov_b32_e32 v44, 0
.LBB76_307:
	v_pk_add_f32 v[46:47], v[28:29], v[36:37]
	s_nop 0
	v_min3_f32 v45, v46, v47, v98
	v_pk_add_f32 v[46:47], v[30:31], v[38:39]
	s_nop 0
	v_min_f32_e32 v46, v46, v47
	v_min3_f32 v46, v44, v46, v45
	v_lshl_add_u64 v[44:45], v[66:67], 2, v[40:41]
	global_store_dword v[44:45], v46, off
	s_or_b64 exec, exec, s[26:27]
	s_and_b64 s[30:31], s[6:7], s[18:19]
	s_and_saveexec_b64 s[26:27], s[30:31]
	s_cbranch_execz .LBB76_295
.LBB76_308:
	s_and_b64 vcc, exec, s[0:1]
	s_cbranch_vccnz .LBB76_310
; %bb.309:
	v_lshl_add_u64 v[44:45], v[68:69], 2, v[42:43]
	flat_load_dword v44, v[44:45]
	s_waitcnt vmcnt(0) lgkmcnt(0)
	v_mul_f32_e32 v44, s33, v44
	s_branch .LBB76_311
.LBB76_310:
	v_mov_b32_e32 v44, 0
.LBB76_311:
	v_pk_add_f32 v[46:47], v[24:25], v[36:37]
	s_nop 0
	v_min3_f32 v45, v46, v47, v97
	v_pk_add_f32 v[46:47], v[26:27], v[38:39]
	s_nop 0
	v_min_f32_e32 v46, v46, v47
	v_min3_f32 v46, v44, v46, v45
	v_lshl_add_u64 v[44:45], v[68:69], 2, v[40:41]
	global_store_dword v[44:45], v46, off
	s_or_b64 exec, exec, s[26:27]
	s_and_b64 s[30:31], s[8:9], s[18:19]
	s_and_saveexec_b64 s[26:27], s[30:31]
	s_cbranch_execz .LBB76_296
.LBB76_312:
	s_and_b64 vcc, exec, s[0:1]
	s_cbranch_vccnz .LBB76_314
; %bb.313:
	v_lshl_add_u64 v[44:45], v[70:71], 2, v[42:43]
	flat_load_dword v44, v[44:45]
	s_waitcnt vmcnt(0) lgkmcnt(0)
	v_mul_f32_e32 v44, s33, v44
	s_branch .LBB76_315
.LBB76_314:
	v_mov_b32_e32 v44, 0
.LBB76_315:
	v_pk_add_f32 v[46:47], v[20:21], v[36:37]
	s_nop 0
	v_min3_f32 v45, v46, v47, v96
	v_pk_add_f32 v[46:47], v[22:23], v[38:39]
	s_nop 0
	v_min_f32_e32 v46, v46, v47
	v_min3_f32 v46, v44, v46, v45
	v_lshl_add_u64 v[44:45], v[70:71], 2, v[40:41]
	global_store_dword v[44:45], v46, off
	s_or_b64 exec, exec, s[26:27]
	s_and_b64 s[30:31], s[10:11], s[18:19]
	s_and_saveexec_b64 s[26:27], s[30:31]
	s_cbranch_execz .LBB76_297
.LBB76_316:
	s_and_b64 vcc, exec, s[0:1]
	s_cbranch_vccnz .LBB76_318
; %bb.317:
	v_lshl_add_u64 v[44:45], v[72:73], 2, v[42:43]
	flat_load_dword v44, v[44:45]
	s_waitcnt vmcnt(0) lgkmcnt(0)
	v_mul_f32_e32 v44, s33, v44
	s_branch .LBB76_319
.LBB76_318:
	v_mov_b32_e32 v44, 0
.LBB76_319:
	v_pk_add_f32 v[46:47], v[16:17], v[36:37]
	s_nop 0
	v_min3_f32 v45, v46, v47, v95
	v_pk_add_f32 v[46:47], v[18:19], v[38:39]
	s_nop 0
	v_min_f32_e32 v46, v46, v47
	v_min3_f32 v46, v44, v46, v45
	v_lshl_add_u64 v[44:45], v[72:73], 2, v[40:41]
	global_store_dword v[44:45], v46, off
	s_or_b64 exec, exec, s[26:27]
	s_and_b64 s[30:31], s[12:13], s[18:19]
	s_and_saveexec_b64 s[26:27], s[30:31]
	s_cbranch_execz .LBB76_298
.LBB76_320:
	s_and_b64 vcc, exec, s[0:1]
	s_cbranch_vccnz .LBB76_322
; %bb.321:
	v_lshl_add_u64 v[44:45], v[74:75], 2, v[42:43]
	flat_load_dword v44, v[44:45]
	s_waitcnt vmcnt(0) lgkmcnt(0)
	v_mul_f32_e32 v44, s33, v44
	s_branch .LBB76_323
.LBB76_322:
	v_mov_b32_e32 v44, 0
.LBB76_323:
	v_pk_add_f32 v[46:47], v[12:13], v[36:37]
	s_nop 0
	v_min3_f32 v45, v46, v47, v94
	v_pk_add_f32 v[46:47], v[14:15], v[38:39]
	s_nop 0
	v_min_f32_e32 v46, v46, v47
	v_min3_f32 v46, v44, v46, v45
	v_lshl_add_u64 v[44:45], v[74:75], 2, v[40:41]
	global_store_dword v[44:45], v46, off
	s_or_b64 exec, exec, s[26:27]
	s_and_b64 s[30:31], s[14:15], s[18:19]
	s_and_saveexec_b64 s[26:27], s[30:31]
	s_cbranch_execz .LBB76_299
.LBB76_324:
	s_and_b64 vcc, exec, s[0:1]
	s_cbranch_vccnz .LBB76_326
; %bb.325:
	v_lshl_add_u64 v[44:45], v[76:77], 2, v[42:43]
	flat_load_dword v44, v[44:45]
	s_waitcnt vmcnt(0) lgkmcnt(0)
	v_mul_f32_e32 v44, s33, v44
	s_branch .LBB76_327
.LBB76_326:
	v_mov_b32_e32 v44, 0
.LBB76_327:
	v_pk_add_f32 v[46:47], v[8:9], v[36:37]
	s_nop 0
	v_min3_f32 v45, v46, v47, v93
	v_pk_add_f32 v[46:47], v[10:11], v[38:39]
	s_nop 0
	v_min_f32_e32 v46, v46, v47
	v_min3_f32 v46, v44, v46, v45
	v_lshl_add_u64 v[44:45], v[76:77], 2, v[40:41]
	global_store_dword v[44:45], v46, off
	s_or_b64 exec, exec, s[26:27]
	s_and_b64 s[26:27], s[16:17], s[18:19]
	s_and_saveexec_b64 s[18:19], s[26:27]
	s_cbranch_execz .LBB76_332
.LBB76_328:
	s_and_b64 vcc, exec, s[0:1]
	s_cbranch_vccnz .LBB76_330
; %bb.329:
	v_lshl_add_u64 v[42:43], v[78:79], 2, v[42:43]
	flat_load_dword v42, v[42:43]
	s_waitcnt vmcnt(0) lgkmcnt(0)
	v_mul_f32_e32 v42, s33, v42
	s_branch .LBB76_331
.LBB76_330:
	v_mov_b32_e32 v42, 0
.LBB76_331:
	v_pk_add_f32 v[36:37], v[0:1], v[36:37]
	s_nop 0
	v_min3_f32 v43, v36, v37, v92
	v_pk_add_f32 v[36:37], v[2:3], v[38:39]
	s_nop 0
	v_min_f32_e32 v36, v36, v37
	v_min3_f32 v38, v42, v36, v43
	v_lshl_add_u64 v[36:37], v[78:79], 2, v[40:41]
	global_store_dword v[36:37], v38, off
.LBB76_332:
	s_or_b64 exec, exec, s[18:19]
	v_add_u32_e32 v40, 0xe0, v124
	v_cmp_gt_i32_e64 s[18:19], s21, v40
	v_mad_i64_i32 v[36:37], s[20:21], v40, s29, 0
	v_lshl_add_u64 v[38:39], v[36:37], 2, s[24:25]
	v_mad_i64_i32 v[36:37], s[20:21], v40, s28, 0
	v_lshl_add_u64 v[36:37], v[36:37], 2, s[22:23]
	s_and_b64 s[20:21], s[2:3], s[18:19]
	s_and_saveexec_b64 s[2:3], s[20:21]
	s_cbranch_execnz .LBB76_341
; %bb.333:
	s_or_b64 exec, exec, s[2:3]
	s_and_b64 s[4:5], s[4:5], s[18:19]
	s_and_saveexec_b64 s[2:3], s[4:5]
	s_cbranch_execnz .LBB76_345
.LBB76_334:
	s_or_b64 exec, exec, s[2:3]
	s_and_b64 s[4:5], s[6:7], s[18:19]
	s_and_saveexec_b64 s[2:3], s[4:5]
	s_cbranch_execnz .LBB76_349
.LBB76_335:
	s_or_b64 exec, exec, s[2:3]
	s_and_b64 s[4:5], s[8:9], s[18:19]
	s_and_saveexec_b64 s[2:3], s[4:5]
	s_cbranch_execnz .LBB76_353
.LBB76_336:
	s_or_b64 exec, exec, s[2:3]
	s_and_b64 s[4:5], s[10:11], s[18:19]
	s_and_saveexec_b64 s[2:3], s[4:5]
	s_cbranch_execnz .LBB76_357
.LBB76_337:
	s_or_b64 exec, exec, s[2:3]
	s_and_b64 s[4:5], s[12:13], s[18:19]
	s_and_saveexec_b64 s[2:3], s[4:5]
	s_cbranch_execnz .LBB76_361
.LBB76_338:
	s_or_b64 exec, exec, s[2:3]
	s_and_b64 s[4:5], s[14:15], s[18:19]
	s_and_saveexec_b64 s[2:3], s[4:5]
	s_cbranch_execnz .LBB76_365
.LBB76_339:
	s_or_b64 exec, exec, s[2:3]
	s_and_b64 s[2:3], s[16:17], s[18:19]
	s_and_saveexec_b64 s[4:5], s[2:3]
	s_cbranch_execnz .LBB76_369
.LBB76_340:
	s_endpgm
.LBB76_341:
	s_and_b64 vcc, exec, s[0:1]
	s_cbranch_vccnz .LBB76_343
; %bb.342:
	v_lshl_add_u64 v[40:41], v[64:65], 2, v[38:39]
	flat_load_dword v40, v[40:41]
	s_waitcnt vmcnt(0) lgkmcnt(0)
	v_mul_f32_e32 v40, s33, v40
	s_branch .LBB76_344
.LBB76_343:
	v_mov_b32_e32 v40, 0
.LBB76_344:
	v_pk_add_f32 v[32:33], v[32:33], v[4:5]
	s_nop 0
	v_min3_f32 v41, v32, v33, v91
	v_pk_add_f32 v[32:33], v[34:35], v[6:7]
	s_nop 0
	v_min_f32_e32 v32, v32, v33
	v_min3_f32 v34, v40, v32, v41
	v_lshl_add_u64 v[32:33], v[64:65], 2, v[36:37]
	global_store_dword v[32:33], v34, off
	s_or_b64 exec, exec, s[2:3]
	s_and_b64 s[4:5], s[4:5], s[18:19]
	s_and_saveexec_b64 s[2:3], s[4:5]
	s_cbranch_execz .LBB76_334
.LBB76_345:
	s_and_b64 vcc, exec, s[0:1]
	s_cbranch_vccnz .LBB76_347
; %bb.346:
	v_lshl_add_u64 v[32:33], v[66:67], 2, v[38:39]
	flat_load_dword v32, v[32:33]
	s_waitcnt vmcnt(0) lgkmcnt(0)
	v_mul_f32_e32 v32, s33, v32
	s_branch .LBB76_348
.LBB76_347:
	v_mov_b32_e32 v32, 0
.LBB76_348:
	v_pk_add_f32 v[28:29], v[28:29], v[4:5]
	s_nop 0
	v_min3_f32 v33, v28, v29, v90
	v_pk_add_f32 v[28:29], v[30:31], v[6:7]
	s_nop 0
	v_min_f32_e32 v28, v28, v29
	v_min3_f32 v30, v32, v28, v33
	v_lshl_add_u64 v[28:29], v[66:67], 2, v[36:37]
	global_store_dword v[28:29], v30, off
	s_or_b64 exec, exec, s[2:3]
	s_and_b64 s[4:5], s[6:7], s[18:19]
	s_and_saveexec_b64 s[2:3], s[4:5]
	s_cbranch_execz .LBB76_335
.LBB76_349:
	s_and_b64 vcc, exec, s[0:1]
	s_cbranch_vccnz .LBB76_351
; %bb.350:
	v_lshl_add_u64 v[28:29], v[68:69], 2, v[38:39]
	flat_load_dword v28, v[28:29]
	s_waitcnt vmcnt(0) lgkmcnt(0)
	v_mul_f32_e32 v28, s33, v28
	s_branch .LBB76_352
.LBB76_351:
	v_mov_b32_e32 v28, 0
.LBB76_352:
	v_pk_add_f32 v[24:25], v[24:25], v[4:5]
	s_nop 0
	v_min3_f32 v29, v24, v25, v89
	v_pk_add_f32 v[24:25], v[26:27], v[6:7]
	s_nop 0
	v_min_f32_e32 v24, v24, v25
	v_min3_f32 v26, v28, v24, v29
	v_lshl_add_u64 v[24:25], v[68:69], 2, v[36:37]
	global_store_dword v[24:25], v26, off
	s_or_b64 exec, exec, s[2:3]
	s_and_b64 s[4:5], s[8:9], s[18:19]
	s_and_saveexec_b64 s[2:3], s[4:5]
	s_cbranch_execz .LBB76_336
.LBB76_353:
	s_and_b64 vcc, exec, s[0:1]
	s_cbranch_vccnz .LBB76_355
; %bb.354:
	v_lshl_add_u64 v[24:25], v[70:71], 2, v[38:39]
	flat_load_dword v24, v[24:25]
	s_waitcnt vmcnt(0) lgkmcnt(0)
	v_mul_f32_e32 v24, s33, v24
	s_branch .LBB76_356
.LBB76_355:
	v_mov_b32_e32 v24, 0
.LBB76_356:
	v_pk_add_f32 v[20:21], v[20:21], v[4:5]
	s_nop 0
	v_min3_f32 v25, v20, v21, v87
	v_pk_add_f32 v[20:21], v[22:23], v[6:7]
	s_nop 0
	v_min_f32_e32 v20, v20, v21
	v_min3_f32 v22, v24, v20, v25
	v_lshl_add_u64 v[20:21], v[70:71], 2, v[36:37]
	global_store_dword v[20:21], v22, off
	s_or_b64 exec, exec, s[2:3]
	s_and_b64 s[4:5], s[10:11], s[18:19]
	s_and_saveexec_b64 s[2:3], s[4:5]
	s_cbranch_execz .LBB76_337
.LBB76_357:
	s_and_b64 vcc, exec, s[0:1]
	s_cbranch_vccnz .LBB76_359
; %bb.358:
	v_lshl_add_u64 v[20:21], v[72:73], 2, v[38:39]
	flat_load_dword v20, v[20:21]
	s_waitcnt vmcnt(0) lgkmcnt(0)
	v_mul_f32_e32 v20, s33, v20
	s_branch .LBB76_360
.LBB76_359:
	v_mov_b32_e32 v20, 0
.LBB76_360:
	v_pk_add_f32 v[16:17], v[16:17], v[4:5]
	s_nop 0
	v_min3_f32 v21, v16, v17, v86
	v_pk_add_f32 v[16:17], v[18:19], v[6:7]
	s_nop 0
	v_min_f32_e32 v16, v16, v17
	v_min3_f32 v18, v20, v16, v21
	v_lshl_add_u64 v[16:17], v[72:73], 2, v[36:37]
	global_store_dword v[16:17], v18, off
	s_or_b64 exec, exec, s[2:3]
	s_and_b64 s[4:5], s[12:13], s[18:19]
	s_and_saveexec_b64 s[2:3], s[4:5]
	s_cbranch_execz .LBB76_338
.LBB76_361:
	s_and_b64 vcc, exec, s[0:1]
	s_cbranch_vccnz .LBB76_363
; %bb.362:
	v_lshl_add_u64 v[16:17], v[74:75], 2, v[38:39]
	flat_load_dword v16, v[16:17]
	s_waitcnt vmcnt(0) lgkmcnt(0)
	v_mul_f32_e32 v16, s33, v16
	s_branch .LBB76_364
.LBB76_363:
	v_mov_b32_e32 v16, 0
.LBB76_364:
	v_pk_add_f32 v[12:13], v[12:13], v[4:5]
	s_nop 0
	v_min3_f32 v17, v12, v13, v85
	v_pk_add_f32 v[12:13], v[14:15], v[6:7]
	s_nop 0
	v_min_f32_e32 v12, v12, v13
	v_min3_f32 v14, v16, v12, v17
	v_lshl_add_u64 v[12:13], v[74:75], 2, v[36:37]
	global_store_dword v[12:13], v14, off
	s_or_b64 exec, exec, s[2:3]
	s_and_b64 s[4:5], s[14:15], s[18:19]
	s_and_saveexec_b64 s[2:3], s[4:5]
	s_cbranch_execz .LBB76_339
.LBB76_365:
	s_and_b64 vcc, exec, s[0:1]
	s_cbranch_vccnz .LBB76_367
; %bb.366:
	v_lshl_add_u64 v[12:13], v[76:77], 2, v[38:39]
	flat_load_dword v12, v[12:13]
	s_waitcnt vmcnt(0) lgkmcnt(0)
	v_mul_f32_e32 v12, s33, v12
	s_branch .LBB76_368
.LBB76_367:
	v_mov_b32_e32 v12, 0
.LBB76_368:
	v_pk_add_f32 v[8:9], v[8:9], v[4:5]
	s_nop 0
	v_min3_f32 v13, v8, v9, v84
	v_pk_add_f32 v[8:9], v[10:11], v[6:7]
	s_nop 0
	v_min_f32_e32 v8, v8, v9
	v_min3_f32 v10, v12, v8, v13
	v_lshl_add_u64 v[8:9], v[76:77], 2, v[36:37]
	global_store_dword v[8:9], v10, off
	s_or_b64 exec, exec, s[2:3]
	s_and_b64 s[2:3], s[16:17], s[18:19]
	s_and_saveexec_b64 s[4:5], s[2:3]
	s_cbranch_execz .LBB76_340
.LBB76_369:
	s_and_b64 vcc, exec, s[0:1]
	s_cbranch_vccnz .LBB76_371
; %bb.370:
	v_lshl_add_u64 v[8:9], v[78:79], 2, v[38:39]
	flat_load_dword v8, v[8:9]
	s_waitcnt vmcnt(0) lgkmcnt(0)
	v_mul_f32_e32 v8, s33, v8
	s_branch .LBB76_372
.LBB76_371:
	v_mov_b32_e32 v8, 0
.LBB76_372:
	v_pk_add_f32 v[0:1], v[0:1], v[4:5]
	s_nop 0
	v_min3_f32 v4, v0, v1, v88
	v_pk_add_f32 v[0:1], v[2:3], v[6:7]
	s_nop 0
	v_min_f32_e32 v0, v0, v1
	v_min3_f32 v2, v8, v0, v4
	v_lshl_add_u64 v[0:1], v[78:79], 2, v[36:37]
	global_store_dword v[0:1], v2, off
	s_endpgm
	.section	.rodata,"a",@progbits
	.p2align	6, 0x0
	.amdhsa_kernel _ZN12_GLOBAL__N_120geam_min_plus_kernelIf15HIP_vector_typeIfLj2EEfLi8ELi32ELi64ELi256ELi4ELi4ELi64ELi64ELi4ELc84ELc84ELb1ELb1ELb1EfKffEEviiiT16_PT17_ilS6_ilS4_S6_ilPT18_ili26rocblas_geam_ex_operation_
		.amdhsa_group_segment_fixed_size 10240
		.amdhsa_private_segment_fixed_size 0
		.amdhsa_kernarg_size 128
		.amdhsa_user_sgpr_count 2
		.amdhsa_user_sgpr_dispatch_ptr 0
		.amdhsa_user_sgpr_queue_ptr 0
		.amdhsa_user_sgpr_kernarg_segment_ptr 1
		.amdhsa_user_sgpr_dispatch_id 0
		.amdhsa_user_sgpr_kernarg_preload_length 0
		.amdhsa_user_sgpr_kernarg_preload_offset 0
		.amdhsa_user_sgpr_private_segment_size 0
		.amdhsa_uses_dynamic_stack 0
		.amdhsa_enable_private_segment 0
		.amdhsa_system_sgpr_workgroup_id_x 1
		.amdhsa_system_sgpr_workgroup_id_y 0
		.amdhsa_system_sgpr_workgroup_id_z 1
		.amdhsa_system_sgpr_workgroup_info 0
		.amdhsa_system_vgpr_workitem_id 1
		.amdhsa_next_free_vgpr 176
		.amdhsa_next_free_sgpr 40
		.amdhsa_accum_offset 176
		.amdhsa_reserve_vcc 1
		.amdhsa_float_round_mode_32 0
		.amdhsa_float_round_mode_16_64 0
		.amdhsa_float_denorm_mode_32 3
		.amdhsa_float_denorm_mode_16_64 3
		.amdhsa_dx10_clamp 1
		.amdhsa_ieee_mode 1
		.amdhsa_fp16_overflow 0
		.amdhsa_tg_split 0
		.amdhsa_exception_fp_ieee_invalid_op 0
		.amdhsa_exception_fp_denorm_src 0
		.amdhsa_exception_fp_ieee_div_zero 0
		.amdhsa_exception_fp_ieee_overflow 0
		.amdhsa_exception_fp_ieee_underflow 0
		.amdhsa_exception_fp_ieee_inexact 0
		.amdhsa_exception_int_div_zero 0
	.end_amdhsa_kernel
	.section	.text._ZN12_GLOBAL__N_120geam_min_plus_kernelIf15HIP_vector_typeIfLj2EEfLi8ELi32ELi64ELi256ELi4ELi4ELi64ELi64ELi4ELc84ELc84ELb1ELb1ELb1EfKffEEviiiT16_PT17_ilS6_ilS4_S6_ilPT18_ili26rocblas_geam_ex_operation_,"axG",@progbits,_ZN12_GLOBAL__N_120geam_min_plus_kernelIf15HIP_vector_typeIfLj2EEfLi8ELi32ELi64ELi256ELi4ELi4ELi64ELi64ELi4ELc84ELc84ELb1ELb1ELb1EfKffEEviiiT16_PT17_ilS6_ilS4_S6_ilPT18_ili26rocblas_geam_ex_operation_,comdat
.Lfunc_end76:
	.size	_ZN12_GLOBAL__N_120geam_min_plus_kernelIf15HIP_vector_typeIfLj2EEfLi8ELi32ELi64ELi256ELi4ELi4ELi64ELi64ELi4ELc84ELc84ELb1ELb1ELb1EfKffEEviiiT16_PT17_ilS6_ilS4_S6_ilPT18_ili26rocblas_geam_ex_operation_, .Lfunc_end76-_ZN12_GLOBAL__N_120geam_min_plus_kernelIf15HIP_vector_typeIfLj2EEfLi8ELi32ELi64ELi256ELi4ELi4ELi64ELi64ELi4ELc84ELc84ELb1ELb1ELb1EfKffEEviiiT16_PT17_ilS6_ilS4_S6_ilPT18_ili26rocblas_geam_ex_operation_
                                        ; -- End function
	.section	.AMDGPU.csdata,"",@progbits
; Kernel info:
; codeLenInByte = 18472
; NumSgprs: 46
; NumVgprs: 176
; NumAgprs: 0
; TotalNumVgprs: 176
; ScratchSize: 0
; MemoryBound: 0
; FloatMode: 240
; IeeeMode: 1
; LDSByteSize: 10240 bytes/workgroup (compile time only)
; SGPRBlocks: 5
; VGPRBlocks: 21
; NumSGPRsForWavesPerEU: 46
; NumVGPRsForWavesPerEU: 176
; AccumOffset: 176
; Occupancy: 2
; WaveLimiterHint : 0
; COMPUTE_PGM_RSRC2:SCRATCH_EN: 0
; COMPUTE_PGM_RSRC2:USER_SGPR: 2
; COMPUTE_PGM_RSRC2:TRAP_HANDLER: 0
; COMPUTE_PGM_RSRC2:TGID_X_EN: 1
; COMPUTE_PGM_RSRC2:TGID_Y_EN: 0
; COMPUTE_PGM_RSRC2:TGID_Z_EN: 1
; COMPUTE_PGM_RSRC2:TIDIG_COMP_CNT: 1
; COMPUTE_PGM_RSRC3_GFX90A:ACCUM_OFFSET: 43
; COMPUTE_PGM_RSRC3_GFX90A:TG_SPLIT: 0
	.section	.text._ZN12_GLOBAL__N_120geam_min_plus_kernelIf15HIP_vector_typeIfLj2EEfLi8ELi32ELi64ELi256ELi4ELi4ELi64ELi64ELi4ELc84ELc84ELb0ELb1ELb1EfKffEEviiiT16_PT17_ilS6_ilS4_S6_ilPT18_ili26rocblas_geam_ex_operation_,"axG",@progbits,_ZN12_GLOBAL__N_120geam_min_plus_kernelIf15HIP_vector_typeIfLj2EEfLi8ELi32ELi64ELi256ELi4ELi4ELi64ELi64ELi4ELc84ELc84ELb0ELb1ELb1EfKffEEviiiT16_PT17_ilS6_ilS4_S6_ilPT18_ili26rocblas_geam_ex_operation_,comdat
	.globl	_ZN12_GLOBAL__N_120geam_min_plus_kernelIf15HIP_vector_typeIfLj2EEfLi8ELi32ELi64ELi256ELi4ELi4ELi64ELi64ELi4ELc84ELc84ELb0ELb1ELb1EfKffEEviiiT16_PT17_ilS6_ilS4_S6_ilPT18_ili26rocblas_geam_ex_operation_ ; -- Begin function _ZN12_GLOBAL__N_120geam_min_plus_kernelIf15HIP_vector_typeIfLj2EEfLi8ELi32ELi64ELi256ELi4ELi4ELi64ELi64ELi4ELc84ELc84ELb0ELb1ELb1EfKffEEviiiT16_PT17_ilS6_ilS4_S6_ilPT18_ili26rocblas_geam_ex_operation_
	.p2align	8
	.type	_ZN12_GLOBAL__N_120geam_min_plus_kernelIf15HIP_vector_typeIfLj2EEfLi8ELi32ELi64ELi256ELi4ELi4ELi64ELi64ELi4ELc84ELc84ELb0ELb1ELb1EfKffEEviiiT16_PT17_ilS6_ilS4_S6_ilPT18_ili26rocblas_geam_ex_operation_,@function
_ZN12_GLOBAL__N_120geam_min_plus_kernelIf15HIP_vector_typeIfLj2EEfLi8ELi32ELi64ELi256ELi4ELi4ELi64ELi64ELi4ELc84ELc84ELb0ELb1ELb1EfKffEEviiiT16_PT17_ilS6_ilS4_S6_ilPT18_ili26rocblas_geam_ex_operation_: ; @_ZN12_GLOBAL__N_120geam_min_plus_kernelIf15HIP_vector_typeIfLj2EEfLi8ELi32ELi64ELi256ELi4ELi4ELi64ELi64ELi4ELc84ELc84ELb0ELb1ELb1EfKffEEviiiT16_PT17_ilS6_ilS4_S6_ilPT18_ili26rocblas_geam_ex_operation_
; %bb.0:
	s_load_dwordx4 s[20:23], s[0:1], 0x0
	s_load_dwordx4 s[4:7], s[0:1], 0x20
	s_mov_b64 s[36:37], 0
	s_waitcnt lgkmcnt(0)
	v_cmp_eq_f32_e64 s[30:31], s23, 0
	v_cmp_neq_f32_e64 s[8:9], s23, 0
	s_and_b64 vcc, exec, s[30:31]
	s_cbranch_vccnz .LBB77_2
; %bb.1:
	s_load_dwordx2 s[10:11], s[0:1], 0x10
	s_mul_i32 s5, s3, s5
	s_mul_hi_u32 s12, s3, s4
	s_add_i32 s5, s12, s5
	s_mul_i32 s4, s3, s4
	s_lshl_b64 s[4:5], s[4:5], 2
	s_waitcnt lgkmcnt(0)
	s_add_u32 s36, s10, s4
	s_addc_u32 s37, s11, s5
.LBB77_2:
	s_and_b64 vcc, exec, s[8:9]
	s_cbranch_vccz .LBB77_4
; %bb.3:
	s_load_dwordx2 s[4:5], s[0:1], 0x38
	s_mov_b32 s29, 0
	s_waitcnt lgkmcnt(0)
	s_mul_i32 s5, s3, s5
	s_mul_hi_u32 s8, s3, s4
	s_mul_i32 s4, s3, s4
	s_add_i32 s5, s8, s5
	s_lshl_b64 s[4:5], s[4:5], 2
	s_add_u32 s34, s6, s4
	s_addc_u32 s35, s7, s5
	s_cbranch_execz .LBB77_5
	s_branch .LBB77_6
.LBB77_4:
                                        ; implicit-def: $sgpr34_sgpr35
                                        ; implicit-def: $sgpr28_sgpr29
.LBB77_5:
	s_mov_b32 s29, 0
	s_mov_b64 s[34:35], 0
.LBB77_6:
	s_load_dword s28, s[0:1], 0x40
	s_load_dwordx4 s[16:19], s[0:1], 0x58
	s_waitcnt lgkmcnt(0)
	v_cmp_eq_f32_e64 s[4:5], s28, 0
	v_cmp_neq_f32_e64 s[26:27], s28, 0
	s_and_b64 vcc, exec, s[4:5]
	s_cbranch_vccnz .LBB77_8
; %bb.7:
	s_load_dwordx2 s[4:5], s[0:1], 0x48
	s_mul_i32 s6, s3, s17
	s_mul_hi_u32 s7, s3, s16
	s_add_i32 s6, s7, s6
	s_mul_i32 s7, s29, s16
	s_add_i32 s7, s6, s7
	s_mul_i32 s6, s3, s16
	s_lshl_b64 s[6:7], s[6:7], 2
	s_waitcnt lgkmcnt(0)
	s_add_u32 s24, s4, s6
	s_addc_u32 s25, s5, s7
	s_branch .LBB77_9
.LBB77_8:
	s_mov_b64 s[24:25], 0
.LBB77_9:
	s_add_i32 s7, s20, -1
	s_ashr_i32 s4, s7, 31
	s_lshr_b32 s4, s4, 26
	s_add_i32 s4, s7, s4
	s_ashr_i32 s4, s4, 6
	s_add_i32 s5, s4, 1
	v_cvt_f32_u32_e32 v1, s5
	s_not_b32 s4, s4
	v_and_b32_e32 v70, 0x3ff, v0
	v_bfe_u32 v71, v0, 10, 10
	v_rcp_iflag_f32_e32 v1, v1
	v_lshl_add_u32 v0, v71, 3, v70
	v_lshrrev_b32_e32 v2, 2, v0
	s_load_dword s38, s[0:1], 0x18
	v_mul_f32_e32 v1, 0x4f7ffffe, v1
	v_cvt_u32_f32_e32 v1, v1
	v_and_b32_e32 v72, 3, v70
	v_mov_b32_e32 v5, 0x7f7fffff
	v_lshlrev_b32_e32 v56, 2, v72
	v_readfirstlane_b32 s6, v1
	s_mul_i32 s4, s4, s6
	s_mul_hi_u32 s4, s6, s4
	s_add_i32 s6, s6, s4
	s_mul_hi_u32 s4, s2, s6
	s_mul_i32 s6, s4, s5
	s_sub_i32 s6, s2, s6
	s_add_i32 s8, s4, 1
	s_sub_i32 s9, s6, s5
	s_cmp_ge_u32 s6, s5
	s_cselect_b32 s4, s8, s4
	s_cselect_b32 s6, s9, s6
	s_add_i32 s8, s4, 1
	s_cmp_ge_u32 s6, s5
	s_cselect_b32 s6, s8, s4
	s_mul_i32 s4, s6, s5
	s_sub_i32 s2, s2, s4
	s_lshl_b32 s2, s2, 6
	v_add_u32_e32 v1, s2, v2
	v_cmp_le_i32_e64 s[4:5], s22, v72
	v_cmp_le_i32_e32 vcc, s20, v1
	s_or_b64 s[4:5], s[4:5], vcc
	v_cndmask_b32_e64 v3, 0, v5, s[4:5]
	s_or_b64 s[4:5], s[30:31], s[4:5]
	v_min_i32_e32 v58, s7, v1
	s_xor_b64 s[8:9], s[4:5], -1
	s_and_saveexec_b64 s[4:5], s[8:9]
	s_cbranch_execz .LBB77_11
; %bb.10:
	s_waitcnt lgkmcnt(0)
	v_mad_i64_i32 v[6:7], s[8:9], v58, s38, 0
	v_lshl_add_u64 v[6:7], v[6:7], 2, s[36:37]
	v_mov_b32_e32 v57, 0
	v_lshl_add_u64 v[6:7], v[6:7], 0, v[56:57]
	flat_load_dword v1, v[6:7]
	s_waitcnt vmcnt(0) lgkmcnt(0)
	v_mul_f32_e32 v3, s23, v1
.LBB77_11:
	s_or_b64 exec, exec, s[4:5]
	s_load_dword s17, s[0:1], 0x30
	v_and_b32_e32 v4, 63, v0
	v_lshrrev_b32_e32 v73, 6, v0
	s_lshl_b32 s16, s6, 8
	s_add_i32 s33, s22, -1
	v_or_b32_e32 v64, s16, v4
	v_min_i32_e32 v0, s33, v73
	v_cmp_le_i32_e64 s[10:11], s22, v73
	s_waitcnt lgkmcnt(0)
	v_mad_i64_i32 v[0:1], s[4:5], s17, v0, 0
	v_cmp_le_i32_e64 s[12:13], s21, v64
	s_or_b64 s[4:5], s[12:13], s[10:11]
	v_cndmask_b32_e64 v5, 0, v5, s[4:5]
	s_or_b64 s[4:5], s[30:31], s[4:5]
	v_lshl_add_u64 v[0:1], v[0:1], 2, s[34:35]
	s_xor_b64 s[6:7], s[4:5], -1
	v_ashrrev_i32_e32 v65, 31, v64
	s_and_saveexec_b64 s[4:5], s[6:7]
	s_cbranch_execz .LBB77_13
; %bb.12:
	v_lshl_add_u64 v[6:7], v[64:65], 2, v[0:1]
	flat_load_dword v5, v[6:7]
	s_waitcnt vmcnt(0) lgkmcnt(0)
	v_mul_f32_e32 v5, s23, v5
.LBB77_13:
	s_or_b64 exec, exec, s[4:5]
	v_or_b32_e32 v6, 64, v64
	v_cmp_le_i32_e64 s[4:5], s21, v6
	v_mov_b32_e32 v7, 0x7f7fffff
	s_or_b64 s[6:7], s[4:5], s[10:11]
	v_cndmask_b32_e64 v6, 0, v7, s[6:7]
	s_or_b64 s[6:7], s[30:31], s[6:7]
	s_xor_b64 s[8:9], s[6:7], -1
	s_and_saveexec_b64 s[6:7], s[8:9]
	s_cbranch_execz .LBB77_15
; %bb.14:
	v_lshl_add_u64 v[8:9], v[64:65], 2, v[0:1]
	flat_load_dword v6, v[8:9] offset:256
	s_waitcnt vmcnt(0) lgkmcnt(0)
	v_mul_f32_e32 v6, s23, v6
.LBB77_15:
	s_or_b64 exec, exec, s[6:7]
	v_or_b32_e32 v8, 0x80, v64
	v_cmp_le_i32_e64 s[6:7], s21, v8
	s_or_b64 s[8:9], s[6:7], s[10:11]
	v_cndmask_b32_e64 v7, 0, v7, s[8:9]
	s_or_b64 s[8:9], s[30:31], s[8:9]
	s_xor_b64 s[14:15], s[8:9], -1
	s_and_saveexec_b64 s[8:9], s[14:15]
	s_cbranch_execz .LBB77_17
; %bb.16:
	v_lshl_add_u64 v[8:9], v[64:65], 2, v[0:1]
	flat_load_dword v7, v[8:9] offset:512
	s_waitcnt vmcnt(0) lgkmcnt(0)
	v_mul_f32_e32 v7, s23, v7
.LBB77_17:
	s_or_b64 exec, exec, s[8:9]
	v_or_b32_e32 v8, 0xc0, v64
	v_cmp_le_i32_e64 s[8:9], s21, v8
	v_mov_b32_e32 v9, 0x7f7fffff
	s_or_b64 s[10:11], s[8:9], s[10:11]
	v_cndmask_b32_e64 v8, 0, v9, s[10:11]
	s_or_b64 s[10:11], s[30:31], s[10:11]
	s_xor_b64 s[14:15], s[10:11], -1
	s_and_saveexec_b64 s[10:11], s[14:15]
	s_cbranch_execz .LBB77_19
; %bb.18:
	v_lshl_add_u64 v[0:1], v[64:65], 2, v[0:1]
	flat_load_dword v0, v[0:1] offset:768
	s_waitcnt vmcnt(0) lgkmcnt(0)
	v_mul_f32_e32 v8, s23, v0
.LBB77_19:
	s_or_b64 exec, exec, s[10:11]
	v_or_b32_e32 v0, 4, v72
	v_cmp_le_i32_e64 s[10:11], s22, v0
	s_or_b64 s[10:11], s[10:11], vcc
	s_nop 0
	v_cndmask_b32_e64 v57, 0, v9, s[10:11]
	s_or_b64 s[10:11], s[30:31], s[10:11]
	s_xor_b64 s[14:15], s[10:11], -1
	s_and_saveexec_b64 s[10:11], s[14:15]
	s_cbranch_execz .LBB77_21
; %bb.20:
	v_mad_i64_i32 v[0:1], s[14:15], v58, s38, 0
	v_lshl_add_u64 v[0:1], v[0:1], 2, s[36:37]
	v_mov_b32_e32 v57, 0
	v_lshl_add_u64 v[0:1], v[0:1], 0, v[56:57]
	flat_load_dword v0, v[0:1] offset:16
	s_waitcnt vmcnt(0) lgkmcnt(0)
	v_mul_f32_e32 v57, s23, v0
.LBB77_21:
	s_or_b64 exec, exec, s[10:11]
	v_add_u32_e32 v0, 4, v73
	v_cmp_le_i32_e64 s[10:11], s22, v0
	v_min_i32_e32 v0, s33, v0
	v_mad_i64_i32 v[0:1], s[14:15], s17, v0, 0
	v_mov_b32_e32 v9, 0x7f7fffff
	s_or_b64 s[14:15], s[12:13], s[10:11]
	v_cndmask_b32_e64 v59, 0, v9, s[14:15]
	s_or_b64 s[14:15], s[30:31], s[14:15]
	v_lshl_add_u64 v[0:1], v[0:1], 2, s[34:35]
	s_xor_b64 s[40:41], s[14:15], -1
	s_and_saveexec_b64 s[14:15], s[40:41]
	s_cbranch_execz .LBB77_23
; %bb.22:
	v_lshl_add_u64 v[10:11], v[64:65], 2, v[0:1]
	flat_load_dword v10, v[10:11]
	s_waitcnt vmcnt(0) lgkmcnt(0)
	v_mul_f32_e32 v59, s23, v10
.LBB77_23:
	s_or_b64 exec, exec, s[14:15]
	s_or_b64 s[14:15], s[4:5], s[10:11]
	v_cndmask_b32_e64 v60, 0, v9, s[14:15]
	s_or_b64 s[14:15], s[30:31], s[14:15]
	s_xor_b64 s[40:41], s[14:15], -1
	s_and_saveexec_b64 s[14:15], s[40:41]
	s_cbranch_execz .LBB77_25
; %bb.24:
	v_lshl_add_u64 v[10:11], v[64:65], 2, v[0:1]
	flat_load_dword v9, v[10:11] offset:256
	s_waitcnt vmcnt(0) lgkmcnt(0)
	v_mul_f32_e32 v60, s23, v9
.LBB77_25:
	s_or_b64 exec, exec, s[14:15]
	v_mov_b32_e32 v9, 0x7f7fffff
	s_or_b64 s[14:15], s[6:7], s[10:11]
	v_cndmask_b32_e64 v61, 0, v9, s[14:15]
	s_or_b64 s[14:15], s[30:31], s[14:15]
	s_xor_b64 s[40:41], s[14:15], -1
	s_and_saveexec_b64 s[14:15], s[40:41]
	s_cbranch_execz .LBB77_27
; %bb.26:
	v_lshl_add_u64 v[10:11], v[64:65], 2, v[0:1]
	flat_load_dword v10, v[10:11] offset:512
	s_waitcnt vmcnt(0) lgkmcnt(0)
	v_mul_f32_e32 v61, s23, v10
.LBB77_27:
	s_or_b64 exec, exec, s[14:15]
	s_or_b64 s[10:11], s[8:9], s[10:11]
	v_cndmask_b32_e64 v62, 0, v9, s[10:11]
	s_or_b64 s[10:11], s[30:31], s[10:11]
	s_xor_b64 s[40:41], s[10:11], -1
	s_mov_b32 s14, 0x7f7fffff
	s_and_saveexec_b64 s[10:11], s[40:41]
	s_cbranch_execz .LBB77_29
; %bb.28:
	v_lshl_add_u64 v[0:1], v[64:65], 2, v[0:1]
	flat_load_dword v0, v[0:1] offset:768
	s_waitcnt vmcnt(0) lgkmcnt(0)
	v_mul_f32_e32 v62, s23, v0
.LBB77_29:
	s_or_b64 exec, exec, s[10:11]
	v_lshlrev_b32_e32 v0, 2, v73
	v_lshl_or_b32 v63, v2, 4, v56
	v_lshl_add_u32 v76, v4, 4, v0
	v_lshlrev_b32_e32 v74, 4, v70
	v_lshlrev_b32_e32 v75, 4, v71
	ds_write_b32 v63, v3 offset:8192
	ds_write2st64_b32 v76, v5, v6 offset1:4
	ds_write2st64_b32 v76, v7, v8 offset0:8 offset1:12
	s_waitcnt lgkmcnt(0)
	s_barrier
	ds_read_b128 v[12:15], v74 offset:8192
	ds_read_b128 v[20:23], v74 offset:8320
	;; [unrolled: 1-line block ×8, first 2 shown]
	ds_read_b128 v[52:55], v75
	ds_read_b128 v[48:51], v75 offset:512
	ds_read_b128 v[44:47], v75 offset:1024
	;; [unrolled: 1-line block ×5, first 2 shown]
	s_waitcnt lgkmcnt(5)
	v_pk_add_f32 v[66:67], v[12:13], v[52:53]
	s_cmp_lt_i32 s22, 9
	v_min3_f32 v68, v66, v67, s14
	v_pk_add_f32 v[66:67], v[20:21], v[52:53]
	s_nop 0
	v_min3_f32 v69, v66, v67, s14
	v_pk_add_f32 v[66:67], v[24:25], v[52:53]
	s_nop 0
	v_min3_f32 v77, v66, v67, s14
	v_pk_add_f32 v[66:67], v[28:29], v[52:53]
	s_nop 0
	v_min3_f32 v78, v66, v67, s14
	v_pk_add_f32 v[66:67], v[16:17], v[52:53]
	s_nop 0
	v_min3_f32 v79, v66, v67, s14
	v_pk_add_f32 v[66:67], v[8:9], v[52:53]
	s_nop 0
	v_min3_f32 v80, v66, v67, s14
	v_pk_add_f32 v[66:67], v[4:5], v[52:53]
	v_pk_add_f32 v[52:53], v[0:1], v[52:53]
	v_min3_f32 v66, v66, v67, s14
	v_min3_f32 v67, v52, v53, s14
	s_waitcnt lgkmcnt(4)
	v_pk_add_f32 v[52:53], v[12:13], v[48:49]
	s_nop 0
	v_min3_f32 v81, v52, v53, s14
	v_pk_add_f32 v[52:53], v[20:21], v[48:49]
	s_nop 0
	v_min3_f32 v82, v52, v53, s14
	v_pk_add_f32 v[52:53], v[24:25], v[48:49]
	s_nop 0
	v_min3_f32 v83, v52, v53, s14
	v_pk_add_f32 v[52:53], v[28:29], v[48:49]
	s_nop 0
	v_min3_f32 v84, v52, v53, s14
	v_pk_add_f32 v[52:53], v[16:17], v[48:49]
	s_nop 0
	v_min3_f32 v85, v52, v53, s14
	v_pk_add_f32 v[52:53], v[8:9], v[48:49]
	s_nop 0
	v_min3_f32 v86, v52, v53, s14
	v_pk_add_f32 v[52:53], v[4:5], v[48:49]
	v_pk_add_f32 v[48:49], v[0:1], v[48:49]
	v_min3_f32 v52, v52, v53, s14
	v_min3_f32 v87, v48, v49, s14
	s_waitcnt lgkmcnt(3)
	v_pk_add_f32 v[48:49], v[12:13], v[44:45]
	s_nop 0
	;; [unrolled: 23-line block ×5, first 2 shown]
	v_min3_f32 v124, v36, v37, s14
	v_pk_add_f32 v[36:37], v[20:21], v[32:33]
	s_nop 0
	v_min3_f32 v146, v36, v37, s14
	v_pk_add_f32 v[36:37], v[24:25], v[32:33]
	s_nop 0
	;; [unrolled: 3-line block ×12, first 2 shown]
	v_min3_f32 v66, v36, v37, s14
	v_pk_add_f32 v[36:37], v[4:5], v[32:33]
	v_pk_add_f32 v[32:33], v[0:1], v[32:33]
	v_min3_f32 v68, v36, v37, s14
	v_pk_add_f32 v[36:37], v[2:3], v[54:55]
	s_nop 0
	v_min3_f32 v141, v36, v37, v67
	v_pk_add_f32 v[36:37], v[14:15], v[50:51]
	v_min3_f32 v67, v32, v33, s14
	v_min3_f32 v140, v36, v37, v81
	v_pk_add_f32 v[36:37], v[22:23], v[50:51]
	s_nop 0
	v_min3_f32 v139, v36, v37, v82
	v_pk_add_f32 v[36:37], v[26:27], v[50:51]
	s_nop 0
	;; [unrolled: 3-line block ×6, first 2 shown]
	v_min3_f32 v131, v36, v37, v52
	ds_read_b128 v[52:55], v75 offset:3072
	v_pk_add_f32 v[36:37], v[2:3], v[50:51]
	ds_read_b128 v[48:51], v75 offset:3584
	v_min3_f32 v136, v36, v37, v87
	ds_write_b32 v63, v57 offset:9216
	ds_write2st64_b32 v76, v59, v60 offset0:16 offset1:20
	ds_write2st64_b32 v76, v61, v62 offset0:24 offset1:28
	s_waitcnt lgkmcnt(4)
	v_pk_add_f32 v[32:33], v[12:13], v[52:53]
	v_pk_add_f32 v[36:37], v[28:29], v[52:53]
	v_min3_f32 v69, v32, v33, s14
	v_pk_add_f32 v[32:33], v[14:15], v[46:47]
	s_waitcnt lgkmcnt(3)
	v_pk_add_f32 v[12:13], v[12:13], v[48:49]
	v_min3_f32 v134, v32, v33, v88
	v_pk_add_f32 v[32:33], v[22:23], v[46:47]
	s_waitcnt lgkmcnt(0)
	v_min3_f32 v132, v32, v33, v89
	v_pk_add_f32 v[32:33], v[26:27], v[46:47]
	s_barrier
	v_min3_f32 v130, v32, v33, v90
	v_pk_add_f32 v[32:33], v[30:31], v[46:47]
	s_nop 0
	v_min3_f32 v129, v32, v33, v91
	v_pk_add_f32 v[32:33], v[18:19], v[46:47]
	s_nop 0
	;; [unrolled: 3-line block ×6, first 2 shown]
	v_min3_f32 v81, v32, v33, s14
	v_pk_add_f32 v[32:33], v[2:3], v[46:47]
	v_min3_f32 v46, v36, v37, s14
	v_min3_f32 v125, v32, v33, v95
	v_pk_add_f32 v[32:33], v[14:15], v[42:43]
	v_pk_add_f32 v[36:37], v[16:17], v[52:53]
	v_min3_f32 v123, v32, v33, v96
	v_pk_add_f32 v[32:33], v[22:23], v[42:43]
	v_min3_f32 v47, v36, v37, s14
	v_min3_f32 v122, v32, v33, v97
	v_pk_add_f32 v[32:33], v[26:27], v[42:43]
	v_pk_add_f32 v[36:37], v[0:1], v[52:53]
	v_min3_f32 v121, v32, v33, v98
	v_pk_add_f32 v[32:33], v[30:31], v[42:43]
	v_min3_f32 v36, v36, v37, s14
	v_min3_f32 v120, v32, v33, v99
	v_pk_add_f32 v[32:33], v[18:19], v[42:43]
	v_min3_f32 v37, v12, v13, s14
	v_min3_f32 v119, v32, v33, v100
	v_pk_add_f32 v[32:33], v[10:11], v[42:43]
	v_pk_add_f32 v[12:13], v[14:15], v[34:35]
	v_min3_f32 v118, v32, v33, v101
	v_pk_add_f32 v[32:33], v[6:7], v[42:43]
	v_pk_add_f32 v[0:1], v[0:1], v[48:49]
	;; [unrolled: 3-line block ×3, first 2 shown]
	v_min3_f32 v44, v32, v33, s14
	v_pk_add_f32 v[32:33], v[4:5], v[52:53]
	v_min3_f32 v16, v16, v17, s14
	v_min3_f32 v82, v32, v33, s14
	v_pk_add_f32 v[32:33], v[2:3], v[42:43]
	v_pk_add_f32 v[8:9], v[8:9], v[48:49]
	v_min3_f32 v116, v32, v33, v45
	v_pk_add_f32 v[32:33], v[14:15], v[38:39]
	v_min3_f32 v8, v8, v9, s14
	v_min3_f32 v115, v32, v33, v102
	v_pk_add_f32 v[32:33], v[22:23], v[38:39]
	v_pk_add_f32 v[4:5], v[4:5], v[48:49]
	v_min3_f32 v114, v32, v33, v103
	v_pk_add_f32 v[32:33], v[26:27], v[38:39]
	v_min3_f32 v9, v4, v5, s14
	v_min3_f32 v113, v32, v33, v104
	v_pk_add_f32 v[32:33], v[30:31], v[38:39]
	v_pk_add_f32 v[4:5], v[2:3], v[54:55]
	v_min3_f32 v112, v32, v33, v105
	v_pk_add_f32 v[32:33], v[18:19], v[38:39]
	v_min3_f32 v92, v4, v5, v36
	v_min3_f32 v111, v32, v33, v106
	v_pk_add_f32 v[32:33], v[10:11], v[38:39]
	s_nop 0
	v_min3_f32 v110, v32, v33, v107
	v_min3_f32 v107, v12, v13, v124
	v_pk_add_f32 v[12:13], v[22:23], v[34:35]
	v_pk_add_f32 v[32:33], v[6:7], v[38:39]
	v_min3_f32 v106, v12, v13, v146
	v_pk_add_f32 v[12:13], v[26:27], v[34:35]
	v_min3_f32 v109, v32, v33, v40
	v_min3_f32 v105, v12, v13, v147
	v_pk_add_f32 v[12:13], v[30:31], v[34:35]
	v_pk_add_f32 v[32:33], v[2:3], v[38:39]
	v_min3_f32 v104, v12, v13, v148
	v_pk_add_f32 v[12:13], v[18:19], v[34:35]
	v_min3_f32 v108, v32, v33, v41
	v_min3_f32 v103, v12, v13, v149
	v_pk_add_f32 v[12:13], v[10:11], v[34:35]
	s_nop 0
	v_min3_f32 v102, v12, v13, v66
	v_pk_add_f32 v[12:13], v[6:7], v[34:35]
	s_nop 0
	v_min3_f32 v101, v12, v13, v68
	v_pk_add_f32 v[12:13], v[20:21], v[48:49]
	v_pk_add_f32 v[20:21], v[28:29], v[48:49]
	v_min3_f32 v32, v12, v13, s14
	v_pk_add_f32 v[12:13], v[24:25], v[48:49]
	v_min3_f32 v20, v20, v21, s14
	v_min3_f32 v24, v12, v13, s14
	v_pk_add_f32 v[12:13], v[2:3], v[34:35]
	s_nop 0
	v_min3_f32 v100, v12, v13, v67
	v_pk_add_f32 v[12:13], v[14:15], v[54:55]
	s_nop 0
	;; [unrolled: 3-line block ×8, first 2 shown]
	v_min3_f32 v93, v12, v13, v82
	v_min3_f32 v12, v0, v1, s14
	v_pk_add_f32 v[0:1], v[14:15], v[50:51]
	s_nop 0
	v_min3_f32 v91, v0, v1, v37
	v_pk_add_f32 v[0:1], v[22:23], v[50:51]
	s_nop 0
	;; [unrolled: 3-line block ×8, first 2 shown]
	v_min3_f32 v88, v0, v1, v12
	s_cbranch_scc1 .LBB77_52
; %bb.30:
	v_mov_b32_e32 v0, 0x2400
	v_lshl_add_u32 v124, v70, 4, v0
	v_mov_b32_e32 v0, 0x1000
	v_lshl_add_u32 v146, v71, 4, v0
	v_mad_i64_i32 v[0:1], s[10:11], v58, s38, 0
	v_mov_b32_e32 v57, 0
	v_lshl_add_u64 v[0:1], v[0:1], 2, v[56:57]
	v_lshl_add_u64 v[0:1], v[0:1], 0, s[36:37]
	v_add_u32_e32 v80, 0x2000, v63
	v_add_u32_e32 v81, 0x2000, v74
	;; [unrolled: 1-line block ×3, first 2 shown]
	v_or_b32_e32 v83, 0x1000, v76
	s_add_i32 s39, s22, -8
	v_lshl_add_u64 v[66:67], v[0:1], 0, 48
	s_mov_b32 s36, 0
	v_mov_b32_e32 v147, 0x7f7fffff
	s_branch .LBB77_32
.LBB77_31:                              ;   in Loop: Header=BB77_32 Depth=1
	s_or_b64 exec, exec, s[10:11]
	ds_read_b128 v[0:3], v81
	ds_read_b128 v[4:7], v81 offset:128
	ds_read_b128 v[8:11], v81 offset:256
	;; [unrolled: 1-line block ×7, first 2 shown]
	ds_read_b128 v[118:121], v75
	ds_read_b128 v[126:129], v75 offset:512
	ds_read_b128 v[152:155], v75 offset:1024
	;; [unrolled: 1-line block ×7, first 2 shown]
	s_waitcnt lgkmcnt(7)
	v_pk_add_f32 v[68:69], v[0:1], v[118:119]
	s_add_i32 s36, s36, 8
	v_min3_f32 v37, v68, v69, v37
	v_pk_add_f32 v[68:69], v[4:5], v[118:119]
	s_cmp_ge_i32 s36, s39
	v_min3_f32 v122, v68, v69, v40
	v_pk_add_f32 v[68:69], v[8:9], v[118:119]
	v_lshl_add_u64 v[66:67], v[66:67], 0, 32
	v_min3_f32 v68, v68, v69, v41
	v_pk_add_f32 v[40:41], v[12:13], v[118:119]
	ds_write_b32 v82, v148
	ds_write2st64_b32 v83, v149, v150 offset1:4
	ds_write2st64_b32 v83, v151, v36 offset0:8 offset1:12
	v_min3_f32 v44, v40, v41, v44
	v_pk_add_f32 v[40:41], v[16:17], v[118:119]
	s_waitcnt lgkmcnt(0)
	v_min3_f32 v45, v40, v41, v45
	v_pk_add_f32 v[40:41], v[20:21], v[118:119]
	s_barrier
	v_min3_f32 v48, v40, v41, v48
	v_pk_add_f32 v[40:41], v[24:25], v[118:119]
	s_nop 0
	v_min3_f32 v49, v40, v41, v49
	v_pk_add_f32 v[40:41], v[28:29], v[118:119]
	s_nop 0
	;; [unrolled: 3-line block ×42, first 2 shown]
	v_min3_f32 v42, v40, v41, v42
	v_pk_add_f32 v[40:41], v[0:1], v[168:169]
	v_pk_add_f32 v[0:1], v[0:1], v[32:33]
	v_min3_f32 v43, v40, v41, v43
	v_min3_f32 v39, v0, v1, v39
	v_pk_add_f32 v[0:1], v[4:5], v[32:33]
	v_pk_add_f32 v[40:41], v[4:5], v[168:169]
	v_min3_f32 v4, v0, v1, v111
	v_pk_add_f32 v[0:1], v[8:9], v[32:33]
	v_min3_f32 v156, v40, v41, v105
	v_min3_f32 v5, v0, v1, v112
	v_pk_add_f32 v[0:1], v[12:13], v[32:33]
	v_pk_add_f32 v[40:41], v[8:9], v[168:169]
	v_min3_f32 v8, v0, v1, v113
	;; [unrolled: 6-line block ×7, first 2 shown]
	v_pk_add_f32 v[0:1], v[26:27], v[120:121]
	v_min3_f32 v38, v40, v41, v38
	v_min3_f32 v78, v0, v1, v49
	v_pk_add_f32 v[0:1], v[30:31], v[120:121]
	s_nop 0
	v_min3_f32 v141, v0, v1, v52
	v_pk_add_f32 v[0:1], v[2:3], v[128:129]
	s_nop 0
	;; [unrolled: 3-line block ×57, first 2 shown]
	v_min3_f32 v88, v0, v1, v16
	s_cbranch_scc1 .LBB77_52
.LBB77_32:                              ; =>This Inner Loop Header: Depth=1
	v_add_u32_e32 v68, s36, v72
	v_add_u32_e32 v0, 8, v68
	v_cmp_le_i32_e64 s[10:11], s22, v0
	s_or_b64 s[10:11], s[10:11], vcc
	s_nop 0
	v_cndmask_b32_e64 v148, 0, v147, s[10:11]
	s_or_b64 s[10:11], s[30:31], s[10:11]
	s_xor_b64 s[10:11], s[10:11], -1
	s_and_saveexec_b64 s[14:15], s[10:11]
	s_cbranch_execz .LBB77_34
; %bb.33:                               ;   in Loop: Header=BB77_32 Depth=1
	v_add_co_u32_e64 v0, s[10:11], -16, v66
	s_nop 1
	v_addc_co_u32_e64 v1, s[10:11], -1, v67, s[10:11]
	flat_load_dword v0, v[0:1]
	s_waitcnt vmcnt(0) lgkmcnt(0)
	v_mul_f32_e32 v148, s23, v0
.LBB77_34:                              ;   in Loop: Header=BB77_32 Depth=1
	s_or_b64 exec, exec, s[14:15]
	v_add_u32_e32 v69, s36, v73
	v_add_u32_e32 v0, 8, v69
	v_cmp_le_i32_e64 s[10:11], s22, v0
	v_min_i32_e32 v0, s33, v0
	v_mad_i64_i32 v[0:1], s[14:15], v0, s17, 0
	s_or_b64 s[14:15], s[12:13], s[10:11]
	v_lshl_add_u64 v[0:1], v[0:1], 2, s[34:35]
	v_cndmask_b32_e64 v149, 0, v147, s[14:15]
	s_or_b64 s[14:15], s[30:31], s[14:15]
	s_xor_b64 s[40:41], s[14:15], -1
	v_lshl_add_u64 v[0:1], v[64:65], 2, v[0:1]
	s_and_saveexec_b64 s[14:15], s[40:41]
	s_cbranch_execz .LBB77_36
; %bb.35:                               ;   in Loop: Header=BB77_32 Depth=1
	flat_load_dword v2, v[0:1]
	s_waitcnt vmcnt(0) lgkmcnt(0)
	v_mul_f32_e32 v149, s23, v2
.LBB77_36:                              ;   in Loop: Header=BB77_32 Depth=1
	s_or_b64 exec, exec, s[14:15]
	s_or_b64 s[14:15], s[4:5], s[10:11]
	v_cndmask_b32_e64 v150, 0, v147, s[14:15]
	s_or_b64 s[14:15], s[30:31], s[14:15]
	s_xor_b64 s[40:41], s[14:15], -1
	s_and_saveexec_b64 s[14:15], s[40:41]
	s_cbranch_execz .LBB77_38
; %bb.37:                               ;   in Loop: Header=BB77_32 Depth=1
	flat_load_dword v2, v[0:1] offset:256
	s_waitcnt vmcnt(0) lgkmcnt(0)
	v_mul_f32_e32 v150, s23, v2
.LBB77_38:                              ;   in Loop: Header=BB77_32 Depth=1
	s_or_b64 exec, exec, s[14:15]
	s_or_b64 s[14:15], s[6:7], s[10:11]
	v_cndmask_b32_e64 v151, 0, v147, s[14:15]
	s_or_b64 s[14:15], s[30:31], s[14:15]
	s_xor_b64 s[40:41], s[14:15], -1
	s_and_saveexec_b64 s[14:15], s[40:41]
	s_cbranch_execz .LBB77_40
; %bb.39:                               ;   in Loop: Header=BB77_32 Depth=1
	flat_load_dword v2, v[0:1] offset:512
	s_waitcnt vmcnt(0) lgkmcnt(0)
	v_mul_f32_e32 v151, s23, v2
.LBB77_40:                              ;   in Loop: Header=BB77_32 Depth=1
	;; [unrolled: 12-line block ×3, first 2 shown]
	s_or_b64 exec, exec, s[10:11]
	ds_read_b128 v[28:31], v124
	ds_read_b128 v[24:27], v124 offset:128
	ds_read_b128 v[20:23], v124 offset:256
	;; [unrolled: 1-line block ×7, first 2 shown]
	ds_read_b128 v[60:63], v146
	ds_read_b128 v[56:59], v146 offset:512
	ds_read_b128 v[52:55], v146 offset:1024
	;; [unrolled: 1-line block ×7, first 2 shown]
	v_add_u32_e32 v68, 12, v68
	v_cmp_le_i32_e64 s[10:11], s22, v68
	s_or_b64 s[10:11], s[10:11], vcc
	ds_write_b32 v80, v148
	ds_write2st64_b32 v76, v149, v150 offset1:4
	ds_write2st64_b32 v76, v151, v152 offset0:8 offset1:12
	v_cndmask_b32_e64 v148, 0, v147, s[10:11]
	s_or_b64 s[10:11], s[30:31], s[10:11]
	s_xor_b64 s[14:15], s[10:11], -1
	s_waitcnt lgkmcnt(0)
	s_barrier
	s_and_saveexec_b64 s[10:11], s[14:15]
	s_cbranch_execz .LBB77_44
; %bb.43:                               ;   in Loop: Header=BB77_32 Depth=1
	flat_load_dword v68, v[66:67]
	s_waitcnt vmcnt(0) lgkmcnt(0)
	v_mul_f32_e32 v148, s23, v68
.LBB77_44:                              ;   in Loop: Header=BB77_32 Depth=1
	s_or_b64 exec, exec, s[10:11]
	v_add_u32_e32 v68, 12, v69
	v_cmp_le_i32_e64 s[10:11], s22, v68
	v_min_i32_e32 v68, s33, v68
	v_mad_i64_i32 v[68:69], s[14:15], v68, s17, 0
	s_or_b64 s[14:15], s[12:13], s[10:11]
	v_lshl_add_u64 v[68:69], v[68:69], 2, s[34:35]
	v_cndmask_b32_e64 v149, 0, v147, s[14:15]
	s_or_b64 s[14:15], s[30:31], s[14:15]
	s_xor_b64 s[40:41], s[14:15], -1
	v_lshl_add_u64 v[68:69], v[64:65], 2, v[68:69]
	s_and_saveexec_b64 s[14:15], s[40:41]
	s_cbranch_execz .LBB77_46
; %bb.45:                               ;   in Loop: Header=BB77_32 Depth=1
	flat_load_dword v149, v[68:69]
	s_waitcnt vmcnt(0) lgkmcnt(0)
	v_mul_f32_e32 v149, s23, v149
.LBB77_46:                              ;   in Loop: Header=BB77_32 Depth=1
	s_or_b64 exec, exec, s[14:15]
	s_or_b64 s[14:15], s[4:5], s[10:11]
	v_cndmask_b32_e64 v150, 0, v147, s[14:15]
	s_or_b64 s[14:15], s[30:31], s[14:15]
	s_xor_b64 s[40:41], s[14:15], -1
	s_and_saveexec_b64 s[14:15], s[40:41]
	s_cbranch_execz .LBB77_48
; %bb.47:                               ;   in Loop: Header=BB77_32 Depth=1
	flat_load_dword v150, v[68:69] offset:256
	s_waitcnt vmcnt(0) lgkmcnt(0)
	v_mul_f32_e32 v150, s23, v150
.LBB77_48:                              ;   in Loop: Header=BB77_32 Depth=1
	s_or_b64 exec, exec, s[14:15]
	s_or_b64 s[14:15], s[6:7], s[10:11]
	v_cndmask_b32_e64 v151, 0, v147, s[14:15]
	s_or_b64 s[14:15], s[30:31], s[14:15]
	s_xor_b64 s[40:41], s[14:15], -1
	s_and_saveexec_b64 s[14:15], s[40:41]
	s_cbranch_execz .LBB77_50
; %bb.49:                               ;   in Loop: Header=BB77_32 Depth=1
	flat_load_dword v151, v[68:69] offset:512
	s_waitcnt vmcnt(0) lgkmcnt(0)
	v_mul_f32_e32 v151, s23, v151
.LBB77_50:                              ;   in Loop: Header=BB77_32 Depth=1
	s_or_b64 exec, exec, s[14:15]
	v_pk_add_f32 v[152:153], v[28:29], v[60:61]
	s_or_b64 s[10:11], s[8:9], s[10:11]
	v_min3_f32 v154, v152, v153, v145
	v_pk_add_f32 v[152:153], v[24:25], v[60:61]
	s_nop 0
	v_min3_f32 v152, v152, v153, v144
	v_pk_add_f32 v[144:145], v[20:21], v[60:61]
	s_nop 0
	v_min3_f32 v153, v144, v145, v143
	v_pk_add_f32 v[144:145], v[16:17], v[60:61]
	s_nop 0
	v_min3_f32 v144, v144, v145, v142
	v_pk_add_f32 v[142:143], v[12:13], v[60:61]
	s_nop 0
	v_min3_f32 v79, v142, v143, v79
	v_pk_add_f32 v[142:143], v[8:9], v[60:61]
	s_nop 0
	v_min3_f32 v77, v142, v143, v77
	v_pk_add_f32 v[142:143], v[4:5], v[60:61]
	v_pk_add_f32 v[60:61], v[0:1], v[60:61]
	v_min3_f32 v78, v142, v143, v78
	v_min3_f32 v141, v60, v61, v141
	v_pk_add_f32 v[60:61], v[28:29], v[56:57]
	s_nop 0
	v_min3_f32 v140, v60, v61, v140
	v_pk_add_f32 v[60:61], v[24:25], v[56:57]
	s_nop 0
	v_min3_f32 v139, v60, v61, v139
	v_pk_add_f32 v[60:61], v[20:21], v[56:57]
	s_nop 0
	v_min3_f32 v138, v60, v61, v138
	v_pk_add_f32 v[60:61], v[16:17], v[56:57]
	s_nop 0
	v_min3_f32 v137, v60, v61, v137
	v_pk_add_f32 v[60:61], v[12:13], v[56:57]
	s_nop 0
	v_min3_f32 v135, v60, v61, v135
	v_pk_add_f32 v[60:61], v[8:9], v[56:57]
	s_nop 0
	v_min3_f32 v133, v60, v61, v133
	v_pk_add_f32 v[60:61], v[4:5], v[56:57]
	v_pk_add_f32 v[56:57], v[0:1], v[56:57]
	v_min3_f32 v131, v60, v61, v131
	v_min3_f32 v136, v56, v57, v136
	v_pk_add_f32 v[56:57], v[28:29], v[52:53]
	s_nop 0
	v_min3_f32 v134, v56, v57, v134
	v_pk_add_f32 v[56:57], v[24:25], v[52:53]
	s_nop 0
	v_min3_f32 v132, v56, v57, v132
	v_pk_add_f32 v[56:57], v[20:21], v[52:53]
	s_nop 0
	v_min3_f32 v130, v56, v57, v130
	v_pk_add_f32 v[56:57], v[16:17], v[52:53]
	s_nop 0
	v_min3_f32 v129, v56, v57, v129
	v_pk_add_f32 v[56:57], v[12:13], v[52:53]
	s_nop 0
	v_min3_f32 v128, v56, v57, v128
	v_pk_add_f32 v[56:57], v[8:9], v[52:53]
	s_nop 0
	v_min3_f32 v127, v56, v57, v127
	v_pk_add_f32 v[56:57], v[4:5], v[52:53]
	v_pk_add_f32 v[52:53], v[0:1], v[52:53]
	v_min3_f32 v126, v56, v57, v126
	v_min3_f32 v125, v52, v53, v125
	v_pk_add_f32 v[52:53], v[28:29], v[48:49]
	s_nop 0
	v_min3_f32 v123, v52, v53, v123
	v_pk_add_f32 v[52:53], v[24:25], v[48:49]
	s_nop 0
	v_min3_f32 v122, v52, v53, v122
	v_pk_add_f32 v[52:53], v[20:21], v[48:49]
	s_nop 0
	v_min3_f32 v121, v52, v53, v121
	v_pk_add_f32 v[52:53], v[16:17], v[48:49]
	s_nop 0
	v_min3_f32 v120, v52, v53, v120
	v_pk_add_f32 v[52:53], v[12:13], v[48:49]
	s_nop 0
	v_min3_f32 v119, v52, v53, v119
	v_pk_add_f32 v[52:53], v[8:9], v[48:49]
	s_nop 0
	v_min3_f32 v118, v52, v53, v118
	v_pk_add_f32 v[52:53], v[4:5], v[48:49]
	v_pk_add_f32 v[48:49], v[0:1], v[48:49]
	v_min3_f32 v117, v52, v53, v117
	v_min3_f32 v116, v48, v49, v116
	v_pk_add_f32 v[48:49], v[28:29], v[44:45]
	s_nop 0
	v_min3_f32 v115, v48, v49, v115
	v_pk_add_f32 v[48:49], v[24:25], v[44:45]
	s_nop 0
	v_min3_f32 v114, v48, v49, v114
	v_pk_add_f32 v[48:49], v[20:21], v[44:45]
	s_nop 0
	v_min3_f32 v113, v48, v49, v113
	v_pk_add_f32 v[48:49], v[16:17], v[44:45]
	s_nop 0
	v_min3_f32 v112, v48, v49, v112
	v_pk_add_f32 v[48:49], v[12:13], v[44:45]
	s_nop 0
	v_min3_f32 v111, v48, v49, v111
	v_pk_add_f32 v[48:49], v[8:9], v[44:45]
	s_nop 0
	v_min3_f32 v110, v48, v49, v110
	v_pk_add_f32 v[48:49], v[4:5], v[44:45]
	v_pk_add_f32 v[44:45], v[0:1], v[44:45]
	v_min3_f32 v109, v48, v49, v109
	v_min3_f32 v108, v44, v45, v108
	v_pk_add_f32 v[44:45], v[28:29], v[40:41]
	s_nop 0
	v_min3_f32 v107, v44, v45, v107
	v_pk_add_f32 v[44:45], v[24:25], v[40:41]
	s_nop 0
	v_min3_f32 v106, v44, v45, v106
	v_pk_add_f32 v[44:45], v[20:21], v[40:41]
	s_nop 0
	;; [unrolled: 3-line block ×5, first 2 shown]
	v_min3_f32 v142, v44, v45, v102
	v_pk_add_f32 v[44:45], v[4:5], v[40:41]
	v_pk_add_f32 v[40:41], v[0:1], v[40:41]
	v_min3_f32 v143, v44, v45, v101
	v_min3_f32 v145, v40, v41, v100
	v_pk_add_f32 v[40:41], v[28:29], v[36:37]
	v_pk_add_f32 v[28:29], v[28:29], v[32:33]
	v_min3_f32 v155, v40, v41, v99
	v_pk_add_f32 v[40:41], v[24:25], v[36:37]
	v_pk_add_f32 v[24:25], v[24:25], v[32:33]
	v_min3_f32 v156, v40, v41, v98
	v_pk_add_f32 v[40:41], v[20:21], v[36:37]
	v_pk_add_f32 v[20:21], v[20:21], v[32:33]
	v_min3_f32 v157, v40, v41, v97
	v_pk_add_f32 v[40:41], v[16:17], v[36:37]
	v_pk_add_f32 v[16:17], v[16:17], v[32:33]
	v_min3_f32 v158, v40, v41, v96
	v_pk_add_f32 v[40:41], v[12:13], v[36:37]
	v_pk_add_f32 v[12:13], v[12:13], v[32:33]
	v_min3_f32 v159, v40, v41, v95
	v_pk_add_f32 v[40:41], v[8:9], v[36:37]
	v_pk_add_f32 v[8:9], v[8:9], v[32:33]
	v_min3_f32 v160, v40, v41, v94
	v_pk_add_f32 v[40:41], v[4:5], v[36:37]
	v_pk_add_f32 v[36:37], v[0:1], v[36:37]
	v_pk_add_f32 v[4:5], v[4:5], v[32:33]
	v_pk_add_f32 v[0:1], v[0:1], v[32:33]
	v_min3_f32 v4, v4, v5, v84
	v_min3_f32 v5, v0, v1, v88
	v_pk_add_f32 v[0:1], v[30:31], v[62:63]
	v_min3_f32 v36, v36, v37, v92
	v_min3_f32 v37, v0, v1, v154
	v_pk_add_f32 v[0:1], v[26:27], v[62:63]
	v_min3_f32 v161, v40, v41, v93
	v_min3_f32 v40, v0, v1, v152
	v_pk_add_f32 v[0:1], v[22:23], v[62:63]
	v_min3_f32 v8, v8, v9, v85
	v_min3_f32 v41, v0, v1, v153
	v_pk_add_f32 v[0:1], v[18:19], v[62:63]
	v_min3_f32 v12, v12, v13, v86
	v_min3_f32 v44, v0, v1, v144
	v_pk_add_f32 v[0:1], v[14:15], v[62:63]
	v_min3_f32 v16, v16, v17, v87
	v_min3_f32 v45, v0, v1, v79
	v_pk_add_f32 v[0:1], v[10:11], v[62:63]
	v_min3_f32 v20, v20, v21, v89
	v_min3_f32 v48, v0, v1, v77
	v_pk_add_f32 v[0:1], v[6:7], v[62:63]
	v_min3_f32 v24, v24, v25, v90
	v_min3_f32 v49, v0, v1, v78
	v_pk_add_f32 v[0:1], v[2:3], v[62:63]
	v_min3_f32 v28, v28, v29, v91
	v_min3_f32 v52, v0, v1, v141
	v_pk_add_f32 v[0:1], v[30:31], v[58:59]
	s_nop 0
	v_min3_f32 v53, v0, v1, v140
	v_pk_add_f32 v[0:1], v[26:27], v[58:59]
	s_nop 0
	v_min3_f32 v56, v0, v1, v139
	;; [unrolled: 3-line block ×48, first 2 shown]
	v_pk_add_f32 v[0:1], v[30:31], v[34:35]
	v_cndmask_b32_e64 v36, 0, v147, s[10:11]
	v_min3_f32 v39, v0, v1, v28
	v_pk_add_f32 v[0:1], v[26:27], v[34:35]
	s_or_b64 s[10:11], s[30:31], s[10:11]
	v_min3_f32 v111, v0, v1, v24
	v_pk_add_f32 v[0:1], v[22:23], v[34:35]
	s_xor_b64 s[14:15], s[10:11], -1
	v_min3_f32 v112, v0, v1, v20
	v_pk_add_f32 v[0:1], v[18:19], v[34:35]
	s_nop 0
	v_min3_f32 v113, v0, v1, v16
	v_pk_add_f32 v[0:1], v[14:15], v[34:35]
	s_nop 0
	;; [unrolled: 3-line block ×5, first 2 shown]
	v_min3_f32 v117, v0, v1, v5
	s_and_saveexec_b64 s[10:11], s[14:15]
	s_cbranch_execz .LBB77_31
; %bb.51:                               ;   in Loop: Header=BB77_32 Depth=1
	flat_load_dword v0, v[68:69] offset:768
	s_waitcnt vmcnt(0) lgkmcnt(0)
	v_mul_f32_e32 v36, s23, v0
	s_branch .LBB77_31
.LBB77_52:
	s_load_dwordx2 s[4:5], s[0:1], 0x70
	s_load_dword s31, s[0:1], 0x50
	s_load_dword s30, s[0:1], 0x68
	ds_read_b128 v[32:35], v74 offset:9216
	ds_read_b128 v[28:31], v74 offset:9344
	;; [unrolled: 1-line block ×16, first 2 shown]
	v_add_u32_e32 v124, s16, v71
	s_waitcnt lgkmcnt(0)
	s_mul_i32 s0, s3, s5
	s_mul_hi_u32 s1, s3, s4
	s_mul_i32 s5, s29, s4
	s_add_i32 s0, s1, s0
	s_add_i32 s1, s0, s5
	s_mul_i32 s0, s3, s4
	s_lshl_b64 s[0:1], s[0:1], 2
	s_add_u32 s22, s18, s0
	s_addc_u32 s23, s19, s1
	v_mad_i64_i32 v[66:67], s[0:1], v124, s31, 0
	v_add_u32_e32 v64, s2, v70
	v_lshl_add_u64 v[82:83], v[66:67], 2, s[24:25]
	v_mad_i64_i32 v[66:67], s[0:1], v124, s30, 0
	v_cmp_gt_i32_e64 s[18:19], s21, v124
	v_lshl_add_u64 v[80:81], v[66:67], 2, s[22:23]
	v_cmp_gt_i32_e64 s[2:3], s20, v64
	v_cndmask_b32_e64 v66, 0, 1, s[26:27]
	s_and_b64 s[6:7], s[2:3], s[18:19]
	v_ashrrev_i32_e32 v65, 31, v64
	v_cmp_ne_u32_e64 s[0:1], 1, v66
	s_and_saveexec_b64 s[4:5], s[6:7]
	s_cbranch_execz .LBB77_57
; %bb.53:
	s_and_b64 vcc, exec, s[0:1]
	s_cbranch_vccnz .LBB77_55
; %bb.54:
	v_lshl_add_u64 v[66:67], v[64:65], 2, v[82:83]
	flat_load_dword v66, v[66:67]
	s_waitcnt vmcnt(0) lgkmcnt(0)
	v_mul_f32_e32 v66, s28, v66
	s_branch .LBB77_56
.LBB77_55:
	v_mov_b32_e32 v66, 0
.LBB77_56:
	v_pk_add_f32 v[68:69], v[32:33], v[60:61]
	s_nop 0
	v_min3_f32 v67, v68, v69, v145
	v_pk_add_f32 v[68:69], v[34:35], v[62:63]
	s_nop 0
	v_min_f32_e32 v68, v68, v69
	v_min3_f32 v68, v66, v68, v67
	v_lshl_add_u64 v[66:67], v[64:65], 2, v[80:81]
	global_store_dword v[66:67], v68, off
.LBB77_57:
	s_or_b64 exec, exec, s[4:5]
	v_add_u32_e32 v66, 8, v64
	v_cmp_gt_i32_e64 s[4:5], s20, v66
	s_and_b64 s[8:9], s[4:5], s[18:19]
	v_ashrrev_i32_e32 v67, 31, v66
	s_and_saveexec_b64 s[6:7], s[8:9]
	s_cbranch_execz .LBB77_62
; %bb.58:
	s_and_b64 vcc, exec, s[0:1]
	s_cbranch_vccnz .LBB77_60
; %bb.59:
	v_lshl_add_u64 v[68:69], v[66:67], 2, v[82:83]
	flat_load_dword v68, v[68:69]
	s_waitcnt vmcnt(0) lgkmcnt(0)
	v_mul_f32_e32 v68, s28, v68
	s_branch .LBB77_61
.LBB77_60:
	v_mov_b32_e32 v68, 0
.LBB77_61:
	v_pk_add_f32 v[70:71], v[28:29], v[60:61]
	s_nop 0
	v_min3_f32 v69, v70, v71, v144
	v_pk_add_f32 v[70:71], v[30:31], v[62:63]
	s_nop 0
	v_min_f32_e32 v70, v70, v71
	v_min3_f32 v70, v68, v70, v69
	v_lshl_add_u64 v[68:69], v[66:67], 2, v[80:81]
	global_store_dword v[68:69], v70, off
.LBB77_62:
	s_or_b64 exec, exec, s[6:7]
	v_add_u32_e32 v68, 16, v64
	v_cmp_gt_i32_e64 s[6:7], s20, v68
	s_and_b64 s[10:11], s[6:7], s[18:19]
	v_ashrrev_i32_e32 v69, 31, v68
	;; [unrolled: 29-line block ×7, first 2 shown]
	s_and_saveexec_b64 s[18:19], s[26:27]
	s_cbranch_execz .LBB77_92
; %bb.88:
	s_and_b64 vcc, exec, s[0:1]
	s_cbranch_vccnz .LBB77_90
; %bb.89:
	v_lshl_add_u64 v[82:83], v[78:79], 2, v[82:83]
	flat_load_dword v82, v[82:83]
	s_waitcnt vmcnt(0) lgkmcnt(0)
	v_mul_f32_e32 v82, s28, v82
	s_branch .LBB77_91
.LBB77_90:
	v_mov_b32_e32 v82, 0
.LBB77_91:
	v_pk_add_f32 v[60:61], v[0:1], v[60:61]
	s_nop 0
	v_min3_f32 v83, v60, v61, v141
	v_pk_add_f32 v[60:61], v[2:3], v[62:63]
	s_nop 0
	v_min_f32_e32 v60, v60, v61
	v_min3_f32 v62, v82, v60, v83
	v_lshl_add_u64 v[60:61], v[78:79], 2, v[80:81]
	global_store_dword v[60:61], v62, off
.LBB77_92:
	s_or_b64 exec, exec, s[18:19]
	v_add_u32_e32 v80, 32, v124
	v_mad_i64_i32 v[60:61], s[26:27], v80, s31, 0
	v_cmp_gt_i32_e64 s[18:19], s21, v80
	v_lshl_add_u64 v[62:63], v[60:61], 2, s[24:25]
	v_mad_i64_i32 v[60:61], s[26:27], v80, s30, 0
	v_lshl_add_u64 v[60:61], v[60:61], 2, s[22:23]
	s_and_b64 s[34:35], s[2:3], s[18:19]
	s_and_saveexec_b64 s[26:27], s[34:35]
	s_cbranch_execnz .LBB77_100
; %bb.93:
	s_or_b64 exec, exec, s[26:27]
	s_and_b64 s[34:35], s[4:5], s[18:19]
	s_and_saveexec_b64 s[26:27], s[34:35]
	s_cbranch_execnz .LBB77_104
.LBB77_94:
	s_or_b64 exec, exec, s[26:27]
	s_and_b64 s[34:35], s[6:7], s[18:19]
	s_and_saveexec_b64 s[26:27], s[34:35]
	s_cbranch_execnz .LBB77_108
.LBB77_95:
	s_or_b64 exec, exec, s[26:27]
	s_and_b64 s[34:35], s[8:9], s[18:19]
	s_and_saveexec_b64 s[26:27], s[34:35]
	s_cbranch_execnz .LBB77_112
.LBB77_96:
	s_or_b64 exec, exec, s[26:27]
	s_and_b64 s[34:35], s[10:11], s[18:19]
	s_and_saveexec_b64 s[26:27], s[34:35]
	s_cbranch_execnz .LBB77_116
.LBB77_97:
	s_or_b64 exec, exec, s[26:27]
	s_and_b64 s[34:35], s[12:13], s[18:19]
	s_and_saveexec_b64 s[26:27], s[34:35]
	s_cbranch_execnz .LBB77_120
.LBB77_98:
	s_or_b64 exec, exec, s[26:27]
	s_and_b64 s[34:35], s[14:15], s[18:19]
	s_and_saveexec_b64 s[26:27], s[34:35]
	s_cbranch_execnz .LBB77_124
.LBB77_99:
	s_or_b64 exec, exec, s[26:27]
	s_and_b64 s[26:27], s[16:17], s[18:19]
	s_and_saveexec_b64 s[18:19], s[26:27]
	s_cbranch_execnz .LBB77_128
	s_branch .LBB77_132
.LBB77_100:
	s_and_b64 vcc, exec, s[0:1]
	s_cbranch_vccnz .LBB77_102
; %bb.101:
	v_lshl_add_u64 v[80:81], v[64:65], 2, v[62:63]
	flat_load_dword v80, v[80:81]
	s_waitcnt vmcnt(0) lgkmcnt(0)
	v_mul_f32_e32 v80, s28, v80
	s_branch .LBB77_103
.LBB77_102:
	v_mov_b32_e32 v80, 0
.LBB77_103:
	v_pk_add_f32 v[82:83], v[32:33], v[56:57]
	s_nop 0
	v_min3_f32 v81, v82, v83, v140
	v_pk_add_f32 v[82:83], v[34:35], v[58:59]
	s_nop 0
	v_min_f32_e32 v82, v82, v83
	v_min3_f32 v82, v80, v82, v81
	v_lshl_add_u64 v[80:81], v[64:65], 2, v[60:61]
	global_store_dword v[80:81], v82, off
	s_or_b64 exec, exec, s[26:27]
	s_and_b64 s[34:35], s[4:5], s[18:19]
	s_and_saveexec_b64 s[26:27], s[34:35]
	s_cbranch_execz .LBB77_94
.LBB77_104:
	s_and_b64 vcc, exec, s[0:1]
	s_cbranch_vccnz .LBB77_106
; %bb.105:
	v_lshl_add_u64 v[80:81], v[66:67], 2, v[62:63]
	flat_load_dword v80, v[80:81]
	s_waitcnt vmcnt(0) lgkmcnt(0)
	v_mul_f32_e32 v80, s28, v80
	s_branch .LBB77_107
.LBB77_106:
	v_mov_b32_e32 v80, 0
.LBB77_107:
	v_pk_add_f32 v[82:83], v[28:29], v[56:57]
	s_nop 0
	v_min3_f32 v81, v82, v83, v139
	v_pk_add_f32 v[82:83], v[30:31], v[58:59]
	s_nop 0
	v_min_f32_e32 v82, v82, v83
	v_min3_f32 v82, v80, v82, v81
	v_lshl_add_u64 v[80:81], v[66:67], 2, v[60:61]
	global_store_dword v[80:81], v82, off
	s_or_b64 exec, exec, s[26:27]
	s_and_b64 s[34:35], s[6:7], s[18:19]
	s_and_saveexec_b64 s[26:27], s[34:35]
	s_cbranch_execz .LBB77_95
.LBB77_108:
	s_and_b64 vcc, exec, s[0:1]
	s_cbranch_vccnz .LBB77_110
; %bb.109:
	v_lshl_add_u64 v[80:81], v[68:69], 2, v[62:63]
	flat_load_dword v80, v[80:81]
	s_waitcnt vmcnt(0) lgkmcnt(0)
	v_mul_f32_e32 v80, s28, v80
	s_branch .LBB77_111
.LBB77_110:
	v_mov_b32_e32 v80, 0
.LBB77_111:
	v_pk_add_f32 v[82:83], v[24:25], v[56:57]
	s_nop 0
	v_min3_f32 v81, v82, v83, v138
	v_pk_add_f32 v[82:83], v[26:27], v[58:59]
	s_nop 0
	v_min_f32_e32 v82, v82, v83
	v_min3_f32 v82, v80, v82, v81
	v_lshl_add_u64 v[80:81], v[68:69], 2, v[60:61]
	global_store_dword v[80:81], v82, off
	s_or_b64 exec, exec, s[26:27]
	s_and_b64 s[34:35], s[8:9], s[18:19]
	s_and_saveexec_b64 s[26:27], s[34:35]
	s_cbranch_execz .LBB77_96
.LBB77_112:
	s_and_b64 vcc, exec, s[0:1]
	s_cbranch_vccnz .LBB77_114
; %bb.113:
	v_lshl_add_u64 v[80:81], v[70:71], 2, v[62:63]
	flat_load_dword v80, v[80:81]
	s_waitcnt vmcnt(0) lgkmcnt(0)
	v_mul_f32_e32 v80, s28, v80
	s_branch .LBB77_115
.LBB77_114:
	v_mov_b32_e32 v80, 0
.LBB77_115:
	v_pk_add_f32 v[82:83], v[20:21], v[56:57]
	s_nop 0
	v_min3_f32 v81, v82, v83, v137
	v_pk_add_f32 v[82:83], v[22:23], v[58:59]
	s_nop 0
	v_min_f32_e32 v82, v82, v83
	v_min3_f32 v82, v80, v82, v81
	v_lshl_add_u64 v[80:81], v[70:71], 2, v[60:61]
	global_store_dword v[80:81], v82, off
	s_or_b64 exec, exec, s[26:27]
	s_and_b64 s[34:35], s[10:11], s[18:19]
	s_and_saveexec_b64 s[26:27], s[34:35]
	s_cbranch_execz .LBB77_97
.LBB77_116:
	s_and_b64 vcc, exec, s[0:1]
	s_cbranch_vccnz .LBB77_118
; %bb.117:
	v_lshl_add_u64 v[80:81], v[72:73], 2, v[62:63]
	flat_load_dword v80, v[80:81]
	s_waitcnt vmcnt(0) lgkmcnt(0)
	v_mul_f32_e32 v80, s28, v80
	s_branch .LBB77_119
.LBB77_118:
	v_mov_b32_e32 v80, 0
.LBB77_119:
	v_pk_add_f32 v[82:83], v[16:17], v[56:57]
	s_nop 0
	v_min3_f32 v81, v82, v83, v135
	v_pk_add_f32 v[82:83], v[18:19], v[58:59]
	s_nop 0
	v_min_f32_e32 v82, v82, v83
	v_min3_f32 v82, v80, v82, v81
	v_lshl_add_u64 v[80:81], v[72:73], 2, v[60:61]
	global_store_dword v[80:81], v82, off
	s_or_b64 exec, exec, s[26:27]
	s_and_b64 s[34:35], s[12:13], s[18:19]
	s_and_saveexec_b64 s[26:27], s[34:35]
	s_cbranch_execz .LBB77_98
.LBB77_120:
	s_and_b64 vcc, exec, s[0:1]
	s_cbranch_vccnz .LBB77_122
; %bb.121:
	v_lshl_add_u64 v[80:81], v[74:75], 2, v[62:63]
	flat_load_dword v80, v[80:81]
	s_waitcnt vmcnt(0) lgkmcnt(0)
	v_mul_f32_e32 v80, s28, v80
	s_branch .LBB77_123
.LBB77_122:
	v_mov_b32_e32 v80, 0
.LBB77_123:
	v_pk_add_f32 v[82:83], v[12:13], v[56:57]
	s_nop 0
	v_min3_f32 v81, v82, v83, v133
	v_pk_add_f32 v[82:83], v[14:15], v[58:59]
	s_nop 0
	v_min_f32_e32 v82, v82, v83
	v_min3_f32 v82, v80, v82, v81
	v_lshl_add_u64 v[80:81], v[74:75], 2, v[60:61]
	global_store_dword v[80:81], v82, off
	s_or_b64 exec, exec, s[26:27]
	s_and_b64 s[34:35], s[14:15], s[18:19]
	s_and_saveexec_b64 s[26:27], s[34:35]
	s_cbranch_execz .LBB77_99
.LBB77_124:
	s_and_b64 vcc, exec, s[0:1]
	s_cbranch_vccnz .LBB77_126
; %bb.125:
	v_lshl_add_u64 v[80:81], v[76:77], 2, v[62:63]
	flat_load_dword v80, v[80:81]
	s_waitcnt vmcnt(0) lgkmcnt(0)
	v_mul_f32_e32 v80, s28, v80
	s_branch .LBB77_127
.LBB77_126:
	v_mov_b32_e32 v80, 0
.LBB77_127:
	v_pk_add_f32 v[82:83], v[8:9], v[56:57]
	s_nop 0
	v_min3_f32 v81, v82, v83, v131
	v_pk_add_f32 v[82:83], v[10:11], v[58:59]
	s_nop 0
	v_min_f32_e32 v82, v82, v83
	v_min3_f32 v82, v80, v82, v81
	v_lshl_add_u64 v[80:81], v[76:77], 2, v[60:61]
	global_store_dword v[80:81], v82, off
	s_or_b64 exec, exec, s[26:27]
	s_and_b64 s[26:27], s[16:17], s[18:19]
	s_and_saveexec_b64 s[18:19], s[26:27]
	s_cbranch_execz .LBB77_132
.LBB77_128:
	s_and_b64 vcc, exec, s[0:1]
	s_cbranch_vccnz .LBB77_130
; %bb.129:
	v_lshl_add_u64 v[62:63], v[78:79], 2, v[62:63]
	flat_load_dword v62, v[62:63]
	s_waitcnt vmcnt(0) lgkmcnt(0)
	v_mul_f32_e32 v62, s28, v62
	s_branch .LBB77_131
.LBB77_130:
	v_mov_b32_e32 v62, 0
.LBB77_131:
	v_pk_add_f32 v[56:57], v[0:1], v[56:57]
	s_nop 0
	v_min3_f32 v63, v56, v57, v136
	v_pk_add_f32 v[56:57], v[2:3], v[58:59]
	s_nop 0
	v_min_f32_e32 v56, v56, v57
	v_min3_f32 v58, v62, v56, v63
	v_lshl_add_u64 v[56:57], v[78:79], 2, v[60:61]
	global_store_dword v[56:57], v58, off
.LBB77_132:
	s_or_b64 exec, exec, s[18:19]
	v_add_u32_e32 v60, 64, v124
	v_mad_i64_i32 v[56:57], s[26:27], v60, s31, 0
	v_cmp_gt_i32_e64 s[18:19], s21, v60
	v_lshl_add_u64 v[58:59], v[56:57], 2, s[24:25]
	v_mad_i64_i32 v[56:57], s[26:27], v60, s30, 0
	v_lshl_add_u64 v[56:57], v[56:57], 2, s[22:23]
	s_and_b64 s[34:35], s[2:3], s[18:19]
	s_and_saveexec_b64 s[26:27], s[34:35]
	s_cbranch_execnz .LBB77_140
; %bb.133:
	s_or_b64 exec, exec, s[26:27]
	s_and_b64 s[34:35], s[4:5], s[18:19]
	s_and_saveexec_b64 s[26:27], s[34:35]
	s_cbranch_execnz .LBB77_144
.LBB77_134:
	s_or_b64 exec, exec, s[26:27]
	s_and_b64 s[34:35], s[6:7], s[18:19]
	s_and_saveexec_b64 s[26:27], s[34:35]
	s_cbranch_execnz .LBB77_148
.LBB77_135:
	s_or_b64 exec, exec, s[26:27]
	s_and_b64 s[34:35], s[8:9], s[18:19]
	s_and_saveexec_b64 s[26:27], s[34:35]
	s_cbranch_execnz .LBB77_152
.LBB77_136:
	s_or_b64 exec, exec, s[26:27]
	s_and_b64 s[34:35], s[10:11], s[18:19]
	s_and_saveexec_b64 s[26:27], s[34:35]
	s_cbranch_execnz .LBB77_156
.LBB77_137:
	s_or_b64 exec, exec, s[26:27]
	s_and_b64 s[34:35], s[12:13], s[18:19]
	s_and_saveexec_b64 s[26:27], s[34:35]
	s_cbranch_execnz .LBB77_160
.LBB77_138:
	s_or_b64 exec, exec, s[26:27]
	s_and_b64 s[34:35], s[14:15], s[18:19]
	s_and_saveexec_b64 s[26:27], s[34:35]
	s_cbranch_execnz .LBB77_164
.LBB77_139:
	s_or_b64 exec, exec, s[26:27]
	s_and_b64 s[26:27], s[16:17], s[18:19]
	s_and_saveexec_b64 s[18:19], s[26:27]
	s_cbranch_execnz .LBB77_168
	s_branch .LBB77_172
.LBB77_140:
	s_and_b64 vcc, exec, s[0:1]
	s_cbranch_vccnz .LBB77_142
; %bb.141:
	v_lshl_add_u64 v[60:61], v[64:65], 2, v[58:59]
	flat_load_dword v60, v[60:61]
	s_waitcnt vmcnt(0) lgkmcnt(0)
	v_mul_f32_e32 v60, s28, v60
	s_branch .LBB77_143
.LBB77_142:
	v_mov_b32_e32 v60, 0
.LBB77_143:
	v_pk_add_f32 v[62:63], v[32:33], v[52:53]
	s_nop 0
	v_min3_f32 v61, v62, v63, v134
	v_pk_add_f32 v[62:63], v[34:35], v[54:55]
	s_nop 0
	v_min_f32_e32 v62, v62, v63
	v_min3_f32 v62, v60, v62, v61
	v_lshl_add_u64 v[60:61], v[64:65], 2, v[56:57]
	global_store_dword v[60:61], v62, off
	s_or_b64 exec, exec, s[26:27]
	s_and_b64 s[34:35], s[4:5], s[18:19]
	s_and_saveexec_b64 s[26:27], s[34:35]
	s_cbranch_execz .LBB77_134
.LBB77_144:
	s_and_b64 vcc, exec, s[0:1]
	s_cbranch_vccnz .LBB77_146
; %bb.145:
	v_lshl_add_u64 v[60:61], v[66:67], 2, v[58:59]
	flat_load_dword v60, v[60:61]
	s_waitcnt vmcnt(0) lgkmcnt(0)
	v_mul_f32_e32 v60, s28, v60
	s_branch .LBB77_147
.LBB77_146:
	v_mov_b32_e32 v60, 0
.LBB77_147:
	v_pk_add_f32 v[62:63], v[28:29], v[52:53]
	s_nop 0
	v_min3_f32 v61, v62, v63, v132
	v_pk_add_f32 v[62:63], v[30:31], v[54:55]
	s_nop 0
	v_min_f32_e32 v62, v62, v63
	v_min3_f32 v62, v60, v62, v61
	v_lshl_add_u64 v[60:61], v[66:67], 2, v[56:57]
	global_store_dword v[60:61], v62, off
	s_or_b64 exec, exec, s[26:27]
	s_and_b64 s[34:35], s[6:7], s[18:19]
	s_and_saveexec_b64 s[26:27], s[34:35]
	s_cbranch_execz .LBB77_135
.LBB77_148:
	s_and_b64 vcc, exec, s[0:1]
	s_cbranch_vccnz .LBB77_150
; %bb.149:
	v_lshl_add_u64 v[60:61], v[68:69], 2, v[58:59]
	flat_load_dword v60, v[60:61]
	s_waitcnt vmcnt(0) lgkmcnt(0)
	v_mul_f32_e32 v60, s28, v60
	s_branch .LBB77_151
.LBB77_150:
	v_mov_b32_e32 v60, 0
.LBB77_151:
	v_pk_add_f32 v[62:63], v[24:25], v[52:53]
	s_nop 0
	v_min3_f32 v61, v62, v63, v130
	v_pk_add_f32 v[62:63], v[26:27], v[54:55]
	s_nop 0
	v_min_f32_e32 v62, v62, v63
	v_min3_f32 v62, v60, v62, v61
	v_lshl_add_u64 v[60:61], v[68:69], 2, v[56:57]
	global_store_dword v[60:61], v62, off
	s_or_b64 exec, exec, s[26:27]
	s_and_b64 s[34:35], s[8:9], s[18:19]
	s_and_saveexec_b64 s[26:27], s[34:35]
	s_cbranch_execz .LBB77_136
.LBB77_152:
	s_and_b64 vcc, exec, s[0:1]
	s_cbranch_vccnz .LBB77_154
; %bb.153:
	v_lshl_add_u64 v[60:61], v[70:71], 2, v[58:59]
	flat_load_dword v60, v[60:61]
	s_waitcnt vmcnt(0) lgkmcnt(0)
	v_mul_f32_e32 v60, s28, v60
	s_branch .LBB77_155
.LBB77_154:
	v_mov_b32_e32 v60, 0
.LBB77_155:
	v_pk_add_f32 v[62:63], v[20:21], v[52:53]
	s_nop 0
	v_min3_f32 v61, v62, v63, v129
	v_pk_add_f32 v[62:63], v[22:23], v[54:55]
	s_nop 0
	v_min_f32_e32 v62, v62, v63
	v_min3_f32 v62, v60, v62, v61
	v_lshl_add_u64 v[60:61], v[70:71], 2, v[56:57]
	global_store_dword v[60:61], v62, off
	s_or_b64 exec, exec, s[26:27]
	s_and_b64 s[34:35], s[10:11], s[18:19]
	s_and_saveexec_b64 s[26:27], s[34:35]
	s_cbranch_execz .LBB77_137
.LBB77_156:
	s_and_b64 vcc, exec, s[0:1]
	s_cbranch_vccnz .LBB77_158
; %bb.157:
	v_lshl_add_u64 v[60:61], v[72:73], 2, v[58:59]
	flat_load_dword v60, v[60:61]
	s_waitcnt vmcnt(0) lgkmcnt(0)
	v_mul_f32_e32 v60, s28, v60
	s_branch .LBB77_159
.LBB77_158:
	v_mov_b32_e32 v60, 0
.LBB77_159:
	v_pk_add_f32 v[62:63], v[16:17], v[52:53]
	s_nop 0
	v_min3_f32 v61, v62, v63, v128
	v_pk_add_f32 v[62:63], v[18:19], v[54:55]
	s_nop 0
	v_min_f32_e32 v62, v62, v63
	v_min3_f32 v62, v60, v62, v61
	v_lshl_add_u64 v[60:61], v[72:73], 2, v[56:57]
	global_store_dword v[60:61], v62, off
	s_or_b64 exec, exec, s[26:27]
	s_and_b64 s[34:35], s[12:13], s[18:19]
	s_and_saveexec_b64 s[26:27], s[34:35]
	s_cbranch_execz .LBB77_138
.LBB77_160:
	s_and_b64 vcc, exec, s[0:1]
	s_cbranch_vccnz .LBB77_162
; %bb.161:
	v_lshl_add_u64 v[60:61], v[74:75], 2, v[58:59]
	flat_load_dword v60, v[60:61]
	s_waitcnt vmcnt(0) lgkmcnt(0)
	v_mul_f32_e32 v60, s28, v60
	s_branch .LBB77_163
.LBB77_162:
	v_mov_b32_e32 v60, 0
.LBB77_163:
	v_pk_add_f32 v[62:63], v[12:13], v[52:53]
	s_nop 0
	v_min3_f32 v61, v62, v63, v127
	v_pk_add_f32 v[62:63], v[14:15], v[54:55]
	s_nop 0
	v_min_f32_e32 v62, v62, v63
	v_min3_f32 v62, v60, v62, v61
	v_lshl_add_u64 v[60:61], v[74:75], 2, v[56:57]
	global_store_dword v[60:61], v62, off
	s_or_b64 exec, exec, s[26:27]
	s_and_b64 s[34:35], s[14:15], s[18:19]
	s_and_saveexec_b64 s[26:27], s[34:35]
	s_cbranch_execz .LBB77_139
.LBB77_164:
	s_and_b64 vcc, exec, s[0:1]
	s_cbranch_vccnz .LBB77_166
; %bb.165:
	v_lshl_add_u64 v[60:61], v[76:77], 2, v[58:59]
	flat_load_dword v60, v[60:61]
	s_waitcnt vmcnt(0) lgkmcnt(0)
	v_mul_f32_e32 v60, s28, v60
	s_branch .LBB77_167
.LBB77_166:
	v_mov_b32_e32 v60, 0
.LBB77_167:
	v_pk_add_f32 v[62:63], v[8:9], v[52:53]
	s_nop 0
	v_min3_f32 v61, v62, v63, v126
	v_pk_add_f32 v[62:63], v[10:11], v[54:55]
	s_nop 0
	v_min_f32_e32 v62, v62, v63
	v_min3_f32 v62, v60, v62, v61
	v_lshl_add_u64 v[60:61], v[76:77], 2, v[56:57]
	global_store_dword v[60:61], v62, off
	s_or_b64 exec, exec, s[26:27]
	s_and_b64 s[26:27], s[16:17], s[18:19]
	s_and_saveexec_b64 s[18:19], s[26:27]
	s_cbranch_execz .LBB77_172
.LBB77_168:
	s_and_b64 vcc, exec, s[0:1]
	s_cbranch_vccnz .LBB77_170
; %bb.169:
	v_lshl_add_u64 v[58:59], v[78:79], 2, v[58:59]
	flat_load_dword v58, v[58:59]
	s_waitcnt vmcnt(0) lgkmcnt(0)
	v_mul_f32_e32 v58, s28, v58
	s_branch .LBB77_171
.LBB77_170:
	v_mov_b32_e32 v58, 0
.LBB77_171:
	v_pk_add_f32 v[52:53], v[0:1], v[52:53]
	s_nop 0
	v_min3_f32 v59, v52, v53, v125
	v_pk_add_f32 v[52:53], v[2:3], v[54:55]
	s_nop 0
	v_min_f32_e32 v52, v52, v53
	v_min3_f32 v54, v58, v52, v59
	v_lshl_add_u64 v[52:53], v[78:79], 2, v[56:57]
	global_store_dword v[52:53], v54, off
.LBB77_172:
	s_or_b64 exec, exec, s[18:19]
	v_add_u32_e32 v56, 0x60, v124
	v_mad_i64_i32 v[52:53], s[26:27], v56, s31, 0
	v_cmp_gt_i32_e64 s[18:19], s21, v56
	v_lshl_add_u64 v[54:55], v[52:53], 2, s[24:25]
	v_mad_i64_i32 v[52:53], s[26:27], v56, s30, 0
	v_lshl_add_u64 v[52:53], v[52:53], 2, s[22:23]
	s_and_b64 s[34:35], s[2:3], s[18:19]
	s_and_saveexec_b64 s[26:27], s[34:35]
	s_cbranch_execnz .LBB77_180
; %bb.173:
	s_or_b64 exec, exec, s[26:27]
	s_and_b64 s[34:35], s[4:5], s[18:19]
	s_and_saveexec_b64 s[26:27], s[34:35]
	s_cbranch_execnz .LBB77_184
.LBB77_174:
	s_or_b64 exec, exec, s[26:27]
	s_and_b64 s[34:35], s[6:7], s[18:19]
	s_and_saveexec_b64 s[26:27], s[34:35]
	s_cbranch_execnz .LBB77_188
.LBB77_175:
	s_or_b64 exec, exec, s[26:27]
	s_and_b64 s[34:35], s[8:9], s[18:19]
	s_and_saveexec_b64 s[26:27], s[34:35]
	s_cbranch_execnz .LBB77_192
.LBB77_176:
	s_or_b64 exec, exec, s[26:27]
	s_and_b64 s[34:35], s[10:11], s[18:19]
	s_and_saveexec_b64 s[26:27], s[34:35]
	s_cbranch_execnz .LBB77_196
.LBB77_177:
	s_or_b64 exec, exec, s[26:27]
	s_and_b64 s[34:35], s[12:13], s[18:19]
	s_and_saveexec_b64 s[26:27], s[34:35]
	s_cbranch_execnz .LBB77_200
.LBB77_178:
	s_or_b64 exec, exec, s[26:27]
	s_and_b64 s[34:35], s[14:15], s[18:19]
	s_and_saveexec_b64 s[26:27], s[34:35]
	s_cbranch_execnz .LBB77_204
.LBB77_179:
	s_or_b64 exec, exec, s[26:27]
	s_and_b64 s[26:27], s[16:17], s[18:19]
	s_and_saveexec_b64 s[18:19], s[26:27]
	s_cbranch_execnz .LBB77_208
	s_branch .LBB77_212
.LBB77_180:
	s_and_b64 vcc, exec, s[0:1]
	s_cbranch_vccnz .LBB77_182
; %bb.181:
	v_lshl_add_u64 v[56:57], v[64:65], 2, v[54:55]
	flat_load_dword v56, v[56:57]
	s_waitcnt vmcnt(0) lgkmcnt(0)
	v_mul_f32_e32 v56, s28, v56
	s_branch .LBB77_183
.LBB77_182:
	v_mov_b32_e32 v56, 0
.LBB77_183:
	v_pk_add_f32 v[58:59], v[32:33], v[48:49]
	s_nop 0
	v_min3_f32 v57, v58, v59, v123
	v_pk_add_f32 v[58:59], v[34:35], v[50:51]
	s_nop 0
	v_min_f32_e32 v58, v58, v59
	v_min3_f32 v58, v56, v58, v57
	v_lshl_add_u64 v[56:57], v[64:65], 2, v[52:53]
	global_store_dword v[56:57], v58, off
	s_or_b64 exec, exec, s[26:27]
	s_and_b64 s[34:35], s[4:5], s[18:19]
	s_and_saveexec_b64 s[26:27], s[34:35]
	s_cbranch_execz .LBB77_174
.LBB77_184:
	s_and_b64 vcc, exec, s[0:1]
	s_cbranch_vccnz .LBB77_186
; %bb.185:
	v_lshl_add_u64 v[56:57], v[66:67], 2, v[54:55]
	flat_load_dword v56, v[56:57]
	s_waitcnt vmcnt(0) lgkmcnt(0)
	v_mul_f32_e32 v56, s28, v56
	s_branch .LBB77_187
.LBB77_186:
	v_mov_b32_e32 v56, 0
.LBB77_187:
	v_pk_add_f32 v[58:59], v[28:29], v[48:49]
	s_nop 0
	v_min3_f32 v57, v58, v59, v122
	v_pk_add_f32 v[58:59], v[30:31], v[50:51]
	s_nop 0
	v_min_f32_e32 v58, v58, v59
	v_min3_f32 v58, v56, v58, v57
	v_lshl_add_u64 v[56:57], v[66:67], 2, v[52:53]
	global_store_dword v[56:57], v58, off
	s_or_b64 exec, exec, s[26:27]
	s_and_b64 s[34:35], s[6:7], s[18:19]
	s_and_saveexec_b64 s[26:27], s[34:35]
	s_cbranch_execz .LBB77_175
.LBB77_188:
	s_and_b64 vcc, exec, s[0:1]
	s_cbranch_vccnz .LBB77_190
; %bb.189:
	v_lshl_add_u64 v[56:57], v[68:69], 2, v[54:55]
	flat_load_dword v56, v[56:57]
	s_waitcnt vmcnt(0) lgkmcnt(0)
	v_mul_f32_e32 v56, s28, v56
	s_branch .LBB77_191
.LBB77_190:
	v_mov_b32_e32 v56, 0
.LBB77_191:
	v_pk_add_f32 v[58:59], v[24:25], v[48:49]
	s_nop 0
	v_min3_f32 v57, v58, v59, v121
	v_pk_add_f32 v[58:59], v[26:27], v[50:51]
	s_nop 0
	v_min_f32_e32 v58, v58, v59
	v_min3_f32 v58, v56, v58, v57
	v_lshl_add_u64 v[56:57], v[68:69], 2, v[52:53]
	global_store_dword v[56:57], v58, off
	s_or_b64 exec, exec, s[26:27]
	s_and_b64 s[34:35], s[8:9], s[18:19]
	s_and_saveexec_b64 s[26:27], s[34:35]
	s_cbranch_execz .LBB77_176
.LBB77_192:
	s_and_b64 vcc, exec, s[0:1]
	s_cbranch_vccnz .LBB77_194
; %bb.193:
	v_lshl_add_u64 v[56:57], v[70:71], 2, v[54:55]
	flat_load_dword v56, v[56:57]
	s_waitcnt vmcnt(0) lgkmcnt(0)
	v_mul_f32_e32 v56, s28, v56
	s_branch .LBB77_195
.LBB77_194:
	v_mov_b32_e32 v56, 0
.LBB77_195:
	v_pk_add_f32 v[58:59], v[20:21], v[48:49]
	s_nop 0
	v_min3_f32 v57, v58, v59, v120
	v_pk_add_f32 v[58:59], v[22:23], v[50:51]
	s_nop 0
	v_min_f32_e32 v58, v58, v59
	v_min3_f32 v58, v56, v58, v57
	v_lshl_add_u64 v[56:57], v[70:71], 2, v[52:53]
	global_store_dword v[56:57], v58, off
	s_or_b64 exec, exec, s[26:27]
	s_and_b64 s[34:35], s[10:11], s[18:19]
	s_and_saveexec_b64 s[26:27], s[34:35]
	s_cbranch_execz .LBB77_177
.LBB77_196:
	s_and_b64 vcc, exec, s[0:1]
	s_cbranch_vccnz .LBB77_198
; %bb.197:
	v_lshl_add_u64 v[56:57], v[72:73], 2, v[54:55]
	flat_load_dword v56, v[56:57]
	s_waitcnt vmcnt(0) lgkmcnt(0)
	v_mul_f32_e32 v56, s28, v56
	s_branch .LBB77_199
.LBB77_198:
	v_mov_b32_e32 v56, 0
.LBB77_199:
	v_pk_add_f32 v[58:59], v[16:17], v[48:49]
	s_nop 0
	v_min3_f32 v57, v58, v59, v119
	v_pk_add_f32 v[58:59], v[18:19], v[50:51]
	s_nop 0
	v_min_f32_e32 v58, v58, v59
	v_min3_f32 v58, v56, v58, v57
	v_lshl_add_u64 v[56:57], v[72:73], 2, v[52:53]
	global_store_dword v[56:57], v58, off
	s_or_b64 exec, exec, s[26:27]
	s_and_b64 s[34:35], s[12:13], s[18:19]
	s_and_saveexec_b64 s[26:27], s[34:35]
	s_cbranch_execz .LBB77_178
.LBB77_200:
	s_and_b64 vcc, exec, s[0:1]
	s_cbranch_vccnz .LBB77_202
; %bb.201:
	v_lshl_add_u64 v[56:57], v[74:75], 2, v[54:55]
	flat_load_dword v56, v[56:57]
	s_waitcnt vmcnt(0) lgkmcnt(0)
	v_mul_f32_e32 v56, s28, v56
	s_branch .LBB77_203
.LBB77_202:
	v_mov_b32_e32 v56, 0
.LBB77_203:
	v_pk_add_f32 v[58:59], v[12:13], v[48:49]
	s_nop 0
	v_min3_f32 v57, v58, v59, v118
	v_pk_add_f32 v[58:59], v[14:15], v[50:51]
	s_nop 0
	v_min_f32_e32 v58, v58, v59
	v_min3_f32 v58, v56, v58, v57
	v_lshl_add_u64 v[56:57], v[74:75], 2, v[52:53]
	global_store_dword v[56:57], v58, off
	s_or_b64 exec, exec, s[26:27]
	s_and_b64 s[34:35], s[14:15], s[18:19]
	s_and_saveexec_b64 s[26:27], s[34:35]
	s_cbranch_execz .LBB77_179
.LBB77_204:
	s_and_b64 vcc, exec, s[0:1]
	s_cbranch_vccnz .LBB77_206
; %bb.205:
	v_lshl_add_u64 v[56:57], v[76:77], 2, v[54:55]
	flat_load_dword v56, v[56:57]
	s_waitcnt vmcnt(0) lgkmcnt(0)
	v_mul_f32_e32 v56, s28, v56
	s_branch .LBB77_207
.LBB77_206:
	v_mov_b32_e32 v56, 0
.LBB77_207:
	v_pk_add_f32 v[58:59], v[8:9], v[48:49]
	s_nop 0
	v_min3_f32 v57, v58, v59, v117
	v_pk_add_f32 v[58:59], v[10:11], v[50:51]
	s_nop 0
	v_min_f32_e32 v58, v58, v59
	v_min3_f32 v58, v56, v58, v57
	v_lshl_add_u64 v[56:57], v[76:77], 2, v[52:53]
	global_store_dword v[56:57], v58, off
	s_or_b64 exec, exec, s[26:27]
	s_and_b64 s[26:27], s[16:17], s[18:19]
	s_and_saveexec_b64 s[18:19], s[26:27]
	s_cbranch_execz .LBB77_212
.LBB77_208:
	s_and_b64 vcc, exec, s[0:1]
	s_cbranch_vccnz .LBB77_210
; %bb.209:
	v_lshl_add_u64 v[54:55], v[78:79], 2, v[54:55]
	flat_load_dword v54, v[54:55]
	s_waitcnt vmcnt(0) lgkmcnt(0)
	v_mul_f32_e32 v54, s28, v54
	s_branch .LBB77_211
.LBB77_210:
	v_mov_b32_e32 v54, 0
.LBB77_211:
	v_pk_add_f32 v[48:49], v[0:1], v[48:49]
	s_nop 0
	v_min3_f32 v55, v48, v49, v116
	v_pk_add_f32 v[48:49], v[2:3], v[50:51]
	s_nop 0
	v_min_f32_e32 v48, v48, v49
	v_min3_f32 v50, v54, v48, v55
	v_lshl_add_u64 v[48:49], v[78:79], 2, v[52:53]
	global_store_dword v[48:49], v50, off
.LBB77_212:
	s_or_b64 exec, exec, s[18:19]
	v_add_u32_e32 v52, 0x80, v124
	v_mad_i64_i32 v[48:49], s[26:27], v52, s31, 0
	v_cmp_gt_i32_e64 s[18:19], s21, v52
	v_lshl_add_u64 v[50:51], v[48:49], 2, s[24:25]
	v_mad_i64_i32 v[48:49], s[26:27], v52, s30, 0
	v_lshl_add_u64 v[48:49], v[48:49], 2, s[22:23]
	s_and_b64 s[34:35], s[2:3], s[18:19]
	s_and_saveexec_b64 s[26:27], s[34:35]
	s_cbranch_execnz .LBB77_220
; %bb.213:
	s_or_b64 exec, exec, s[26:27]
	s_and_b64 s[34:35], s[4:5], s[18:19]
	s_and_saveexec_b64 s[26:27], s[34:35]
	s_cbranch_execnz .LBB77_224
.LBB77_214:
	s_or_b64 exec, exec, s[26:27]
	s_and_b64 s[34:35], s[6:7], s[18:19]
	s_and_saveexec_b64 s[26:27], s[34:35]
	s_cbranch_execnz .LBB77_228
.LBB77_215:
	s_or_b64 exec, exec, s[26:27]
	s_and_b64 s[34:35], s[8:9], s[18:19]
	s_and_saveexec_b64 s[26:27], s[34:35]
	s_cbranch_execnz .LBB77_232
.LBB77_216:
	s_or_b64 exec, exec, s[26:27]
	s_and_b64 s[34:35], s[10:11], s[18:19]
	s_and_saveexec_b64 s[26:27], s[34:35]
	s_cbranch_execnz .LBB77_236
.LBB77_217:
	s_or_b64 exec, exec, s[26:27]
	s_and_b64 s[34:35], s[12:13], s[18:19]
	s_and_saveexec_b64 s[26:27], s[34:35]
	s_cbranch_execnz .LBB77_240
.LBB77_218:
	s_or_b64 exec, exec, s[26:27]
	s_and_b64 s[34:35], s[14:15], s[18:19]
	s_and_saveexec_b64 s[26:27], s[34:35]
	s_cbranch_execnz .LBB77_244
.LBB77_219:
	s_or_b64 exec, exec, s[26:27]
	s_and_b64 s[26:27], s[16:17], s[18:19]
	s_and_saveexec_b64 s[18:19], s[26:27]
	s_cbranch_execnz .LBB77_248
	s_branch .LBB77_252
.LBB77_220:
	s_and_b64 vcc, exec, s[0:1]
	s_cbranch_vccnz .LBB77_222
; %bb.221:
	v_lshl_add_u64 v[52:53], v[64:65], 2, v[50:51]
	flat_load_dword v52, v[52:53]
	s_waitcnt vmcnt(0) lgkmcnt(0)
	v_mul_f32_e32 v52, s28, v52
	s_branch .LBB77_223
.LBB77_222:
	v_mov_b32_e32 v52, 0
.LBB77_223:
	v_pk_add_f32 v[54:55], v[32:33], v[44:45]
	s_nop 0
	v_min3_f32 v53, v54, v55, v115
	v_pk_add_f32 v[54:55], v[34:35], v[46:47]
	s_nop 0
	v_min_f32_e32 v54, v54, v55
	v_min3_f32 v54, v52, v54, v53
	v_lshl_add_u64 v[52:53], v[64:65], 2, v[48:49]
	global_store_dword v[52:53], v54, off
	s_or_b64 exec, exec, s[26:27]
	s_and_b64 s[34:35], s[4:5], s[18:19]
	s_and_saveexec_b64 s[26:27], s[34:35]
	s_cbranch_execz .LBB77_214
.LBB77_224:
	s_and_b64 vcc, exec, s[0:1]
	s_cbranch_vccnz .LBB77_226
; %bb.225:
	v_lshl_add_u64 v[52:53], v[66:67], 2, v[50:51]
	flat_load_dword v52, v[52:53]
	s_waitcnt vmcnt(0) lgkmcnt(0)
	v_mul_f32_e32 v52, s28, v52
	s_branch .LBB77_227
.LBB77_226:
	v_mov_b32_e32 v52, 0
.LBB77_227:
	v_pk_add_f32 v[54:55], v[28:29], v[44:45]
	s_nop 0
	v_min3_f32 v53, v54, v55, v114
	v_pk_add_f32 v[54:55], v[30:31], v[46:47]
	s_nop 0
	v_min_f32_e32 v54, v54, v55
	v_min3_f32 v54, v52, v54, v53
	v_lshl_add_u64 v[52:53], v[66:67], 2, v[48:49]
	global_store_dword v[52:53], v54, off
	s_or_b64 exec, exec, s[26:27]
	s_and_b64 s[34:35], s[6:7], s[18:19]
	s_and_saveexec_b64 s[26:27], s[34:35]
	s_cbranch_execz .LBB77_215
.LBB77_228:
	s_and_b64 vcc, exec, s[0:1]
	s_cbranch_vccnz .LBB77_230
; %bb.229:
	v_lshl_add_u64 v[52:53], v[68:69], 2, v[50:51]
	flat_load_dword v52, v[52:53]
	s_waitcnt vmcnt(0) lgkmcnt(0)
	v_mul_f32_e32 v52, s28, v52
	s_branch .LBB77_231
.LBB77_230:
	v_mov_b32_e32 v52, 0
.LBB77_231:
	v_pk_add_f32 v[54:55], v[24:25], v[44:45]
	s_nop 0
	v_min3_f32 v53, v54, v55, v113
	v_pk_add_f32 v[54:55], v[26:27], v[46:47]
	s_nop 0
	v_min_f32_e32 v54, v54, v55
	v_min3_f32 v54, v52, v54, v53
	v_lshl_add_u64 v[52:53], v[68:69], 2, v[48:49]
	global_store_dword v[52:53], v54, off
	s_or_b64 exec, exec, s[26:27]
	s_and_b64 s[34:35], s[8:9], s[18:19]
	s_and_saveexec_b64 s[26:27], s[34:35]
	s_cbranch_execz .LBB77_216
.LBB77_232:
	s_and_b64 vcc, exec, s[0:1]
	s_cbranch_vccnz .LBB77_234
; %bb.233:
	v_lshl_add_u64 v[52:53], v[70:71], 2, v[50:51]
	flat_load_dword v52, v[52:53]
	s_waitcnt vmcnt(0) lgkmcnt(0)
	v_mul_f32_e32 v52, s28, v52
	s_branch .LBB77_235
.LBB77_234:
	v_mov_b32_e32 v52, 0
.LBB77_235:
	v_pk_add_f32 v[54:55], v[20:21], v[44:45]
	s_nop 0
	v_min3_f32 v53, v54, v55, v112
	v_pk_add_f32 v[54:55], v[22:23], v[46:47]
	s_nop 0
	v_min_f32_e32 v54, v54, v55
	v_min3_f32 v54, v52, v54, v53
	v_lshl_add_u64 v[52:53], v[70:71], 2, v[48:49]
	global_store_dword v[52:53], v54, off
	s_or_b64 exec, exec, s[26:27]
	s_and_b64 s[34:35], s[10:11], s[18:19]
	s_and_saveexec_b64 s[26:27], s[34:35]
	s_cbranch_execz .LBB77_217
.LBB77_236:
	s_and_b64 vcc, exec, s[0:1]
	s_cbranch_vccnz .LBB77_238
; %bb.237:
	v_lshl_add_u64 v[52:53], v[72:73], 2, v[50:51]
	flat_load_dword v52, v[52:53]
	s_waitcnt vmcnt(0) lgkmcnt(0)
	v_mul_f32_e32 v52, s28, v52
	s_branch .LBB77_239
.LBB77_238:
	v_mov_b32_e32 v52, 0
.LBB77_239:
	v_pk_add_f32 v[54:55], v[16:17], v[44:45]
	s_nop 0
	v_min3_f32 v53, v54, v55, v111
	v_pk_add_f32 v[54:55], v[18:19], v[46:47]
	s_nop 0
	v_min_f32_e32 v54, v54, v55
	v_min3_f32 v54, v52, v54, v53
	v_lshl_add_u64 v[52:53], v[72:73], 2, v[48:49]
	global_store_dword v[52:53], v54, off
	s_or_b64 exec, exec, s[26:27]
	s_and_b64 s[34:35], s[12:13], s[18:19]
	s_and_saveexec_b64 s[26:27], s[34:35]
	s_cbranch_execz .LBB77_218
.LBB77_240:
	s_and_b64 vcc, exec, s[0:1]
	s_cbranch_vccnz .LBB77_242
; %bb.241:
	v_lshl_add_u64 v[52:53], v[74:75], 2, v[50:51]
	flat_load_dword v52, v[52:53]
	s_waitcnt vmcnt(0) lgkmcnt(0)
	v_mul_f32_e32 v52, s28, v52
	s_branch .LBB77_243
.LBB77_242:
	v_mov_b32_e32 v52, 0
.LBB77_243:
	v_pk_add_f32 v[54:55], v[12:13], v[44:45]
	s_nop 0
	v_min3_f32 v53, v54, v55, v110
	v_pk_add_f32 v[54:55], v[14:15], v[46:47]
	s_nop 0
	v_min_f32_e32 v54, v54, v55
	v_min3_f32 v54, v52, v54, v53
	v_lshl_add_u64 v[52:53], v[74:75], 2, v[48:49]
	global_store_dword v[52:53], v54, off
	s_or_b64 exec, exec, s[26:27]
	s_and_b64 s[34:35], s[14:15], s[18:19]
	s_and_saveexec_b64 s[26:27], s[34:35]
	s_cbranch_execz .LBB77_219
.LBB77_244:
	s_and_b64 vcc, exec, s[0:1]
	s_cbranch_vccnz .LBB77_246
; %bb.245:
	v_lshl_add_u64 v[52:53], v[76:77], 2, v[50:51]
	flat_load_dword v52, v[52:53]
	s_waitcnt vmcnt(0) lgkmcnt(0)
	v_mul_f32_e32 v52, s28, v52
	s_branch .LBB77_247
.LBB77_246:
	v_mov_b32_e32 v52, 0
.LBB77_247:
	v_pk_add_f32 v[54:55], v[8:9], v[44:45]
	s_nop 0
	v_min3_f32 v53, v54, v55, v109
	v_pk_add_f32 v[54:55], v[10:11], v[46:47]
	s_nop 0
	v_min_f32_e32 v54, v54, v55
	v_min3_f32 v54, v52, v54, v53
	v_lshl_add_u64 v[52:53], v[76:77], 2, v[48:49]
	global_store_dword v[52:53], v54, off
	s_or_b64 exec, exec, s[26:27]
	s_and_b64 s[26:27], s[16:17], s[18:19]
	s_and_saveexec_b64 s[18:19], s[26:27]
	s_cbranch_execz .LBB77_252
.LBB77_248:
	s_and_b64 vcc, exec, s[0:1]
	s_cbranch_vccnz .LBB77_250
; %bb.249:
	v_lshl_add_u64 v[50:51], v[78:79], 2, v[50:51]
	flat_load_dword v50, v[50:51]
	s_waitcnt vmcnt(0) lgkmcnt(0)
	v_mul_f32_e32 v50, s28, v50
	s_branch .LBB77_251
.LBB77_250:
	v_mov_b32_e32 v50, 0
.LBB77_251:
	v_pk_add_f32 v[44:45], v[0:1], v[44:45]
	s_nop 0
	v_min3_f32 v51, v44, v45, v108
	v_pk_add_f32 v[44:45], v[2:3], v[46:47]
	s_nop 0
	v_min_f32_e32 v44, v44, v45
	v_min3_f32 v46, v50, v44, v51
	v_lshl_add_u64 v[44:45], v[78:79], 2, v[48:49]
	global_store_dword v[44:45], v46, off
.LBB77_252:
	s_or_b64 exec, exec, s[18:19]
	v_add_u32_e32 v48, 0xa0, v124
	v_mad_i64_i32 v[44:45], s[26:27], v48, s31, 0
	v_cmp_gt_i32_e64 s[18:19], s21, v48
	v_lshl_add_u64 v[46:47], v[44:45], 2, s[24:25]
	v_mad_i64_i32 v[44:45], s[26:27], v48, s30, 0
	v_lshl_add_u64 v[44:45], v[44:45], 2, s[22:23]
	s_and_b64 s[34:35], s[2:3], s[18:19]
	s_and_saveexec_b64 s[26:27], s[34:35]
	s_cbranch_execnz .LBB77_260
; %bb.253:
	s_or_b64 exec, exec, s[26:27]
	s_and_b64 s[34:35], s[4:5], s[18:19]
	s_and_saveexec_b64 s[26:27], s[34:35]
	s_cbranch_execnz .LBB77_264
.LBB77_254:
	s_or_b64 exec, exec, s[26:27]
	s_and_b64 s[34:35], s[6:7], s[18:19]
	s_and_saveexec_b64 s[26:27], s[34:35]
	s_cbranch_execnz .LBB77_268
.LBB77_255:
	s_or_b64 exec, exec, s[26:27]
	s_and_b64 s[34:35], s[8:9], s[18:19]
	s_and_saveexec_b64 s[26:27], s[34:35]
	s_cbranch_execnz .LBB77_272
.LBB77_256:
	s_or_b64 exec, exec, s[26:27]
	s_and_b64 s[34:35], s[10:11], s[18:19]
	s_and_saveexec_b64 s[26:27], s[34:35]
	s_cbranch_execnz .LBB77_276
.LBB77_257:
	s_or_b64 exec, exec, s[26:27]
	s_and_b64 s[34:35], s[12:13], s[18:19]
	s_and_saveexec_b64 s[26:27], s[34:35]
	s_cbranch_execnz .LBB77_280
.LBB77_258:
	s_or_b64 exec, exec, s[26:27]
	s_and_b64 s[34:35], s[14:15], s[18:19]
	s_and_saveexec_b64 s[26:27], s[34:35]
	s_cbranch_execnz .LBB77_284
.LBB77_259:
	s_or_b64 exec, exec, s[26:27]
	s_and_b64 s[26:27], s[16:17], s[18:19]
	s_and_saveexec_b64 s[18:19], s[26:27]
	s_cbranch_execnz .LBB77_288
	s_branch .LBB77_292
.LBB77_260:
	s_and_b64 vcc, exec, s[0:1]
	s_cbranch_vccnz .LBB77_262
; %bb.261:
	v_lshl_add_u64 v[48:49], v[64:65], 2, v[46:47]
	flat_load_dword v48, v[48:49]
	s_waitcnt vmcnt(0) lgkmcnt(0)
	v_mul_f32_e32 v48, s28, v48
	s_branch .LBB77_263
.LBB77_262:
	v_mov_b32_e32 v48, 0
.LBB77_263:
	v_pk_add_f32 v[50:51], v[32:33], v[40:41]
	s_nop 0
	v_min3_f32 v49, v50, v51, v107
	v_pk_add_f32 v[50:51], v[34:35], v[42:43]
	s_nop 0
	v_min_f32_e32 v50, v50, v51
	v_min3_f32 v50, v48, v50, v49
	v_lshl_add_u64 v[48:49], v[64:65], 2, v[44:45]
	global_store_dword v[48:49], v50, off
	s_or_b64 exec, exec, s[26:27]
	s_and_b64 s[34:35], s[4:5], s[18:19]
	s_and_saveexec_b64 s[26:27], s[34:35]
	s_cbranch_execz .LBB77_254
.LBB77_264:
	s_and_b64 vcc, exec, s[0:1]
	s_cbranch_vccnz .LBB77_266
; %bb.265:
	v_lshl_add_u64 v[48:49], v[66:67], 2, v[46:47]
	flat_load_dword v48, v[48:49]
	s_waitcnt vmcnt(0) lgkmcnt(0)
	v_mul_f32_e32 v48, s28, v48
	s_branch .LBB77_267
.LBB77_266:
	v_mov_b32_e32 v48, 0
.LBB77_267:
	v_pk_add_f32 v[50:51], v[28:29], v[40:41]
	s_nop 0
	v_min3_f32 v49, v50, v51, v106
	v_pk_add_f32 v[50:51], v[30:31], v[42:43]
	s_nop 0
	v_min_f32_e32 v50, v50, v51
	v_min3_f32 v50, v48, v50, v49
	v_lshl_add_u64 v[48:49], v[66:67], 2, v[44:45]
	global_store_dword v[48:49], v50, off
	s_or_b64 exec, exec, s[26:27]
	s_and_b64 s[34:35], s[6:7], s[18:19]
	s_and_saveexec_b64 s[26:27], s[34:35]
	s_cbranch_execz .LBB77_255
.LBB77_268:
	s_and_b64 vcc, exec, s[0:1]
	s_cbranch_vccnz .LBB77_270
; %bb.269:
	v_lshl_add_u64 v[48:49], v[68:69], 2, v[46:47]
	flat_load_dword v48, v[48:49]
	s_waitcnt vmcnt(0) lgkmcnt(0)
	v_mul_f32_e32 v48, s28, v48
	s_branch .LBB77_271
.LBB77_270:
	v_mov_b32_e32 v48, 0
.LBB77_271:
	v_pk_add_f32 v[50:51], v[24:25], v[40:41]
	s_nop 0
	v_min3_f32 v49, v50, v51, v105
	v_pk_add_f32 v[50:51], v[26:27], v[42:43]
	s_nop 0
	v_min_f32_e32 v50, v50, v51
	v_min3_f32 v50, v48, v50, v49
	v_lshl_add_u64 v[48:49], v[68:69], 2, v[44:45]
	global_store_dword v[48:49], v50, off
	s_or_b64 exec, exec, s[26:27]
	s_and_b64 s[34:35], s[8:9], s[18:19]
	s_and_saveexec_b64 s[26:27], s[34:35]
	s_cbranch_execz .LBB77_256
.LBB77_272:
	s_and_b64 vcc, exec, s[0:1]
	s_cbranch_vccnz .LBB77_274
; %bb.273:
	v_lshl_add_u64 v[48:49], v[70:71], 2, v[46:47]
	flat_load_dword v48, v[48:49]
	s_waitcnt vmcnt(0) lgkmcnt(0)
	v_mul_f32_e32 v48, s28, v48
	s_branch .LBB77_275
.LBB77_274:
	v_mov_b32_e32 v48, 0
.LBB77_275:
	v_pk_add_f32 v[50:51], v[20:21], v[40:41]
	s_nop 0
	v_min3_f32 v49, v50, v51, v104
	v_pk_add_f32 v[50:51], v[22:23], v[42:43]
	s_nop 0
	v_min_f32_e32 v50, v50, v51
	v_min3_f32 v50, v48, v50, v49
	v_lshl_add_u64 v[48:49], v[70:71], 2, v[44:45]
	global_store_dword v[48:49], v50, off
	s_or_b64 exec, exec, s[26:27]
	s_and_b64 s[34:35], s[10:11], s[18:19]
	s_and_saveexec_b64 s[26:27], s[34:35]
	s_cbranch_execz .LBB77_257
.LBB77_276:
	s_and_b64 vcc, exec, s[0:1]
	s_cbranch_vccnz .LBB77_278
; %bb.277:
	v_lshl_add_u64 v[48:49], v[72:73], 2, v[46:47]
	flat_load_dword v48, v[48:49]
	s_waitcnt vmcnt(0) lgkmcnt(0)
	v_mul_f32_e32 v48, s28, v48
	s_branch .LBB77_279
.LBB77_278:
	v_mov_b32_e32 v48, 0
.LBB77_279:
	v_pk_add_f32 v[50:51], v[16:17], v[40:41]
	s_nop 0
	v_min3_f32 v49, v50, v51, v103
	v_pk_add_f32 v[50:51], v[18:19], v[42:43]
	s_nop 0
	v_min_f32_e32 v50, v50, v51
	v_min3_f32 v50, v48, v50, v49
	v_lshl_add_u64 v[48:49], v[72:73], 2, v[44:45]
	global_store_dword v[48:49], v50, off
	s_or_b64 exec, exec, s[26:27]
	s_and_b64 s[34:35], s[12:13], s[18:19]
	s_and_saveexec_b64 s[26:27], s[34:35]
	s_cbranch_execz .LBB77_258
.LBB77_280:
	s_and_b64 vcc, exec, s[0:1]
	s_cbranch_vccnz .LBB77_282
; %bb.281:
	v_lshl_add_u64 v[48:49], v[74:75], 2, v[46:47]
	flat_load_dword v48, v[48:49]
	s_waitcnt vmcnt(0) lgkmcnt(0)
	v_mul_f32_e32 v48, s28, v48
	s_branch .LBB77_283
.LBB77_282:
	v_mov_b32_e32 v48, 0
.LBB77_283:
	v_pk_add_f32 v[50:51], v[12:13], v[40:41]
	s_nop 0
	v_min3_f32 v49, v50, v51, v102
	v_pk_add_f32 v[50:51], v[14:15], v[42:43]
	s_nop 0
	v_min_f32_e32 v50, v50, v51
	v_min3_f32 v50, v48, v50, v49
	v_lshl_add_u64 v[48:49], v[74:75], 2, v[44:45]
	global_store_dword v[48:49], v50, off
	s_or_b64 exec, exec, s[26:27]
	s_and_b64 s[34:35], s[14:15], s[18:19]
	s_and_saveexec_b64 s[26:27], s[34:35]
	s_cbranch_execz .LBB77_259
.LBB77_284:
	s_and_b64 vcc, exec, s[0:1]
	s_cbranch_vccnz .LBB77_286
; %bb.285:
	v_lshl_add_u64 v[48:49], v[76:77], 2, v[46:47]
	flat_load_dword v48, v[48:49]
	s_waitcnt vmcnt(0) lgkmcnt(0)
	v_mul_f32_e32 v48, s28, v48
	s_branch .LBB77_287
.LBB77_286:
	v_mov_b32_e32 v48, 0
.LBB77_287:
	v_pk_add_f32 v[50:51], v[8:9], v[40:41]
	s_nop 0
	v_min3_f32 v49, v50, v51, v101
	v_pk_add_f32 v[50:51], v[10:11], v[42:43]
	s_nop 0
	v_min_f32_e32 v50, v50, v51
	v_min3_f32 v50, v48, v50, v49
	v_lshl_add_u64 v[48:49], v[76:77], 2, v[44:45]
	global_store_dword v[48:49], v50, off
	s_or_b64 exec, exec, s[26:27]
	s_and_b64 s[26:27], s[16:17], s[18:19]
	s_and_saveexec_b64 s[18:19], s[26:27]
	s_cbranch_execz .LBB77_292
.LBB77_288:
	s_and_b64 vcc, exec, s[0:1]
	s_cbranch_vccnz .LBB77_290
; %bb.289:
	v_lshl_add_u64 v[46:47], v[78:79], 2, v[46:47]
	flat_load_dword v46, v[46:47]
	s_waitcnt vmcnt(0) lgkmcnt(0)
	v_mul_f32_e32 v46, s28, v46
	s_branch .LBB77_291
.LBB77_290:
	v_mov_b32_e32 v46, 0
.LBB77_291:
	v_pk_add_f32 v[40:41], v[0:1], v[40:41]
	s_nop 0
	v_min3_f32 v47, v40, v41, v100
	v_pk_add_f32 v[40:41], v[2:3], v[42:43]
	s_nop 0
	v_min_f32_e32 v40, v40, v41
	v_min3_f32 v42, v46, v40, v47
	v_lshl_add_u64 v[40:41], v[78:79], 2, v[44:45]
	global_store_dword v[40:41], v42, off
.LBB77_292:
	s_or_b64 exec, exec, s[18:19]
	v_add_u32_e32 v44, 0xc0, v124
	v_mad_i64_i32 v[40:41], s[26:27], v44, s31, 0
	v_cmp_gt_i32_e64 s[18:19], s21, v44
	v_lshl_add_u64 v[42:43], v[40:41], 2, s[24:25]
	v_mad_i64_i32 v[40:41], s[26:27], v44, s30, 0
	v_lshl_add_u64 v[40:41], v[40:41], 2, s[22:23]
	s_and_b64 s[34:35], s[2:3], s[18:19]
	s_and_saveexec_b64 s[26:27], s[34:35]
	s_cbranch_execnz .LBB77_300
; %bb.293:
	s_or_b64 exec, exec, s[26:27]
	s_and_b64 s[34:35], s[4:5], s[18:19]
	s_and_saveexec_b64 s[26:27], s[34:35]
	s_cbranch_execnz .LBB77_304
.LBB77_294:
	s_or_b64 exec, exec, s[26:27]
	s_and_b64 s[34:35], s[6:7], s[18:19]
	s_and_saveexec_b64 s[26:27], s[34:35]
	s_cbranch_execnz .LBB77_308
.LBB77_295:
	s_or_b64 exec, exec, s[26:27]
	s_and_b64 s[34:35], s[8:9], s[18:19]
	s_and_saveexec_b64 s[26:27], s[34:35]
	s_cbranch_execnz .LBB77_312
.LBB77_296:
	s_or_b64 exec, exec, s[26:27]
	s_and_b64 s[34:35], s[10:11], s[18:19]
	s_and_saveexec_b64 s[26:27], s[34:35]
	s_cbranch_execnz .LBB77_316
.LBB77_297:
	s_or_b64 exec, exec, s[26:27]
	s_and_b64 s[34:35], s[12:13], s[18:19]
	s_and_saveexec_b64 s[26:27], s[34:35]
	s_cbranch_execnz .LBB77_320
.LBB77_298:
	s_or_b64 exec, exec, s[26:27]
	s_and_b64 s[34:35], s[14:15], s[18:19]
	s_and_saveexec_b64 s[26:27], s[34:35]
	s_cbranch_execnz .LBB77_324
.LBB77_299:
	s_or_b64 exec, exec, s[26:27]
	s_and_b64 s[26:27], s[16:17], s[18:19]
	s_and_saveexec_b64 s[18:19], s[26:27]
	s_cbranch_execnz .LBB77_328
	s_branch .LBB77_332
.LBB77_300:
	s_and_b64 vcc, exec, s[0:1]
	s_cbranch_vccnz .LBB77_302
; %bb.301:
	v_lshl_add_u64 v[44:45], v[64:65], 2, v[42:43]
	flat_load_dword v44, v[44:45]
	s_waitcnt vmcnt(0) lgkmcnt(0)
	v_mul_f32_e32 v44, s28, v44
	s_branch .LBB77_303
.LBB77_302:
	v_mov_b32_e32 v44, 0
.LBB77_303:
	v_pk_add_f32 v[46:47], v[32:33], v[36:37]
	s_nop 0
	v_min3_f32 v45, v46, v47, v99
	v_pk_add_f32 v[46:47], v[34:35], v[38:39]
	s_nop 0
	v_min_f32_e32 v46, v46, v47
	v_min3_f32 v46, v44, v46, v45
	v_lshl_add_u64 v[44:45], v[64:65], 2, v[40:41]
	global_store_dword v[44:45], v46, off
	s_or_b64 exec, exec, s[26:27]
	s_and_b64 s[34:35], s[4:5], s[18:19]
	s_and_saveexec_b64 s[26:27], s[34:35]
	s_cbranch_execz .LBB77_294
.LBB77_304:
	s_and_b64 vcc, exec, s[0:1]
	s_cbranch_vccnz .LBB77_306
; %bb.305:
	v_lshl_add_u64 v[44:45], v[66:67], 2, v[42:43]
	flat_load_dword v44, v[44:45]
	s_waitcnt vmcnt(0) lgkmcnt(0)
	v_mul_f32_e32 v44, s28, v44
	s_branch .LBB77_307
.LBB77_306:
	v_mov_b32_e32 v44, 0
.LBB77_307:
	v_pk_add_f32 v[46:47], v[28:29], v[36:37]
	s_nop 0
	v_min3_f32 v45, v46, v47, v98
	v_pk_add_f32 v[46:47], v[30:31], v[38:39]
	s_nop 0
	v_min_f32_e32 v46, v46, v47
	v_min3_f32 v46, v44, v46, v45
	v_lshl_add_u64 v[44:45], v[66:67], 2, v[40:41]
	global_store_dword v[44:45], v46, off
	s_or_b64 exec, exec, s[26:27]
	s_and_b64 s[34:35], s[6:7], s[18:19]
	s_and_saveexec_b64 s[26:27], s[34:35]
	s_cbranch_execz .LBB77_295
.LBB77_308:
	s_and_b64 vcc, exec, s[0:1]
	s_cbranch_vccnz .LBB77_310
; %bb.309:
	v_lshl_add_u64 v[44:45], v[68:69], 2, v[42:43]
	flat_load_dword v44, v[44:45]
	s_waitcnt vmcnt(0) lgkmcnt(0)
	v_mul_f32_e32 v44, s28, v44
	s_branch .LBB77_311
.LBB77_310:
	v_mov_b32_e32 v44, 0
.LBB77_311:
	v_pk_add_f32 v[46:47], v[24:25], v[36:37]
	s_nop 0
	v_min3_f32 v45, v46, v47, v97
	v_pk_add_f32 v[46:47], v[26:27], v[38:39]
	s_nop 0
	v_min_f32_e32 v46, v46, v47
	v_min3_f32 v46, v44, v46, v45
	v_lshl_add_u64 v[44:45], v[68:69], 2, v[40:41]
	global_store_dword v[44:45], v46, off
	s_or_b64 exec, exec, s[26:27]
	s_and_b64 s[34:35], s[8:9], s[18:19]
	s_and_saveexec_b64 s[26:27], s[34:35]
	s_cbranch_execz .LBB77_296
.LBB77_312:
	s_and_b64 vcc, exec, s[0:1]
	s_cbranch_vccnz .LBB77_314
; %bb.313:
	v_lshl_add_u64 v[44:45], v[70:71], 2, v[42:43]
	flat_load_dword v44, v[44:45]
	s_waitcnt vmcnt(0) lgkmcnt(0)
	v_mul_f32_e32 v44, s28, v44
	s_branch .LBB77_315
.LBB77_314:
	v_mov_b32_e32 v44, 0
.LBB77_315:
	v_pk_add_f32 v[46:47], v[20:21], v[36:37]
	s_nop 0
	v_min3_f32 v45, v46, v47, v96
	v_pk_add_f32 v[46:47], v[22:23], v[38:39]
	s_nop 0
	v_min_f32_e32 v46, v46, v47
	v_min3_f32 v46, v44, v46, v45
	v_lshl_add_u64 v[44:45], v[70:71], 2, v[40:41]
	global_store_dword v[44:45], v46, off
	s_or_b64 exec, exec, s[26:27]
	s_and_b64 s[34:35], s[10:11], s[18:19]
	s_and_saveexec_b64 s[26:27], s[34:35]
	s_cbranch_execz .LBB77_297
.LBB77_316:
	s_and_b64 vcc, exec, s[0:1]
	s_cbranch_vccnz .LBB77_318
; %bb.317:
	v_lshl_add_u64 v[44:45], v[72:73], 2, v[42:43]
	flat_load_dword v44, v[44:45]
	s_waitcnt vmcnt(0) lgkmcnt(0)
	v_mul_f32_e32 v44, s28, v44
	s_branch .LBB77_319
.LBB77_318:
	v_mov_b32_e32 v44, 0
.LBB77_319:
	v_pk_add_f32 v[46:47], v[16:17], v[36:37]
	s_nop 0
	v_min3_f32 v45, v46, v47, v95
	v_pk_add_f32 v[46:47], v[18:19], v[38:39]
	s_nop 0
	v_min_f32_e32 v46, v46, v47
	v_min3_f32 v46, v44, v46, v45
	v_lshl_add_u64 v[44:45], v[72:73], 2, v[40:41]
	global_store_dword v[44:45], v46, off
	s_or_b64 exec, exec, s[26:27]
	s_and_b64 s[34:35], s[12:13], s[18:19]
	s_and_saveexec_b64 s[26:27], s[34:35]
	s_cbranch_execz .LBB77_298
.LBB77_320:
	s_and_b64 vcc, exec, s[0:1]
	s_cbranch_vccnz .LBB77_322
; %bb.321:
	v_lshl_add_u64 v[44:45], v[74:75], 2, v[42:43]
	flat_load_dword v44, v[44:45]
	s_waitcnt vmcnt(0) lgkmcnt(0)
	v_mul_f32_e32 v44, s28, v44
	s_branch .LBB77_323
.LBB77_322:
	v_mov_b32_e32 v44, 0
.LBB77_323:
	v_pk_add_f32 v[46:47], v[12:13], v[36:37]
	s_nop 0
	v_min3_f32 v45, v46, v47, v94
	v_pk_add_f32 v[46:47], v[14:15], v[38:39]
	s_nop 0
	v_min_f32_e32 v46, v46, v47
	v_min3_f32 v46, v44, v46, v45
	v_lshl_add_u64 v[44:45], v[74:75], 2, v[40:41]
	global_store_dword v[44:45], v46, off
	s_or_b64 exec, exec, s[26:27]
	s_and_b64 s[34:35], s[14:15], s[18:19]
	s_and_saveexec_b64 s[26:27], s[34:35]
	s_cbranch_execz .LBB77_299
.LBB77_324:
	s_and_b64 vcc, exec, s[0:1]
	s_cbranch_vccnz .LBB77_326
; %bb.325:
	v_lshl_add_u64 v[44:45], v[76:77], 2, v[42:43]
	flat_load_dword v44, v[44:45]
	s_waitcnt vmcnt(0) lgkmcnt(0)
	v_mul_f32_e32 v44, s28, v44
	s_branch .LBB77_327
.LBB77_326:
	v_mov_b32_e32 v44, 0
.LBB77_327:
	v_pk_add_f32 v[46:47], v[8:9], v[36:37]
	s_nop 0
	v_min3_f32 v45, v46, v47, v93
	v_pk_add_f32 v[46:47], v[10:11], v[38:39]
	s_nop 0
	v_min_f32_e32 v46, v46, v47
	v_min3_f32 v46, v44, v46, v45
	v_lshl_add_u64 v[44:45], v[76:77], 2, v[40:41]
	global_store_dword v[44:45], v46, off
	s_or_b64 exec, exec, s[26:27]
	s_and_b64 s[26:27], s[16:17], s[18:19]
	s_and_saveexec_b64 s[18:19], s[26:27]
	s_cbranch_execz .LBB77_332
.LBB77_328:
	s_and_b64 vcc, exec, s[0:1]
	s_cbranch_vccnz .LBB77_330
; %bb.329:
	v_lshl_add_u64 v[42:43], v[78:79], 2, v[42:43]
	flat_load_dword v42, v[42:43]
	s_waitcnt vmcnt(0) lgkmcnt(0)
	v_mul_f32_e32 v42, s28, v42
	s_branch .LBB77_331
.LBB77_330:
	v_mov_b32_e32 v42, 0
.LBB77_331:
	v_pk_add_f32 v[36:37], v[0:1], v[36:37]
	s_nop 0
	v_min3_f32 v43, v36, v37, v92
	v_pk_add_f32 v[36:37], v[2:3], v[38:39]
	s_nop 0
	v_min_f32_e32 v36, v36, v37
	v_min3_f32 v38, v42, v36, v43
	v_lshl_add_u64 v[36:37], v[78:79], 2, v[40:41]
	global_store_dword v[36:37], v38, off
.LBB77_332:
	s_or_b64 exec, exec, s[18:19]
	v_add_u32_e32 v40, 0xe0, v124
	v_cmp_gt_i32_e64 s[18:19], s21, v40
	v_mad_i64_i32 v[36:37], s[20:21], v40, s31, 0
	v_lshl_add_u64 v[38:39], v[36:37], 2, s[24:25]
	v_mad_i64_i32 v[36:37], s[20:21], v40, s30, 0
	v_lshl_add_u64 v[36:37], v[36:37], 2, s[22:23]
	s_and_b64 s[20:21], s[2:3], s[18:19]
	s_and_saveexec_b64 s[2:3], s[20:21]
	s_cbranch_execnz .LBB77_341
; %bb.333:
	s_or_b64 exec, exec, s[2:3]
	s_and_b64 s[4:5], s[4:5], s[18:19]
	s_and_saveexec_b64 s[2:3], s[4:5]
	s_cbranch_execnz .LBB77_345
.LBB77_334:
	s_or_b64 exec, exec, s[2:3]
	s_and_b64 s[4:5], s[6:7], s[18:19]
	s_and_saveexec_b64 s[2:3], s[4:5]
	s_cbranch_execnz .LBB77_349
.LBB77_335:
	s_or_b64 exec, exec, s[2:3]
	s_and_b64 s[4:5], s[8:9], s[18:19]
	s_and_saveexec_b64 s[2:3], s[4:5]
	s_cbranch_execnz .LBB77_353
.LBB77_336:
	s_or_b64 exec, exec, s[2:3]
	s_and_b64 s[4:5], s[10:11], s[18:19]
	s_and_saveexec_b64 s[2:3], s[4:5]
	s_cbranch_execnz .LBB77_357
.LBB77_337:
	s_or_b64 exec, exec, s[2:3]
	s_and_b64 s[4:5], s[12:13], s[18:19]
	s_and_saveexec_b64 s[2:3], s[4:5]
	s_cbranch_execnz .LBB77_361
.LBB77_338:
	s_or_b64 exec, exec, s[2:3]
	s_and_b64 s[4:5], s[14:15], s[18:19]
	s_and_saveexec_b64 s[2:3], s[4:5]
	s_cbranch_execnz .LBB77_365
.LBB77_339:
	s_or_b64 exec, exec, s[2:3]
	s_and_b64 s[2:3], s[16:17], s[18:19]
	s_and_saveexec_b64 s[4:5], s[2:3]
	s_cbranch_execnz .LBB77_369
.LBB77_340:
	s_endpgm
.LBB77_341:
	s_and_b64 vcc, exec, s[0:1]
	s_cbranch_vccnz .LBB77_343
; %bb.342:
	v_lshl_add_u64 v[40:41], v[64:65], 2, v[38:39]
	flat_load_dword v40, v[40:41]
	s_waitcnt vmcnt(0) lgkmcnt(0)
	v_mul_f32_e32 v40, s28, v40
	s_branch .LBB77_344
.LBB77_343:
	v_mov_b32_e32 v40, 0
.LBB77_344:
	v_pk_add_f32 v[32:33], v[32:33], v[4:5]
	s_nop 0
	v_min3_f32 v41, v32, v33, v91
	v_pk_add_f32 v[32:33], v[34:35], v[6:7]
	s_nop 0
	v_min_f32_e32 v32, v32, v33
	v_min3_f32 v34, v40, v32, v41
	v_lshl_add_u64 v[32:33], v[64:65], 2, v[36:37]
	global_store_dword v[32:33], v34, off
	s_or_b64 exec, exec, s[2:3]
	s_and_b64 s[4:5], s[4:5], s[18:19]
	s_and_saveexec_b64 s[2:3], s[4:5]
	s_cbranch_execz .LBB77_334
.LBB77_345:
	s_and_b64 vcc, exec, s[0:1]
	s_cbranch_vccnz .LBB77_347
; %bb.346:
	v_lshl_add_u64 v[32:33], v[66:67], 2, v[38:39]
	flat_load_dword v32, v[32:33]
	s_waitcnt vmcnt(0) lgkmcnt(0)
	v_mul_f32_e32 v32, s28, v32
	s_branch .LBB77_348
.LBB77_347:
	v_mov_b32_e32 v32, 0
.LBB77_348:
	v_pk_add_f32 v[28:29], v[28:29], v[4:5]
	s_nop 0
	v_min3_f32 v33, v28, v29, v90
	v_pk_add_f32 v[28:29], v[30:31], v[6:7]
	s_nop 0
	v_min_f32_e32 v28, v28, v29
	v_min3_f32 v30, v32, v28, v33
	v_lshl_add_u64 v[28:29], v[66:67], 2, v[36:37]
	global_store_dword v[28:29], v30, off
	s_or_b64 exec, exec, s[2:3]
	s_and_b64 s[4:5], s[6:7], s[18:19]
	s_and_saveexec_b64 s[2:3], s[4:5]
	s_cbranch_execz .LBB77_335
.LBB77_349:
	s_and_b64 vcc, exec, s[0:1]
	s_cbranch_vccnz .LBB77_351
; %bb.350:
	v_lshl_add_u64 v[28:29], v[68:69], 2, v[38:39]
	flat_load_dword v28, v[28:29]
	s_waitcnt vmcnt(0) lgkmcnt(0)
	v_mul_f32_e32 v28, s28, v28
	s_branch .LBB77_352
.LBB77_351:
	v_mov_b32_e32 v28, 0
.LBB77_352:
	v_pk_add_f32 v[24:25], v[24:25], v[4:5]
	s_nop 0
	v_min3_f32 v29, v24, v25, v89
	v_pk_add_f32 v[24:25], v[26:27], v[6:7]
	s_nop 0
	v_min_f32_e32 v24, v24, v25
	v_min3_f32 v26, v28, v24, v29
	v_lshl_add_u64 v[24:25], v[68:69], 2, v[36:37]
	global_store_dword v[24:25], v26, off
	s_or_b64 exec, exec, s[2:3]
	s_and_b64 s[4:5], s[8:9], s[18:19]
	s_and_saveexec_b64 s[2:3], s[4:5]
	s_cbranch_execz .LBB77_336
.LBB77_353:
	s_and_b64 vcc, exec, s[0:1]
	s_cbranch_vccnz .LBB77_355
; %bb.354:
	v_lshl_add_u64 v[24:25], v[70:71], 2, v[38:39]
	flat_load_dword v24, v[24:25]
	s_waitcnt vmcnt(0) lgkmcnt(0)
	v_mul_f32_e32 v24, s28, v24
	s_branch .LBB77_356
.LBB77_355:
	v_mov_b32_e32 v24, 0
.LBB77_356:
	v_pk_add_f32 v[20:21], v[20:21], v[4:5]
	s_nop 0
	v_min3_f32 v25, v20, v21, v87
	v_pk_add_f32 v[20:21], v[22:23], v[6:7]
	s_nop 0
	v_min_f32_e32 v20, v20, v21
	v_min3_f32 v22, v24, v20, v25
	v_lshl_add_u64 v[20:21], v[70:71], 2, v[36:37]
	global_store_dword v[20:21], v22, off
	s_or_b64 exec, exec, s[2:3]
	s_and_b64 s[4:5], s[10:11], s[18:19]
	s_and_saveexec_b64 s[2:3], s[4:5]
	s_cbranch_execz .LBB77_337
.LBB77_357:
	s_and_b64 vcc, exec, s[0:1]
	s_cbranch_vccnz .LBB77_359
; %bb.358:
	v_lshl_add_u64 v[20:21], v[72:73], 2, v[38:39]
	flat_load_dword v20, v[20:21]
	s_waitcnt vmcnt(0) lgkmcnt(0)
	v_mul_f32_e32 v20, s28, v20
	s_branch .LBB77_360
.LBB77_359:
	v_mov_b32_e32 v20, 0
.LBB77_360:
	v_pk_add_f32 v[16:17], v[16:17], v[4:5]
	s_nop 0
	v_min3_f32 v21, v16, v17, v86
	v_pk_add_f32 v[16:17], v[18:19], v[6:7]
	s_nop 0
	v_min_f32_e32 v16, v16, v17
	v_min3_f32 v18, v20, v16, v21
	v_lshl_add_u64 v[16:17], v[72:73], 2, v[36:37]
	global_store_dword v[16:17], v18, off
	s_or_b64 exec, exec, s[2:3]
	s_and_b64 s[4:5], s[12:13], s[18:19]
	s_and_saveexec_b64 s[2:3], s[4:5]
	s_cbranch_execz .LBB77_338
.LBB77_361:
	s_and_b64 vcc, exec, s[0:1]
	s_cbranch_vccnz .LBB77_363
; %bb.362:
	v_lshl_add_u64 v[16:17], v[74:75], 2, v[38:39]
	flat_load_dword v16, v[16:17]
	s_waitcnt vmcnt(0) lgkmcnt(0)
	v_mul_f32_e32 v16, s28, v16
	s_branch .LBB77_364
.LBB77_363:
	v_mov_b32_e32 v16, 0
.LBB77_364:
	v_pk_add_f32 v[12:13], v[12:13], v[4:5]
	s_nop 0
	v_min3_f32 v17, v12, v13, v85
	v_pk_add_f32 v[12:13], v[14:15], v[6:7]
	s_nop 0
	v_min_f32_e32 v12, v12, v13
	v_min3_f32 v14, v16, v12, v17
	v_lshl_add_u64 v[12:13], v[74:75], 2, v[36:37]
	global_store_dword v[12:13], v14, off
	s_or_b64 exec, exec, s[2:3]
	s_and_b64 s[4:5], s[14:15], s[18:19]
	s_and_saveexec_b64 s[2:3], s[4:5]
	s_cbranch_execz .LBB77_339
.LBB77_365:
	s_and_b64 vcc, exec, s[0:1]
	s_cbranch_vccnz .LBB77_367
; %bb.366:
	v_lshl_add_u64 v[12:13], v[76:77], 2, v[38:39]
	flat_load_dword v12, v[12:13]
	s_waitcnt vmcnt(0) lgkmcnt(0)
	v_mul_f32_e32 v12, s28, v12
	s_branch .LBB77_368
.LBB77_367:
	v_mov_b32_e32 v12, 0
.LBB77_368:
	v_pk_add_f32 v[8:9], v[8:9], v[4:5]
	s_nop 0
	v_min3_f32 v13, v8, v9, v84
	v_pk_add_f32 v[8:9], v[10:11], v[6:7]
	s_nop 0
	v_min_f32_e32 v8, v8, v9
	v_min3_f32 v10, v12, v8, v13
	v_lshl_add_u64 v[8:9], v[76:77], 2, v[36:37]
	global_store_dword v[8:9], v10, off
	s_or_b64 exec, exec, s[2:3]
	s_and_b64 s[2:3], s[16:17], s[18:19]
	s_and_saveexec_b64 s[4:5], s[2:3]
	s_cbranch_execz .LBB77_340
.LBB77_369:
	s_and_b64 vcc, exec, s[0:1]
	s_cbranch_vccnz .LBB77_371
; %bb.370:
	v_lshl_add_u64 v[8:9], v[78:79], 2, v[38:39]
	flat_load_dword v8, v[8:9]
	s_waitcnt vmcnt(0) lgkmcnt(0)
	v_mul_f32_e32 v8, s28, v8
	s_branch .LBB77_372
.LBB77_371:
	v_mov_b32_e32 v8, 0
.LBB77_372:
	v_pk_add_f32 v[0:1], v[0:1], v[4:5]
	s_nop 0
	v_min3_f32 v4, v0, v1, v88
	v_pk_add_f32 v[0:1], v[2:3], v[6:7]
	s_nop 0
	v_min_f32_e32 v0, v0, v1
	v_min3_f32 v2, v8, v0, v4
	v_lshl_add_u64 v[0:1], v[78:79], 2, v[36:37]
	global_store_dword v[0:1], v2, off
	s_endpgm
	.section	.rodata,"a",@progbits
	.p2align	6, 0x0
	.amdhsa_kernel _ZN12_GLOBAL__N_120geam_min_plus_kernelIf15HIP_vector_typeIfLj2EEfLi8ELi32ELi64ELi256ELi4ELi4ELi64ELi64ELi4ELc84ELc84ELb0ELb1ELb1EfKffEEviiiT16_PT17_ilS6_ilS4_S6_ilPT18_ili26rocblas_geam_ex_operation_
		.amdhsa_group_segment_fixed_size 10240
		.amdhsa_private_segment_fixed_size 0
		.amdhsa_kernarg_size 128
		.amdhsa_user_sgpr_count 2
		.amdhsa_user_sgpr_dispatch_ptr 0
		.amdhsa_user_sgpr_queue_ptr 0
		.amdhsa_user_sgpr_kernarg_segment_ptr 1
		.amdhsa_user_sgpr_dispatch_id 0
		.amdhsa_user_sgpr_kernarg_preload_length 0
		.amdhsa_user_sgpr_kernarg_preload_offset 0
		.amdhsa_user_sgpr_private_segment_size 0
		.amdhsa_uses_dynamic_stack 0
		.amdhsa_enable_private_segment 0
		.amdhsa_system_sgpr_workgroup_id_x 1
		.amdhsa_system_sgpr_workgroup_id_y 0
		.amdhsa_system_sgpr_workgroup_id_z 1
		.amdhsa_system_sgpr_workgroup_info 0
		.amdhsa_system_vgpr_workitem_id 1
		.amdhsa_next_free_vgpr 172
		.amdhsa_next_free_sgpr 42
		.amdhsa_accum_offset 172
		.amdhsa_reserve_vcc 1
		.amdhsa_float_round_mode_32 0
		.amdhsa_float_round_mode_16_64 0
		.amdhsa_float_denorm_mode_32 3
		.amdhsa_float_denorm_mode_16_64 3
		.amdhsa_dx10_clamp 1
		.amdhsa_ieee_mode 1
		.amdhsa_fp16_overflow 0
		.amdhsa_tg_split 0
		.amdhsa_exception_fp_ieee_invalid_op 0
		.amdhsa_exception_fp_denorm_src 0
		.amdhsa_exception_fp_ieee_div_zero 0
		.amdhsa_exception_fp_ieee_overflow 0
		.amdhsa_exception_fp_ieee_underflow 0
		.amdhsa_exception_fp_ieee_inexact 0
		.amdhsa_exception_int_div_zero 0
	.end_amdhsa_kernel
	.section	.text._ZN12_GLOBAL__N_120geam_min_plus_kernelIf15HIP_vector_typeIfLj2EEfLi8ELi32ELi64ELi256ELi4ELi4ELi64ELi64ELi4ELc84ELc84ELb0ELb1ELb1EfKffEEviiiT16_PT17_ilS6_ilS4_S6_ilPT18_ili26rocblas_geam_ex_operation_,"axG",@progbits,_ZN12_GLOBAL__N_120geam_min_plus_kernelIf15HIP_vector_typeIfLj2EEfLi8ELi32ELi64ELi256ELi4ELi4ELi64ELi64ELi4ELc84ELc84ELb0ELb1ELb1EfKffEEviiiT16_PT17_ilS6_ilS4_S6_ilPT18_ili26rocblas_geam_ex_operation_,comdat
.Lfunc_end77:
	.size	_ZN12_GLOBAL__N_120geam_min_plus_kernelIf15HIP_vector_typeIfLj2EEfLi8ELi32ELi64ELi256ELi4ELi4ELi64ELi64ELi4ELc84ELc84ELb0ELb1ELb1EfKffEEviiiT16_PT17_ilS6_ilS4_S6_ilPT18_ili26rocblas_geam_ex_operation_, .Lfunc_end77-_ZN12_GLOBAL__N_120geam_min_plus_kernelIf15HIP_vector_typeIfLj2EEfLi8ELi32ELi64ELi256ELi4ELi4ELi64ELi64ELi4ELc84ELc84ELb0ELb1ELb1EfKffEEviiiT16_PT17_ilS6_ilS4_S6_ilPT18_ili26rocblas_geam_ex_operation_
                                        ; -- End function
	.section	.AMDGPU.csdata,"",@progbits
; Kernel info:
; codeLenInByte = 18732
; NumSgprs: 48
; NumVgprs: 172
; NumAgprs: 0
; TotalNumVgprs: 172
; ScratchSize: 0
; MemoryBound: 0
; FloatMode: 240
; IeeeMode: 1
; LDSByteSize: 10240 bytes/workgroup (compile time only)
; SGPRBlocks: 5
; VGPRBlocks: 21
; NumSGPRsForWavesPerEU: 48
; NumVGPRsForWavesPerEU: 172
; AccumOffset: 172
; Occupancy: 2
; WaveLimiterHint : 0
; COMPUTE_PGM_RSRC2:SCRATCH_EN: 0
; COMPUTE_PGM_RSRC2:USER_SGPR: 2
; COMPUTE_PGM_RSRC2:TRAP_HANDLER: 0
; COMPUTE_PGM_RSRC2:TGID_X_EN: 1
; COMPUTE_PGM_RSRC2:TGID_Y_EN: 0
; COMPUTE_PGM_RSRC2:TGID_Z_EN: 1
; COMPUTE_PGM_RSRC2:TIDIG_COMP_CNT: 1
; COMPUTE_PGM_RSRC3_GFX90A:ACCUM_OFFSET: 42
; COMPUTE_PGM_RSRC3_GFX90A:TG_SPLIT: 0
	.section	.text._ZN12_GLOBAL__N_120geam_min_plus_kernelIf15HIP_vector_typeIfLj2EES2_Li8ELi32ELi64ELi128ELi4ELi64ELi4ELi4ELi64ELc78ELc78ELb0ELb0ELb0EPKfS3_fEEviiiT16_PT17_ilS7_ilS5_S7_ilPT18_ili26rocblas_geam_ex_operation_,"axG",@progbits,_ZN12_GLOBAL__N_120geam_min_plus_kernelIf15HIP_vector_typeIfLj2EES2_Li8ELi32ELi64ELi128ELi4ELi64ELi4ELi4ELi64ELc78ELc78ELb0ELb0ELb0EPKfS3_fEEviiiT16_PT17_ilS7_ilS5_S7_ilPT18_ili26rocblas_geam_ex_operation_,comdat
	.globl	_ZN12_GLOBAL__N_120geam_min_plus_kernelIf15HIP_vector_typeIfLj2EES2_Li8ELi32ELi64ELi128ELi4ELi64ELi4ELi4ELi64ELc78ELc78ELb0ELb0ELb0EPKfS3_fEEviiiT16_PT17_ilS7_ilS5_S7_ilPT18_ili26rocblas_geam_ex_operation_ ; -- Begin function _ZN12_GLOBAL__N_120geam_min_plus_kernelIf15HIP_vector_typeIfLj2EES2_Li8ELi32ELi64ELi128ELi4ELi64ELi4ELi4ELi64ELc78ELc78ELb0ELb0ELb0EPKfS3_fEEviiiT16_PT17_ilS7_ilS5_S7_ilPT18_ili26rocblas_geam_ex_operation_
	.p2align	8
	.type	_ZN12_GLOBAL__N_120geam_min_plus_kernelIf15HIP_vector_typeIfLj2EES2_Li8ELi32ELi64ELi128ELi4ELi64ELi4ELi4ELi64ELc78ELc78ELb0ELb0ELb0EPKfS3_fEEviiiT16_PT17_ilS7_ilS5_S7_ilPT18_ili26rocblas_geam_ex_operation_,@function
_ZN12_GLOBAL__N_120geam_min_plus_kernelIf15HIP_vector_typeIfLj2EES2_Li8ELi32ELi64ELi128ELi4ELi64ELi4ELi4ELi64ELc78ELc78ELb0ELb0ELb0EPKfS3_fEEviiiT16_PT17_ilS7_ilS5_S7_ilPT18_ili26rocblas_geam_ex_operation_: ; @_ZN12_GLOBAL__N_120geam_min_plus_kernelIf15HIP_vector_typeIfLj2EES2_Li8ELi32ELi64ELi128ELi4ELi64ELi4ELi4ELi64ELc78ELc78ELb0ELb0ELb0EPKfS3_fEEviiiT16_PT17_ilS7_ilS5_S7_ilPT18_ili26rocblas_geam_ex_operation_
; %bb.0:
	s_load_dwordx4 s[12:15], s[0:1], 0x10
	s_load_dwordx4 s[4:7], s[0:1], 0x28
	s_mov_b32 s16, s3
	s_mov_b32 s17, 0
	s_lshl_b64 s[18:19], s[16:17], 2
	s_waitcnt lgkmcnt(0)
	s_add_u32 s20, s12, s18
	s_load_dwordx4 s[8:11], s[0:1], 0x40
	s_addc_u32 s21, s13, s19
	s_load_dword s12, s[20:21], 0x0
	s_load_dwordx2 s[22:23], s[0:1], 0x50
	s_mov_b64 s[20:21], 0
	s_waitcnt lgkmcnt(0)
	s_add_u32 s10, s10, s18
	s_addc_u32 s11, s11, s19
	v_cmp_eq_f32_e64 s[18:19], s12, 0
	v_cmp_neq_f32_e64 s[24:25], s12, 0
	s_and_b64 vcc, exec, s[18:19]
	s_mov_b64 s[18:19], 0
	s_cbranch_vccnz .LBB78_2
; %bb.1:
	s_mul_i32 s3, s16, s5
	s_mul_hi_u32 s5, s16, s4
	s_add_i32 s5, s5, s3
	s_mul_i32 s4, s16, s4
	s_lshl_b64 s[4:5], s[4:5], 2
	s_add_u32 s18, s14, s4
	s_addc_u32 s19, s15, s5
.LBB78_2:
	s_load_dword s17, s[10:11], 0x0
	v_cndmask_b32_e64 v1, 0, 1, s[24:25]
	v_cmp_ne_u32_e64 s[4:5], 1, v1
	s_andn2_b64 vcc, exec, s[24:25]
	s_cbranch_vccnz .LBB78_4
; %bb.3:
	s_mul_i32 s3, s16, s9
	s_mul_hi_u32 s9, s16, s8
	s_add_i32 s9, s9, s3
	s_mul_i32 s8, s16, s8
	s_lshl_b64 s[8:9], s[8:9], 2
	s_add_u32 s20, s6, s8
	s_addc_u32 s21, s7, s9
.LBB78_4:
	s_load_dwordx4 s[8:11], s[0:1], 0x60
	s_waitcnt lgkmcnt(0)
	v_cmp_eq_f32_e64 s[6:7], s17, 0
	s_and_b64 s[6:7], exec, s[6:7]
	s_mov_b64 vcc, s[6:7]
	s_cbranch_vccnz .LBB78_6
; %bb.5:
	s_mul_i32 s3, s16, s9
	s_mul_hi_u32 s9, s16, s8
	s_add_i32 s9, s9, s3
	s_mul_i32 s8, s16, s8
	s_lshl_b64 s[8:9], s[8:9], 2
	s_add_u32 s8, s22, s8
	s_addc_u32 s9, s23, s9
	s_branch .LBB78_7
.LBB78_6:
	s_mov_b64 s[8:9], 0
.LBB78_7:
	s_load_dword s3, s[0:1], 0x0
	s_load_dword s14, s[0:1], 0x20
	v_and_b32_e32 v210, 0x3ff, v0
	v_bfe_u32 v211, v0, 10, 10
	v_lshl_add_u32 v2, v211, 3, v210
	s_waitcnt lgkmcnt(0)
	s_add_i32 s3, s3, -1
	s_ashr_i32 s13, s3, 31
	s_lshr_b32 s13, s13, 26
	s_add_i32 s3, s3, s13
	s_ashr_i32 s3, s3, 6
	s_add_i32 s22, s3, 1
	v_cvt_f32_u32_e32 v1, s22
	s_not_b32 s3, s3
	s_ashr_i32 s15, s14, 31
	v_and_b32_e32 v5, 63, v2
	v_rcp_iflag_f32_e32 v1, v1
	v_lshrrev_b32_e32 v4, 6, v2
	v_mul_f32_e32 v0, 0x4f7ffffe, v1
	v_cvt_u32_f32_e32 v0, v0
	s_nop 0
	v_readfirstlane_b32 s13, v0
	s_mul_i32 s3, s3, s13
	s_mul_hi_u32 s3, s13, s3
	s_add_i32 s13, s13, s3
	s_mul_hi_u32 s3, s2, s13
	s_mul_i32 s13, s3, s22
	s_sub_i32 s13, s2, s13
	s_add_i32 s23, s3, 1
	s_sub_i32 s24, s13, s22
	s_cmp_ge_u32 s13, s22
	s_cselect_b32 s3, s23, s3
	s_cselect_b32 s13, s24, s13
	s_add_i32 s23, s3, 1
	s_cmp_ge_u32 s13, s22
	s_cselect_b32 s13, s23, s3
	s_mul_i32 s3, s13, s22
	s_sub_i32 s22, s2, s3
	s_lshl_b32 s22, s22, 6
	v_or_b32_e32 v0, s22, v5
	s_and_b64 vcc, exec, s[4:5]
	v_ashrrev_i32_e32 v1, 31, v0
	s_cbranch_vccnz .LBB78_9
; %bb.8:
	v_mad_i64_i32 v[6:7], s[24:25], s14, v4, 0
	v_lshl_add_u64 v[6:7], v[6:7], 2, s[18:19]
	v_lshl_add_u64 v[6:7], v[0:1], 2, v[6:7]
	flat_load_dword v3, v[6:7]
	s_waitcnt vmcnt(0) lgkmcnt(0)
	v_mul_f32_e32 v10, s12, v3
	s_branch .LBB78_10
.LBB78_9:
	v_mov_b32_e32 v10, 0
.LBB78_10:
	s_load_dword s25, s[0:1], 0x38
	v_lshrrev_b32_e32 v11, 2, v2
	s_lshl_b32 s23, s13, 7
	v_and_b32_e32 v3, 3, v210
	v_add_u32_e32 v6, s23, v11
	s_and_b64 vcc, exec, s[4:5]
	v_lshlrev_b32_e32 v48, 2, v3
	v_add_u32_e32 v7, 64, v6
	s_cbranch_vccnz .LBB78_14
; %bb.11:
	v_mov_b32_e32 v49, 0
	v_lshl_add_u64 v[2:3], s[20:21], 0, v[48:49]
	s_waitcnt lgkmcnt(0)
	v_mad_i64_i32 v[8:9], s[26:27], v6, s25, 0
	v_lshl_add_u64 v[8:9], v[8:9], 2, v[2:3]
	v_mad_i64_i32 v[12:13], s[26:27], v7, s25, 0
	v_lshl_add_u64 v[2:3], v[12:13], 2, v[2:3]
	flat_load_dword v12, v[8:9]
	flat_load_dword v13, v[2:3]
	s_waitcnt vmcnt(0) lgkmcnt(0)
	v_pk_mul_f32 v[2:3], s[12:13], v[12:13] op_sel_hi:[0,1]
	s_and_b64 vcc, exec, s[4:5]
	s_cbranch_vccnz .LBB78_15
.LBB78_12:
	v_add_u32_e32 v8, 4, v4
	v_mad_i64_i32 v[8:9], s[26:27], s14, v8, 0
	v_lshl_add_u64 v[8:9], v[8:9], 2, s[18:19]
	v_lshl_add_u64 v[0:1], v[0:1], 2, v[8:9]
	flat_load_dword v0, v[0:1]
	s_waitcnt vmcnt(0) lgkmcnt(0)
	v_mul_f32_e32 v8, s12, v0
	s_and_b64 vcc, exec, s[4:5]
	s_cbranch_vccnz .LBB78_16
.LBB78_13:
	v_mov_b32_e32 v49, 0
	v_lshl_add_u64 v[0:1], s[20:21], 0, v[48:49]
	s_waitcnt lgkmcnt(0)
	v_mad_i64_i32 v[12:13], s[26:27], v6, s25, 0
	v_lshl_add_u64 v[12:13], v[12:13], 2, v[0:1]
	v_mad_i64_i32 v[14:15], s[26:27], v7, s25, 0
	v_lshl_add_u64 v[0:1], v[14:15], 2, v[0:1]
	flat_load_dword v14, v[12:13] offset:16
	flat_load_dword v15, v[0:1] offset:16
	s_waitcnt vmcnt(0) lgkmcnt(0)
	v_pk_mul_f32 v[0:1], s[12:13], v[14:15] op_sel_hi:[0,1]
	s_branch .LBB78_17
.LBB78_14:
	v_mov_b32_e32 v2, 0
	v_mov_b32_e32 v3, 0
	s_and_b64 vcc, exec, s[4:5]
	s_cbranch_vccz .LBB78_12
.LBB78_15:
	v_mov_b32_e32 v8, 0
	s_and_b64 vcc, exec, s[4:5]
	s_cbranch_vccz .LBB78_13
.LBB78_16:
	v_mov_b32_e32 v0, 0
	v_mov_b32_e32 v1, 0
.LBB78_17:
	v_lshlrev_b32_e32 v9, 4, v5
	v_lshl_add_u32 v9, v4, 2, v9
	v_lshl_or_b32 v214, v11, 4, v48
	v_lshlrev_b32_e32 v213, 4, v211
	ds_write_b32 v9, v10 offset:4096
	ds_write2st64_b32 v214, v2, v3 offset1:4
	s_waitcnt lgkmcnt(0)
	s_barrier
	ds_read_b128 v[10:13], v213
	v_lshlrev_b32_e32 v212, 4, v210
	ds_read_b128 v[14:17], v212 offset:4992
	ds_read_b128 v[18:21], v213 offset:512
	;; [unrolled: 1-line block ×5, first 2 shown]
	s_waitcnt lgkmcnt(5)
	v_max_f32_e32 v49, v11, v11
	s_waitcnt lgkmcnt(4)
	v_max_f32_e32 v58, v15, v15
	v_max_f32_e32 v54, v10, v10
	;; [unrolled: 1-line block ×3, first 2 shown]
	ds_read_b128 v[34:37], v212 offset:4096
	ds_read_b128 v[38:41], v212 offset:4224
	v_max_f32_e32 v108, v13, v13
	v_max_f32_e32 v109, v12, v12
	;; [unrolled: 1-line block ×4, first 2 shown]
	ds_read_b128 v[10:13], v212 offset:4352
	ds_read_b128 v[14:17], v212 offset:4480
	s_waitcnt lgkmcnt(4)
	v_max_f32_e32 v60, v31, v31
	v_max_f32_e32 v61, v30, v30
	;; [unrolled: 1-line block ×4, first 2 shown]
	s_waitcnt lgkmcnt(2)
	v_max_f32_e32 v26, v38, v38
	v_max_f32_e32 v27, v39, v39
	s_waitcnt lgkmcnt(1)
	v_max_f32_e32 v30, v10, v10
	v_max_f32_e32 v31, v11, v11
	;; [unrolled: 3-line block ×3, first 2 shown]
	v_max_f32_e32 v75, v13, v13
	ds_read_b128 v[10:13], v212 offset:4608
	v_max_f32_e32 v39, v15, v15
	v_max_f32_e32 v78, v16, v16
	v_max_f32_e32 v79, v17, v17
	ds_read_b128 v[14:17], v212 offset:4736
	v_max_f32_e32 v56, v19, v19
	v_max_f32_e32 v57, v18, v18
	;; [unrolled: 1-line block ×4, first 2 shown]
	s_waitcnt lgkmcnt(0)
	v_max_f32_e32 v52, v14, v14
	v_max_f32_e32 v53, v15, v15
	;; [unrolled: 1-line block ×6, first 2 shown]
	v_min_f32_e32 v50, v52, v54
	v_min_f32_e32 v51, v53, v49
	;; [unrolled: 1-line block ×10, first 2 shown]
	v_max_f32_e32 v126, v21, v21
	v_max_f32_e32 v127, v20, v20
	;; [unrolled: 1-line block ×9, first 2 shown]
	v_min_f32_e32 v2, v18, v54
	v_min_f32_e32 v3, v19, v49
	;; [unrolled: 1-line block ×34, first 2 shown]
	v_pk_add_f32 v[52:53], v[52:53], 0 op_sel_hi:[1,0]
	v_min_f32_e32 v59, v124, v108
	v_min_f32_e32 v58, v125, v109
	v_max_f32_e32 v128, v33, v33
	v_pk_add_f32 v[90:91], v[58:59], v[52:53]
	v_pk_add_f32 v[52:53], v[54:55], 0 op_sel_hi:[1,0]
	v_min_f32_e32 v55, v124, v126
	v_min_f32_e32 v54, v125, v127
	v_max_f32_e32 v68, v36, v36
	v_max_f32_e32 v69, v37, v37
	v_pk_add_f32 v[76:77], v[54:55], v[52:53]
	v_pk_add_f32 v[52:53], v[56:57], 0 op_sel_hi:[1,0]
	v_min_f32_e32 v55, v124, v128
	v_min_f32_e32 v54, v125, v129
	v_max_f32_e32 v130, v29, v29
	v_max_f32_e32 v131, v28, v28
	;; [unrolled: 1-line block ×4, first 2 shown]
	v_min_f32_e32 v25, v31, v49
	v_min_f32_e32 v28, v30, v61
	;; [unrolled: 1-line block ×17, first 2 shown]
	v_pk_add_f32 v[62:63], v[54:55], v[52:53]
	v_pk_add_f32 v[2:3], v[2:3], 0 op_sel_hi:[1,0]
	v_min_f32_e32 v52, v68, v109
	v_min_f32_e32 v53, v69, v108
	v_pk_add_f32 v[122:123], v[52:53], v[2:3]
	v_pk_add_f32 v[2:3], v[10:11], 0 op_sel_hi:[1,0]
	v_min_f32_e32 v10, v68, v127
	v_min_f32_e32 v11, v69, v126
	v_pk_add_f32 v[88:89], v[10:11], v[2:3]
	v_pk_add_f32 v[2:3], v[12:13], 0 op_sel_hi:[1,0]
	v_min_f32_e32 v10, v68, v129
	v_min_f32_e32 v11, v69, v128
	v_min_f32_e32 v99, v73, v49
	v_min_f32_e32 v102, v72, v61
	;; [unrolled: 1-line block ×3, first 2 shown]
	v_pk_add_f32 v[72:73], v[10:11], v[2:3]
	v_min_f32_e32 v3, v69, v130
	v_min_f32_e32 v2, v68, v131
	v_pk_add_f32 v[10:11], v[14:15], 0 op_sel_hi:[1,0]
	s_load_dword s24, s[0:1], 0x8
	v_pk_add_f32 v[58:59], v[2:3], v[10:11]
	v_pk_add_f32 v[2:3], v[16:17], 0 op_sel_hi:[1,0]
	v_min_f32_e32 v10, v70, v109
	v_min_f32_e32 v11, v71, v108
	v_pk_add_f32 v[120:121], v[10:11], v[2:3]
	v_pk_add_f32 v[2:3], v[18:19], 0 op_sel_hi:[1,0]
	v_min_f32_e32 v10, v70, v127
	v_min_f32_e32 v11, v71, v126
	;; [unrolled: 4-line block ×3, first 2 shown]
	v_pk_add_f32 v[68:69], v[10:11], v[2:3]
	v_min_f32_e32 v3, v71, v130
	v_min_f32_e32 v2, v70, v131
	v_pk_add_f32 v[10:11], v[22:23], 0 op_sel_hi:[1,0]
	s_waitcnt lgkmcnt(0)
	s_cmp_lt_i32 s24, 9
	v_pk_add_f32 v[52:53], v[2:3], v[10:11]
	v_pk_add_f32 v[2:3], v[24:25], 0 op_sel_hi:[1,0]
	v_min_f32_e32 v10, v74, v109
	v_min_f32_e32 v11, v75, v108
	v_pk_add_f32 v[118:119], v[10:11], v[2:3]
	v_pk_add_f32 v[2:3], v[26:27], 0 op_sel_hi:[1,0]
	v_min_f32_e32 v10, v74, v127
	v_min_f32_e32 v11, v75, v126
	;; [unrolled: 4-line block ×3, first 2 shown]
	v_pk_add_f32 v[70:71], v[10:11], v[2:3]
	v_min_f32_e32 v3, v75, v130
	v_min_f32_e32 v2, v74, v131
	v_pk_add_f32 v[10:11], v[30:31], 0 op_sel_hi:[1,0]
	ds_write2st64_b32 v214, v0, v1 offset0:8 offset1:12
	ds_write_b32 v9, v8 offset:5120
	v_pk_add_f32 v[54:55], v[2:3], v[10:11]
	v_pk_add_f32 v[2:3], v[32:33], 0 op_sel_hi:[1,0]
	v_min_f32_e32 v10, v78, v109
	v_min_f32_e32 v11, v79, v108
	v_pk_add_f32 v[116:117], v[10:11], v[2:3]
	v_pk_add_f32 v[2:3], v[34:35], 0 op_sel_hi:[1,0]
	v_min_f32_e32 v10, v78, v127
	v_min_f32_e32 v11, v79, v126
	;; [unrolled: 4-line block ×3, first 2 shown]
	v_pk_add_f32 v[74:75], v[10:11], v[2:3]
	v_min_f32_e32 v3, v79, v130
	v_min_f32_e32 v2, v78, v131
	v_pk_add_f32 v[10:11], v[38:39], 0 op_sel_hi:[1,0]
	s_waitcnt lgkmcnt(0)
	v_pk_add_f32 v[56:57], v[2:3], v[10:11]
	v_pk_add_f32 v[2:3], v[40:41], 0 op_sel_hi:[1,0]
	v_min_f32_e32 v10, v80, v109
	v_min_f32_e32 v11, v81, v108
	v_pk_add_f32 v[114:115], v[10:11], v[2:3]
	v_pk_add_f32 v[2:3], v[42:43], 0 op_sel_hi:[1,0]
	v_min_f32_e32 v10, v80, v127
	v_min_f32_e32 v11, v81, v126
	;; [unrolled: 4-line block ×3, first 2 shown]
	v_pk_add_f32 v[78:79], v[10:11], v[2:3]
	v_min_f32_e32 v3, v81, v130
	v_min_f32_e32 v2, v80, v131
	v_pk_add_f32 v[10:11], v[46:47], 0 op_sel_hi:[1,0]
	s_barrier
	v_pk_add_f32 v[60:61], v[2:3], v[10:11]
	v_pk_add_f32 v[2:3], v[50:51], 0 op_sel_hi:[1,0]
	v_min_f32_e32 v10, v110, v109
	v_min_f32_e32 v11, v111, v108
	v_pk_add_f32 v[112:113], v[10:11], v[2:3]
	v_pk_add_f32 v[2:3], v[64:65], 0 op_sel_hi:[1,0]
	v_min_f32_e32 v10, v110, v127
	v_min_f32_e32 v11, v111, v126
	;; [unrolled: 4-line block ×3, first 2 shown]
	v_pk_add_f32 v[80:81], v[10:11], v[2:3]
	v_min_f32_e32 v3, v111, v130
	v_min_f32_e32 v2, v110, v131
	v_pk_add_f32 v[10:11], v[82:83], 0 op_sel_hi:[1,0]
	s_nop 0
	v_pk_add_f32 v[64:65], v[2:3], v[10:11]
	v_min_f32_e32 v2, v132, v109
	v_min_f32_e32 v3, v133, v108
	v_pk_add_f32 v[10:11], v[98:99], 0 op_sel_hi:[1,0]
	s_nop 0
	;; [unrolled: 5-line block ×6, first 2 shown]
	v_pk_add_f32 v[50:51], v[2:3], v[10:11]
	s_cbranch_scc1 .LBB78_31
; %bb.18:
	v_mov_b32_e32 v0, 0x1400
	v_lshl_add_u32 v219, v210, 4, v0
	v_mov_b32_e32 v0, 0x800
	v_lshl_add_u32 v220, v211, 4, v0
	v_mad_i64_i32 v[0:1], s[26:27], s25, v7, 0
	v_lshl_add_u64 v[100:101], v[0:1], 2, s[20:21]
	v_mad_i64_i32 v[0:1], s[26:27], s25, v6, 0
	v_lshl_add_u64 v[102:103], v[0:1], 2, s[20:21]
	v_add_u32_e32 v0, 8, v4
	v_mad_i64_i32 v[0:1], s[20:21], v0, s14, 0
	v_lshlrev_b64 v[104:105], 2, v[0:1]
	v_lshl_or_b32 v0, s2, 6, v5
	s_lshl_b32 s2, s3, 6
	v_subrev_u32_e32 v0, s2, v0
	v_ashrrev_i32_e32 v1, 31, v0
	v_lshl_add_u64 v[106:107], v[0:1], 2, s[18:19]
	v_add_u32_e32 v0, 12, v4
	s_lshl_b64 s[2:3], s[14:15], 5
	v_mad_i64_i32 v[0:1], s[14:15], v0, s14, 0
	v_or_b32_e32 v215, 0x1000, v9
	v_add_u32_e32 v216, 0x1000, v212
	v_add_u32_e32 v217, 0x1400, v9
	;; [unrolled: 1-line block ×3, first 2 shown]
	s_add_i32 s24, s24, -8
	s_mov_b32 s13, s12
	v_mov_b32_e32 v49, 0
	v_lshlrev_b64 v[108:109], 2, v[0:1]
	s_mov_b32 s14, 0
	s_branch .LBB78_21
.LBB78_19:                              ;   in Loop: Header=BB78_21 Depth=1
	flat_load_dword v16, v[124:125] offset:48
	flat_load_dword v17, v[126:127] offset:48
	s_waitcnt vmcnt(0) lgkmcnt(0)
	v_pk_mul_f32 v[16:17], s[12:13], v[16:17]
.LBB78_20:                              ;   in Loop: Header=BB78_21 Depth=1
	v_pk_add_f32 v[40:41], v[40:41], v[90:91]
	v_pk_add_f32 v[32:33], v[32:33], v[62:63]
	;; [unrolled: 1-line block ×32, first 2 shown]
	ds_read_b128 v[0:3], v213
	ds_read_b128 v[8:11], v213 offset:512
	v_pk_add_f32 v[22:23], v[6:7], v[82:83]
	ds_read_b128 v[4:7], v216 offset:896
	ds_read_b128 v[12:15], v216 offset:768
	;; [unrolled: 1-line block ×4, first 2 shown]
	v_pk_add_f32 v[90:91], v[136:137], v[70:71]
	v_pk_add_f32 v[92:93], v[144:145], v[92:93]
	;; [unrolled: 1-line block ×6, first 2 shown]
	ds_read_b128 v[90:93], v216
	v_pk_add_f32 v[36:37], v[36:37], v[76:77]
	v_pk_add_f32 v[116:117], v[146:147], v[116:117]
	;; [unrolled: 1-line block ×9, first 2 shown]
	s_waitcnt lgkmcnt(4)
	v_max_f32_e32 v117, v5, v5
	v_max_f32_e32 v119, v4, v4
	;; [unrolled: 1-line block ×4, first 2 shown]
	s_waitcnt lgkmcnt(1)
	v_max_f32_e32 v122, v87, v87
	v_max_f32_e32 v123, v86, v86
	v_min_f32_e32 v5, v117, v120
	v_min_f32_e32 v4, v119, v121
	;; [unrolled: 1-line block ×4, first 2 shown]
	v_max_f32_e32 v116, v1, v1
	v_max_f32_e32 v118, v0, v0
	v_pk_add_f32 v[4:5], v[4:5], v[80:81]
	v_pk_add_f32 v[8:9], v[8:9], v[78:79]
	ds_read_b128 v[78:81], v216 offset:128
	s_waitcnt lgkmcnt(1)
	v_max_f32_e32 v90, v90, v90
	v_max_f32_e32 v91, v91, v91
	v_min_f32_e32 v86, v90, v118
	v_min_f32_e32 v87, v91, v116
	v_pk_add_f32 v[94:95], v[150:151], v[94:95]
	v_pk_add_f32 v[86:87], v[86:87], v[72:73]
	v_min_f32_e32 v72, v90, v121
	v_min_f32_e32 v73, v91, v120
	v_pk_add_f32 v[96:97], v[156:157], v[96:97]
	v_pk_add_f32 v[40:41], v[190:191], v[94:95]
	;; [unrolled: 1-line block ×3, first 2 shown]
	v_min_f32_e32 v72, v90, v123
	v_min_f32_e32 v73, v91, v122
	v_pk_add_f32 v[32:33], v[200:201], v[96:97]
	v_pk_add_f32 v[96:97], v[72:73], v[76:77]
	v_max_f32_e32 v76, v83, v83
	v_max_f32_e32 v77, v82, v82
	v_pk_add_f32 v[70:71], v[26:27], v[24:25]
	v_min_f32_e32 v73, v91, v76
	v_min_f32_e32 v72, v90, v77
	s_waitcnt lgkmcnt(0)
	v_max_f32_e32 v74, v78, v78
	v_max_f32_e32 v75, v79, v79
	v_pk_add_f32 v[70:71], v[72:73], v[70:71]
	v_min_f32_e32 v72, v74, v118
	v_min_f32_e32 v73, v75, v116
	v_pk_add_f32 v[78:79], v[72:73], v[64:65]
	v_min_f32_e32 v64, v74, v121
	v_min_f32_e32 v65, v75, v120
	v_pk_add_f32 v[82:83], v[64:65], v[66:67]
	v_min_f32_e32 v64, v74, v123
	v_min_f32_e32 v65, v75, v122
	v_pk_add_f32 v[68:69], v[64:65], v[68:69]
	ds_read_b128 v[64:67], v216 offset:256
	v_pk_add_f32 v[98:99], v[162:163], v[98:99]
	v_min_f32_e32 v73, v75, v76
	v_min_f32_e32 v72, v74, v77
	v_pk_add_f32 v[24:25], v[206:207], v[98:99]
	v_pk_add_f32 v[98:99], v[72:73], v[62:63]
	ds_read_b128 v[72:75], v216 offset:384
	s_waitcnt lgkmcnt(1)
	v_max_f32_e32 v90, v64, v64
	v_max_f32_e32 v91, v65, v65
	v_min_f32_e32 v62, v90, v118
	v_min_f32_e32 v63, v91, v116
	v_pk_add_f32 v[56:57], v[62:63], v[56:57]
	v_min_f32_e32 v62, v90, v121
	v_min_f32_e32 v63, v91, v120
	v_pk_add_f32 v[54:55], v[142:143], v[54:55]
	v_pk_add_f32 v[110:111], v[164:165], v[110:111]
	;; [unrolled: 1-line block ×3, first 2 shown]
	v_min_f32_e32 v58, v90, v123
	v_min_f32_e32 v59, v91, v122
	v_pk_add_f32 v[54:55], v[182:183], v[54:55]
	v_pk_add_f32 v[26:27], v[208:209], v[110:111]
	;; [unrolled: 1-line block ×3, first 2 shown]
	v_min_f32_e32 v59, v91, v76
	v_min_f32_e32 v58, v90, v77
	s_waitcnt lgkmcnt(0)
	v_max_f32_e32 v62, v72, v72
	v_max_f32_e32 v63, v73, v73
	v_pk_add_f32 v[112:113], v[158:159], v[112:113]
	v_pk_add_f32 v[54:55], v[58:59], v[54:55]
	v_min_f32_e32 v58, v62, v118
	v_min_f32_e32 v59, v63, v116
	v_pk_add_f32 v[30:31], v[202:203], v[112:113]
	v_pk_add_f32 v[112:113], v[58:59], v[46:47]
	ds_read_b128 v[58:61], v216 offset:512
	v_min_f32_e32 v46, v62, v121
	v_min_f32_e32 v47, v63, v120
	v_pk_add_f32 v[114:115], v[152:153], v[114:115]
	v_pk_add_f32 v[50:51], v[46:47], v[50:51]
	v_min_f32_e32 v46, v62, v123
	v_min_f32_e32 v47, v63, v122
	v_pk_add_f32 v[38:39], v[192:193], v[114:115]
	v_pk_add_f32 v[114:115], v[46:47], v[52:53]
	v_min_f32_e32 v47, v63, v76
	v_min_f32_e32 v46, v62, v77
	v_pk_add_f32 v[18:19], v[198:199], v[124:125]
	v_pk_add_f32 v[124:125], v[46:47], v[44:45]
	ds_read_b128 v[44:47], v216 offset:640
	s_waitcnt lgkmcnt(1)
	v_max_f32_e32 v58, v58, v58
	v_max_f32_e32 v59, v59, v59
	v_min_f32_e32 v52, v58, v118
	v_min_f32_e32 v53, v59, v116
	v_pk_add_f32 v[38:39], v[52:53], v[38:39]
	v_min_f32_e32 v52, v58, v121
	v_min_f32_e32 v53, v59, v120
	v_pk_add_f32 v[40:41], v[52:53], v[40:41]
	;; [unrolled: 3-line block ×4, first 2 shown]
	s_waitcnt lgkmcnt(0)
	v_max_f32_e32 v52, v44, v44
	v_max_f32_e32 v53, v45, v45
	v_min_f32_e32 v44, v52, v118
	v_min_f32_e32 v45, v53, v116
	v_pk_add_f32 v[30:31], v[44:45], v[30:31]
	v_min_f32_e32 v44, v52, v121
	v_min_f32_e32 v45, v53, v120
	v_pk_add_f32 v[32:33], v[44:45], v[32:33]
	;; [unrolled: 3-line block ×4, first 2 shown]
	v_max_f32_e32 v44, v12, v12
	v_max_f32_e32 v45, v13, v13
	v_min_f32_e32 v12, v44, v118
	v_min_f32_e32 v13, v45, v116
	v_pk_add_f32 v[12:13], v[12:13], v[26:27]
	v_min_f32_e32 v26, v44, v121
	v_min_f32_e32 v27, v45, v120
	v_pk_add_f32 v[24:25], v[26:27], v[24:25]
	;; [unrolled: 3-line block ×4, first 2 shown]
	v_min_f32_e32 v27, v117, v76
	v_min_f32_e32 v26, v119, v77
	;; [unrolled: 1-line block ×4, first 2 shown]
	v_pk_add_f32 v[18:19], v[26:27], v[18:19]
	v_max_f32_e32 v26, v3, v3
	v_max_f32_e32 v7, v7, v7
	v_max_f32_e32 v27, v2, v2
	v_max_f32_e32 v6, v6, v6
	v_pk_add_f32 v[0:1], v[0:1], v[126:127]
	v_min_f32_e32 v3, v7, v26
	v_min_f32_e32 v2, v6, v27
	v_pk_add_f32 v[90:91], v[2:3], v[0:1]
	v_max_f32_e32 v2, v11, v11
	v_max_f32_e32 v3, v10, v10
	v_min_f32_e32 v1, v7, v2
	v_min_f32_e32 v0, v6, v3
	v_pk_add_f32 v[76:77], v[0:1], v[4:5]
	v_max_f32_e32 v4, v89, v89
	v_max_f32_e32 v5, v88, v88
	;; [unrolled: 5-line block ×3, first 2 shown]
	v_min_f32_e32 v0, v8, v27
	v_min_f32_e32 v1, v9, v26
	v_pk_add_f32 v[122:123], v[0:1], v[86:87]
	v_min_f32_e32 v0, v8, v3
	v_min_f32_e32 v1, v9, v2
	v_pk_add_f32 v[88:89], v[0:1], v[94:95]
	v_min_f32_e32 v0, v8, v5
	v_min_f32_e32 v1, v9, v4
	v_max_f32_e32 v10, v85, v85
	v_pk_add_f32 v[72:73], v[0:1], v[96:97]
	v_min_f32_e32 v1, v9, v10
	v_max_f32_e32 v9, v84, v84
	v_min_f32_e32 v0, v8, v9
	v_max_f32_e32 v8, v80, v80
	v_max_f32_e32 v11, v81, v81
	v_pk_add_f32 v[58:59], v[0:1], v[70:71]
	v_min_f32_e32 v0, v8, v27
	v_min_f32_e32 v1, v11, v26
	v_pk_add_f32 v[120:121], v[0:1], v[78:79]
	v_min_f32_e32 v0, v8, v3
	v_min_f32_e32 v1, v11, v2
	v_pk_add_f32 v[84:85], v[0:1], v[82:83]
	v_min_f32_e32 v0, v8, v5
	v_min_f32_e32 v1, v11, v4
	v_pk_add_f32 v[68:69], v[0:1], v[68:69]
	v_min_f32_e32 v1, v11, v10
	v_min_f32_e32 v0, v8, v9
	v_max_f32_e32 v8, v66, v66
	v_max_f32_e32 v11, v67, v67
	v_pk_add_f32 v[52:53], v[0:1], v[98:99]
	v_min_f32_e32 v0, v8, v27
	v_min_f32_e32 v1, v11, v26
	v_pk_add_f32 v[118:119], v[0:1], v[56:57]
	v_min_f32_e32 v0, v8, v3
	v_min_f32_e32 v1, v11, v2
	v_pk_add_f32 v[86:87], v[0:1], v[64:65]
	v_min_f32_e32 v0, v8, v5
	v_min_f32_e32 v1, v11, v4
	v_pk_add_f32 v[70:71], v[0:1], v[110:111]
	v_min_f32_e32 v1, v11, v10
	;; [unrolled: 14-line block ×6, first 2 shown]
	v_min_f32_e32 v0, v8, v9
	v_pk_add_f32 v[66:67], v[0:1], v[22:23]
	v_min_f32_e32 v1, v7, v10
	v_min_f32_e32 v0, v6, v9
	s_add_i32 s14, s14, 8
	v_pk_add_f32 v[50:51], v[0:1], v[18:19]
	v_lshl_add_u64 v[100:101], v[100:101], 0, 32
	v_lshl_add_u64 v[102:103], v[102:103], 0, 32
	s_cmp_ge_i32 s14, s24
	v_lshl_add_u64 v[106:107], v[106:107], 0, s[2:3]
	ds_write_b32 v217, v221
	ds_write2st64_b32 v218, v16, v17 offset1:4
	s_waitcnt lgkmcnt(0)
	s_barrier
	s_cbranch_scc1 .LBB78_31
.LBB78_21:                              ; =>This Inner Loop Header: Depth=1
	s_and_b64 vcc, exec, s[4:5]
	v_mov_b32_e32 v130, 0
	s_cbranch_vccnz .LBB78_23
; %bb.22:                               ;   in Loop: Header=BB78_21 Depth=1
	v_lshl_add_u64 v[0:1], v[106:107], 0, v[104:105]
	flat_load_dword v0, v[0:1]
	s_waitcnt vmcnt(0) lgkmcnt(0)
	v_mul_f32_e32 v130, s12, v0
.LBB78_23:                              ;   in Loop: Header=BB78_21 Depth=1
	s_and_b64 vcc, exec, s[4:5]
	v_lshl_add_u64 v[124:125], v[102:103], 0, v[48:49]
	v_lshl_add_u64 v[126:127], v[100:101], 0, v[48:49]
	s_cbranch_vccnz .LBB78_25
; %bb.24:                               ;   in Loop: Header=BB78_21 Depth=1
	flat_load_dword v0, v[124:125] offset:32
	flat_load_dword v1, v[126:127] offset:32
	s_waitcnt vmcnt(0) lgkmcnt(0)
	v_pk_mul_f32 v[128:129], s[12:13], v[0:1]
	s_branch .LBB78_26
.LBB78_25:                              ;   in Loop: Header=BB78_21 Depth=1
	v_mov_b32_e32 v128, 0
	v_mov_b32_e32 v129, 0
.LBB78_26:                              ;   in Loop: Header=BB78_21 Depth=1
	ds_read_b128 v[40:43], v220
	ds_read_b128 v[36:39], v220 offset:512
	ds_read_b128 v[24:27], v220 offset:1536
	;; [unrolled: 1-line block ×3, first 2 shown]
	ds_read_b128 v[28:31], v219
	ds_read_b128 v[20:23], v219 offset:128
	ds_read_b128 v[16:19], v219 offset:256
	;; [unrolled: 1-line block ×7, first 2 shown]
	s_and_b64 vcc, exec, s[4:5]
	ds_write_b32 v215, v130
	ds_write2st64_b32 v214, v128, v129 offset1:4
	s_waitcnt lgkmcnt(0)
	s_barrier
	s_cbranch_vccnz .LBB78_28
; %bb.27:                               ;   in Loop: Header=BB78_21 Depth=1
	v_lshl_add_u64 v[128:129], v[106:107], 0, v[108:109]
	flat_load_dword v128, v[128:129]
	s_waitcnt vmcnt(0) lgkmcnt(0)
	v_mul_f32_e32 v221, s12, v128
	s_branch .LBB78_29
.LBB78_28:                              ;   in Loop: Header=BB78_21 Depth=1
	v_mov_b32_e32 v221, 0
.LBB78_29:                              ;   in Loop: Header=BB78_21 Depth=1
	v_max_f32_e32 v162, v41, v41
	v_max_f32_e32 v163, v40, v40
	;; [unrolled: 1-line block ×10, first 2 shown]
	v_min_f32_e32 v140, v16, v163
	v_min_f32_e32 v141, v17, v162
	v_min_f32_e32 v138, v16, v167
	v_min_f32_e32 v139, v17, v166
	v_min_f32_e32 v136, v16, v171
	v_min_f32_e32 v137, v17, v169
	v_min_f32_e32 v143, v17, v172
	v_min_f32_e32 v142, v16, v173
	v_max_f32_e32 v16, v12, v12
	v_max_f32_e32 v17, v13, v13
	v_min_f32_e32 v146, v16, v163
	v_min_f32_e32 v147, v17, v162
	v_min_f32_e32 v144, v16, v167
	v_min_f32_e32 v145, v17, v166
	v_min_f32_e32 v12, v16, v171
	v_min_f32_e32 v13, v17, v169
	v_min_f32_e32 v149, v17, v172
	v_min_f32_e32 v148, v16, v173
	v_max_f32_e32 v16, v8, v8
	v_max_f32_e32 v17, v9, v9
	;; [unrolled: 10-line block ×3, first 2 shown]
	v_max_f32_e32 v168, v45, v45
	v_max_f32_e32 v170, v44, v44
	;; [unrolled: 1-line block ×6, first 2 shown]
	v_min_f32_e32 v158, v16, v163
	v_min_f32_e32 v159, v17, v162
	;; [unrolled: 1-line block ×8, first 2 shown]
	v_max_f32_e32 v16, v0, v0
	v_max_f32_e32 v17, v1, v1
	v_min_f32_e32 v41, v168, v162
	v_min_f32_e32 v40, v170, v163
	;; [unrolled: 1-line block ×17, first 2 shown]
	v_max_f32_e32 v16, v43, v43
	v_max_f32_e32 v198, v42, v42
	;; [unrolled: 1-line block ×10, first 2 shown]
	v_min_f32_e32 v36, v170, v167
	v_min_f32_e32 v33, v168, v169
	;; [unrolled: 1-line block ×14, first 2 shown]
	v_max_f32_e32 v17, v47, v47
	v_max_f32_e32 v222, v46, v46
	;; [unrolled: 1-line block ×12, first 2 shown]
	v_min_f32_e32 v202, v6, v198
	v_min_f32_e32 v203, v7, v16
	;; [unrolled: 1-line block ×8, first 2 shown]
	v_max_f32_e32 v6, v2, v2
	v_max_f32_e32 v7, v3, v3
	v_min_f32_e32 v32, v170, v171
	v_min_f32_e32 v43, v17, v16
	;; [unrolled: 1-line block ×56, first 2 shown]
	s_and_b64 vcc, exec, s[4:5]
	v_min_f32_e32 v198, v222, v226
	s_cbranch_vccz .LBB78_19
; %bb.30:                               ;   in Loop: Header=BB78_21 Depth=1
	v_mov_b32_e32 v16, 0
	v_mov_b32_e32 v17, 0
	s_branch .LBB78_20
.LBB78_31:
	s_load_dword s12, s[0:1], 0x58
	ds_read_b128 v[40:43], v213 offset:2048
	ds_read_b128 v[44:47], v212 offset:5120
	v_add_u32_e32 v102, s23, v211
	v_cmp_neq_f32_e64 s[4:5], s17, 0
	v_add_u32_e32 v48, s22, v210
	s_waitcnt lgkmcnt(0)
	v_mad_i64_i32 v[0:1], s[2:3], v102, s12, 0
	v_ashrrev_i32_e32 v49, 31, v48
	v_lshl_add_u64 v[100:101], v[0:1], 2, s[8:9]
	s_and_b64 vcc, exec, s[4:5]
	v_mov_b32_e32 v105, 0
	v_mov_b32_e32 v104, 0
	s_cbranch_vccz .LBB78_33
; %bb.32:
	v_lshl_add_u64 v[0:1], v[48:49], 2, v[100:101]
	flat_load_dword v0, v[0:1]
	s_waitcnt vmcnt(0) lgkmcnt(0)
	v_mul_f32_e32 v104, s17, v0
.LBB78_33:
	ds_read_b128 v[12:15], v212 offset:6016
	ds_read_b128 v[0:3], v213 offset:3584
	;; [unrolled: 1-line block ×6, first 2 shown]
	s_load_dword s13, s[0:1], 0x70
	s_load_dwordx2 s[2:3], s[0:1], 0x78
	v_max_f32_e32 v124, v40, v40
	v_max_f32_e32 v44, v44, v44
	;; [unrolled: 1-line block ×4, first 2 shown]
	ds_read_b128 v[28:31], v212 offset:5504
	ds_read_b128 v[24:27], v212 offset:5632
	;; [unrolled: 1-line block ×4, first 2 shown]
	s_waitcnt lgkmcnt(0)
	s_mul_i32 s0, s16, s3
	s_mul_hi_u32 s1, s16, s2
	v_min_f32_e32 v40, v44, v124
	v_min_f32_e32 v41, v103, v125
	s_add_i32 s1, s1, s0
	s_mul_i32 s0, s16, s2
	v_pk_add_f32 v[40:41], v[40:41], v[122:123]
	v_max_f32_e32 v122, v42, v42
	v_max_f32_e32 v45, v46, v46
	;; [unrolled: 1-line block ×4, first 2 shown]
	s_lshl_b64 s[0:1], s[0:1], 2
	v_min_f32_e32 v42, v45, v122
	v_min_f32_e32 v43, v46, v123
	s_add_u32 s2, s10, s0
	v_pk_add_f32 v[106:107], v[42:43], v[40:41]
	s_addc_u32 s3, s11, s1
	v_mad_i64_i32 v[42:43], s[0:1], v102, s13, 0
	v_add_f32_e32 v47, v106, v107
	v_add_u32_e32 v40, 8, v48
	v_lshl_add_u64 v[42:43], v[42:43], 2, s[2:3]
	v_add_f32_e32 v47, v47, v104
	v_cndmask_b32_e64 v104, 0, 1, s[4:5]
	v_ashrrev_i32_e32 v41, 31, v40
	v_lshl_add_u64 v[106:107], v[48:49], 2, v[42:43]
	v_cmp_ne_u32_e64 s[0:1], 1, v104
	s_andn2_b64 vcc, exec, s[4:5]
	global_store_dword v[106:107], v47, off
	s_cbranch_vccnz .LBB78_35
; %bb.34:
	v_lshl_add_u64 v[104:105], v[40:41], 2, v[100:101]
	flat_load_dword v47, v[104:105]
	s_waitcnt vmcnt(0) lgkmcnt(0)
	v_mul_f32_e32 v105, s17, v47
.LBB78_35:
	v_max_f32_e32 v47, v36, v36
	v_max_f32_e32 v104, v37, v37
	v_min_f32_e32 v36, v47, v124
	v_min_f32_e32 v37, v104, v125
	v_max_f32_e32 v38, v38, v38
	v_max_f32_e32 v39, v39, v39
	v_pk_add_f32 v[36:37], v[36:37], v[120:121]
	v_min_f32_e32 v106, v38, v122
	v_min_f32_e32 v107, v39, v123
	v_pk_add_f32 v[36:37], v[106:107], v[36:37]
	s_and_b64 vcc, exec, s[0:1]
	v_add_f32_e32 v106, v36, v37
	v_add_u32_e32 v36, 16, v48
	v_add_f32_e32 v105, v106, v105
	v_lshl_add_u64 v[106:107], v[40:41], 2, v[42:43]
	v_ashrrev_i32_e32 v37, 31, v36
	global_store_dword v[106:107], v105, off
	v_mov_b32_e32 v109, 0
	v_mov_b32_e32 v107, 0
	s_cbranch_vccnz .LBB78_37
; %bb.36:
	v_lshl_add_u64 v[106:107], v[36:37], 2, v[100:101]
	flat_load_dword v105, v[106:107]
	s_waitcnt vmcnt(0) lgkmcnt(0)
	v_mul_f32_e32 v107, s17, v105
.LBB78_37:
	v_max_f32_e32 v105, v32, v32
	v_max_f32_e32 v106, v33, v33
	v_min_f32_e32 v32, v105, v124
	v_min_f32_e32 v33, v106, v125
	v_max_f32_e32 v34, v34, v34
	v_max_f32_e32 v35, v35, v35
	v_pk_add_f32 v[32:33], v[32:33], v[118:119]
	v_min_f32_e32 v118, v34, v122
	v_min_f32_e32 v119, v35, v123
	v_pk_add_f32 v[32:33], v[118:119], v[32:33]
	v_lshl_add_u64 v[118:119], v[36:37], 2, v[42:43]
	v_add_f32_e32 v108, v32, v33
	v_add_u32_e32 v32, 24, v48
	v_ashrrev_i32_e32 v33, 31, v32
	v_add_f32_e32 v107, v108, v107
	s_and_b64 vcc, exec, s[0:1]
	global_store_dword v[118:119], v107, off
	s_cbranch_vccnz .LBB78_39
; %bb.38:
	v_lshl_add_u64 v[108:109], v[32:33], 2, v[100:101]
	flat_load_dword v107, v[108:109]
	s_waitcnt vmcnt(0) lgkmcnt(0)
	v_mul_f32_e32 v109, s17, v107
.LBB78_39:
	v_max_f32_e32 v107, v28, v28
	v_max_f32_e32 v108, v29, v29
	v_min_f32_e32 v28, v107, v124
	v_min_f32_e32 v29, v108, v125
	v_max_f32_e32 v30, v30, v30
	v_max_f32_e32 v31, v31, v31
	v_pk_add_f32 v[28:29], v[28:29], v[116:117]
	v_min_f32_e32 v116, v30, v122
	v_min_f32_e32 v117, v31, v123
	v_pk_add_f32 v[28:29], v[116:117], v[28:29]
	s_and_b64 vcc, exec, s[0:1]
	v_add_f32_e32 v116, v28, v29
	v_add_u32_e32 v28, 32, v48
	v_add_f32_e32 v109, v116, v109
	v_lshl_add_u64 v[116:117], v[32:33], 2, v[42:43]
	v_ashrrev_i32_e32 v29, 31, v28
	global_store_dword v[116:117], v109, off
	v_mov_b32_e32 v117, 0
	v_mov_b32_e32 v118, 0
	s_cbranch_vccnz .LBB78_41
; %bb.40:
	v_lshl_add_u64 v[118:119], v[28:29], 2, v[100:101]
	flat_load_dword v109, v[118:119]
	s_waitcnt vmcnt(0) lgkmcnt(0)
	v_mul_f32_e32 v118, s17, v109
.LBB78_41:
	v_max_f32_e32 v109, v24, v24
	v_max_f32_e32 v116, v25, v25
	v_min_f32_e32 v24, v109, v124
	v_min_f32_e32 v25, v116, v125
	v_max_f32_e32 v26, v26, v26
	v_max_f32_e32 v27, v27, v27
	v_pk_add_f32 v[24:25], v[24:25], v[114:115]
	v_min_f32_e32 v114, v26, v122
	v_min_f32_e32 v115, v27, v123
	v_pk_add_f32 v[24:25], v[114:115], v[24:25]
	s_and_b64 vcc, exec, s[0:1]
	v_add_f32_e32 v114, v24, v25
	v_add_u32_e32 v24, 40, v48
	v_ashrrev_i32_e32 v25, 31, v24
	v_add_f32_e32 v118, v114, v118
	v_lshl_add_u64 v[114:115], v[28:29], 2, v[42:43]
	global_store_dword v[114:115], v118, off
	s_cbranch_vccnz .LBB78_43
; %bb.42:
	v_lshl_add_u64 v[114:115], v[24:25], 2, v[100:101]
	flat_load_dword v114, v[114:115]
	s_waitcnt vmcnt(0) lgkmcnt(0)
	v_mul_f32_e32 v117, s17, v114
.LBB78_43:
	v_max_f32_e32 v114, v20, v20
	v_max_f32_e32 v115, v21, v21
	v_min_f32_e32 v20, v114, v124
	v_min_f32_e32 v21, v115, v125
	v_max_f32_e32 v22, v22, v22
	v_max_f32_e32 v23, v23, v23
	v_pk_add_f32 v[20:21], v[20:21], v[112:113]
	v_min_f32_e32 v112, v22, v122
	v_min_f32_e32 v113, v23, v123
	v_pk_add_f32 v[20:21], v[112:113], v[20:21]
	s_and_b64 vcc, exec, s[0:1]
	v_add_f32_e32 v112, v20, v21
	v_add_u32_e32 v20, 48, v48
	v_add_f32_e32 v117, v112, v117
	v_lshl_add_u64 v[112:113], v[24:25], 2, v[42:43]
	v_ashrrev_i32_e32 v21, 31, v20
	global_store_dword v[112:113], v117, off
	v_mov_b32_e32 v117, 0
	v_mov_b32_e32 v118, 0
	s_cbranch_vccnz .LBB78_45
; %bb.44:
	v_lshl_add_u64 v[112:113], v[20:21], 2, v[100:101]
	flat_load_dword v112, v[112:113]
	s_waitcnt vmcnt(0) lgkmcnt(0)
	v_mul_f32_e32 v118, s17, v112
.LBB78_45:
	v_max_f32_e32 v112, v16, v16
	v_max_f32_e32 v113, v17, v17
	v_min_f32_e32 v16, v112, v124
	v_min_f32_e32 v17, v113, v125
	v_pk_add_f32 v[16:17], v[16:17], v[110:111]
	v_max_f32_e32 v110, v18, v18
	v_max_f32_e32 v111, v19, v19
	v_min_f32_e32 v18, v110, v122
	v_min_f32_e32 v19, v111, v123
	v_pk_add_f32 v[16:17], v[18:19], v[16:17]
	s_and_b64 vcc, exec, s[0:1]
	v_add_f32_e32 v18, v16, v17
	v_add_u32_e32 v16, 56, v48
	v_ashrrev_i32_e32 v17, 31, v16
	v_add_f32_e32 v118, v18, v118
	v_lshl_add_u64 v[18:19], v[20:21], 2, v[42:43]
	global_store_dword v[18:19], v118, off
	s_cbranch_vccnz .LBB78_47
; %bb.46:
	v_lshl_add_u64 v[18:19], v[16:17], 2, v[100:101]
	flat_load_dword v18, v[18:19]
	s_waitcnt vmcnt(0) lgkmcnt(0)
	v_mul_f32_e32 v117, s17, v18
.LBB78_47:
	v_max_f32_e32 v18, v13, v13
	v_max_f32_e32 v19, v12, v12
	v_min_f32_e32 v13, v18, v125
	v_min_f32_e32 v12, v19, v124
	v_max_f32_e32 v15, v15, v15
	v_max_f32_e32 v14, v14, v14
	v_pk_add_f32 v[12:13], v[12:13], v[90:91]
	v_min_f32_e32 v91, v15, v123
	v_min_f32_e32 v90, v14, v122
	v_pk_add_f32 v[12:13], v[90:91], v[12:13]
	v_add_u32_e32 v91, 32, v102
	v_add_f32_e32 v12, v12, v13
	v_add_f32_e32 v90, v12, v117
	v_lshl_add_u64 v[12:13], v[16:17], 2, v[42:43]
	global_store_dword v[12:13], v90, off
	v_mad_i64_i32 v[12:13], s[4:5], v91, s12, 0
	v_lshl_add_u64 v[12:13], v[12:13], 2, s[8:9]
	s_and_b64 vcc, exec, s[0:1]
	v_mov_b32_e32 v90, 0
	v_mov_b32_e32 v100, 0
	s_cbranch_vccnz .LBB78_49
; %bb.48:
	v_lshl_add_u64 v[42:43], v[48:49], 2, v[12:13]
	flat_load_dword v42, v[42:43]
	s_waitcnt vmcnt(0) lgkmcnt(0)
	v_mul_f32_e32 v100, s17, v42
.LBB78_49:
	v_max_f32_e32 v42, v8, v8
	v_max_f32_e32 v43, v9, v9
	v_min_f32_e32 v8, v44, v42
	v_min_f32_e32 v9, v103, v43
	v_max_f32_e32 v10, v10, v10
	v_max_f32_e32 v11, v11, v11
	v_pk_add_f32 v[8:9], v[8:9], v[88:89]
	v_min_f32_e32 v88, v45, v10
	v_min_f32_e32 v89, v46, v11
	v_pk_add_f32 v[88:89], v[88:89], v[8:9]
	v_mad_i64_i32 v[8:9], s[4:5], v91, s13, 0
	v_lshl_add_u64 v[8:9], v[8:9], 2, s[2:3]
	v_add_f32_e32 v88, v88, v89
	v_add_f32_e32 v91, v88, v100
	v_lshl_add_u64 v[88:89], v[48:49], 2, v[8:9]
	s_and_b64 vcc, exec, s[0:1]
	global_store_dword v[88:89], v91, off
	s_cbranch_vccnz .LBB78_51
; %bb.50:
	v_lshl_add_u64 v[88:89], v[40:41], 2, v[12:13]
	flat_load_dword v88, v[88:89]
	s_waitcnt vmcnt(0) lgkmcnt(0)
	v_mul_f32_e32 v90, s17, v88
.LBB78_51:
	v_min_f32_e32 v88, v47, v42
	v_min_f32_e32 v89, v104, v43
	v_pk_add_f32 v[84:85], v[88:89], v[84:85]
	v_min_f32_e32 v88, v38, v10
	v_min_f32_e32 v89, v39, v11
	v_pk_add_f32 v[84:85], v[88:89], v[84:85]
	s_and_b64 vcc, exec, s[0:1]
	v_add_f32_e32 v84, v84, v85
	v_add_f32_e32 v88, v84, v90
	v_lshl_add_u64 v[84:85], v[40:41], 2, v[8:9]
	global_store_dword v[84:85], v88, off
	v_mov_b32_e32 v84, 0
	v_mov_b32_e32 v85, 0
	s_cbranch_vccnz .LBB78_53
; %bb.52:
	v_lshl_add_u64 v[88:89], v[36:37], 2, v[12:13]
	flat_load_dword v85, v[88:89]
	s_waitcnt vmcnt(0) lgkmcnt(0)
	v_mul_f32_e32 v85, s17, v85
.LBB78_53:
	v_min_f32_e32 v88, v105, v42
	v_min_f32_e32 v89, v106, v43
	v_pk_add_f32 v[86:87], v[88:89], v[86:87]
	v_min_f32_e32 v88, v34, v10
	v_min_f32_e32 v89, v35, v11
	v_pk_add_f32 v[86:87], v[88:89], v[86:87]
	s_and_b64 vcc, exec, s[0:1]
	v_add_f32_e32 v86, v86, v87
	v_add_f32_e32 v85, v86, v85
	v_lshl_add_u64 v[86:87], v[36:37], 2, v[8:9]
	global_store_dword v[86:87], v85, off
	s_cbranch_vccnz .LBB78_55
; %bb.54:
	v_lshl_add_u64 v[84:85], v[32:33], 2, v[12:13]
	flat_load_dword v84, v[84:85]
	s_waitcnt vmcnt(0) lgkmcnt(0)
	v_mul_f32_e32 v84, s17, v84
.LBB78_55:
	v_min_f32_e32 v86, v107, v42
	v_min_f32_e32 v87, v108, v43
	v_pk_add_f32 v[86:87], v[86:87], v[92:93]
	v_min_f32_e32 v88, v30, v10
	v_min_f32_e32 v89, v31, v11
	v_pk_add_f32 v[86:87], v[88:89], v[86:87]
	s_and_b64 vcc, exec, s[0:1]
	v_add_f32_e32 v85, v86, v87
	v_add_f32_e32 v86, v85, v84
	v_lshl_add_u64 v[84:85], v[32:33], 2, v[8:9]
	global_store_dword v[84:85], v86, off
	v_mov_b32_e32 v84, 0
	v_mov_b32_e32 v85, 0
	s_cbranch_vccnz .LBB78_57
; %bb.56:
	v_lshl_add_u64 v[86:87], v[28:29], 2, v[12:13]
	flat_load_dword v85, v[86:87]
	s_waitcnt vmcnt(0) lgkmcnt(0)
	v_mul_f32_e32 v85, s17, v85
.LBB78_57:
	v_min_f32_e32 v86, v109, v42
	v_min_f32_e32 v87, v116, v43
	v_pk_add_f32 v[86:87], v[86:87], v[94:95]
	v_min_f32_e32 v88, v26, v10
	v_min_f32_e32 v89, v27, v11
	v_pk_add_f32 v[86:87], v[88:89], v[86:87]
	s_and_b64 vcc, exec, s[0:1]
	v_add_f32_e32 v86, v86, v87
	v_add_f32_e32 v85, v86, v85
	v_lshl_add_u64 v[86:87], v[28:29], 2, v[8:9]
	;; [unrolled: 38-line block ×3, first 2 shown]
	global_store_dword v[86:87], v85, off
	s_cbranch_vccnz .LBB78_63
; %bb.62:
	v_lshl_add_u64 v[12:13], v[16:17], 2, v[12:13]
	flat_load_dword v12, v[12:13]
	s_waitcnt vmcnt(0) lgkmcnt(0)
	v_mul_f32_e32 v84, s17, v12
.LBB78_63:
	v_min_f32_e32 v13, v18, v43
	v_min_f32_e32 v12, v19, v42
	v_pk_add_f32 v[12:13], v[12:13], v[76:77]
	v_min_f32_e32 v11, v15, v11
	v_min_f32_e32 v10, v14, v10
	v_pk_add_f32 v[10:11], v[10:11], v[12:13]
	v_lshl_add_u64 v[8:9], v[16:17], 2, v[8:9]
	v_add_f32_e32 v10, v10, v11
	v_add_f32_e32 v10, v10, v84
	v_add_u32_e32 v13, 64, v102
	global_store_dword v[8:9], v10, off
	v_mad_i64_i32 v[8:9], s[4:5], v13, s12, 0
	v_lshl_add_u64 v[8:9], v[8:9], 2, s[8:9]
	s_and_b64 vcc, exec, s[0:1]
	v_mov_b32_e32 v12, 0
	v_mov_b32_e32 v42, 0
	s_cbranch_vccnz .LBB78_65
; %bb.64:
	v_lshl_add_u64 v[10:11], v[48:49], 2, v[8:9]
	flat_load_dword v10, v[10:11]
	s_waitcnt vmcnt(0) lgkmcnt(0)
	v_mul_f32_e32 v42, s17, v10
.LBB78_65:
	v_max_f32_e32 v10, v4, v4
	v_max_f32_e32 v11, v5, v5
	v_min_f32_e32 v4, v44, v10
	v_min_f32_e32 v5, v103, v11
	v_max_f32_e32 v6, v6, v6
	v_max_f32_e32 v7, v7, v7
	v_pk_add_f32 v[4:5], v[4:5], v[72:73]
	v_min_f32_e32 v72, v45, v6
	v_min_f32_e32 v73, v46, v7
	v_pk_add_f32 v[72:73], v[72:73], v[4:5]
	v_mad_i64_i32 v[4:5], s[4:5], v13, s13, 0
	v_lshl_add_u64 v[4:5], v[4:5], 2, s[2:3]
	v_add_f32_e32 v13, v72, v73
	v_add_f32_e32 v13, v13, v42
	v_lshl_add_u64 v[42:43], v[48:49], 2, v[4:5]
	s_and_b64 vcc, exec, s[0:1]
	global_store_dword v[42:43], v13, off
	s_cbranch_vccnz .LBB78_67
; %bb.66:
	v_lshl_add_u64 v[12:13], v[40:41], 2, v[8:9]
	flat_load_dword v12, v[12:13]
	s_waitcnt vmcnt(0) lgkmcnt(0)
	v_mul_f32_e32 v12, s17, v12
.LBB78_67:
	v_min_f32_e32 v42, v47, v10
	v_min_f32_e32 v43, v104, v11
	v_pk_add_f32 v[42:43], v[42:43], v[68:69]
	v_min_f32_e32 v68, v38, v6
	v_min_f32_e32 v69, v39, v7
	v_pk_add_f32 v[42:43], v[68:69], v[42:43]
	s_and_b64 vcc, exec, s[0:1]
	v_add_f32_e32 v13, v42, v43
	v_add_f32_e32 v42, v13, v12
	v_lshl_add_u64 v[12:13], v[40:41], 2, v[4:5]
	global_store_dword v[12:13], v42, off
	v_mov_b32_e32 v12, 0
	v_mov_b32_e32 v13, 0
	s_cbranch_vccnz .LBB78_69
; %bb.68:
	v_lshl_add_u64 v[42:43], v[36:37], 2, v[8:9]
	flat_load_dword v13, v[42:43]
	s_waitcnt vmcnt(0) lgkmcnt(0)
	v_mul_f32_e32 v13, s17, v13
.LBB78_69:
	v_min_f32_e32 v42, v105, v10
	v_min_f32_e32 v43, v106, v11
	v_pk_add_f32 v[42:43], v[42:43], v[70:71]
	v_min_f32_e32 v68, v34, v6
	v_min_f32_e32 v69, v35, v7
	v_pk_add_f32 v[42:43], v[68:69], v[42:43]
	s_and_b64 vcc, exec, s[0:1]
	v_add_f32_e32 v42, v42, v43
	v_add_f32_e32 v13, v42, v13
	v_lshl_add_u64 v[42:43], v[36:37], 2, v[4:5]
	global_store_dword v[42:43], v13, off
	s_cbranch_vccnz .LBB78_71
; %bb.70:
	v_lshl_add_u64 v[12:13], v[32:33], 2, v[8:9]
	flat_load_dword v12, v[12:13]
	s_waitcnt vmcnt(0) lgkmcnt(0)
	v_mul_f32_e32 v12, s17, v12
.LBB78_71:
	v_min_f32_e32 v42, v107, v10
	v_min_f32_e32 v43, v108, v11
	v_pk_add_f32 v[42:43], v[42:43], v[74:75]
	v_min_f32_e32 v68, v30, v6
	v_min_f32_e32 v69, v31, v7
	v_pk_add_f32 v[42:43], v[68:69], v[42:43]
	s_and_b64 vcc, exec, s[0:1]
	v_add_f32_e32 v13, v42, v43
	v_add_f32_e32 v42, v13, v12
	v_lshl_add_u64 v[12:13], v[32:33], 2, v[4:5]
	global_store_dword v[12:13], v42, off
	v_mov_b32_e32 v12, 0
	v_mov_b32_e32 v13, 0
	s_cbranch_vccnz .LBB78_73
; %bb.72:
	v_lshl_add_u64 v[42:43], v[28:29], 2, v[8:9]
	flat_load_dword v13, v[42:43]
	s_waitcnt vmcnt(0) lgkmcnt(0)
	v_mul_f32_e32 v13, s17, v13
.LBB78_73:
	v_min_f32_e32 v42, v109, v10
	v_min_f32_e32 v43, v116, v11
	v_pk_add_f32 v[42:43], v[42:43], v[78:79]
	v_min_f32_e32 v68, v26, v6
	v_min_f32_e32 v69, v27, v7
	v_pk_add_f32 v[42:43], v[68:69], v[42:43]
	s_and_b64 vcc, exec, s[0:1]
	v_add_f32_e32 v42, v42, v43
	v_add_f32_e32 v13, v42, v13
	v_lshl_add_u64 v[42:43], v[28:29], 2, v[4:5]
	;; [unrolled: 38-line block ×3, first 2 shown]
	global_store_dword v[42:43], v13, off
	s_cbranch_vccnz .LBB78_79
; %bb.78:
	v_lshl_add_u64 v[8:9], v[16:17], 2, v[8:9]
	flat_load_dword v8, v[8:9]
	s_waitcnt vmcnt(0) lgkmcnt(0)
	v_mul_f32_e32 v12, s17, v8
.LBB78_79:
	v_min_f32_e32 v9, v18, v11
	v_min_f32_e32 v8, v19, v10
	v_pk_add_f32 v[8:9], v[8:9], v[62:63]
	v_min_f32_e32 v7, v15, v7
	v_min_f32_e32 v6, v14, v6
	v_pk_add_f32 v[6:7], v[6:7], v[8:9]
	v_lshl_add_u64 v[4:5], v[16:17], 2, v[4:5]
	v_add_f32_e32 v6, v6, v7
	v_add_f32_e32 v6, v6, v12
	v_add_u32_e32 v9, 0x60, v102
	global_store_dword v[4:5], v6, off
	v_mad_i64_i32 v[4:5], s[4:5], v9, s12, 0
	v_lshl_add_u64 v[4:5], v[4:5], 2, s[8:9]
	s_and_b64 vcc, exec, s[0:1]
	v_mov_b32_e32 v8, 0
	v_mov_b32_e32 v10, 0
	s_cbranch_vccnz .LBB78_81
; %bb.80:
	v_lshl_add_u64 v[6:7], v[48:49], 2, v[4:5]
	flat_load_dword v6, v[6:7]
	s_waitcnt vmcnt(0) lgkmcnt(0)
	v_mul_f32_e32 v10, s17, v6
.LBB78_81:
	v_max_f32_e32 v6, v1, v1
	v_max_f32_e32 v7, v0, v0
	v_min_f32_e32 v1, v103, v6
	v_min_f32_e32 v0, v44, v7
	v_max_f32_e32 v3, v3, v3
	v_max_f32_e32 v2, v2, v2
	v_pk_add_f32 v[0:1], v[0:1], v[58:59]
	v_min_f32_e32 v13, v46, v3
	v_min_f32_e32 v12, v45, v2
	v_pk_add_f32 v[12:13], v[12:13], v[0:1]
	v_mad_i64_i32 v[0:1], s[4:5], v9, s13, 0
	v_lshl_add_u64 v[0:1], v[0:1], 2, s[2:3]
	v_add_f32_e32 v9, v12, v13
	v_add_f32_e32 v9, v9, v10
	v_lshl_add_u64 v[10:11], v[48:49], 2, v[0:1]
	s_and_b64 vcc, exec, s[0:1]
	global_store_dword v[10:11], v9, off
	s_cbranch_vccnz .LBB78_83
; %bb.82:
	v_lshl_add_u64 v[8:9], v[40:41], 2, v[4:5]
	flat_load_dword v8, v[8:9]
	s_waitcnt vmcnt(0) lgkmcnt(0)
	v_mul_f32_e32 v8, s17, v8
.LBB78_83:
	v_min_f32_e32 v11, v104, v6
	v_min_f32_e32 v10, v47, v7
	v_pk_add_f32 v[10:11], v[10:11], v[52:53]
	v_min_f32_e32 v13, v39, v3
	v_min_f32_e32 v12, v38, v2
	v_pk_add_f32 v[10:11], v[12:13], v[10:11]
	s_and_b64 vcc, exec, s[0:1]
	v_add_f32_e32 v9, v10, v11
	v_add_f32_e32 v10, v9, v8
	v_lshl_add_u64 v[8:9], v[40:41], 2, v[0:1]
	global_store_dword v[8:9], v10, off
	v_mov_b32_e32 v8, 0
	v_mov_b32_e32 v9, 0
	s_cbranch_vccnz .LBB78_85
; %bb.84:
	v_lshl_add_u64 v[10:11], v[36:37], 2, v[4:5]
	flat_load_dword v9, v[10:11]
	s_waitcnt vmcnt(0) lgkmcnt(0)
	v_mul_f32_e32 v9, s17, v9
.LBB78_85:
	v_min_f32_e32 v11, v106, v6
	v_min_f32_e32 v10, v105, v7
	v_pk_add_f32 v[10:11], v[10:11], v[54:55]
	v_min_f32_e32 v13, v35, v3
	v_min_f32_e32 v12, v34, v2
	v_pk_add_f32 v[10:11], v[12:13], v[10:11]
	s_and_b64 vcc, exec, s[0:1]
	v_add_f32_e32 v10, v10, v11
	v_add_f32_e32 v9, v10, v9
	v_lshl_add_u64 v[10:11], v[36:37], 2, v[0:1]
	global_store_dword v[10:11], v9, off
	s_cbranch_vccnz .LBB78_87
; %bb.86:
	v_lshl_add_u64 v[8:9], v[32:33], 2, v[4:5]
	flat_load_dword v8, v[8:9]
	s_waitcnt vmcnt(0) lgkmcnt(0)
	v_mul_f32_e32 v8, s17, v8
.LBB78_87:
	v_min_f32_e32 v11, v108, v6
	v_min_f32_e32 v10, v107, v7
	v_pk_add_f32 v[10:11], v[10:11], v[56:57]
	v_min_f32_e32 v13, v31, v3
	v_min_f32_e32 v12, v30, v2
	v_pk_add_f32 v[10:11], v[12:13], v[10:11]
	s_and_b64 vcc, exec, s[0:1]
	v_add_f32_e32 v9, v10, v11
	v_add_f32_e32 v10, v9, v8
	v_lshl_add_u64 v[8:9], v[32:33], 2, v[0:1]
	global_store_dword v[8:9], v10, off
	v_mov_b32_e32 v8, 0
	v_mov_b32_e32 v9, 0
	s_cbranch_vccnz .LBB78_89
; %bb.88:
	v_lshl_add_u64 v[10:11], v[28:29], 2, v[4:5]
	flat_load_dword v9, v[10:11]
	s_waitcnt vmcnt(0) lgkmcnt(0)
	v_mul_f32_e32 v9, s17, v9
.LBB78_89:
	v_min_f32_e32 v11, v116, v6
	v_min_f32_e32 v10, v109, v7
	v_pk_add_f32 v[10:11], v[10:11], v[60:61]
	v_min_f32_e32 v13, v27, v3
	v_min_f32_e32 v12, v26, v2
	v_pk_add_f32 v[10:11], v[12:13], v[10:11]
	s_and_b64 vcc, exec, s[0:1]
	v_add_f32_e32 v10, v10, v11
	v_add_f32_e32 v9, v10, v9
	v_lshl_add_u64 v[10:11], v[28:29], 2, v[0:1]
	global_store_dword v[10:11], v9, off
	s_cbranch_vccnz .LBB78_91
; %bb.90:
	v_lshl_add_u64 v[8:9], v[24:25], 2, v[4:5]
	flat_load_dword v8, v[8:9]
	s_waitcnt vmcnt(0) lgkmcnt(0)
	v_mul_f32_e32 v8, s17, v8
.LBB78_91:
	v_min_f32_e32 v11, v115, v6
	v_min_f32_e32 v10, v114, v7
	v_pk_add_f32 v[10:11], v[10:11], v[64:65]
	v_min_f32_e32 v13, v23, v3
	v_min_f32_e32 v12, v22, v2
	v_pk_add_f32 v[10:11], v[12:13], v[10:11]
	v_min_f32_e32 v13, v111, v3
	v_add_f32_e32 v9, v10, v11
	v_min_f32_e32 v11, v113, v6
	v_min_f32_e32 v10, v112, v7
	v_pk_add_f32 v[10:11], v[10:11], v[66:67]
	v_min_f32_e32 v12, v110, v2
	v_pk_add_f32 v[10:11], v[12:13], v[10:11]
	v_add_f32_e32 v12, v9, v8
	v_lshl_add_u64 v[8:9], v[24:25], 2, v[0:1]
	global_store_dword v[8:9], v12, off
	v_add_f32_e32 v8, v10, v11
	s_mov_b64 vcc, s[6:7]
	s_cbranch_vccz .LBB78_94
; %bb.92:
	v_add_f32_e32 v9, 0, v8
	v_lshl_add_u64 v[10:11], v[20:21], 2, v[0:1]
	s_mov_b32 s2, 0
	global_store_dword v[10:11], v9, off
	s_cbranch_execz .LBB78_95
; %bb.93:
	v_mov_b32_e32 v4, s2
	s_branch .LBB78_96
.LBB78_94:
                                        ; implicit-def: $sgpr2
.LBB78_95:
	v_lshlrev_b64 v[10:11], 2, v[20:21]
	v_lshl_add_u64 v[12:13], v[4:5], 0, v[10:11]
	flat_load_dword v9, v[12:13]
	v_lshl_add_u64 v[10:11], v[0:1], 0, v[10:11]
	v_lshl_add_u64 v[4:5], v[16:17], 2, v[4:5]
	s_waitcnt vmcnt(0) lgkmcnt(0)
	v_fmac_f32_e32 v8, s17, v9
	global_store_dword v[10:11], v8, off
	flat_load_dword v4, v[4:5]
	s_waitcnt vmcnt(0) lgkmcnt(0)
	v_mul_f32_e32 v4, s17, v4
.LBB78_96:
	v_min_f32_e32 v9, v18, v6
	v_min_f32_e32 v8, v19, v7
	;; [unrolled: 1-line block ×4, first 2 shown]
	v_pk_add_f32 v[6:7], v[8:9], v[50:51]
	v_lshl_add_u64 v[0:1], v[16:17], 2, v[0:1]
	v_pk_add_f32 v[2:3], v[2:3], v[6:7]
	s_nop 0
	v_add_f32_e32 v2, v2, v3
	v_add_f32_e32 v2, v2, v4
	global_store_dword v[0:1], v2, off
	s_endpgm
	.section	.rodata,"a",@progbits
	.p2align	6, 0x0
	.amdhsa_kernel _ZN12_GLOBAL__N_120geam_min_plus_kernelIf15HIP_vector_typeIfLj2EES2_Li8ELi32ELi64ELi128ELi4ELi64ELi4ELi4ELi64ELc78ELc78ELb0ELb0ELb0EPKfS3_fEEviiiT16_PT17_ilS7_ilS5_S7_ilPT18_ili26rocblas_geam_ex_operation_
		.amdhsa_group_segment_fixed_size 6144
		.amdhsa_private_segment_fixed_size 0
		.amdhsa_kernarg_size 136
		.amdhsa_user_sgpr_count 2
		.amdhsa_user_sgpr_dispatch_ptr 0
		.amdhsa_user_sgpr_queue_ptr 0
		.amdhsa_user_sgpr_kernarg_segment_ptr 1
		.amdhsa_user_sgpr_dispatch_id 0
		.amdhsa_user_sgpr_kernarg_preload_length 0
		.amdhsa_user_sgpr_kernarg_preload_offset 0
		.amdhsa_user_sgpr_private_segment_size 0
		.amdhsa_uses_dynamic_stack 0
		.amdhsa_enable_private_segment 0
		.amdhsa_system_sgpr_workgroup_id_x 1
		.amdhsa_system_sgpr_workgroup_id_y 0
		.amdhsa_system_sgpr_workgroup_id_z 1
		.amdhsa_system_sgpr_workgroup_info 0
		.amdhsa_system_vgpr_workitem_id 1
		.amdhsa_next_free_vgpr 227
		.amdhsa_next_free_sgpr 28
		.amdhsa_accum_offset 228
		.amdhsa_reserve_vcc 1
		.amdhsa_float_round_mode_32 0
		.amdhsa_float_round_mode_16_64 0
		.amdhsa_float_denorm_mode_32 3
		.amdhsa_float_denorm_mode_16_64 3
		.amdhsa_dx10_clamp 1
		.amdhsa_ieee_mode 1
		.amdhsa_fp16_overflow 0
		.amdhsa_tg_split 0
		.amdhsa_exception_fp_ieee_invalid_op 0
		.amdhsa_exception_fp_denorm_src 0
		.amdhsa_exception_fp_ieee_div_zero 0
		.amdhsa_exception_fp_ieee_overflow 0
		.amdhsa_exception_fp_ieee_underflow 0
		.amdhsa_exception_fp_ieee_inexact 0
		.amdhsa_exception_int_div_zero 0
	.end_amdhsa_kernel
	.section	.text._ZN12_GLOBAL__N_120geam_min_plus_kernelIf15HIP_vector_typeIfLj2EES2_Li8ELi32ELi64ELi128ELi4ELi64ELi4ELi4ELi64ELc78ELc78ELb0ELb0ELb0EPKfS3_fEEviiiT16_PT17_ilS7_ilS5_S7_ilPT18_ili26rocblas_geam_ex_operation_,"axG",@progbits,_ZN12_GLOBAL__N_120geam_min_plus_kernelIf15HIP_vector_typeIfLj2EES2_Li8ELi32ELi64ELi128ELi4ELi64ELi4ELi4ELi64ELc78ELc78ELb0ELb0ELb0EPKfS3_fEEviiiT16_PT17_ilS7_ilS5_S7_ilPT18_ili26rocblas_geam_ex_operation_,comdat
.Lfunc_end78:
	.size	_ZN12_GLOBAL__N_120geam_min_plus_kernelIf15HIP_vector_typeIfLj2EES2_Li8ELi32ELi64ELi128ELi4ELi64ELi4ELi4ELi64ELc78ELc78ELb0ELb0ELb0EPKfS3_fEEviiiT16_PT17_ilS7_ilS5_S7_ilPT18_ili26rocblas_geam_ex_operation_, .Lfunc_end78-_ZN12_GLOBAL__N_120geam_min_plus_kernelIf15HIP_vector_typeIfLj2EES2_Li8ELi32ELi64ELi128ELi4ELi64ELi4ELi4ELi64ELc78ELc78ELb0ELb0ELb0EPKfS3_fEEviiiT16_PT17_ilS7_ilS5_S7_ilPT18_ili26rocblas_geam_ex_operation_
                                        ; -- End function
	.section	.AMDGPU.csdata,"",@progbits
; Kernel info:
; codeLenInByte = 8936
; NumSgprs: 34
; NumVgprs: 227
; NumAgprs: 0
; TotalNumVgprs: 227
; ScratchSize: 0
; MemoryBound: 0
; FloatMode: 240
; IeeeMode: 1
; LDSByteSize: 6144 bytes/workgroup (compile time only)
; SGPRBlocks: 4
; VGPRBlocks: 28
; NumSGPRsForWavesPerEU: 34
; NumVGPRsForWavesPerEU: 227
; AccumOffset: 228
; Occupancy: 2
; WaveLimiterHint : 0
; COMPUTE_PGM_RSRC2:SCRATCH_EN: 0
; COMPUTE_PGM_RSRC2:USER_SGPR: 2
; COMPUTE_PGM_RSRC2:TRAP_HANDLER: 0
; COMPUTE_PGM_RSRC2:TGID_X_EN: 1
; COMPUTE_PGM_RSRC2:TGID_Y_EN: 0
; COMPUTE_PGM_RSRC2:TGID_Z_EN: 1
; COMPUTE_PGM_RSRC2:TIDIG_COMP_CNT: 1
; COMPUTE_PGM_RSRC3_GFX90A:ACCUM_OFFSET: 56
; COMPUTE_PGM_RSRC3_GFX90A:TG_SPLIT: 0
	.section	.text._ZN12_GLOBAL__N_120geam_min_plus_kernelIf15HIP_vector_typeIfLj2EES2_Li8ELi32ELi64ELi128ELi4ELi64ELi4ELi4ELi64ELc78ELc78ELb1ELb0ELb0EfKffEEviiiT16_PT17_ilS6_ilS4_S6_ilPT18_ili26rocblas_geam_ex_operation_,"axG",@progbits,_ZN12_GLOBAL__N_120geam_min_plus_kernelIf15HIP_vector_typeIfLj2EES2_Li8ELi32ELi64ELi128ELi4ELi64ELi4ELi4ELi64ELc78ELc78ELb1ELb0ELb0EfKffEEviiiT16_PT17_ilS6_ilS4_S6_ilPT18_ili26rocblas_geam_ex_operation_,comdat
	.globl	_ZN12_GLOBAL__N_120geam_min_plus_kernelIf15HIP_vector_typeIfLj2EES2_Li8ELi32ELi64ELi128ELi4ELi64ELi4ELi4ELi64ELc78ELc78ELb1ELb0ELb0EfKffEEviiiT16_PT17_ilS6_ilS4_S6_ilPT18_ili26rocblas_geam_ex_operation_ ; -- Begin function _ZN12_GLOBAL__N_120geam_min_plus_kernelIf15HIP_vector_typeIfLj2EES2_Li8ELi32ELi64ELi128ELi4ELi64ELi4ELi4ELi64ELc78ELc78ELb1ELb0ELb0EfKffEEviiiT16_PT17_ilS6_ilS4_S6_ilPT18_ili26rocblas_geam_ex_operation_
	.p2align	8
	.type	_ZN12_GLOBAL__N_120geam_min_plus_kernelIf15HIP_vector_typeIfLj2EES2_Li8ELi32ELi64ELi128ELi4ELi64ELi4ELi4ELi64ELc78ELc78ELb1ELb0ELb0EfKffEEviiiT16_PT17_ilS6_ilS4_S6_ilPT18_ili26rocblas_geam_ex_operation_,@function
_ZN12_GLOBAL__N_120geam_min_plus_kernelIf15HIP_vector_typeIfLj2EES2_Li8ELi32ELi64ELi128ELi4ELi64ELi4ELi4ELi64ELc78ELc78ELb1ELb0ELb0EfKffEEviiiT16_PT17_ilS6_ilS4_S6_ilPT18_ili26rocblas_geam_ex_operation_: ; @_ZN12_GLOBAL__N_120geam_min_plus_kernelIf15HIP_vector_typeIfLj2EES2_Li8ELi32ELi64ELi128ELi4ELi64ELi4ELi4ELi64ELc78ELc78ELb1ELb0ELb0EfKffEEviiiT16_PT17_ilS6_ilS4_S6_ilPT18_ili26rocblas_geam_ex_operation_
; %bb.0:
	s_load_dwordx2 s[14:15], s[0:1], 0x8
	s_load_dwordx4 s[4:7], s[0:1], 0x20
	s_waitcnt lgkmcnt(0)
	v_cmp_eq_f32_e64 s[8:9], s15, 0
	s_and_b64 vcc, exec, s[8:9]
	s_cbranch_vccnz .LBB79_3
; %bb.1:
	s_load_dwordx2 s[10:11], s[0:1], 0x10
	s_mul_i32 s5, s3, s5
	s_mul_hi_u32 s12, s3, s4
	s_add_i32 s5, s12, s5
	s_mul_i32 s4, s3, s4
	s_lshl_b64 s[4:5], s[4:5], 2
	s_waitcnt lgkmcnt(0)
	s_add_u32 s16, s10, s4
	s_addc_u32 s17, s11, s5
	s_andn2_b64 vcc, exec, s[8:9]
	s_cbranch_vccnz .LBB79_4
.LBB79_2:
	s_mov_b32 s13, 0
	s_mov_b64 s[18:19], 0
	s_cbranch_execz .LBB79_5
	s_branch .LBB79_6
.LBB79_3:
	s_mov_b64 s[16:17], 0
	s_andn2_b64 vcc, exec, s[8:9]
	s_cbranch_vccz .LBB79_2
.LBB79_4:
                                        ; implicit-def: $sgpr18_sgpr19
                                        ; implicit-def: $sgpr12_sgpr13
.LBB79_5:
	s_load_dwordx2 s[4:5], s[0:1], 0x38
	s_mov_b32 s13, 0
	s_waitcnt lgkmcnt(0)
	s_mul_i32 s5, s3, s5
	s_mul_hi_u32 s8, s3, s4
	s_add_i32 s5, s8, s5
	s_mul_i32 s4, s3, s4
	s_lshl_b64 s[4:5], s[4:5], 2
	s_add_u32 s18, s6, s4
	s_addc_u32 s19, s7, s5
.LBB79_6:
	s_load_dword s12, s[0:1], 0x40
	s_load_dwordx4 s[8:11], s[0:1], 0x58
	s_waitcnt lgkmcnt(0)
	v_cmp_eq_f32_e64 s[4:5], s12, 0
	s_and_b64 s[4:5], exec, s[4:5]
	s_mov_b64 vcc, s[4:5]
	s_cbranch_vccnz .LBB79_8
; %bb.7:
	s_load_dwordx2 s[6:7], s[0:1], 0x48
	s_mul_i32 s9, s3, s9
	s_mul_hi_u32 s15, s3, s8
	s_add_i32 s9, s15, s9
	s_mul_i32 s15, s13, s8
	s_add_i32 s9, s9, s15
	s_mul_i32 s8, s3, s8
	s_lshl_b64 s[8:9], s[8:9], 2
	s_waitcnt lgkmcnt(0)
	s_add_u32 s6, s6, s8
	s_addc_u32 s7, s7, s9
	s_branch .LBB79_9
.LBB79_8:
	s_mov_b64 s[6:7], 0
.LBB79_9:
	s_load_dword s8, s[0:1], 0x0
	s_load_dword s20, s[0:1], 0x18
	;; [unrolled: 1-line block ×3, first 2 shown]
	v_and_b32_e32 v138, 0x3ff, v0
	v_bfe_u32 v139, v0, 10, 10
	s_waitcnt lgkmcnt(0)
	s_add_i32 s8, s8, -1
	s_ashr_i32 s9, s8, 31
	s_lshr_b32 s9, s9, 26
	s_add_i32 s8, s8, s9
	s_ashr_i32 s8, s8, 6
	s_add_i32 s9, s8, 1
	v_cvt_f32_u32_e32 v1, s9
	s_not_b32 s8, s8
	v_and_b32_e32 v4, 3, v138
	v_lshlrev_b32_e32 v38, 2, v4
	v_rcp_iflag_f32_e32 v0, v1
	v_lshl_add_u32 v1, v139, 3, v138
	v_lshrrev_b32_e32 v9, 2, v1
	v_and_b32_e32 v8, 63, v1
	v_mul_f32_e32 v0, 0x4f7ffffe, v0
	v_cvt_u32_f32_e32 v0, v0
	v_lshrrev_b32_e32 v34, 6, v1
	v_mov_b32_e32 v39, 0
	v_lshl_add_u64 v[4:5], s[18:19], 0, v[38:39]
	v_readfirstlane_b32 s15, v0
	s_mul_i32 s8, s8, s15
	s_mul_hi_u32 s8, s15, s8
	s_add_i32 s15, s15, s8
	s_mul_hi_u32 s8, s2, s15
	s_mul_i32 s15, s8, s9
	s_sub_i32 s15, s2, s15
	s_add_i32 s22, s8, 1
	s_sub_i32 s23, s15, s9
	s_cmp_ge_u32 s15, s9
	s_cselect_b32 s8, s22, s8
	s_cselect_b32 s15, s23, s15
	s_add_i32 s22, s8, 1
	s_cmp_ge_u32 s15, s9
	s_cselect_b32 s8, s22, s8
	s_mul_i32 s9, s8, s9
	s_lshl_b32 s15, s8, 7
	s_sub_i32 s2, s2, s9
	s_lshl_b32 s2, s2, 6
	v_add_u32_e32 v10, s15, v9
	v_or_b32_e32 v28, s2, v8
	v_mad_i64_i32 v[30:31], s[8:9], v10, s21, 0
	v_add_u32_e32 v10, 64, v10
	v_mad_i64_i32 v[0:1], s[8:9], s20, v34, 0
	v_ashrrev_i32_e32 v29, 31, v28
	v_mad_i64_i32 v[32:33], s[8:9], v10, s21, 0
	v_lshl_add_u64 v[0:1], v[0:1], 2, s[16:17]
	v_lshlrev_b64 v[2:3], 2, v[28:29]
	v_lshl_add_u64 v[6:7], v[30:31], 2, v[4:5]
	v_lshl_add_u64 v[4:5], v[32:33], 2, v[4:5]
	;; [unrolled: 1-line block ×3, first 2 shown]
	flat_load_dword v11, v[6:7]
	flat_load_dword v10, v[4:5]
	flat_load_dword v12, v[0:1]
	v_add_u32_e32 v0, 4, v34
	v_lshlrev_b32_e32 v1, 4, v8
	v_lshl_add_u32 v35, v34, 2, v1
	v_mad_i64_i32 v[0:1], s[8:9], s20, v0, 0
	v_lshl_add_u64 v[0:1], v[0:1], 2, s[16:17]
	flat_load_dword v36, v[4:5] offset:16
	flat_load_dword v37, v[6:7] offset:16
	v_lshl_add_u64 v[0:1], v[0:1], 0, v[2:3]
	flat_load_dword v40, v[0:1]
	v_lshlrev_b32_e32 v141, 4, v139
	v_lshl_or_b32 v142, v9, 4, v38
	v_lshlrev_b32_e32 v140, 4, v138
	s_cmp_lt_i32 s14, 9
	s_waitcnt vmcnt(0) lgkmcnt(0)
	ds_write2st64_b32 v142, v11, v10 offset1:4
	ds_write_b32 v35, v12 offset:4096
	s_waitcnt lgkmcnt(0)
	s_barrier
	ds_read_b128 v[4:7], v141
	ds_read_b128 v[8:11], v141 offset:512
	ds_read_b128 v[0:3], v141 offset:1536
	;; [unrolled: 1-line block ×11, first 2 shown]
	s_waitcnt lgkmcnt(11)
	v_max_f32_e32 v41, v5, v5
	s_waitcnt lgkmcnt(5)
	v_max_f32_e32 v64, v25, v25
	v_max_f32_e32 v65, v4, v4
	;; [unrolled: 1-line block ×11, first 2 shown]
	s_waitcnt lgkmcnt(3)
	v_max_f32_e32 v22, v46, v46
	v_max_f32_e32 v23, v47, v47
	s_waitcnt lgkmcnt(2)
	v_max_f32_e32 v46, v50, v50
	v_max_f32_e32 v47, v51, v51
	s_waitcnt lgkmcnt(1)
	v_max_f32_e32 v50, v54, v54
	v_max_f32_e32 v51, v55, v55
	v_max_f32_e32 v116, v7, v7
	v_max_f32_e32 v117, v6, v6
	v_max_f32_e32 v120, v27, v27
	v_max_f32_e32 v121, v26, v26
	v_max_f32_e32 v86, v48, v48
	v_max_f32_e32 v87, v49, v49
	v_max_f32_e32 v88, v52, v52
	v_max_f32_e32 v89, v53, v53
	v_max_f32_e32 v102, v56, v56
	v_max_f32_e32 v103, v57, v57
	s_waitcnt lgkmcnt(0)
	v_max_f32_e32 v52, v58, v58
	v_max_f32_e32 v53, v59, v59
	;; [unrolled: 1-line block ×8, first 2 shown]
	v_min_f32_e32 v24, v46, v65
	v_min_f32_e32 v25, v47, v41
	;; [unrolled: 1-line block ×18, first 2 shown]
	v_max_f32_e32 v122, v11, v11
	v_max_f32_e32 v123, v10, v10
	v_min_f32_e32 v76, v52, v65
	v_min_f32_e32 v77, v53, v41
	;; [unrolled: 1-line block ×18, first 2 shown]
	v_pk_add_f32 v[50:51], v[50:51], 0 op_sel_hi:[1,0]
	v_min_f32_e32 v57, v120, v116
	v_min_f32_e32 v56, v121, v117
	v_max_f32_e32 v8, v16, v16
	v_max_f32_e32 v6, v17, v17
	v_max_f32_e32 v16, v20, v20
	v_max_f32_e32 v17, v21, v21
	v_max_f32_e32 v124, v15, v15
	v_max_f32_e32 v125, v14, v14
	v_min_f32_e32 v55, v64, v69
	v_min_f32_e32 v54, v66, v70
	v_pk_add_f32 v[84:85], v[56:57], v[50:51]
	v_pk_add_f32 v[50:51], v[52:53], 0 op_sel_hi:[1,0]
	v_min_f32_e32 v53, v120, v122
	v_min_f32_e32 v52, v121, v123
	v_max_f32_e32 v73, v18, v18
	v_max_f32_e32 v74, v19, v19
	v_min_f32_e32 v0, v8, v65
	v_min_f32_e32 v1, v6, v41
	;; [unrolled: 1-line block ×15, first 2 shown]
	v_pk_add_f32 v[70:71], v[52:53], v[50:51]
	v_pk_add_f32 v[50:51], v[54:55], 0 op_sel_hi:[1,0]
	v_min_f32_e32 v53, v120, v124
	v_min_f32_e32 v52, v121, v125
	v_max_f32_e32 v126, v3, v3
	v_max_f32_e32 v127, v2, v2
	v_min_f32_e32 v2, v8, v68
	v_min_f32_e32 v3, v6, v67
	v_pk_add_f32 v[54:55], v[52:53], v[50:51]
	v_pk_add_f32 v[0:1], v[0:1], 0 op_sel_hi:[1,0]
	v_min_f32_e32 v50, v73, v117
	v_min_f32_e32 v51, v74, v116
	v_min_f32_e32 v5, v6, v69
	v_pk_add_f32 v[96:97], v[50:51], v[0:1]
	v_pk_add_f32 v[0:1], v[2:3], 0 op_sel_hi:[1,0]
	v_min_f32_e32 v2, v73, v123
	v_min_f32_e32 v3, v74, v122
	v_min_f32_e32 v6, v8, v72
	v_pk_add_f32 v[80:81], v[2:3], v[0:1]
	v_pk_add_f32 v[0:1], v[4:5], 0 op_sel_hi:[1,0]
	v_min_f32_e32 v2, v73, v125
	v_min_f32_e32 v3, v74, v124
	v_min_f32_e32 v8, v16, v65
	;; [unrolled: 1-line block ×3, first 2 shown]
	v_pk_add_f32 v[66:67], v[2:3], v[0:1]
	v_min_f32_e32 v1, v74, v126
	v_min_f32_e32 v0, v73, v127
	v_pk_add_f32 v[2:3], v[6:7], 0 op_sel_hi:[1,0]
	v_min_f32_e32 v10, v16, v68
	v_pk_add_f32 v[58:59], v[0:1], v[2:3]
	v_pk_add_f32 v[0:1], v[8:9], 0 op_sel_hi:[1,0]
	v_min_f32_e32 v2, v75, v117
	v_min_f32_e32 v3, v82, v116
	v_pk_add_f32 v[92:93], v[2:3], v[0:1]
	v_pk_add_f32 v[0:1], v[10:11], 0 op_sel_hi:[1,0]
	v_min_f32_e32 v2, v75, v123
	v_min_f32_e32 v3, v82, v122
	;; [unrolled: 1-line block ×3, first 2 shown]
	v_pk_add_f32 v[78:79], v[2:3], v[0:1]
	v_pk_add_f32 v[0:1], v[12:13], 0 op_sel_hi:[1,0]
	v_min_f32_e32 v2, v75, v125
	v_min_f32_e32 v3, v82, v124
	;; [unrolled: 1-line block ×3, first 2 shown]
	v_pk_add_f32 v[64:65], v[2:3], v[0:1]
	v_min_f32_e32 v1, v82, v126
	v_min_f32_e32 v0, v75, v127
	v_pk_add_f32 v[2:3], v[14:15], 0 op_sel_hi:[1,0]
	v_min_f32_e32 v18, v22, v68
	v_pk_add_f32 v[50:51], v[0:1], v[2:3]
	v_pk_add_f32 v[0:1], v[16:17], 0 op_sel_hi:[1,0]
	v_min_f32_e32 v2, v86, v117
	v_min_f32_e32 v3, v87, v116
	v_pk_add_f32 v[94:95], v[2:3], v[0:1]
	v_pk_add_f32 v[0:1], v[18:19], 0 op_sel_hi:[1,0]
	v_min_f32_e32 v2, v86, v123
	v_min_f32_e32 v3, v87, v122
	;; [unrolled: 1-line block ×3, first 2 shown]
	v_pk_add_f32 v[82:83], v[2:3], v[0:1]
	v_pk_add_f32 v[0:1], v[20:21], 0 op_sel_hi:[1,0]
	v_min_f32_e32 v2, v86, v125
	v_min_f32_e32 v3, v87, v124
	v_pk_add_f32 v[68:69], v[2:3], v[0:1]
	v_min_f32_e32 v1, v87, v126
	v_min_f32_e32 v0, v86, v127
	v_pk_add_f32 v[2:3], v[22:23], 0 op_sel_hi:[1,0]
	ds_write2st64_b32 v142, v37, v36 offset0:8 offset1:12
	ds_write_b32 v35, v40 offset:5120
	v_pk_add_f32 v[52:53], v[0:1], v[2:3]
	v_pk_add_f32 v[0:1], v[24:25], 0 op_sel_hi:[1,0]
	v_min_f32_e32 v2, v88, v117
	v_min_f32_e32 v3, v89, v116
	v_pk_add_f32 v[98:99], v[2:3], v[0:1]
	v_pk_add_f32 v[0:1], v[26:27], 0 op_sel_hi:[1,0]
	v_min_f32_e32 v2, v88, v123
	v_min_f32_e32 v3, v89, v122
	;; [unrolled: 4-line block ×3, first 2 shown]
	v_pk_add_f32 v[72:73], v[2:3], v[0:1]
	v_min_f32_e32 v1, v89, v126
	v_min_f32_e32 v0, v88, v127
	v_pk_add_f32 v[2:3], v[44:45], 0 op_sel_hi:[1,0]
	s_waitcnt lgkmcnt(0)
	v_pk_add_f32 v[56:57], v[0:1], v[2:3]
	v_pk_add_f32 v[0:1], v[46:47], 0 op_sel_hi:[1,0]
	v_min_f32_e32 v2, v102, v117
	v_min_f32_e32 v3, v103, v116
	v_pk_add_f32 v[100:101], v[2:3], v[0:1]
	v_pk_add_f32 v[0:1], v[48:49], 0 op_sel_hi:[1,0]
	v_min_f32_e32 v2, v102, v123
	v_min_f32_e32 v3, v103, v122
	;; [unrolled: 4-line block ×3, first 2 shown]
	v_pk_add_f32 v[74:75], v[2:3], v[0:1]
	v_min_f32_e32 v1, v103, v126
	v_min_f32_e32 v0, v102, v127
	v_pk_add_f32 v[2:3], v[62:63], 0 op_sel_hi:[1,0]
	s_barrier
	v_pk_add_f32 v[60:61], v[0:1], v[2:3]
	v_pk_add_f32 v[0:1], v[76:77], 0 op_sel_hi:[1,0]
	v_min_f32_e32 v2, v128, v117
	v_min_f32_e32 v3, v129, v116
	v_pk_add_f32 v[102:103], v[2:3], v[0:1]
	v_pk_add_f32 v[0:1], v[90:91], 0 op_sel_hi:[1,0]
	v_min_f32_e32 v2, v128, v123
	v_min_f32_e32 v3, v129, v122
	;; [unrolled: 4-line block ×3, first 2 shown]
	v_pk_add_f32 v[76:77], v[2:3], v[0:1]
	v_min_f32_e32 v1, v129, v126
	v_min_f32_e32 v0, v128, v127
	v_pk_add_f32 v[2:3], v[106:107], 0 op_sel_hi:[1,0]
	s_nop 0
	v_pk_add_f32 v[62:63], v[0:1], v[2:3]
	v_min_f32_e32 v0, v130, v117
	v_min_f32_e32 v1, v131, v116
	v_pk_add_f32 v[2:3], v[108:109], 0 op_sel_hi:[1,0]
	s_nop 0
	;; [unrolled: 5-line block ×6, first 2 shown]
	v_pk_add_f32 v[104:105], v[0:1], v[2:3]
	s_cbranch_scc1 .LBB79_12
; %bb.10:
	v_mov_b32_e32 v0, 0x1400
	v_lshl_add_u32 v147, v138, 4, v0
	v_mov_b32_e32 v0, 0x800
	v_lshl_add_u32 v148, v139, 4, v0
	v_add_u32_e32 v0, 8, v34
	v_mad_i64_i32 v[0:1], s[8:9], v0, s20, 0
	v_lshlrev_b64 v[46:47], 2, v[0:1]
	v_add_u32_e32 v0, 12, v34
	s_ashr_i32 s21, s20, 31
	v_lshl_add_u64 v[40:41], v[28:29], 2, s[16:17]
	v_mad_i64_i32 v[0:1], s[16:17], v0, s20, 0
	v_or_b32_e32 v143, 0x1000, v35
	v_add_u32_e32 v144, 0x1000, v140
	v_add_u32_e32 v145, 0x1400, v35
	;; [unrolled: 1-line block ×3, first 2 shown]
	s_add_i32 s14, s14, -8
	v_lshl_add_u64 v[42:43], v[32:33], 2, s[18:19]
	v_lshl_add_u64 v[44:45], v[30:31], 2, s[18:19]
	s_lshl_b64 s[8:9], s[20:21], 5
	v_lshlrev_b64 v[48:49], 2, v[0:1]
	s_mov_b32 s16, 0
.LBB79_11:                              ; =>This Inner Loop Header: Depth=1
	v_lshl_add_u64 v[0:1], v[40:41], 0, v[46:47]
	flat_load_dword v151, v[0:1]
	v_lshl_add_u64 v[112:113], v[44:45], 0, v[38:39]
	v_lshl_add_u64 v[114:115], v[42:43], 0, v[38:39]
	flat_load_dword v149, v[112:113] offset:32
	flat_load_dword v150, v[114:115] offset:32
	ds_read_b128 v[14:17], v147 offset:896
	ds_read_b128 v[4:7], v148 offset:1536
	ds_read_b128 v[18:21], v148
	ds_read_b128 v[22:25], v148 offset:512
	ds_read_b128 v[26:29], v148 offset:1024
	ds_read_b128 v[30:33], v147
	ds_read_b128 v[34:37], v147 offset:128
	s_waitcnt lgkmcnt(0)
	v_max_f32_e32 v19, v19, v19
	v_max_f32_e32 v152, v15, v15
	;; [unrolled: 1-line block ×4, first 2 shown]
	v_min_f32_e32 v1, v152, v19
	v_min_f32_e32 v0, v153, v18
	ds_read_b128 v[12:15], v147 offset:256
	v_max_f32_e32 v23, v23, v23
	v_max_f32_e32 v22, v22, v22
	v_pk_add_f32 v[120:121], v[0:1], v[84:85]
	v_min_f32_e32 v1, v152, v23
	v_min_f32_e32 v0, v153, v22
	v_max_f32_e32 v154, v27, v27
	v_max_f32_e32 v155, v26, v26
	v_pk_add_f32 v[122:123], v[0:1], v[70:71]
	v_min_f32_e32 v1, v152, v154
	v_min_f32_e32 v0, v153, v155
	;; [unrolled: 5-line block ×3, first 2 shown]
	v_pk_add_f32 v[126:127], v[0:1], v[96:97]
	v_min_f32_e32 v0, v2, v22
	v_min_f32_e32 v1, v3, v23
	v_pk_add_f32 v[128:129], v[0:1], v[80:81]
	v_min_f32_e32 v0, v2, v155
	v_min_f32_e32 v1, v3, v154
	v_max_f32_e32 v30, v5, v5
	v_max_f32_e32 v31, v4, v4
	v_pk_add_f32 v[130:131], v[0:1], v[66:67]
	v_min_f32_e32 v1, v3, v30
	v_min_f32_e32 v0, v2, v31
	v_max_f32_e32 v2, v34, v34
	v_max_f32_e32 v3, v35, v35
	v_pk_add_f32 v[80:81], v[0:1], v[58:59]
	v_min_f32_e32 v0, v2, v18
	v_min_f32_e32 v1, v3, v19
	v_pk_add_f32 v[132:133], v[0:1], v[92:93]
	v_min_f32_e32 v0, v2, v22
	v_min_f32_e32 v1, v3, v23
	;; [unrolled: 3-line block ×4, first 2 shown]
	s_waitcnt lgkmcnt(0)
	v_max_f32_e32 v2, v12, v12
	v_max_f32_e32 v3, v13, v13
	ds_read_b128 v[10:13], v147 offset:384
	v_pk_add_f32 v[136:137], v[0:1], v[50:51]
	v_min_f32_e32 v0, v2, v18
	v_min_f32_e32 v1, v3, v19
	v_pk_add_f32 v[84:85], v[0:1], v[94:95]
	v_min_f32_e32 v0, v2, v22
	v_min_f32_e32 v1, v3, v23
	v_pk_add_f32 v[94:95], v[0:1], v[82:83]
	v_min_f32_e32 v0, v2, v155
	v_min_f32_e32 v1, v3, v154
	v_pk_add_f32 v[96:97], v[0:1], v[68:69]
	v_min_f32_e32 v1, v3, v30
	v_min_f32_e32 v0, v2, v31
	s_waitcnt lgkmcnt(0)
	v_max_f32_e32 v2, v10, v10
	v_max_f32_e32 v3, v11, v11
	ds_read_b128 v[8:11], v147 offset:512
	v_pk_add_f32 v[118:119], v[0:1], v[52:53]
	v_min_f32_e32 v0, v2, v18
	v_min_f32_e32 v1, v3, v19
	v_pk_add_f32 v[78:79], v[0:1], v[98:99]
	v_min_f32_e32 v0, v2, v22
	v_min_f32_e32 v1, v3, v23
	;; [unrolled: 3-line block ×4, first 2 shown]
	s_waitcnt lgkmcnt(0)
	v_max_f32_e32 v2, v8, v8
	v_max_f32_e32 v3, v9, v9
	v_pk_add_f32 v[92:93], v[0:1], v[56:57]
	v_min_f32_e32 v0, v2, v18
	v_min_f32_e32 v1, v3, v19
	v_pk_add_f32 v[66:67], v[0:1], v[100:101]
	v_min_f32_e32 v0, v2, v22
	v_min_f32_e32 v1, v3, v23
	;; [unrolled: 3-line block ×4, first 2 shown]
	ds_read_b128 v[2:5], v147 offset:640
	v_pk_add_f32 v[72:73], v[0:1], v[60:61]
	v_max_f32_e32 v98, v21, v21
	v_max_f32_e32 v99, v20, v20
	v_max_f32_e32 v25, v25, v25
	s_waitcnt lgkmcnt(0)
	v_max_f32_e32 v2, v2, v2
	v_max_f32_e32 v3, v3, v3
	v_min_f32_e32 v0, v2, v18
	v_min_f32_e32 v1, v3, v19
	v_pk_add_f32 v[50:51], v[0:1], v[102:103]
	v_min_f32_e32 v0, v2, v22
	v_min_f32_e32 v1, v3, v23
	v_pk_add_f32 v[52:53], v[0:1], v[90:91]
	;; [unrolled: 3-line block ×4, first 2 shown]
	ds_read_b128 v[0:3], v147 offset:768
	v_max_f32_e32 v24, v24, v24
	v_max_f32_e32 v29, v29, v29
	;; [unrolled: 1-line block ×11, first 2 shown]
	v_min_f32_e32 v32, v62, v99
	v_min_f32_e32 v33, v63, v98
	;; [unrolled: 1-line block ×12, first 2 shown]
	v_pk_add_f32 v[74:75], v[6:7], v[80:81]
	v_min_f32_e32 v6, v76, v99
	v_min_f32_e32 v7, v77, v98
	;; [unrolled: 1-line block ×4, first 2 shown]
	v_pk_add_f32 v[62:63], v[62:63], v[64:65]
	v_min_f32_e32 v65, v77, v102
	v_min_f32_e32 v64, v76, v103
	v_pk_add_f32 v[76:77], v[14:15], v[84:85]
	v_min_f32_e32 v14, v88, v24
	v_min_f32_e32 v15, v89, v25
	;; [unrolled: 3-line block ×3, first 2 shown]
	s_waitcnt lgkmcnt(0)
	v_max_f32_e32 v8, v0, v0
	v_max_f32_e32 v9, v1, v1
	v_pk_add_f32 v[84:85], v[14:15], v[96:97]
	v_min_f32_e32 v15, v89, v102
	v_min_f32_e32 v14, v88, v103
	;; [unrolled: 1-line block ×4, first 2 shown]
	v_pk_add_f32 v[88:89], v[14:15], v[118:119]
	v_max_f32_e32 v14, v12, v12
	v_max_f32_e32 v15, v13, v13
	v_pk_add_f32 v[26:27], v[0:1], v[116:117]
	v_min_f32_e32 v0, v8, v22
	v_min_f32_e32 v1, v9, v23
	;; [unrolled: 1-line block ×4, first 2 shown]
	v_pk_add_f32 v[22:23], v[0:1], v[110:111]
	v_min_f32_e32 v0, v8, v155
	v_min_f32_e32 v1, v9, v154
	v_pk_add_f32 v[90:91], v[12:13], v[78:79]
	v_min_f32_e32 v12, v14, v24
	v_min_f32_e32 v13, v15, v25
	;; [unrolled: 3-line block ×6, first 2 shown]
	v_pk_add_f32 v[0:1], v[0:1], v[104:105]
	v_pk_add_f32 v[104:105], v[12:13], v[92:93]
	v_max_f32_e32 v12, v10, v10
	v_max_f32_e32 v13, v11, v11
	v_min_f32_e32 v10, v12, v99
	v_min_f32_e32 v11, v13, v98
	v_pk_add_f32 v[108:109], v[10:11], v[66:67]
	v_min_f32_e32 v10, v12, v24
	v_min_f32_e32 v11, v13, v25
	v_pk_add_f32 v[110:111], v[10:11], v[68:69]
	;; [unrolled: 3-line block ×3, first 2 shown]
	v_min_f32_e32 v11, v13, v102
	v_min_f32_e32 v10, v12, v103
	v_max_f32_e32 v21, v17, v17
	v_max_f32_e32 v20, v16, v16
	v_pk_add_f32 v[118:119], v[10:11], v[72:73]
	v_max_f32_e32 v10, v4, v4
	v_max_f32_e32 v11, v5, v5
	v_min_f32_e32 v17, v21, v98
	v_min_f32_e32 v16, v20, v99
	;; [unrolled: 1-line block ×4, first 2 shown]
	v_pk_add_f32 v[16:17], v[16:17], v[120:121]
	v_min_f32_e32 v31, v21, v25
	v_min_f32_e32 v30, v20, v24
	v_pk_add_f32 v[120:121], v[4:5], v[50:51]
	v_min_f32_e32 v4, v10, v24
	v_min_f32_e32 v5, v11, v25
	;; [unrolled: 3-line block ×4, first 2 shown]
	v_pk_add_f32 v[34:35], v[34:35], v[124:125]
	v_pk_add_f32 v[124:125], v[4:5], v[54:55]
	v_min_f32_e32 v5, v11, v102
	v_min_f32_e32 v4, v10, v103
	v_pk_add_f32 v[32:33], v[32:33], v[126:127]
	v_pk_add_f32 v[126:127], v[4:5], v[56:57]
	v_max_f32_e32 v4, v2, v2
	v_max_f32_e32 v5, v3, v3
	v_min_f32_e32 v2, v4, v99
	v_min_f32_e32 v3, v5, v98
	v_pk_add_f32 v[58:59], v[58:59], v[128:129]
	v_pk_add_f32 v[128:129], v[2:3], v[26:27]
	v_min_f32_e32 v2, v4, v24
	v_min_f32_e32 v3, v5, v25
	v_pk_add_f32 v[60:61], v[60:61], v[130:131]
	v_pk_add_f32 v[130:131], v[2:3], v[22:23]
	;; [unrolled: 4-line block ×5, first 2 shown]
	v_lshl_add_u64 v[0:1], v[40:41], 0, v[48:49]
	s_waitcnt vmcnt(0)
	ds_write_b32 v143, v151
	ds_write2st64_b32 v142, v149, v150 offset1:4
	s_waitcnt lgkmcnt(0)
	s_barrier
	flat_load_dword v149, v[0:1]
	flat_load_dword v150, v[112:113] offset:48
	flat_load_dword v151, v[114:115] offset:48
	ds_read_b128 v[18:21], v144 offset:896
	ds_read_b128 v[8:11], v141 offset:1536
	ds_read_b128 v[26:29], v141
	s_add_i32 s16, s16, 8
	v_lshl_add_u64 v[42:43], v[42:43], 0, 32
	s_waitcnt lgkmcnt(0)
	v_max_f32_e32 v113, v19, v19
	v_max_f32_e32 v115, v18, v18
	v_max_f32_e32 v112, v27, v27
	v_max_f32_e32 v114, v26, v26
	ds_read_b128 v[24:27], v141 offset:512
	v_min_f32_e32 v1, v113, v112
	v_min_f32_e32 v0, v115, v114
	v_pk_add_f32 v[106:107], v[0:1], v[16:17]
	ds_read_b128 v[16:19], v144
	s_waitcnt lgkmcnt(0)
	v_max_f32_e32 v152, v25, v25
	v_max_f32_e32 v153, v24, v24
	ds_read_b128 v[22:25], v141 offset:1024
	v_min_f32_e32 v1, v113, v152
	v_min_f32_e32 v0, v115, v153
	v_max_f32_e32 v2, v16, v16
	v_max_f32_e32 v3, v17, v17
	ds_read_b128 v[14:17], v144 offset:128
	s_waitcnt lgkmcnt(0)
	v_max_f32_e32 v23, v23, v23
	v_max_f32_e32 v22, v22, v22
	v_pk_add_f32 v[70:71], v[0:1], v[30:31]
	v_min_f32_e32 v1, v113, v23
	v_min_f32_e32 v0, v115, v22
	v_pk_add_f32 v[54:55], v[0:1], v[34:35]
	v_min_f32_e32 v0, v2, v114
	v_min_f32_e32 v1, v3, v112
	;; [unrolled: 3-line block ×4, first 2 shown]
	v_max_f32_e32 v154, v9, v9
	v_max_f32_e32 v155, v8, v8
	v_pk_add_f32 v[92:93], v[0:1], v[60:61]
	v_min_f32_e32 v1, v3, v154
	v_min_f32_e32 v0, v2, v155
	v_max_f32_e32 v2, v14, v14
	v_max_f32_e32 v3, v15, v15
	ds_read_b128 v[12:15], v144 offset:256
	v_pk_add_f32 v[50:51], v[0:1], v[74:75]
	v_min_f32_e32 v0, v2, v114
	v_min_f32_e32 v1, v3, v112
	v_pk_add_f32 v[78:79], v[0:1], v[6:7]
	ds_read_b128 v[6:9], v144 offset:384
	v_min_f32_e32 v0, v2, v153
	v_min_f32_e32 v1, v3, v152
	v_pk_add_f32 v[82:83], v[0:1], v[36:37]
	v_min_f32_e32 v0, v2, v22
	v_min_f32_e32 v1, v3, v23
	v_pk_add_f32 v[94:95], v[0:1], v[62:63]
	v_min_f32_e32 v1, v3, v154
	v_min_f32_e32 v0, v2, v155
	s_waitcnt lgkmcnt(0)
	v_max_f32_e32 v2, v12, v12
	v_max_f32_e32 v3, v13, v13
	v_pk_add_f32 v[102:103], v[0:1], v[64:65]
	v_min_f32_e32 v0, v2, v114
	v_min_f32_e32 v1, v3, v112
	v_pk_add_f32 v[52:53], v[0:1], v[76:77]
	v_min_f32_e32 v0, v2, v153
	v_min_f32_e32 v1, v3, v152
	v_max_f32_e32 v29, v29, v29
	v_max_f32_e32 v21, v21, v21
	;; [unrolled: 1-line block ×4, first 2 shown]
	v_pk_add_f32 v[68:69], v[0:1], v[80:81]
	v_min_f32_e32 v0, v2, v22
	v_min_f32_e32 v1, v3, v23
	;; [unrolled: 1-line block ×4, first 2 shown]
	v_max_f32_e32 v27, v27, v27
	v_max_f32_e32 v26, v26, v26
	v_pk_add_f32 v[86:87], v[0:1], v[84:85]
	v_pk_add_f32 v[84:85], v[64:65], v[106:107]
	v_min_f32_e32 v65, v21, v27
	v_min_f32_e32 v64, v20, v26
	v_max_f32_e32 v25, v25, v25
	v_max_f32_e32 v24, v24, v24
	v_min_f32_e32 v1, v3, v154
	v_min_f32_e32 v0, v2, v155
	v_max_f32_e32 v2, v6, v6
	v_max_f32_e32 v3, v7, v7
	v_pk_add_f32 v[70:71], v[64:65], v[70:71]
	v_min_f32_e32 v65, v21, v25
	v_min_f32_e32 v64, v20, v24
	v_pk_add_f32 v[98:99], v[0:1], v[88:89]
	v_min_f32_e32 v0, v2, v114
	v_min_f32_e32 v1, v3, v112
	v_pk_add_f32 v[54:55], v[64:65], v[54:55]
	v_max_f32_e32 v64, v18, v18
	v_max_f32_e32 v65, v19, v19
	v_pk_add_f32 v[56:57], v[0:1], v[90:91]
	v_min_f32_e32 v0, v2, v153
	v_min_f32_e32 v1, v3, v152
	;; [unrolled: 1-line block ×4, first 2 shown]
	v_pk_add_f32 v[72:73], v[0:1], v[96:97]
	v_pk_add_f32 v[96:97], v[18:19], v[66:67]
	v_min_f32_e32 v18, v64, v26
	v_min_f32_e32 v19, v65, v27
	v_pk_add_f32 v[80:81], v[18:19], v[58:59]
	v_min_f32_e32 v18, v64, v24
	v_min_f32_e32 v19, v65, v25
	v_max_f32_e32 v11, v11, v11
	v_max_f32_e32 v10, v10, v10
	v_pk_add_f32 v[66:67], v[18:19], v[92:93]
	v_min_f32_e32 v19, v65, v11
	v_min_f32_e32 v18, v64, v10
	ds_read_b128 v[4:7], v144 offset:512
	v_pk_add_f32 v[58:59], v[18:19], v[50:51]
	v_max_f32_e32 v18, v16, v16
	v_max_f32_e32 v19, v17, v17
	v_min_f32_e32 v16, v18, v28
	v_min_f32_e32 v17, v19, v29
	v_pk_add_f32 v[92:93], v[16:17], v[78:79]
	v_min_f32_e32 v16, v18, v26
	v_min_f32_e32 v17, v19, v27
	v_pk_add_f32 v[78:79], v[16:17], v[82:83]
	v_min_f32_e32 v16, v18, v24
	v_min_f32_e32 v17, v19, v25
	;; [unrolled: 1-line block ×4, first 2 shown]
	v_pk_add_f32 v[64:65], v[16:17], v[94:95]
	v_min_f32_e32 v17, v19, v11
	v_min_f32_e32 v16, v18, v10
	v_pk_add_f32 v[88:89], v[0:1], v[100:101]
	v_min_f32_e32 v1, v3, v154
	v_min_f32_e32 v0, v2, v155
	s_waitcnt lgkmcnt(0)
	v_max_f32_e32 v2, v4, v4
	v_max_f32_e32 v3, v5, v5
	v_pk_add_f32 v[50:51], v[16:17], v[102:103]
	v_max_f32_e32 v16, v14, v14
	v_max_f32_e32 v17, v15, v15
	v_pk_add_f32 v[100:101], v[0:1], v[104:105]
	v_min_f32_e32 v0, v2, v114
	v_min_f32_e32 v1, v3, v112
	;; [unrolled: 1-line block ×4, first 2 shown]
	v_pk_add_f32 v[60:61], v[0:1], v[108:109]
	v_min_f32_e32 v0, v2, v153
	v_min_f32_e32 v1, v3, v152
	v_pk_add_f32 v[94:95], v[14:15], v[52:53]
	v_min_f32_e32 v14, v16, v26
	v_min_f32_e32 v15, v17, v27
	;; [unrolled: 3-line block ×5, first 2 shown]
	ds_read_b128 v[2:5], v144 offset:640
	v_pk_add_f32 v[68:69], v[14:15], v[86:87]
	v_min_f32_e32 v15, v17, v11
	v_min_f32_e32 v14, v16, v10
	v_pk_add_f32 v[52:53], v[14:15], v[98:99]
	v_max_f32_e32 v14, v8, v8
	v_max_f32_e32 v15, v9, v9
	v_min_f32_e32 v8, v14, v28
	v_min_f32_e32 v9, v15, v29
	v_pk_add_f32 v[98:99], v[8:9], v[56:57]
	v_min_f32_e32 v8, v14, v26
	v_min_f32_e32 v9, v15, v27
	v_pk_add_f32 v[86:87], v[8:9], v[72:73]
	v_min_f32_e32 v8, v14, v24
	v_min_f32_e32 v9, v15, v25
	s_waitcnt lgkmcnt(0)
	v_max_f32_e32 v2, v2, v2
	v_max_f32_e32 v3, v3, v3
	v_pk_add_f32 v[72:73], v[8:9], v[88:89]
	v_min_f32_e32 v9, v15, v11
	v_min_f32_e32 v8, v14, v10
	v_pk_add_f32 v[90:91], v[0:1], v[118:119]
	v_min_f32_e32 v0, v2, v114
	v_min_f32_e32 v1, v3, v112
	v_pk_add_f32 v[56:57], v[8:9], v[100:101]
	v_max_f32_e32 v8, v6, v6
	v_max_f32_e32 v9, v7, v7
	v_pk_add_f32 v[34:35], v[0:1], v[120:121]
	v_min_f32_e32 v0, v2, v153
	v_min_f32_e32 v1, v3, v152
	;; [unrolled: 1-line block ×4, first 2 shown]
	v_pk_add_f32 v[36:37], v[0:1], v[122:123]
	v_min_f32_e32 v0, v2, v22
	v_min_f32_e32 v1, v3, v23
	v_pk_add_f32 v[100:101], v[6:7], v[60:61]
	v_min_f32_e32 v6, v8, v26
	v_min_f32_e32 v7, v9, v27
	;; [unrolled: 3-line block ×4, first 2 shown]
	v_pk_add_f32 v[104:105], v[0:1], v[126:127]
	ds_read_b128 v[0:3], v144 offset:768
	v_pk_add_f32 v[74:75], v[6:7], v[76:77]
	v_min_f32_e32 v7, v9, v11
	v_min_f32_e32 v6, v8, v10
	v_pk_add_f32 v[60:61], v[6:7], v[90:91]
	v_max_f32_e32 v6, v4, v4
	v_max_f32_e32 v7, v5, v5
	v_min_f32_e32 v4, v6, v28
	v_min_f32_e32 v5, v7, v29
	v_pk_add_f32 v[102:103], v[4:5], v[34:35]
	v_min_f32_e32 v4, v6, v26
	v_min_f32_e32 v5, v7, v27
	v_pk_add_f32 v[90:91], v[4:5], v[36:37]
	v_min_f32_e32 v4, v6, v24
	v_min_f32_e32 v5, v7, v25
	s_waitcnt lgkmcnt(0)
	v_max_f32_e32 v12, v0, v0
	v_max_f32_e32 v13, v1, v1
	v_pk_add_f32 v[76:77], v[4:5], v[62:63]
	v_min_f32_e32 v5, v7, v11
	v_min_f32_e32 v4, v6, v10
	;; [unrolled: 1-line block ×4, first 2 shown]
	v_pk_add_f32 v[62:63], v[4:5], v[104:105]
	v_max_f32_e32 v4, v2, v2
	v_max_f32_e32 v5, v3, v3
	v_pk_add_f32 v[32:33], v[0:1], v[128:129]
	v_min_f32_e32 v0, v12, v153
	v_min_f32_e32 v1, v13, v152
	;; [unrolled: 1-line block ×4, first 2 shown]
	v_pk_add_f32 v[30:31], v[0:1], v[130:131]
	v_min_f32_e32 v0, v12, v22
	v_min_f32_e32 v1, v13, v23
	v_pk_add_f32 v[116:117], v[2:3], v[32:33]
	v_min_f32_e32 v2, v4, v26
	v_min_f32_e32 v3, v5, v27
	;; [unrolled: 3-line block ×6, first 2 shown]
	v_pk_add_f32 v[0:1], v[0:1], v[136:137]
	v_pk_add_f32 v[106:107], v[2:3], v[12:13]
	v_min_f32_e32 v3, v21, v11
	v_min_f32_e32 v2, v20, v10
	v_pk_add_f32 v[104:105], v[2:3], v[0:1]
	v_lshl_add_u64 v[44:45], v[44:45], 0, 32
	v_lshl_add_u64 v[40:41], v[40:41], 0, s[8:9]
	s_cmp_ge_i32 s16, s14
	s_waitcnt vmcnt(0)
	ds_write_b32 v145, v149
	ds_write2st64_b32 v146, v150, v151 offset1:4
	s_waitcnt lgkmcnt(0)
	s_barrier
	s_cbranch_scc0 .LBB79_11
.LBB79_12:
	s_load_dword s14, s[0:1], 0x50
	ds_read_b128 v[40:43], v141 offset:2048
	ds_read_b128 v[44:47], v140 offset:5120
	v_add_u32_e32 v114, s15, v139
	v_cmp_neq_f32_e64 s[8:9], s12, 0
	v_add_u32_e32 v48, s2, v138
	s_waitcnt lgkmcnt(0)
	v_mad_i64_i32 v[0:1], s[16:17], v114, s14, 0
	v_ashrrev_i32_e32 v49, 31, v48
	v_lshl_add_u64 v[112:113], v[0:1], 2, s[6:7]
	s_and_b64 vcc, exec, s[8:9]
	v_mov_b32_e32 v122, 0
	v_mov_b32_e32 v123, 0
	s_cbranch_vccz .LBB79_14
; %bb.13:
	v_lshl_add_u64 v[0:1], v[48:49], 2, v[112:113]
	flat_load_dword v0, v[0:1]
	s_waitcnt vmcnt(0) lgkmcnt(0)
	v_mul_f32_e32 v123, s12, v0
.LBB79_14:
	ds_read_b128 v[12:15], v140 offset:6016
	ds_read_b128 v[0:3], v141 offset:3584
	;; [unrolled: 1-line block ×6, first 2 shown]
	s_load_dword s15, s[0:1], 0x68
	s_load_dwordx2 s[16:17], s[0:1], 0x70
	ds_read_b128 v[28:31], v140 offset:5504
	ds_read_b128 v[24:27], v140 offset:5632
	;; [unrolled: 1-line block ×4, first 2 shown]
	v_max_f32_e32 v118, v40, v40
	v_max_f32_e32 v44, v44, v44
	;; [unrolled: 1-line block ×3, first 2 shown]
	s_waitcnt lgkmcnt(0)
	s_mul_i32 s0, s3, s17
	s_mul_hi_u32 s1, s3, s16
	s_add_i32 s0, s1, s0
	s_mul_i32 s1, s13, s16
	v_max_f32_e32 v115, v45, v45
	s_add_i32 s1, s0, s1
	s_mul_i32 s0, s3, s16
	v_min_f32_e32 v40, v44, v118
	v_min_f32_e32 v41, v115, v120
	v_max_f32_e32 v119, v42, v42
	v_max_f32_e32 v45, v46, v46
	;; [unrolled: 1-line block ×4, first 2 shown]
	s_lshl_b64 s[0:1], s[0:1], 2
	v_pk_add_f32 v[40:41], v[40:41], v[96:97]
	v_min_f32_e32 v42, v45, v119
	v_min_f32_e32 v43, v46, v121
	s_add_u32 s2, s10, s0
	v_pk_add_f32 v[96:97], v[42:43], v[40:41]
	s_addc_u32 s3, s11, s1
	v_mad_i64_i32 v[42:43], s[0:1], v114, s15, 0
	v_add_f32_e32 v47, v96, v97
	v_add_u32_e32 v40, 8, v48
	v_lshl_add_u64 v[42:43], v[42:43], 2, s[2:3]
	v_add_f32_e32 v47, v47, v123
	v_cndmask_b32_e64 v123, 0, 1, s[8:9]
	v_ashrrev_i32_e32 v41, 31, v40
	v_lshl_add_u64 v[96:97], v[48:49], 2, v[42:43]
	v_cmp_ne_u32_e64 s[0:1], 1, v123
	s_andn2_b64 vcc, exec, s[8:9]
	global_store_dword v[96:97], v47, off
	s_cbranch_vccnz .LBB79_16
; %bb.15:
	v_lshl_add_u64 v[96:97], v[40:41], 2, v[112:113]
	flat_load_dword v47, v[96:97]
	s_waitcnt vmcnt(0) lgkmcnt(0)
	v_mul_f32_e32 v122, s12, v47
.LBB79_16:
	v_max_f32_e32 v47, v36, v36
	v_max_f32_e32 v96, v37, v37
	v_min_f32_e32 v36, v47, v118
	v_min_f32_e32 v37, v96, v120
	v_max_f32_e32 v38, v38, v38
	v_max_f32_e32 v39, v39, v39
	v_pk_add_f32 v[36:37], v[36:37], v[92:93]
	v_min_f32_e32 v92, v38, v119
	v_min_f32_e32 v93, v39, v121
	v_pk_add_f32 v[36:37], v[92:93], v[36:37]
	s_and_b64 vcc, exec, s[0:1]
	v_add_f32_e32 v92, v36, v37
	v_add_u32_e32 v36, 16, v48
	v_add_f32_e32 v97, v92, v122
	v_lshl_add_u64 v[92:93], v[40:41], 2, v[42:43]
	v_ashrrev_i32_e32 v37, 31, v36
	global_store_dword v[92:93], v97, off
	v_mov_b32_e32 v97, 0
	v_mov_b32_e32 v122, 0
	s_cbranch_vccnz .LBB79_18
; %bb.17:
	v_lshl_add_u64 v[92:93], v[36:37], 2, v[112:113]
	flat_load_dword v92, v[92:93]
	s_waitcnt vmcnt(0) lgkmcnt(0)
	v_mul_f32_e32 v122, s12, v92
.LBB79_18:
	v_max_f32_e32 v92, v32, v32
	v_max_f32_e32 v93, v33, v33
	v_min_f32_e32 v32, v92, v118
	v_min_f32_e32 v33, v93, v120
	v_max_f32_e32 v34, v34, v34
	v_max_f32_e32 v35, v35, v35
	v_pk_add_f32 v[32:33], v[32:33], v[94:95]
	v_min_f32_e32 v94, v34, v119
	v_min_f32_e32 v95, v35, v121
	v_pk_add_f32 v[32:33], v[94:95], v[32:33]
	s_and_b64 vcc, exec, s[0:1]
	v_add_f32_e32 v94, v32, v33
	v_add_u32_e32 v32, 24, v48
	v_ashrrev_i32_e32 v33, 31, v32
	v_add_f32_e32 v122, v94, v122
	v_lshl_add_u64 v[94:95], v[36:37], 2, v[42:43]
	global_store_dword v[94:95], v122, off
	s_cbranch_vccnz .LBB79_20
; %bb.19:
	v_lshl_add_u64 v[94:95], v[32:33], 2, v[112:113]
	flat_load_dword v94, v[94:95]
	s_waitcnt vmcnt(0) lgkmcnt(0)
	v_mul_f32_e32 v97, s12, v94
.LBB79_20:
	v_max_f32_e32 v94, v28, v28
	v_max_f32_e32 v95, v29, v29
	v_min_f32_e32 v28, v94, v118
	v_min_f32_e32 v29, v95, v120
	v_max_f32_e32 v30, v30, v30
	v_max_f32_e32 v31, v31, v31
	v_pk_add_f32 v[28:29], v[28:29], v[98:99]
	v_min_f32_e32 v98, v30, v119
	v_min_f32_e32 v99, v31, v121
	v_pk_add_f32 v[28:29], v[98:99], v[28:29]
	s_and_b64 vcc, exec, s[0:1]
	v_add_f32_e32 v98, v28, v29
	v_add_u32_e32 v28, 32, v48
	v_add_f32_e32 v97, v98, v97
	v_lshl_add_u64 v[98:99], v[32:33], 2, v[42:43]
	v_ashrrev_i32_e32 v29, 31, v28
	global_store_dword v[98:99], v97, off
	v_mov_b32_e32 v122, 0
	v_mov_b32_e32 v99, 0
	s_cbranch_vccnz .LBB79_22
; %bb.21:
	v_lshl_add_u64 v[98:99], v[28:29], 2, v[112:113]
	flat_load_dword v97, v[98:99]
	s_waitcnt vmcnt(0) lgkmcnt(0)
	v_mul_f32_e32 v99, s12, v97
.LBB79_22:
	v_max_f32_e32 v97, v24, v24
	v_max_f32_e32 v98, v25, v25
	v_min_f32_e32 v24, v97, v118
	v_min_f32_e32 v25, v98, v120
	v_max_f32_e32 v26, v26, v26
	v_max_f32_e32 v27, v27, v27
	v_pk_add_f32 v[24:25], v[24:25], v[100:101]
	v_min_f32_e32 v100, v26, v119
	v_min_f32_e32 v101, v27, v121
	v_pk_add_f32 v[24:25], v[100:101], v[24:25]
	s_and_b64 vcc, exec, s[0:1]
	v_add_f32_e32 v100, v24, v25
	v_add_u32_e32 v24, 40, v48
	v_ashrrev_i32_e32 v25, 31, v24
	v_add_f32_e32 v99, v100, v99
	v_lshl_add_u64 v[100:101], v[28:29], 2, v[42:43]
	global_store_dword v[100:101], v99, off
	s_cbranch_vccnz .LBB79_24
; %bb.23:
	v_lshl_add_u64 v[100:101], v[24:25], 2, v[112:113]
	flat_load_dword v99, v[100:101]
	s_waitcnt vmcnt(0) lgkmcnt(0)
	v_mul_f32_e32 v122, s12, v99
.LBB79_24:
	v_max_f32_e32 v99, v20, v20
	v_max_f32_e32 v100, v21, v21
	v_min_f32_e32 v20, v99, v118
	v_min_f32_e32 v21, v100, v120
	v_max_f32_e32 v22, v22, v22
	v_max_f32_e32 v23, v23, v23
	v_pk_add_f32 v[20:21], v[20:21], v[102:103]
	v_min_f32_e32 v102, v22, v119
	v_min_f32_e32 v103, v23, v121
	v_pk_add_f32 v[20:21], v[102:103], v[20:21]
	v_lshl_add_u64 v[102:103], v[24:25], 2, v[42:43]
	v_add_f32_e32 v101, v20, v21
	v_add_u32_e32 v20, 48, v48
	v_ashrrev_i32_e32 v21, 31, v20
	v_add_f32_e32 v101, v101, v122
	s_and_b64 vcc, exec, s[0:1]
	v_mov_b32_e32 v122, 0
	v_mov_b32_e32 v123, 0
	global_store_dword v[102:103], v101, off
	s_cbranch_vccnz .LBB79_26
; %bb.25:
	v_lshl_add_u64 v[102:103], v[20:21], 2, v[112:113]
	flat_load_dword v101, v[102:103]
	s_waitcnt vmcnt(0) lgkmcnt(0)
	v_mul_f32_e32 v123, s12, v101
.LBB79_26:
	v_max_f32_e32 v101, v16, v16
	v_max_f32_e32 v103, v17, v17
	v_min_f32_e32 v16, v101, v118
	v_min_f32_e32 v17, v103, v120
	v_pk_add_f32 v[16:17], v[16:17], v[116:117]
	v_max_f32_e32 v102, v18, v18
	v_max_f32_e32 v116, v19, v19
	v_min_f32_e32 v18, v102, v119
	v_min_f32_e32 v19, v116, v121
	v_pk_add_f32 v[16:17], v[18:19], v[16:17]
	s_and_b64 vcc, exec, s[0:1]
	v_add_f32_e32 v18, v16, v17
	v_add_u32_e32 v16, 56, v48
	v_ashrrev_i32_e32 v17, 31, v16
	v_add_f32_e32 v117, v18, v123
	v_lshl_add_u64 v[18:19], v[20:21], 2, v[42:43]
	global_store_dword v[18:19], v117, off
	s_cbranch_vccnz .LBB79_28
; %bb.27:
	v_lshl_add_u64 v[18:19], v[16:17], 2, v[112:113]
	flat_load_dword v18, v[18:19]
	s_waitcnt vmcnt(0) lgkmcnt(0)
	v_mul_f32_e32 v122, s12, v18
.LBB79_28:
	v_max_f32_e32 v18, v13, v13
	v_max_f32_e32 v19, v12, v12
	v_min_f32_e32 v13, v18, v120
	v_min_f32_e32 v12, v19, v118
	v_max_f32_e32 v15, v15, v15
	v_max_f32_e32 v14, v14, v14
	v_pk_add_f32 v[12:13], v[12:13], v[84:85]
	v_min_f32_e32 v85, v15, v121
	v_min_f32_e32 v84, v14, v119
	v_pk_add_f32 v[12:13], v[84:85], v[12:13]
	v_add_u32_e32 v85, 32, v114
	v_add_f32_e32 v12, v12, v13
	v_add_f32_e32 v84, v12, v122
	v_lshl_add_u64 v[12:13], v[16:17], 2, v[42:43]
	global_store_dword v[12:13], v84, off
	v_mad_i64_i32 v[12:13], s[8:9], v85, s14, 0
	v_lshl_add_u64 v[12:13], v[12:13], 2, s[6:7]
	s_and_b64 vcc, exec, s[0:1]
	v_mov_b32_e32 v84, 0
	v_mov_b32_e32 v112, 0
	s_cbranch_vccnz .LBB79_30
; %bb.29:
	v_lshl_add_u64 v[42:43], v[48:49], 2, v[12:13]
	flat_load_dword v42, v[42:43]
	s_waitcnt vmcnt(0) lgkmcnt(0)
	v_mul_f32_e32 v112, s12, v42
.LBB79_30:
	v_max_f32_e32 v42, v8, v8
	v_max_f32_e32 v43, v9, v9
	v_min_f32_e32 v8, v44, v42
	v_min_f32_e32 v9, v115, v43
	v_max_f32_e32 v10, v10, v10
	v_max_f32_e32 v11, v11, v11
	v_pk_add_f32 v[8:9], v[8:9], v[80:81]
	v_min_f32_e32 v80, v45, v10
	v_min_f32_e32 v81, v46, v11
	v_pk_add_f32 v[80:81], v[80:81], v[8:9]
	v_mad_i64_i32 v[8:9], s[8:9], v85, s15, 0
	v_lshl_add_u64 v[8:9], v[8:9], 2, s[2:3]
	v_add_f32_e32 v80, v80, v81
	v_add_f32_e32 v85, v80, v112
	v_lshl_add_u64 v[80:81], v[48:49], 2, v[8:9]
	s_and_b64 vcc, exec, s[0:1]
	global_store_dword v[80:81], v85, off
	s_cbranch_vccnz .LBB79_32
; %bb.31:
	v_lshl_add_u64 v[80:81], v[40:41], 2, v[12:13]
	flat_load_dword v80, v[80:81]
	s_waitcnt vmcnt(0) lgkmcnt(0)
	v_mul_f32_e32 v84, s12, v80
.LBB79_32:
	v_min_f32_e32 v80, v47, v42
	v_min_f32_e32 v81, v96, v43
	v_pk_add_f32 v[78:79], v[80:81], v[78:79]
	v_min_f32_e32 v80, v38, v10
	v_min_f32_e32 v81, v39, v11
	v_pk_add_f32 v[78:79], v[80:81], v[78:79]
	s_and_b64 vcc, exec, s[0:1]
	v_add_f32_e32 v78, v78, v79
	v_add_f32_e32 v80, v78, v84
	v_lshl_add_u64 v[78:79], v[40:41], 2, v[8:9]
	global_store_dword v[78:79], v80, off
	v_mov_b32_e32 v78, 0
	v_mov_b32_e32 v79, 0
	s_cbranch_vccnz .LBB79_34
; %bb.33:
	v_lshl_add_u64 v[80:81], v[36:37], 2, v[12:13]
	flat_load_dword v79, v[80:81]
	s_waitcnt vmcnt(0) lgkmcnt(0)
	v_mul_f32_e32 v79, s12, v79
.LBB79_34:
	v_min_f32_e32 v80, v92, v42
	v_min_f32_e32 v81, v93, v43
	v_pk_add_f32 v[80:81], v[80:81], v[82:83]
	v_min_f32_e32 v82, v34, v10
	v_min_f32_e32 v83, v35, v11
	v_pk_add_f32 v[80:81], v[82:83], v[80:81]
	s_and_b64 vcc, exec, s[0:1]
	v_add_f32_e32 v80, v80, v81
	v_add_f32_e32 v79, v80, v79
	v_lshl_add_u64 v[80:81], v[36:37], 2, v[8:9]
	global_store_dword v[80:81], v79, off
	s_cbranch_vccnz .LBB79_36
; %bb.35:
	v_lshl_add_u64 v[78:79], v[32:33], 2, v[12:13]
	flat_load_dword v78, v[78:79]
	s_waitcnt vmcnt(0) lgkmcnt(0)
	v_mul_f32_e32 v78, s12, v78
.LBB79_36:
	v_min_f32_e32 v80, v94, v42
	v_min_f32_e32 v81, v95, v43
	v_pk_add_f32 v[80:81], v[80:81], v[86:87]
	v_min_f32_e32 v82, v30, v10
	v_min_f32_e32 v83, v31, v11
	v_pk_add_f32 v[80:81], v[82:83], v[80:81]
	s_and_b64 vcc, exec, s[0:1]
	v_add_f32_e32 v79, v80, v81
	v_add_f32_e32 v80, v79, v78
	v_lshl_add_u64 v[78:79], v[32:33], 2, v[8:9]
	global_store_dword v[78:79], v80, off
	v_mov_b32_e32 v78, 0
	v_mov_b32_e32 v79, 0
	s_cbranch_vccnz .LBB79_38
; %bb.37:
	v_lshl_add_u64 v[80:81], v[28:29], 2, v[12:13]
	flat_load_dword v79, v[80:81]
	s_waitcnt vmcnt(0) lgkmcnt(0)
	v_mul_f32_e32 v79, s12, v79
.LBB79_38:
	v_min_f32_e32 v80, v97, v42
	v_min_f32_e32 v81, v98, v43
	v_pk_add_f32 v[80:81], v[80:81], v[88:89]
	v_min_f32_e32 v82, v26, v10
	v_min_f32_e32 v83, v27, v11
	v_pk_add_f32 v[80:81], v[82:83], v[80:81]
	s_and_b64 vcc, exec, s[0:1]
	v_add_f32_e32 v80, v80, v81
	v_add_f32_e32 v79, v80, v79
	v_lshl_add_u64 v[80:81], v[28:29], 2, v[8:9]
	;; [unrolled: 38-line block ×3, first 2 shown]
	global_store_dword v[80:81], v79, off
	s_cbranch_vccnz .LBB79_44
; %bb.43:
	v_lshl_add_u64 v[12:13], v[16:17], 2, v[12:13]
	flat_load_dword v12, v[12:13]
	s_waitcnt vmcnt(0) lgkmcnt(0)
	v_mul_f32_e32 v78, s12, v12
.LBB79_44:
	v_min_f32_e32 v13, v18, v43
	v_min_f32_e32 v12, v19, v42
	v_pk_add_f32 v[12:13], v[12:13], v[70:71]
	v_min_f32_e32 v11, v15, v11
	v_min_f32_e32 v10, v14, v10
	v_pk_add_f32 v[10:11], v[10:11], v[12:13]
	v_lshl_add_u64 v[8:9], v[16:17], 2, v[8:9]
	v_add_f32_e32 v10, v10, v11
	v_add_f32_e32 v10, v10, v78
	v_add_u32_e32 v13, 64, v114
	global_store_dword v[8:9], v10, off
	v_mad_i64_i32 v[8:9], s[8:9], v13, s14, 0
	v_lshl_add_u64 v[8:9], v[8:9], 2, s[6:7]
	s_and_b64 vcc, exec, s[0:1]
	v_mov_b32_e32 v12, 0
	v_mov_b32_e32 v42, 0
	s_cbranch_vccnz .LBB79_46
; %bb.45:
	v_lshl_add_u64 v[10:11], v[48:49], 2, v[8:9]
	flat_load_dword v10, v[10:11]
	s_waitcnt vmcnt(0) lgkmcnt(0)
	v_mul_f32_e32 v42, s12, v10
.LBB79_46:
	v_max_f32_e32 v10, v4, v4
	v_max_f32_e32 v11, v5, v5
	v_min_f32_e32 v4, v44, v10
	v_min_f32_e32 v5, v115, v11
	v_max_f32_e32 v6, v6, v6
	v_max_f32_e32 v7, v7, v7
	v_pk_add_f32 v[4:5], v[4:5], v[66:67]
	v_min_f32_e32 v66, v45, v6
	v_min_f32_e32 v67, v46, v7
	v_pk_add_f32 v[66:67], v[66:67], v[4:5]
	v_mad_i64_i32 v[4:5], s[8:9], v13, s15, 0
	v_lshl_add_u64 v[4:5], v[4:5], 2, s[2:3]
	v_add_f32_e32 v13, v66, v67
	v_add_f32_e32 v13, v13, v42
	v_lshl_add_u64 v[42:43], v[48:49], 2, v[4:5]
	s_and_b64 vcc, exec, s[0:1]
	global_store_dword v[42:43], v13, off
	s_cbranch_vccnz .LBB79_48
; %bb.47:
	v_lshl_add_u64 v[12:13], v[40:41], 2, v[8:9]
	flat_load_dword v12, v[12:13]
	s_waitcnt vmcnt(0) lgkmcnt(0)
	v_mul_f32_e32 v12, s12, v12
.LBB79_48:
	v_min_f32_e32 v42, v47, v10
	v_min_f32_e32 v43, v96, v11
	v_pk_add_f32 v[42:43], v[42:43], v[64:65]
	v_min_f32_e32 v64, v38, v6
	v_min_f32_e32 v65, v39, v7
	v_pk_add_f32 v[42:43], v[64:65], v[42:43]
	s_and_b64 vcc, exec, s[0:1]
	v_add_f32_e32 v13, v42, v43
	v_add_f32_e32 v42, v13, v12
	v_lshl_add_u64 v[12:13], v[40:41], 2, v[4:5]
	global_store_dword v[12:13], v42, off
	v_mov_b32_e32 v12, 0
	v_mov_b32_e32 v13, 0
	s_cbranch_vccnz .LBB79_50
; %bb.49:
	v_lshl_add_u64 v[42:43], v[36:37], 2, v[8:9]
	flat_load_dword v13, v[42:43]
	s_waitcnt vmcnt(0) lgkmcnt(0)
	v_mul_f32_e32 v13, s12, v13
.LBB79_50:
	v_min_f32_e32 v42, v92, v10
	v_min_f32_e32 v43, v93, v11
	v_pk_add_f32 v[42:43], v[42:43], v[68:69]
	v_min_f32_e32 v64, v34, v6
	v_min_f32_e32 v65, v35, v7
	v_pk_add_f32 v[42:43], v[64:65], v[42:43]
	s_and_b64 vcc, exec, s[0:1]
	v_add_f32_e32 v42, v42, v43
	v_add_f32_e32 v13, v42, v13
	v_lshl_add_u64 v[42:43], v[36:37], 2, v[4:5]
	global_store_dword v[42:43], v13, off
	s_cbranch_vccnz .LBB79_52
; %bb.51:
	v_lshl_add_u64 v[12:13], v[32:33], 2, v[8:9]
	flat_load_dword v12, v[12:13]
	s_waitcnt vmcnt(0) lgkmcnt(0)
	v_mul_f32_e32 v12, s12, v12
.LBB79_52:
	v_min_f32_e32 v42, v94, v10
	v_min_f32_e32 v43, v95, v11
	v_pk_add_f32 v[42:43], v[42:43], v[72:73]
	v_min_f32_e32 v64, v30, v6
	v_min_f32_e32 v65, v31, v7
	v_pk_add_f32 v[42:43], v[64:65], v[42:43]
	s_and_b64 vcc, exec, s[0:1]
	v_add_f32_e32 v13, v42, v43
	v_add_f32_e32 v42, v13, v12
	v_lshl_add_u64 v[12:13], v[32:33], 2, v[4:5]
	global_store_dword v[12:13], v42, off
	v_mov_b32_e32 v12, 0
	v_mov_b32_e32 v13, 0
	s_cbranch_vccnz .LBB79_54
; %bb.53:
	v_lshl_add_u64 v[42:43], v[28:29], 2, v[8:9]
	flat_load_dword v13, v[42:43]
	s_waitcnt vmcnt(0) lgkmcnt(0)
	v_mul_f32_e32 v13, s12, v13
.LBB79_54:
	v_min_f32_e32 v42, v97, v10
	v_min_f32_e32 v43, v98, v11
	v_pk_add_f32 v[42:43], v[42:43], v[74:75]
	v_min_f32_e32 v64, v26, v6
	v_min_f32_e32 v65, v27, v7
	v_pk_add_f32 v[42:43], v[64:65], v[42:43]
	s_and_b64 vcc, exec, s[0:1]
	v_add_f32_e32 v42, v42, v43
	v_add_f32_e32 v13, v42, v13
	v_lshl_add_u64 v[42:43], v[28:29], 2, v[4:5]
	;; [unrolled: 38-line block ×3, first 2 shown]
	global_store_dword v[42:43], v13, off
	s_cbranch_vccnz .LBB79_60
; %bb.59:
	v_lshl_add_u64 v[8:9], v[16:17], 2, v[8:9]
	flat_load_dword v8, v[8:9]
	s_waitcnt vmcnt(0) lgkmcnt(0)
	v_mul_f32_e32 v12, s12, v8
.LBB79_60:
	v_min_f32_e32 v9, v18, v11
	v_min_f32_e32 v8, v19, v10
	v_pk_add_f32 v[8:9], v[8:9], v[54:55]
	v_min_f32_e32 v7, v15, v7
	v_min_f32_e32 v6, v14, v6
	v_pk_add_f32 v[6:7], v[6:7], v[8:9]
	v_lshl_add_u64 v[4:5], v[16:17], 2, v[4:5]
	v_add_f32_e32 v6, v6, v7
	v_add_f32_e32 v6, v6, v12
	v_add_u32_e32 v9, 0x60, v114
	global_store_dword v[4:5], v6, off
	v_mad_i64_i32 v[4:5], s[8:9], v9, s14, 0
	v_lshl_add_u64 v[4:5], v[4:5], 2, s[6:7]
	s_and_b64 vcc, exec, s[0:1]
	v_mov_b32_e32 v8, 0
	v_mov_b32_e32 v10, 0
	s_cbranch_vccnz .LBB79_62
; %bb.61:
	v_lshl_add_u64 v[6:7], v[48:49], 2, v[4:5]
	flat_load_dword v6, v[6:7]
	s_waitcnt vmcnt(0) lgkmcnt(0)
	v_mul_f32_e32 v10, s12, v6
.LBB79_62:
	v_max_f32_e32 v6, v1, v1
	v_max_f32_e32 v7, v0, v0
	v_min_f32_e32 v1, v115, v6
	v_min_f32_e32 v0, v44, v7
	v_max_f32_e32 v3, v3, v3
	v_max_f32_e32 v2, v2, v2
	v_pk_add_f32 v[0:1], v[0:1], v[58:59]
	v_min_f32_e32 v13, v46, v3
	v_min_f32_e32 v12, v45, v2
	v_pk_add_f32 v[12:13], v[12:13], v[0:1]
	v_mad_i64_i32 v[0:1], s[6:7], v9, s15, 0
	v_lshl_add_u64 v[0:1], v[0:1], 2, s[2:3]
	v_add_f32_e32 v9, v12, v13
	v_add_f32_e32 v9, v9, v10
	v_lshl_add_u64 v[10:11], v[48:49], 2, v[0:1]
	s_and_b64 vcc, exec, s[0:1]
	global_store_dword v[10:11], v9, off
	s_cbranch_vccnz .LBB79_64
; %bb.63:
	v_lshl_add_u64 v[8:9], v[40:41], 2, v[4:5]
	flat_load_dword v8, v[8:9]
	s_waitcnt vmcnt(0) lgkmcnt(0)
	v_mul_f32_e32 v8, s12, v8
.LBB79_64:
	v_min_f32_e32 v11, v96, v6
	v_min_f32_e32 v10, v47, v7
	v_pk_add_f32 v[10:11], v[10:11], v[50:51]
	v_min_f32_e32 v13, v39, v3
	v_min_f32_e32 v12, v38, v2
	v_pk_add_f32 v[10:11], v[12:13], v[10:11]
	s_and_b64 vcc, exec, s[0:1]
	v_add_f32_e32 v9, v10, v11
	v_add_f32_e32 v10, v9, v8
	v_lshl_add_u64 v[8:9], v[40:41], 2, v[0:1]
	global_store_dword v[8:9], v10, off
	v_mov_b32_e32 v8, 0
	v_mov_b32_e32 v9, 0
	s_cbranch_vccnz .LBB79_66
; %bb.65:
	v_lshl_add_u64 v[10:11], v[36:37], 2, v[4:5]
	flat_load_dword v9, v[10:11]
	s_waitcnt vmcnt(0) lgkmcnt(0)
	v_mul_f32_e32 v9, s12, v9
.LBB79_66:
	v_min_f32_e32 v11, v93, v6
	v_min_f32_e32 v10, v92, v7
	v_pk_add_f32 v[10:11], v[10:11], v[52:53]
	v_min_f32_e32 v13, v35, v3
	v_min_f32_e32 v12, v34, v2
	v_pk_add_f32 v[10:11], v[12:13], v[10:11]
	s_and_b64 vcc, exec, s[0:1]
	v_add_f32_e32 v10, v10, v11
	v_add_f32_e32 v9, v10, v9
	v_lshl_add_u64 v[10:11], v[36:37], 2, v[0:1]
	global_store_dword v[10:11], v9, off
	s_cbranch_vccnz .LBB79_68
; %bb.67:
	v_lshl_add_u64 v[8:9], v[32:33], 2, v[4:5]
	flat_load_dword v8, v[8:9]
	s_waitcnt vmcnt(0) lgkmcnt(0)
	v_mul_f32_e32 v8, s12, v8
.LBB79_68:
	v_min_f32_e32 v11, v95, v6
	v_min_f32_e32 v10, v94, v7
	v_pk_add_f32 v[10:11], v[10:11], v[56:57]
	v_min_f32_e32 v13, v31, v3
	v_min_f32_e32 v12, v30, v2
	v_pk_add_f32 v[10:11], v[12:13], v[10:11]
	s_and_b64 vcc, exec, s[0:1]
	v_add_f32_e32 v9, v10, v11
	v_add_f32_e32 v10, v9, v8
	v_lshl_add_u64 v[8:9], v[32:33], 2, v[0:1]
	global_store_dword v[8:9], v10, off
	v_mov_b32_e32 v8, 0
	v_mov_b32_e32 v9, 0
	s_cbranch_vccnz .LBB79_70
; %bb.69:
	v_lshl_add_u64 v[10:11], v[28:29], 2, v[4:5]
	flat_load_dword v9, v[10:11]
	s_waitcnt vmcnt(0) lgkmcnt(0)
	v_mul_f32_e32 v9, s12, v9
.LBB79_70:
	v_min_f32_e32 v11, v98, v6
	v_min_f32_e32 v10, v97, v7
	v_pk_add_f32 v[10:11], v[10:11], v[60:61]
	v_min_f32_e32 v13, v27, v3
	v_min_f32_e32 v12, v26, v2
	v_pk_add_f32 v[10:11], v[12:13], v[10:11]
	s_and_b64 vcc, exec, s[0:1]
	v_add_f32_e32 v10, v10, v11
	v_add_f32_e32 v9, v10, v9
	v_lshl_add_u64 v[10:11], v[28:29], 2, v[0:1]
	global_store_dword v[10:11], v9, off
	s_cbranch_vccnz .LBB79_72
; %bb.71:
	v_lshl_add_u64 v[8:9], v[24:25], 2, v[4:5]
	flat_load_dword v8, v[8:9]
	s_waitcnt vmcnt(0) lgkmcnt(0)
	v_mul_f32_e32 v8, s12, v8
.LBB79_72:
	v_min_f32_e32 v11, v100, v6
	v_min_f32_e32 v10, v99, v7
	v_pk_add_f32 v[10:11], v[10:11], v[62:63]
	v_min_f32_e32 v13, v23, v3
	v_min_f32_e32 v12, v22, v2
	v_pk_add_f32 v[10:11], v[12:13], v[10:11]
	v_min_f32_e32 v13, v116, v3
	v_add_f32_e32 v9, v10, v11
	v_min_f32_e32 v11, v103, v6
	v_min_f32_e32 v10, v101, v7
	v_pk_add_f32 v[10:11], v[10:11], v[106:107]
	v_min_f32_e32 v12, v102, v2
	v_pk_add_f32 v[10:11], v[12:13], v[10:11]
	v_add_f32_e32 v12, v9, v8
	v_lshl_add_u64 v[8:9], v[24:25], 2, v[0:1]
	global_store_dword v[8:9], v12, off
	v_add_f32_e32 v8, v10, v11
	s_mov_b64 vcc, s[4:5]
	s_cbranch_vccz .LBB79_75
; %bb.73:
	v_add_f32_e32 v9, 0, v8
	v_lshl_add_u64 v[10:11], v[20:21], 2, v[0:1]
	s_mov_b32 s2, 0
	global_store_dword v[10:11], v9, off
	s_cbranch_execz .LBB79_76
; %bb.74:
	v_mov_b32_e32 v4, s2
	s_branch .LBB79_77
.LBB79_75:
                                        ; implicit-def: $sgpr2
.LBB79_76:
	v_lshlrev_b64 v[10:11], 2, v[20:21]
	v_lshl_add_u64 v[12:13], v[4:5], 0, v[10:11]
	flat_load_dword v9, v[12:13]
	v_lshl_add_u64 v[10:11], v[0:1], 0, v[10:11]
	v_lshl_add_u64 v[4:5], v[16:17], 2, v[4:5]
	s_waitcnt vmcnt(0) lgkmcnt(0)
	v_fmac_f32_e32 v8, s12, v9
	global_store_dword v[10:11], v8, off
	flat_load_dword v4, v[4:5]
	s_waitcnt vmcnt(0) lgkmcnt(0)
	v_mul_f32_e32 v4, s12, v4
.LBB79_77:
	v_min_f32_e32 v9, v18, v6
	v_min_f32_e32 v8, v19, v7
	;; [unrolled: 1-line block ×4, first 2 shown]
	v_pk_add_f32 v[6:7], v[8:9], v[104:105]
	v_lshl_add_u64 v[0:1], v[16:17], 2, v[0:1]
	v_pk_add_f32 v[2:3], v[2:3], v[6:7]
	s_nop 0
	v_add_f32_e32 v2, v2, v3
	v_add_f32_e32 v2, v2, v4
	global_store_dword v[0:1], v2, off
	s_endpgm
	.section	.rodata,"a",@progbits
	.p2align	6, 0x0
	.amdhsa_kernel _ZN12_GLOBAL__N_120geam_min_plus_kernelIf15HIP_vector_typeIfLj2EES2_Li8ELi32ELi64ELi128ELi4ELi64ELi4ELi4ELi64ELc78ELc78ELb1ELb0ELb0EfKffEEviiiT16_PT17_ilS6_ilS4_S6_ilPT18_ili26rocblas_geam_ex_operation_
		.amdhsa_group_segment_fixed_size 6144
		.amdhsa_private_segment_fixed_size 0
		.amdhsa_kernarg_size 128
		.amdhsa_user_sgpr_count 2
		.amdhsa_user_sgpr_dispatch_ptr 0
		.amdhsa_user_sgpr_queue_ptr 0
		.amdhsa_user_sgpr_kernarg_segment_ptr 1
		.amdhsa_user_sgpr_dispatch_id 0
		.amdhsa_user_sgpr_kernarg_preload_length 0
		.amdhsa_user_sgpr_kernarg_preload_offset 0
		.amdhsa_user_sgpr_private_segment_size 0
		.amdhsa_uses_dynamic_stack 0
		.amdhsa_enable_private_segment 0
		.amdhsa_system_sgpr_workgroup_id_x 1
		.amdhsa_system_sgpr_workgroup_id_y 0
		.amdhsa_system_sgpr_workgroup_id_z 1
		.amdhsa_system_sgpr_workgroup_info 0
		.amdhsa_system_vgpr_workitem_id 1
		.amdhsa_next_free_vgpr 156
		.amdhsa_next_free_sgpr 24
		.amdhsa_accum_offset 156
		.amdhsa_reserve_vcc 1
		.amdhsa_float_round_mode_32 0
		.amdhsa_float_round_mode_16_64 0
		.amdhsa_float_denorm_mode_32 3
		.amdhsa_float_denorm_mode_16_64 3
		.amdhsa_dx10_clamp 1
		.amdhsa_ieee_mode 1
		.amdhsa_fp16_overflow 0
		.amdhsa_tg_split 0
		.amdhsa_exception_fp_ieee_invalid_op 0
		.amdhsa_exception_fp_denorm_src 0
		.amdhsa_exception_fp_ieee_div_zero 0
		.amdhsa_exception_fp_ieee_overflow 0
		.amdhsa_exception_fp_ieee_underflow 0
		.amdhsa_exception_fp_ieee_inexact 0
		.amdhsa_exception_int_div_zero 0
	.end_amdhsa_kernel
	.section	.text._ZN12_GLOBAL__N_120geam_min_plus_kernelIf15HIP_vector_typeIfLj2EES2_Li8ELi32ELi64ELi128ELi4ELi64ELi4ELi4ELi64ELc78ELc78ELb1ELb0ELb0EfKffEEviiiT16_PT17_ilS6_ilS4_S6_ilPT18_ili26rocblas_geam_ex_operation_,"axG",@progbits,_ZN12_GLOBAL__N_120geam_min_plus_kernelIf15HIP_vector_typeIfLj2EES2_Li8ELi32ELi64ELi128ELi4ELi64ELi4ELi4ELi64ELc78ELc78ELb1ELb0ELb0EfKffEEviiiT16_PT17_ilS6_ilS4_S6_ilPT18_ili26rocblas_geam_ex_operation_,comdat
.Lfunc_end79:
	.size	_ZN12_GLOBAL__N_120geam_min_plus_kernelIf15HIP_vector_typeIfLj2EES2_Li8ELi32ELi64ELi128ELi4ELi64ELi4ELi4ELi64ELc78ELc78ELb1ELb0ELb0EfKffEEviiiT16_PT17_ilS6_ilS4_S6_ilPT18_ili26rocblas_geam_ex_operation_, .Lfunc_end79-_ZN12_GLOBAL__N_120geam_min_plus_kernelIf15HIP_vector_typeIfLj2EES2_Li8ELi32ELi64ELi128ELi4ELi64ELi4ELi4ELi64ELc78ELc78ELb1ELb0ELb0EfKffEEviiiT16_PT17_ilS6_ilS4_S6_ilPT18_ili26rocblas_geam_ex_operation_
                                        ; -- End function
	.section	.AMDGPU.csdata,"",@progbits
; Kernel info:
; codeLenInByte = 8624
; NumSgprs: 30
; NumVgprs: 156
; NumAgprs: 0
; TotalNumVgprs: 156
; ScratchSize: 0
; MemoryBound: 0
; FloatMode: 240
; IeeeMode: 1
; LDSByteSize: 6144 bytes/workgroup (compile time only)
; SGPRBlocks: 3
; VGPRBlocks: 19
; NumSGPRsForWavesPerEU: 30
; NumVGPRsForWavesPerEU: 156
; AccumOffset: 156
; Occupancy: 3
; WaveLimiterHint : 0
; COMPUTE_PGM_RSRC2:SCRATCH_EN: 0
; COMPUTE_PGM_RSRC2:USER_SGPR: 2
; COMPUTE_PGM_RSRC2:TRAP_HANDLER: 0
; COMPUTE_PGM_RSRC2:TGID_X_EN: 1
; COMPUTE_PGM_RSRC2:TGID_Y_EN: 0
; COMPUTE_PGM_RSRC2:TGID_Z_EN: 1
; COMPUTE_PGM_RSRC2:TIDIG_COMP_CNT: 1
; COMPUTE_PGM_RSRC3_GFX90A:ACCUM_OFFSET: 38
; COMPUTE_PGM_RSRC3_GFX90A:TG_SPLIT: 0
	.section	.text._ZN12_GLOBAL__N_120geam_min_plus_kernelIf15HIP_vector_typeIfLj2EES2_Li8ELi32ELi64ELi128ELi4ELi64ELi4ELi4ELi64ELc78ELc78ELb0ELb0ELb0EfKffEEviiiT16_PT17_ilS6_ilS4_S6_ilPT18_ili26rocblas_geam_ex_operation_,"axG",@progbits,_ZN12_GLOBAL__N_120geam_min_plus_kernelIf15HIP_vector_typeIfLj2EES2_Li8ELi32ELi64ELi128ELi4ELi64ELi4ELi4ELi64ELc78ELc78ELb0ELb0ELb0EfKffEEviiiT16_PT17_ilS6_ilS4_S6_ilPT18_ili26rocblas_geam_ex_operation_,comdat
	.globl	_ZN12_GLOBAL__N_120geam_min_plus_kernelIf15HIP_vector_typeIfLj2EES2_Li8ELi32ELi64ELi128ELi4ELi64ELi4ELi4ELi64ELc78ELc78ELb0ELb0ELb0EfKffEEviiiT16_PT17_ilS6_ilS4_S6_ilPT18_ili26rocblas_geam_ex_operation_ ; -- Begin function _ZN12_GLOBAL__N_120geam_min_plus_kernelIf15HIP_vector_typeIfLj2EES2_Li8ELi32ELi64ELi128ELi4ELi64ELi4ELi4ELi64ELc78ELc78ELb0ELb0ELb0EfKffEEviiiT16_PT17_ilS6_ilS4_S6_ilPT18_ili26rocblas_geam_ex_operation_
	.p2align	8
	.type	_ZN12_GLOBAL__N_120geam_min_plus_kernelIf15HIP_vector_typeIfLj2EES2_Li8ELi32ELi64ELi128ELi4ELi64ELi4ELi4ELi64ELc78ELc78ELb0ELb0ELb0EfKffEEviiiT16_PT17_ilS6_ilS4_S6_ilPT18_ili26rocblas_geam_ex_operation_,@function
_ZN12_GLOBAL__N_120geam_min_plus_kernelIf15HIP_vector_typeIfLj2EES2_Li8ELi32ELi64ELi128ELi4ELi64ELi4ELi4ELi64ELc78ELc78ELb0ELb0ELb0EfKffEEviiiT16_PT17_ilS6_ilS4_S6_ilPT18_ili26rocblas_geam_ex_operation_: ; @_ZN12_GLOBAL__N_120geam_min_plus_kernelIf15HIP_vector_typeIfLj2EES2_Li8ELi32ELi64ELi128ELi4ELi64ELi4ELi4ELi64ELc78ELc78ELb0ELb0ELb0EfKffEEviiiT16_PT17_ilS6_ilS4_S6_ilPT18_ili26rocblas_geam_ex_operation_
; %bb.0:
	s_load_dwordx2 s[14:15], s[0:1], 0x8
	s_load_dwordx4 s[4:7], s[0:1], 0x20
	s_waitcnt lgkmcnt(0)
	v_cmp_eq_f32_e64 s[8:9], s15, 0
	s_and_b64 vcc, exec, s[8:9]
	s_cbranch_vccnz .LBB80_3
; %bb.1:
	s_load_dwordx2 s[10:11], s[0:1], 0x10
	s_mul_i32 s5, s3, s5
	s_mul_hi_u32 s12, s3, s4
	s_add_i32 s5, s12, s5
	s_mul_i32 s4, s3, s4
	s_lshl_b64 s[4:5], s[4:5], 2
	s_waitcnt lgkmcnt(0)
	s_add_u32 s16, s10, s4
	s_addc_u32 s17, s11, s5
	s_andn2_b64 vcc, exec, s[8:9]
	s_cbranch_vccnz .LBB80_4
.LBB80_2:
	s_mov_b32 s13, 0
	s_mov_b64 s[18:19], 0
	s_cbranch_execz .LBB80_5
	s_branch .LBB80_6
.LBB80_3:
	s_mov_b64 s[16:17], 0
	s_andn2_b64 vcc, exec, s[8:9]
	s_cbranch_vccz .LBB80_2
.LBB80_4:
                                        ; implicit-def: $sgpr18_sgpr19
                                        ; implicit-def: $sgpr12_sgpr13
.LBB80_5:
	s_load_dwordx2 s[4:5], s[0:1], 0x38
	s_mov_b32 s13, 0
	s_waitcnt lgkmcnt(0)
	s_mul_i32 s5, s3, s5
	s_mul_hi_u32 s8, s3, s4
	s_add_i32 s5, s8, s5
	s_mul_i32 s4, s3, s4
	s_lshl_b64 s[4:5], s[4:5], 2
	s_add_u32 s18, s6, s4
	s_addc_u32 s19, s7, s5
.LBB80_6:
	s_load_dword s12, s[0:1], 0x40
	s_load_dwordx4 s[8:11], s[0:1], 0x58
	v_cmp_neq_f32_e64 s[22:23], s15, 0
	s_waitcnt lgkmcnt(0)
	v_cmp_eq_f32_e64 s[4:5], s12, 0
	s_and_b64 s[6:7], exec, s[4:5]
	s_mov_b64 vcc, s[6:7]
	s_cbranch_vccnz .LBB80_8
; %bb.7:
	s_load_dwordx2 s[4:5], s[0:1], 0x48
	s_mul_i32 s9, s3, s9
	s_mul_hi_u32 s20, s3, s8
	s_add_i32 s9, s20, s9
	s_mul_i32 s20, s13, s8
	s_add_i32 s9, s9, s20
	s_mul_i32 s8, s3, s8
	s_lshl_b64 s[8:9], s[8:9], 2
	s_waitcnt lgkmcnt(0)
	s_add_u32 s8, s4, s8
	s_addc_u32 s9, s5, s9
	s_branch .LBB80_9
.LBB80_8:
	s_mov_b64 s[8:9], 0
.LBB80_9:
	s_load_dword s4, s[0:1], 0x0
	s_load_dword s20, s[0:1], 0x18
	v_and_b32_e32 v210, 0x3ff, v0
	v_bfe_u32 v211, v0, 10, 10
	v_cndmask_b32_e64 v0, 0, 1, s[22:23]
	s_waitcnt lgkmcnt(0)
	s_add_i32 s4, s4, -1
	s_ashr_i32 s5, s4, 31
	s_lshr_b32 s5, s5, 26
	s_add_i32 s4, s4, s5
	s_ashr_i32 s24, s4, 6
	s_add_i32 s25, s24, 1
	v_cvt_f32_u32_e32 v1, s25
	v_cmp_ne_u32_e64 s[4:5], 1, v0
	s_not_b32 s24, s24
	s_ashr_i32 s21, s20, 31
	v_rcp_iflag_f32_e32 v1, v1
	v_lshl_add_u32 v2, v211, 3, v210
	v_and_b32_e32 v5, 63, v2
	v_lshrrev_b32_e32 v4, 6, v2
	v_mul_f32_e32 v0, 0x4f7ffffe, v1
	v_cvt_u32_f32_e32 v0, v0
	s_nop 0
	v_readfirstlane_b32 s26, v0
	s_mul_i32 s24, s24, s26
	s_mul_hi_u32 s24, s26, s24
	s_add_i32 s26, s26, s24
	s_mul_hi_u32 s24, s2, s26
	s_mul_i32 s26, s24, s25
	s_sub_i32 s26, s2, s26
	s_add_i32 s27, s24, 1
	s_sub_i32 s28, s26, s25
	s_cmp_ge_u32 s26, s25
	s_cselect_b32 s24, s27, s24
	s_cselect_b32 s26, s28, s26
	s_add_i32 s27, s24, 1
	s_cmp_ge_u32 s26, s25
	s_cselect_b32 s27, s27, s24
	s_mul_i32 s25, s27, s25
	s_sub_i32 s24, s2, s25
	s_lshl_b32 s24, s24, 6
	v_or_b32_e32 v0, s24, v5
	s_andn2_b64 vcc, exec, s[22:23]
	v_ashrrev_i32_e32 v1, 31, v0
	s_cbranch_vccnz .LBB80_11
; %bb.10:
	v_mad_i64_i32 v[6:7], s[22:23], s20, v4, 0
	v_lshl_add_u64 v[6:7], v[6:7], 2, s[16:17]
	v_lshl_add_u64 v[6:7], v[0:1], 2, v[6:7]
	flat_load_dword v3, v[6:7]
	s_waitcnt vmcnt(0) lgkmcnt(0)
	v_mul_f32_e32 v10, s15, v3
	s_branch .LBB80_12
.LBB80_11:
	v_mov_b32_e32 v10, 0
.LBB80_12:
	s_load_dword s26, s[0:1], 0x30
	v_lshrrev_b32_e32 v11, 2, v2
	s_lshl_b32 s22, s27, 7
	v_and_b32_e32 v3, 3, v210
	v_add_u32_e32 v6, s22, v11
	s_and_b64 vcc, exec, s[4:5]
	v_lshlrev_b32_e32 v48, 2, v3
	v_add_u32_e32 v7, 64, v6
	s_cbranch_vccnz .LBB80_16
; %bb.13:
	v_mov_b32_e32 v49, 0
	v_lshl_add_u64 v[2:3], s[18:19], 0, v[48:49]
	s_waitcnt lgkmcnt(0)
	v_mad_i64_i32 v[8:9], s[28:29], v6, s26, 0
	v_lshl_add_u64 v[8:9], v[8:9], 2, v[2:3]
	v_mad_i64_i32 v[12:13], s[28:29], v7, s26, 0
	v_lshl_add_u64 v[2:3], v[12:13], 2, v[2:3]
	flat_load_dword v12, v[8:9]
	flat_load_dword v13, v[2:3]
	s_mov_b32 s28, s15
	s_waitcnt vmcnt(0) lgkmcnt(0)
	v_pk_mul_f32 v[2:3], v[12:13], s[28:29] op_sel_hi:[1,0]
	s_and_b64 vcc, exec, s[4:5]
	s_cbranch_vccnz .LBB80_17
.LBB80_14:
	v_add_u32_e32 v8, 4, v4
	v_mad_i64_i32 v[8:9], s[28:29], s20, v8, 0
	v_lshl_add_u64 v[8:9], v[8:9], 2, s[16:17]
	v_lshl_add_u64 v[0:1], v[0:1], 2, v[8:9]
	flat_load_dword v0, v[0:1]
	s_waitcnt vmcnt(0) lgkmcnt(0)
	v_mul_f32_e32 v8, s15, v0
	s_and_b64 vcc, exec, s[4:5]
	s_cbranch_vccnz .LBB80_18
.LBB80_15:
	v_mov_b32_e32 v49, 0
	v_lshl_add_u64 v[0:1], s[18:19], 0, v[48:49]
	s_waitcnt lgkmcnt(0)
	v_mad_i64_i32 v[12:13], s[28:29], v6, s26, 0
	v_lshl_add_u64 v[12:13], v[12:13], 2, v[0:1]
	v_mad_i64_i32 v[14:15], s[28:29], v7, s26, 0
	v_lshl_add_u64 v[0:1], v[14:15], 2, v[0:1]
	flat_load_dword v14, v[12:13] offset:16
	flat_load_dword v15, v[0:1] offset:16
	s_mov_b32 s28, s15
	s_waitcnt vmcnt(0) lgkmcnt(0)
	v_pk_mul_f32 v[0:1], v[14:15], s[28:29] op_sel_hi:[1,0]
	s_branch .LBB80_19
.LBB80_16:
	v_mov_b32_e32 v2, 0
	v_mov_b32_e32 v3, 0
	s_and_b64 vcc, exec, s[4:5]
	s_cbranch_vccz .LBB80_14
.LBB80_17:
	v_mov_b32_e32 v8, 0
	s_and_b64 vcc, exec, s[4:5]
	s_cbranch_vccz .LBB80_15
.LBB80_18:
	v_mov_b32_e32 v0, 0
	v_mov_b32_e32 v1, 0
.LBB80_19:
	v_lshlrev_b32_e32 v9, 4, v5
	v_lshl_add_u32 v9, v4, 2, v9
	v_lshl_or_b32 v214, v11, 4, v48
	v_lshlrev_b32_e32 v213, 4, v211
	ds_write_b32 v9, v10 offset:4096
	ds_write2st64_b32 v214, v2, v3 offset1:4
	s_waitcnt lgkmcnt(0)
	s_barrier
	ds_read_b128 v[10:13], v213
	v_lshlrev_b32_e32 v212, 4, v210
	ds_read_b128 v[14:17], v212 offset:4992
	ds_read_b128 v[18:21], v213 offset:512
	;; [unrolled: 1-line block ×5, first 2 shown]
	s_waitcnt lgkmcnt(5)
	v_max_f32_e32 v49, v11, v11
	s_waitcnt lgkmcnt(4)
	v_max_f32_e32 v58, v15, v15
	v_max_f32_e32 v54, v10, v10
	;; [unrolled: 1-line block ×3, first 2 shown]
	ds_read_b128 v[34:37], v212 offset:4096
	ds_read_b128 v[38:41], v212 offset:4224
	v_max_f32_e32 v108, v13, v13
	v_max_f32_e32 v109, v12, v12
	;; [unrolled: 1-line block ×4, first 2 shown]
	ds_read_b128 v[10:13], v212 offset:4352
	ds_read_b128 v[14:17], v212 offset:4480
	s_waitcnt lgkmcnt(4)
	v_max_f32_e32 v60, v31, v31
	v_max_f32_e32 v61, v30, v30
	;; [unrolled: 1-line block ×4, first 2 shown]
	s_waitcnt lgkmcnt(2)
	v_max_f32_e32 v26, v38, v38
	v_max_f32_e32 v27, v39, v39
	s_waitcnt lgkmcnt(1)
	v_max_f32_e32 v30, v10, v10
	v_max_f32_e32 v31, v11, v11
	;; [unrolled: 3-line block ×3, first 2 shown]
	v_max_f32_e32 v75, v13, v13
	ds_read_b128 v[10:13], v212 offset:4608
	v_max_f32_e32 v39, v15, v15
	v_max_f32_e32 v78, v16, v16
	;; [unrolled: 1-line block ×3, first 2 shown]
	ds_read_b128 v[14:17], v212 offset:4736
	v_max_f32_e32 v56, v19, v19
	v_max_f32_e32 v57, v18, v18
	;; [unrolled: 1-line block ×4, first 2 shown]
	s_waitcnt lgkmcnt(0)
	v_max_f32_e32 v52, v14, v14
	v_max_f32_e32 v53, v15, v15
	;; [unrolled: 1-line block ×6, first 2 shown]
	v_min_f32_e32 v50, v52, v54
	v_min_f32_e32 v51, v53, v49
	;; [unrolled: 1-line block ×10, first 2 shown]
	v_max_f32_e32 v126, v21, v21
	v_max_f32_e32 v127, v20, v20
	;; [unrolled: 1-line block ×9, first 2 shown]
	v_min_f32_e32 v2, v18, v54
	v_min_f32_e32 v3, v19, v49
	;; [unrolled: 1-line block ×34, first 2 shown]
	v_pk_add_f32 v[52:53], v[52:53], 0 op_sel_hi:[1,0]
	v_min_f32_e32 v59, v124, v108
	v_min_f32_e32 v58, v125, v109
	v_max_f32_e32 v128, v33, v33
	v_pk_add_f32 v[90:91], v[58:59], v[52:53]
	v_pk_add_f32 v[52:53], v[54:55], 0 op_sel_hi:[1,0]
	v_min_f32_e32 v55, v124, v126
	v_min_f32_e32 v54, v125, v127
	v_max_f32_e32 v68, v36, v36
	v_max_f32_e32 v69, v37, v37
	v_pk_add_f32 v[76:77], v[54:55], v[52:53]
	v_pk_add_f32 v[52:53], v[56:57], 0 op_sel_hi:[1,0]
	v_min_f32_e32 v55, v124, v128
	v_min_f32_e32 v54, v125, v129
	v_max_f32_e32 v130, v29, v29
	v_max_f32_e32 v131, v28, v28
	;; [unrolled: 1-line block ×4, first 2 shown]
	v_min_f32_e32 v25, v31, v49
	v_min_f32_e32 v28, v30, v61
	;; [unrolled: 1-line block ×17, first 2 shown]
	v_pk_add_f32 v[62:63], v[54:55], v[52:53]
	v_pk_add_f32 v[2:3], v[2:3], 0 op_sel_hi:[1,0]
	v_min_f32_e32 v52, v68, v109
	v_min_f32_e32 v53, v69, v108
	v_pk_add_f32 v[122:123], v[52:53], v[2:3]
	v_pk_add_f32 v[2:3], v[10:11], 0 op_sel_hi:[1,0]
	v_min_f32_e32 v10, v68, v127
	v_min_f32_e32 v11, v69, v126
	;; [unrolled: 4-line block ×3, first 2 shown]
	v_min_f32_e32 v99, v73, v49
	v_min_f32_e32 v102, v72, v61
	;; [unrolled: 1-line block ×3, first 2 shown]
	v_pk_add_f32 v[72:73], v[10:11], v[2:3]
	v_min_f32_e32 v3, v69, v130
	v_min_f32_e32 v2, v68, v131
	v_pk_add_f32 v[10:11], v[14:15], 0 op_sel_hi:[1,0]
	s_cmp_lt_i32 s14, 9
	v_pk_add_f32 v[58:59], v[2:3], v[10:11]
	v_pk_add_f32 v[2:3], v[16:17], 0 op_sel_hi:[1,0]
	v_min_f32_e32 v10, v70, v109
	v_min_f32_e32 v11, v71, v108
	v_pk_add_f32 v[120:121], v[10:11], v[2:3]
	v_pk_add_f32 v[2:3], v[18:19], 0 op_sel_hi:[1,0]
	v_min_f32_e32 v10, v70, v127
	v_min_f32_e32 v11, v71, v126
	;; [unrolled: 4-line block ×3, first 2 shown]
	v_pk_add_f32 v[68:69], v[10:11], v[2:3]
	v_min_f32_e32 v3, v71, v130
	v_min_f32_e32 v2, v70, v131
	v_pk_add_f32 v[10:11], v[22:23], 0 op_sel_hi:[1,0]
	ds_write2st64_b32 v214, v0, v1 offset0:8 offset1:12
	ds_write_b32 v9, v8 offset:5120
	v_pk_add_f32 v[52:53], v[2:3], v[10:11]
	v_pk_add_f32 v[2:3], v[24:25], 0 op_sel_hi:[1,0]
	v_min_f32_e32 v10, v74, v109
	v_min_f32_e32 v11, v75, v108
	v_pk_add_f32 v[118:119], v[10:11], v[2:3]
	v_pk_add_f32 v[2:3], v[26:27], 0 op_sel_hi:[1,0]
	v_min_f32_e32 v10, v74, v127
	v_min_f32_e32 v11, v75, v126
	;; [unrolled: 4-line block ×3, first 2 shown]
	v_pk_add_f32 v[70:71], v[10:11], v[2:3]
	v_min_f32_e32 v3, v75, v130
	v_min_f32_e32 v2, v74, v131
	v_pk_add_f32 v[10:11], v[30:31], 0 op_sel_hi:[1,0]
	s_waitcnt lgkmcnt(0)
	v_pk_add_f32 v[54:55], v[2:3], v[10:11]
	v_pk_add_f32 v[2:3], v[32:33], 0 op_sel_hi:[1,0]
	v_min_f32_e32 v10, v78, v109
	v_min_f32_e32 v11, v79, v108
	v_pk_add_f32 v[116:117], v[10:11], v[2:3]
	v_pk_add_f32 v[2:3], v[34:35], 0 op_sel_hi:[1,0]
	v_min_f32_e32 v10, v78, v127
	v_min_f32_e32 v11, v79, v126
	v_pk_add_f32 v[92:93], v[10:11], v[2:3]
	v_pk_add_f32 v[2:3], v[36:37], 0 op_sel_hi:[1,0]
	v_min_f32_e32 v10, v78, v129
	v_min_f32_e32 v11, v79, v128
	v_pk_add_f32 v[74:75], v[10:11], v[2:3]
	v_min_f32_e32 v3, v79, v130
	v_min_f32_e32 v2, v78, v131
	v_pk_add_f32 v[10:11], v[38:39], 0 op_sel_hi:[1,0]
	s_barrier
	v_pk_add_f32 v[56:57], v[2:3], v[10:11]
	v_pk_add_f32 v[2:3], v[40:41], 0 op_sel_hi:[1,0]
	v_min_f32_e32 v10, v80, v109
	v_min_f32_e32 v11, v81, v108
	v_pk_add_f32 v[114:115], v[10:11], v[2:3]
	v_pk_add_f32 v[2:3], v[42:43], 0 op_sel_hi:[1,0]
	v_min_f32_e32 v10, v80, v127
	v_min_f32_e32 v11, v81, v126
	;; [unrolled: 4-line block ×3, first 2 shown]
	v_pk_add_f32 v[78:79], v[10:11], v[2:3]
	v_min_f32_e32 v3, v81, v130
	v_min_f32_e32 v2, v80, v131
	v_pk_add_f32 v[10:11], v[46:47], 0 op_sel_hi:[1,0]
	s_nop 0
	v_pk_add_f32 v[60:61], v[2:3], v[10:11]
	v_pk_add_f32 v[2:3], v[50:51], 0 op_sel_hi:[1,0]
	v_min_f32_e32 v10, v110, v109
	v_min_f32_e32 v11, v111, v108
	v_pk_add_f32 v[112:113], v[10:11], v[2:3]
	v_pk_add_f32 v[2:3], v[64:65], 0 op_sel_hi:[1,0]
	v_min_f32_e32 v10, v110, v127
	v_min_f32_e32 v11, v111, v126
	;; [unrolled: 4-line block ×3, first 2 shown]
	v_pk_add_f32 v[80:81], v[10:11], v[2:3]
	v_min_f32_e32 v3, v111, v130
	v_min_f32_e32 v2, v110, v131
	v_pk_add_f32 v[10:11], v[82:83], 0 op_sel_hi:[1,0]
	s_nop 0
	v_pk_add_f32 v[64:65], v[2:3], v[10:11]
	v_min_f32_e32 v2, v132, v109
	v_min_f32_e32 v3, v133, v108
	v_pk_add_f32 v[10:11], v[98:99], 0 op_sel_hi:[1,0]
	s_nop 0
	;; [unrolled: 5-line block ×6, first 2 shown]
	v_pk_add_f32 v[50:51], v[2:3], v[10:11]
	s_cbranch_scc1 .LBB80_33
; %bb.20:
	v_mov_b32_e32 v0, 0x1400
	v_lshl_add_u32 v219, v210, 4, v0
	v_mov_b32_e32 v0, 0x800
	v_lshl_add_u32 v220, v211, 4, v0
	v_mad_i64_i32 v[0:1], s[28:29], s26, v7, 0
	v_lshl_add_u64 v[100:101], v[0:1], 2, s[18:19]
	v_mad_i64_i32 v[0:1], s[26:27], s26, v6, 0
	v_lshl_add_u64 v[102:103], v[0:1], 2, s[18:19]
	v_add_u32_e32 v0, 8, v4
	v_mad_i64_i32 v[0:1], s[18:19], v0, s20, 0
	v_lshlrev_b64 v[104:105], 2, v[0:1]
	v_lshl_or_b32 v0, s2, 6, v5
	s_lshl_b32 s2, s25, 6
	v_subrev_u32_e32 v0, s2, v0
	v_ashrrev_i32_e32 v1, 31, v0
	v_lshl_add_u64 v[106:107], v[0:1], 2, s[16:17]
	v_add_u32_e32 v0, 12, v4
	v_mad_i64_i32 v[0:1], s[18:19], v0, s20, 0
	v_or_b32_e32 v215, 0x1000, v9
	v_add_u32_e32 v216, 0x1000, v212
	v_add_u32_e32 v217, 0x1400, v9
	;; [unrolled: 1-line block ×3, first 2 shown]
	s_add_i32 s23, s14, -8
	s_mov_b32 s14, s15
	v_mov_b32_e32 v49, 0
	s_lshl_b64 s[16:17], s[20:21], 5
	v_lshlrev_b64 v[108:109], 2, v[0:1]
	s_mov_b32 s2, 0
	s_branch .LBB80_23
.LBB80_21:                              ;   in Loop: Header=BB80_23 Depth=1
	flat_load_dword v16, v[124:125] offset:48
	flat_load_dword v17, v[126:127] offset:48
	s_waitcnt vmcnt(0) lgkmcnt(0)
	v_pk_mul_f32 v[16:17], v[16:17], s[14:15]
.LBB80_22:                              ;   in Loop: Header=BB80_23 Depth=1
	v_pk_add_f32 v[40:41], v[40:41], v[90:91]
	v_pk_add_f32 v[32:33], v[32:33], v[62:63]
	;; [unrolled: 1-line block ×32, first 2 shown]
	ds_read_b128 v[0:3], v213
	ds_read_b128 v[8:11], v213 offset:512
	v_pk_add_f32 v[22:23], v[6:7], v[82:83]
	ds_read_b128 v[4:7], v216 offset:896
	ds_read_b128 v[12:15], v216 offset:768
	;; [unrolled: 1-line block ×4, first 2 shown]
	v_pk_add_f32 v[90:91], v[136:137], v[70:71]
	v_pk_add_f32 v[92:93], v[144:145], v[92:93]
	v_pk_add_f32 v[120:121], v[154:155], v[60:61]
	v_pk_add_f32 v[124:125], v[168:169], v[50:51]
	v_pk_add_f32 v[60:61], v[18:19], v[90:91]
	v_pk_add_f32 v[50:51], v[184:185], v[92:93]
	ds_read_b128 v[90:93], v216
	v_pk_add_f32 v[36:37], v[36:37], v[76:77]
	v_pk_add_f32 v[116:117], v[146:147], v[116:117]
	;; [unrolled: 1-line block ×9, first 2 shown]
	s_waitcnt lgkmcnt(4)
	v_max_f32_e32 v117, v5, v5
	v_max_f32_e32 v119, v4, v4
	;; [unrolled: 1-line block ×4, first 2 shown]
	s_waitcnt lgkmcnt(1)
	v_max_f32_e32 v122, v87, v87
	v_max_f32_e32 v123, v86, v86
	v_min_f32_e32 v5, v117, v120
	v_min_f32_e32 v4, v119, v121
	;; [unrolled: 1-line block ×4, first 2 shown]
	v_max_f32_e32 v116, v1, v1
	v_max_f32_e32 v118, v0, v0
	v_pk_add_f32 v[4:5], v[4:5], v[80:81]
	v_pk_add_f32 v[8:9], v[8:9], v[78:79]
	ds_read_b128 v[78:81], v216 offset:128
	s_waitcnt lgkmcnt(1)
	v_max_f32_e32 v90, v90, v90
	v_max_f32_e32 v91, v91, v91
	v_min_f32_e32 v86, v90, v118
	v_min_f32_e32 v87, v91, v116
	v_pk_add_f32 v[94:95], v[150:151], v[94:95]
	v_pk_add_f32 v[86:87], v[86:87], v[72:73]
	v_min_f32_e32 v72, v90, v121
	v_min_f32_e32 v73, v91, v120
	v_pk_add_f32 v[96:97], v[156:157], v[96:97]
	v_pk_add_f32 v[40:41], v[190:191], v[94:95]
	;; [unrolled: 1-line block ×3, first 2 shown]
	v_min_f32_e32 v72, v90, v123
	v_min_f32_e32 v73, v91, v122
	v_pk_add_f32 v[32:33], v[200:201], v[96:97]
	v_pk_add_f32 v[96:97], v[72:73], v[76:77]
	v_max_f32_e32 v76, v83, v83
	v_max_f32_e32 v77, v82, v82
	v_pk_add_f32 v[70:71], v[26:27], v[24:25]
	v_min_f32_e32 v73, v91, v76
	v_min_f32_e32 v72, v90, v77
	s_waitcnt lgkmcnt(0)
	v_max_f32_e32 v74, v78, v78
	v_max_f32_e32 v75, v79, v79
	v_pk_add_f32 v[70:71], v[72:73], v[70:71]
	v_min_f32_e32 v72, v74, v118
	v_min_f32_e32 v73, v75, v116
	v_pk_add_f32 v[78:79], v[72:73], v[64:65]
	v_min_f32_e32 v64, v74, v121
	v_min_f32_e32 v65, v75, v120
	;; [unrolled: 3-line block ×3, first 2 shown]
	v_pk_add_f32 v[68:69], v[64:65], v[68:69]
	ds_read_b128 v[64:67], v216 offset:256
	v_pk_add_f32 v[98:99], v[162:163], v[98:99]
	v_min_f32_e32 v73, v75, v76
	v_min_f32_e32 v72, v74, v77
	v_pk_add_f32 v[24:25], v[206:207], v[98:99]
	v_pk_add_f32 v[98:99], v[72:73], v[62:63]
	ds_read_b128 v[72:75], v216 offset:384
	s_waitcnt lgkmcnt(1)
	v_max_f32_e32 v90, v64, v64
	v_max_f32_e32 v91, v65, v65
	v_min_f32_e32 v62, v90, v118
	v_min_f32_e32 v63, v91, v116
	v_pk_add_f32 v[56:57], v[62:63], v[56:57]
	v_min_f32_e32 v62, v90, v121
	v_min_f32_e32 v63, v91, v120
	v_pk_add_f32 v[54:55], v[142:143], v[54:55]
	v_pk_add_f32 v[110:111], v[164:165], v[110:111]
	;; [unrolled: 1-line block ×3, first 2 shown]
	v_min_f32_e32 v58, v90, v123
	v_min_f32_e32 v59, v91, v122
	v_pk_add_f32 v[54:55], v[182:183], v[54:55]
	v_pk_add_f32 v[26:27], v[208:209], v[110:111]
	v_pk_add_f32 v[110:111], v[58:59], v[60:61]
	v_min_f32_e32 v59, v91, v76
	v_min_f32_e32 v58, v90, v77
	s_waitcnt lgkmcnt(0)
	v_max_f32_e32 v62, v72, v72
	v_max_f32_e32 v63, v73, v73
	v_pk_add_f32 v[112:113], v[158:159], v[112:113]
	v_pk_add_f32 v[54:55], v[58:59], v[54:55]
	v_min_f32_e32 v58, v62, v118
	v_min_f32_e32 v59, v63, v116
	v_pk_add_f32 v[30:31], v[202:203], v[112:113]
	v_pk_add_f32 v[112:113], v[58:59], v[46:47]
	ds_read_b128 v[58:61], v216 offset:512
	v_min_f32_e32 v46, v62, v121
	v_min_f32_e32 v47, v63, v120
	v_pk_add_f32 v[114:115], v[152:153], v[114:115]
	v_pk_add_f32 v[50:51], v[46:47], v[50:51]
	v_min_f32_e32 v46, v62, v123
	v_min_f32_e32 v47, v63, v122
	v_pk_add_f32 v[38:39], v[192:193], v[114:115]
	v_pk_add_f32 v[114:115], v[46:47], v[52:53]
	;; [unrolled: 4-line block ×3, first 2 shown]
	ds_read_b128 v[44:47], v216 offset:640
	s_waitcnt lgkmcnt(1)
	v_max_f32_e32 v58, v58, v58
	v_max_f32_e32 v59, v59, v59
	v_min_f32_e32 v52, v58, v118
	v_min_f32_e32 v53, v59, v116
	v_pk_add_f32 v[38:39], v[52:53], v[38:39]
	v_min_f32_e32 v52, v58, v121
	v_min_f32_e32 v53, v59, v120
	v_pk_add_f32 v[40:41], v[52:53], v[40:41]
	;; [unrolled: 3-line block ×4, first 2 shown]
	s_waitcnt lgkmcnt(0)
	v_max_f32_e32 v52, v44, v44
	v_max_f32_e32 v53, v45, v45
	v_min_f32_e32 v44, v52, v118
	v_min_f32_e32 v45, v53, v116
	v_pk_add_f32 v[30:31], v[44:45], v[30:31]
	v_min_f32_e32 v44, v52, v121
	v_min_f32_e32 v45, v53, v120
	v_pk_add_f32 v[32:33], v[44:45], v[32:33]
	;; [unrolled: 3-line block ×4, first 2 shown]
	v_max_f32_e32 v44, v12, v12
	v_max_f32_e32 v45, v13, v13
	v_min_f32_e32 v12, v44, v118
	v_min_f32_e32 v13, v45, v116
	v_pk_add_f32 v[12:13], v[12:13], v[26:27]
	v_min_f32_e32 v26, v44, v121
	v_min_f32_e32 v27, v45, v120
	v_pk_add_f32 v[24:25], v[26:27], v[24:25]
	v_min_f32_e32 v26, v44, v123
	v_min_f32_e32 v27, v45, v122
	v_pk_add_f32 v[20:21], v[26:27], v[20:21]
	v_min_f32_e32 v27, v45, v76
	v_min_f32_e32 v26, v44, v77
	v_pk_add_f32 v[22:23], v[26:27], v[22:23]
	v_min_f32_e32 v27, v117, v76
	v_min_f32_e32 v26, v119, v77
	;; [unrolled: 1-line block ×4, first 2 shown]
	v_pk_add_f32 v[18:19], v[26:27], v[18:19]
	v_max_f32_e32 v26, v3, v3
	v_max_f32_e32 v7, v7, v7
	;; [unrolled: 1-line block ×4, first 2 shown]
	v_pk_add_f32 v[0:1], v[0:1], v[126:127]
	v_min_f32_e32 v3, v7, v26
	v_min_f32_e32 v2, v6, v27
	v_pk_add_f32 v[90:91], v[2:3], v[0:1]
	v_max_f32_e32 v2, v11, v11
	v_max_f32_e32 v3, v10, v10
	v_min_f32_e32 v1, v7, v2
	v_min_f32_e32 v0, v6, v3
	v_pk_add_f32 v[76:77], v[0:1], v[4:5]
	v_max_f32_e32 v4, v89, v89
	v_max_f32_e32 v5, v88, v88
	;; [unrolled: 5-line block ×3, first 2 shown]
	v_min_f32_e32 v0, v8, v27
	v_min_f32_e32 v1, v9, v26
	v_pk_add_f32 v[122:123], v[0:1], v[86:87]
	v_min_f32_e32 v0, v8, v3
	v_min_f32_e32 v1, v9, v2
	v_pk_add_f32 v[88:89], v[0:1], v[94:95]
	v_min_f32_e32 v0, v8, v5
	v_min_f32_e32 v1, v9, v4
	v_max_f32_e32 v10, v85, v85
	v_pk_add_f32 v[72:73], v[0:1], v[96:97]
	v_min_f32_e32 v1, v9, v10
	v_max_f32_e32 v9, v84, v84
	v_min_f32_e32 v0, v8, v9
	v_max_f32_e32 v8, v80, v80
	v_max_f32_e32 v11, v81, v81
	v_pk_add_f32 v[58:59], v[0:1], v[70:71]
	v_min_f32_e32 v0, v8, v27
	v_min_f32_e32 v1, v11, v26
	v_pk_add_f32 v[120:121], v[0:1], v[78:79]
	v_min_f32_e32 v0, v8, v3
	v_min_f32_e32 v1, v11, v2
	v_pk_add_f32 v[84:85], v[0:1], v[82:83]
	v_min_f32_e32 v0, v8, v5
	v_min_f32_e32 v1, v11, v4
	v_pk_add_f32 v[68:69], v[0:1], v[68:69]
	v_min_f32_e32 v1, v11, v10
	v_min_f32_e32 v0, v8, v9
	v_max_f32_e32 v8, v66, v66
	v_max_f32_e32 v11, v67, v67
	v_pk_add_f32 v[52:53], v[0:1], v[98:99]
	v_min_f32_e32 v0, v8, v27
	v_min_f32_e32 v1, v11, v26
	v_pk_add_f32 v[118:119], v[0:1], v[56:57]
	v_min_f32_e32 v0, v8, v3
	v_min_f32_e32 v1, v11, v2
	v_pk_add_f32 v[86:87], v[0:1], v[64:65]
	v_min_f32_e32 v0, v8, v5
	v_min_f32_e32 v1, v11, v4
	v_pk_add_f32 v[70:71], v[0:1], v[110:111]
	v_min_f32_e32 v1, v11, v10
	;; [unrolled: 14-line block ×6, first 2 shown]
	v_min_f32_e32 v0, v8, v9
	v_pk_add_f32 v[66:67], v[0:1], v[22:23]
	v_min_f32_e32 v1, v7, v10
	v_min_f32_e32 v0, v6, v9
	s_add_i32 s2, s2, 8
	v_pk_add_f32 v[50:51], v[0:1], v[18:19]
	v_lshl_add_u64 v[100:101], v[100:101], 0, 32
	v_lshl_add_u64 v[102:103], v[102:103], 0, 32
	s_cmp_ge_i32 s2, s23
	v_lshl_add_u64 v[106:107], v[106:107], 0, s[16:17]
	ds_write_b32 v217, v221
	ds_write2st64_b32 v218, v16, v17 offset1:4
	s_waitcnt lgkmcnt(0)
	s_barrier
	s_cbranch_scc1 .LBB80_33
.LBB80_23:                              ; =>This Inner Loop Header: Depth=1
	s_and_b64 vcc, exec, s[4:5]
	v_mov_b32_e32 v130, 0
	s_cbranch_vccnz .LBB80_25
; %bb.24:                               ;   in Loop: Header=BB80_23 Depth=1
	v_lshl_add_u64 v[0:1], v[106:107], 0, v[104:105]
	flat_load_dword v0, v[0:1]
	s_waitcnt vmcnt(0) lgkmcnt(0)
	v_mul_f32_e32 v130, s15, v0
.LBB80_25:                              ;   in Loop: Header=BB80_23 Depth=1
	s_and_b64 vcc, exec, s[4:5]
	v_lshl_add_u64 v[124:125], v[102:103], 0, v[48:49]
	v_lshl_add_u64 v[126:127], v[100:101], 0, v[48:49]
	s_cbranch_vccnz .LBB80_27
; %bb.26:                               ;   in Loop: Header=BB80_23 Depth=1
	flat_load_dword v0, v[124:125] offset:32
	flat_load_dword v1, v[126:127] offset:32
	s_waitcnt vmcnt(0) lgkmcnt(0)
	v_pk_mul_f32 v[128:129], v[0:1], s[14:15]
	s_branch .LBB80_28
.LBB80_27:                              ;   in Loop: Header=BB80_23 Depth=1
	v_mov_b32_e32 v128, 0
	v_mov_b32_e32 v129, 0
.LBB80_28:                              ;   in Loop: Header=BB80_23 Depth=1
	ds_read_b128 v[40:43], v220
	ds_read_b128 v[36:39], v220 offset:512
	ds_read_b128 v[24:27], v220 offset:1536
	;; [unrolled: 1-line block ×3, first 2 shown]
	ds_read_b128 v[28:31], v219
	ds_read_b128 v[20:23], v219 offset:128
	ds_read_b128 v[16:19], v219 offset:256
	;; [unrolled: 1-line block ×7, first 2 shown]
	s_and_b64 vcc, exec, s[4:5]
	ds_write_b32 v215, v130
	ds_write2st64_b32 v214, v128, v129 offset1:4
	s_waitcnt lgkmcnt(0)
	s_barrier
	s_cbranch_vccnz .LBB80_30
; %bb.29:                               ;   in Loop: Header=BB80_23 Depth=1
	v_lshl_add_u64 v[128:129], v[106:107], 0, v[108:109]
	flat_load_dword v128, v[128:129]
	s_waitcnt vmcnt(0) lgkmcnt(0)
	v_mul_f32_e32 v221, s15, v128
	s_branch .LBB80_31
.LBB80_30:                              ;   in Loop: Header=BB80_23 Depth=1
	v_mov_b32_e32 v221, 0
.LBB80_31:                              ;   in Loop: Header=BB80_23 Depth=1
	v_max_f32_e32 v162, v41, v41
	v_max_f32_e32 v163, v40, v40
	;; [unrolled: 1-line block ×10, first 2 shown]
	v_min_f32_e32 v140, v16, v163
	v_min_f32_e32 v141, v17, v162
	v_min_f32_e32 v138, v16, v167
	v_min_f32_e32 v139, v17, v166
	v_min_f32_e32 v136, v16, v171
	v_min_f32_e32 v137, v17, v169
	v_min_f32_e32 v143, v17, v172
	v_min_f32_e32 v142, v16, v173
	v_max_f32_e32 v16, v12, v12
	v_max_f32_e32 v17, v13, v13
	v_min_f32_e32 v146, v16, v163
	v_min_f32_e32 v147, v17, v162
	v_min_f32_e32 v144, v16, v167
	v_min_f32_e32 v145, v17, v166
	v_min_f32_e32 v12, v16, v171
	v_min_f32_e32 v13, v17, v169
	v_min_f32_e32 v149, v17, v172
	v_min_f32_e32 v148, v16, v173
	v_max_f32_e32 v16, v8, v8
	v_max_f32_e32 v17, v9, v9
	v_min_f32_e32 v152, v16, v163
	v_min_f32_e32 v153, v17, v162
	v_min_f32_e32 v150, v16, v167
	v_min_f32_e32 v151, v17, v166
	v_min_f32_e32 v8, v16, v171
	v_min_f32_e32 v9, v17, v169
	v_min_f32_e32 v155, v17, v172
	v_min_f32_e32 v154, v16, v173
	v_max_f32_e32 v16, v4, v4
	v_max_f32_e32 v17, v5, v5
	v_max_f32_e32 v168, v45, v45
	v_max_f32_e32 v170, v44, v44
	;; [unrolled: 1-line block ×6, first 2 shown]
	v_min_f32_e32 v158, v16, v163
	v_min_f32_e32 v159, v17, v162
	;; [unrolled: 1-line block ×8, first 2 shown]
	v_max_f32_e32 v16, v0, v0
	v_max_f32_e32 v17, v1, v1
	v_min_f32_e32 v41, v168, v162
	v_min_f32_e32 v40, v170, v163
	;; [unrolled: 1-line block ×17, first 2 shown]
	v_max_f32_e32 v16, v43, v43
	v_max_f32_e32 v198, v42, v42
	;; [unrolled: 1-line block ×10, first 2 shown]
	v_min_f32_e32 v36, v170, v167
	v_min_f32_e32 v33, v168, v169
	;; [unrolled: 1-line block ×14, first 2 shown]
	v_max_f32_e32 v17, v47, v47
	v_max_f32_e32 v222, v46, v46
	;; [unrolled: 1-line block ×12, first 2 shown]
	v_min_f32_e32 v202, v6, v198
	v_min_f32_e32 v203, v7, v16
	;; [unrolled: 1-line block ×8, first 2 shown]
	v_max_f32_e32 v6, v2, v2
	v_max_f32_e32 v7, v3, v3
	v_min_f32_e32 v32, v170, v171
	v_min_f32_e32 v43, v17, v16
	;; [unrolled: 1-line block ×56, first 2 shown]
	s_and_b64 vcc, exec, s[4:5]
	v_min_f32_e32 v198, v222, v226
	s_cbranch_vccz .LBB80_21
; %bb.32:                               ;   in Loop: Header=BB80_23 Depth=1
	v_mov_b32_e32 v16, 0
	v_mov_b32_e32 v17, 0
	s_branch .LBB80_22
.LBB80_33:
	s_load_dword s14, s[0:1], 0x50
	ds_read_b128 v[40:43], v213 offset:2048
	ds_read_b128 v[44:47], v212 offset:5120
	v_add_u32_e32 v102, s22, v211
	v_cmp_neq_f32_e64 s[4:5], s12, 0
	v_add_u32_e32 v48, s24, v210
	s_waitcnt lgkmcnt(0)
	v_mad_i64_i32 v[0:1], s[16:17], v102, s14, 0
	v_ashrrev_i32_e32 v49, 31, v48
	v_lshl_add_u64 v[100:101], v[0:1], 2, s[8:9]
	s_and_b64 vcc, exec, s[4:5]
	v_mov_b32_e32 v105, 0
	v_mov_b32_e32 v104, 0
	s_cbranch_vccz .LBB80_35
; %bb.34:
	v_lshl_add_u64 v[0:1], v[48:49], 2, v[100:101]
	flat_load_dword v0, v[0:1]
	s_waitcnt vmcnt(0) lgkmcnt(0)
	v_mul_f32_e32 v104, s12, v0
.LBB80_35:
	ds_read_b128 v[12:15], v212 offset:6016
	ds_read_b128 v[0:3], v213 offset:3584
	;; [unrolled: 1-line block ×6, first 2 shown]
	s_load_dword s15, s[0:1], 0x68
	s_load_dwordx2 s[16:17], s[0:1], 0x70
	v_max_f32_e32 v124, v40, v40
	v_max_f32_e32 v44, v44, v44
	v_max_f32_e32 v125, v41, v41
	v_max_f32_e32 v103, v45, v45
	s_waitcnt lgkmcnt(0)
	s_mul_i32 s0, s3, s17
	s_mul_hi_u32 s1, s3, s16
	ds_read_b128 v[28:31], v212 offset:5504
	ds_read_b128 v[24:27], v212 offset:5632
	;; [unrolled: 1-line block ×4, first 2 shown]
	s_add_i32 s0, s1, s0
	s_mul_i32 s1, s13, s16
	v_min_f32_e32 v40, v44, v124
	v_min_f32_e32 v41, v103, v125
	s_add_i32 s1, s0, s1
	s_mul_i32 s0, s3, s16
	v_pk_add_f32 v[40:41], v[40:41], v[122:123]
	v_max_f32_e32 v122, v42, v42
	v_max_f32_e32 v45, v46, v46
	;; [unrolled: 1-line block ×4, first 2 shown]
	s_lshl_b64 s[0:1], s[0:1], 2
	v_min_f32_e32 v42, v45, v122
	v_min_f32_e32 v43, v46, v123
	s_add_u32 s2, s10, s0
	v_pk_add_f32 v[106:107], v[42:43], v[40:41]
	s_addc_u32 s3, s11, s1
	v_mad_i64_i32 v[42:43], s[0:1], v102, s15, 0
	v_add_f32_e32 v47, v106, v107
	v_add_u32_e32 v40, 8, v48
	v_lshl_add_u64 v[42:43], v[42:43], 2, s[2:3]
	v_add_f32_e32 v47, v47, v104
	v_cndmask_b32_e64 v104, 0, 1, s[4:5]
	v_ashrrev_i32_e32 v41, 31, v40
	v_lshl_add_u64 v[106:107], v[48:49], 2, v[42:43]
	v_cmp_ne_u32_e64 s[0:1], 1, v104
	s_andn2_b64 vcc, exec, s[4:5]
	global_store_dword v[106:107], v47, off
	s_cbranch_vccnz .LBB80_37
; %bb.36:
	v_lshl_add_u64 v[104:105], v[40:41], 2, v[100:101]
	flat_load_dword v47, v[104:105]
	s_waitcnt vmcnt(0) lgkmcnt(0)
	v_mul_f32_e32 v105, s12, v47
.LBB80_37:
	v_max_f32_e32 v47, v36, v36
	v_max_f32_e32 v104, v37, v37
	v_min_f32_e32 v36, v47, v124
	v_min_f32_e32 v37, v104, v125
	v_max_f32_e32 v38, v38, v38
	v_max_f32_e32 v39, v39, v39
	v_pk_add_f32 v[36:37], v[36:37], v[120:121]
	v_min_f32_e32 v106, v38, v122
	v_min_f32_e32 v107, v39, v123
	v_pk_add_f32 v[36:37], v[106:107], v[36:37]
	s_and_b64 vcc, exec, s[0:1]
	v_add_f32_e32 v106, v36, v37
	v_add_u32_e32 v36, 16, v48
	v_add_f32_e32 v105, v106, v105
	v_lshl_add_u64 v[106:107], v[40:41], 2, v[42:43]
	v_ashrrev_i32_e32 v37, 31, v36
	global_store_dword v[106:107], v105, off
	v_mov_b32_e32 v109, 0
	v_mov_b32_e32 v107, 0
	s_cbranch_vccnz .LBB80_39
; %bb.38:
	v_lshl_add_u64 v[106:107], v[36:37], 2, v[100:101]
	flat_load_dword v105, v[106:107]
	s_waitcnt vmcnt(0) lgkmcnt(0)
	v_mul_f32_e32 v107, s12, v105
.LBB80_39:
	v_max_f32_e32 v105, v32, v32
	v_max_f32_e32 v106, v33, v33
	v_min_f32_e32 v32, v105, v124
	v_min_f32_e32 v33, v106, v125
	v_max_f32_e32 v34, v34, v34
	v_max_f32_e32 v35, v35, v35
	v_pk_add_f32 v[32:33], v[32:33], v[118:119]
	v_min_f32_e32 v118, v34, v122
	v_min_f32_e32 v119, v35, v123
	v_pk_add_f32 v[32:33], v[118:119], v[32:33]
	v_lshl_add_u64 v[118:119], v[36:37], 2, v[42:43]
	v_add_f32_e32 v108, v32, v33
	v_add_u32_e32 v32, 24, v48
	v_ashrrev_i32_e32 v33, 31, v32
	v_add_f32_e32 v107, v108, v107
	s_and_b64 vcc, exec, s[0:1]
	global_store_dword v[118:119], v107, off
	s_cbranch_vccnz .LBB80_41
; %bb.40:
	v_lshl_add_u64 v[108:109], v[32:33], 2, v[100:101]
	flat_load_dword v107, v[108:109]
	s_waitcnt vmcnt(0) lgkmcnt(0)
	v_mul_f32_e32 v109, s12, v107
.LBB80_41:
	s_waitcnt lgkmcnt(3)
	v_max_f32_e32 v107, v28, v28
	v_max_f32_e32 v108, v29, v29
	v_min_f32_e32 v28, v107, v124
	v_min_f32_e32 v29, v108, v125
	v_max_f32_e32 v30, v30, v30
	v_max_f32_e32 v31, v31, v31
	v_pk_add_f32 v[28:29], v[28:29], v[116:117]
	v_min_f32_e32 v116, v30, v122
	v_min_f32_e32 v117, v31, v123
	v_pk_add_f32 v[28:29], v[116:117], v[28:29]
	s_and_b64 vcc, exec, s[0:1]
	v_add_f32_e32 v116, v28, v29
	v_add_u32_e32 v28, 32, v48
	v_add_f32_e32 v109, v116, v109
	v_lshl_add_u64 v[116:117], v[32:33], 2, v[42:43]
	v_ashrrev_i32_e32 v29, 31, v28
	global_store_dword v[116:117], v109, off
	v_mov_b32_e32 v117, 0
	v_mov_b32_e32 v118, 0
	s_cbranch_vccnz .LBB80_43
; %bb.42:
	v_lshl_add_u64 v[118:119], v[28:29], 2, v[100:101]
	flat_load_dword v109, v[118:119]
	s_waitcnt vmcnt(0) lgkmcnt(0)
	v_mul_f32_e32 v118, s12, v109
.LBB80_43:
	s_waitcnt lgkmcnt(2)
	v_max_f32_e32 v109, v24, v24
	v_max_f32_e32 v116, v25, v25
	v_min_f32_e32 v24, v109, v124
	v_min_f32_e32 v25, v116, v125
	v_max_f32_e32 v26, v26, v26
	v_max_f32_e32 v27, v27, v27
	v_pk_add_f32 v[24:25], v[24:25], v[114:115]
	v_min_f32_e32 v114, v26, v122
	v_min_f32_e32 v115, v27, v123
	v_pk_add_f32 v[24:25], v[114:115], v[24:25]
	s_and_b64 vcc, exec, s[0:1]
	v_add_f32_e32 v114, v24, v25
	v_add_u32_e32 v24, 40, v48
	v_ashrrev_i32_e32 v25, 31, v24
	v_add_f32_e32 v118, v114, v118
	v_lshl_add_u64 v[114:115], v[28:29], 2, v[42:43]
	global_store_dword v[114:115], v118, off
	s_cbranch_vccnz .LBB80_45
; %bb.44:
	v_lshl_add_u64 v[114:115], v[24:25], 2, v[100:101]
	flat_load_dword v114, v[114:115]
	s_waitcnt vmcnt(0) lgkmcnt(0)
	v_mul_f32_e32 v117, s12, v114
.LBB80_45:
	s_waitcnt lgkmcnt(1)
	v_max_f32_e32 v114, v20, v20
	v_max_f32_e32 v115, v21, v21
	v_min_f32_e32 v20, v114, v124
	v_min_f32_e32 v21, v115, v125
	v_max_f32_e32 v22, v22, v22
	v_max_f32_e32 v23, v23, v23
	v_pk_add_f32 v[20:21], v[20:21], v[112:113]
	v_min_f32_e32 v112, v22, v122
	v_min_f32_e32 v113, v23, v123
	v_pk_add_f32 v[20:21], v[112:113], v[20:21]
	s_and_b64 vcc, exec, s[0:1]
	v_add_f32_e32 v112, v20, v21
	v_add_u32_e32 v20, 48, v48
	v_add_f32_e32 v117, v112, v117
	v_lshl_add_u64 v[112:113], v[24:25], 2, v[42:43]
	v_ashrrev_i32_e32 v21, 31, v20
	global_store_dword v[112:113], v117, off
	v_mov_b32_e32 v117, 0
	v_mov_b32_e32 v118, 0
	s_cbranch_vccnz .LBB80_47
; %bb.46:
	v_lshl_add_u64 v[112:113], v[20:21], 2, v[100:101]
	flat_load_dword v112, v[112:113]
	s_waitcnt vmcnt(0) lgkmcnt(0)
	v_mul_f32_e32 v118, s12, v112
.LBB80_47:
	s_waitcnt lgkmcnt(0)
	v_max_f32_e32 v112, v16, v16
	v_max_f32_e32 v113, v17, v17
	v_min_f32_e32 v16, v112, v124
	v_min_f32_e32 v17, v113, v125
	v_pk_add_f32 v[16:17], v[16:17], v[110:111]
	v_max_f32_e32 v110, v18, v18
	v_max_f32_e32 v111, v19, v19
	v_min_f32_e32 v18, v110, v122
	v_min_f32_e32 v19, v111, v123
	v_pk_add_f32 v[16:17], v[18:19], v[16:17]
	s_and_b64 vcc, exec, s[0:1]
	v_add_f32_e32 v18, v16, v17
	v_add_u32_e32 v16, 56, v48
	v_ashrrev_i32_e32 v17, 31, v16
	v_add_f32_e32 v118, v18, v118
	v_lshl_add_u64 v[18:19], v[20:21], 2, v[42:43]
	global_store_dword v[18:19], v118, off
	s_cbranch_vccnz .LBB80_49
; %bb.48:
	v_lshl_add_u64 v[18:19], v[16:17], 2, v[100:101]
	flat_load_dword v18, v[18:19]
	s_waitcnt vmcnt(0) lgkmcnt(0)
	v_mul_f32_e32 v117, s12, v18
.LBB80_49:
	v_max_f32_e32 v18, v13, v13
	v_max_f32_e32 v19, v12, v12
	v_min_f32_e32 v13, v18, v125
	v_min_f32_e32 v12, v19, v124
	v_max_f32_e32 v15, v15, v15
	v_max_f32_e32 v14, v14, v14
	v_pk_add_f32 v[12:13], v[12:13], v[90:91]
	v_min_f32_e32 v91, v15, v123
	v_min_f32_e32 v90, v14, v122
	v_pk_add_f32 v[12:13], v[90:91], v[12:13]
	v_add_u32_e32 v91, 32, v102
	v_add_f32_e32 v12, v12, v13
	v_add_f32_e32 v90, v12, v117
	v_lshl_add_u64 v[12:13], v[16:17], 2, v[42:43]
	global_store_dword v[12:13], v90, off
	v_mad_i64_i32 v[12:13], s[4:5], v91, s14, 0
	v_lshl_add_u64 v[12:13], v[12:13], 2, s[8:9]
	s_and_b64 vcc, exec, s[0:1]
	v_mov_b32_e32 v90, 0
	v_mov_b32_e32 v100, 0
	s_cbranch_vccnz .LBB80_51
; %bb.50:
	v_lshl_add_u64 v[42:43], v[48:49], 2, v[12:13]
	flat_load_dword v42, v[42:43]
	s_waitcnt vmcnt(0) lgkmcnt(0)
	v_mul_f32_e32 v100, s12, v42
.LBB80_51:
	v_max_f32_e32 v42, v8, v8
	v_max_f32_e32 v43, v9, v9
	v_min_f32_e32 v8, v44, v42
	v_min_f32_e32 v9, v103, v43
	v_max_f32_e32 v10, v10, v10
	v_max_f32_e32 v11, v11, v11
	v_pk_add_f32 v[8:9], v[8:9], v[88:89]
	v_min_f32_e32 v88, v45, v10
	v_min_f32_e32 v89, v46, v11
	v_pk_add_f32 v[88:89], v[88:89], v[8:9]
	v_mad_i64_i32 v[8:9], s[4:5], v91, s15, 0
	v_lshl_add_u64 v[8:9], v[8:9], 2, s[2:3]
	v_add_f32_e32 v88, v88, v89
	v_add_f32_e32 v91, v88, v100
	v_lshl_add_u64 v[88:89], v[48:49], 2, v[8:9]
	s_and_b64 vcc, exec, s[0:1]
	global_store_dword v[88:89], v91, off
	s_cbranch_vccnz .LBB80_53
; %bb.52:
	v_lshl_add_u64 v[88:89], v[40:41], 2, v[12:13]
	flat_load_dword v88, v[88:89]
	s_waitcnt vmcnt(0) lgkmcnt(0)
	v_mul_f32_e32 v90, s12, v88
.LBB80_53:
	v_min_f32_e32 v88, v47, v42
	v_min_f32_e32 v89, v104, v43
	v_pk_add_f32 v[84:85], v[88:89], v[84:85]
	v_min_f32_e32 v88, v38, v10
	v_min_f32_e32 v89, v39, v11
	v_pk_add_f32 v[84:85], v[88:89], v[84:85]
	s_and_b64 vcc, exec, s[0:1]
	v_add_f32_e32 v84, v84, v85
	v_add_f32_e32 v88, v84, v90
	v_lshl_add_u64 v[84:85], v[40:41], 2, v[8:9]
	global_store_dword v[84:85], v88, off
	v_mov_b32_e32 v84, 0
	v_mov_b32_e32 v85, 0
	s_cbranch_vccnz .LBB80_55
; %bb.54:
	v_lshl_add_u64 v[88:89], v[36:37], 2, v[12:13]
	flat_load_dword v85, v[88:89]
	s_waitcnt vmcnt(0) lgkmcnt(0)
	v_mul_f32_e32 v85, s12, v85
.LBB80_55:
	v_min_f32_e32 v88, v105, v42
	v_min_f32_e32 v89, v106, v43
	v_pk_add_f32 v[86:87], v[88:89], v[86:87]
	v_min_f32_e32 v88, v34, v10
	v_min_f32_e32 v89, v35, v11
	v_pk_add_f32 v[86:87], v[88:89], v[86:87]
	s_and_b64 vcc, exec, s[0:1]
	v_add_f32_e32 v86, v86, v87
	v_add_f32_e32 v85, v86, v85
	v_lshl_add_u64 v[86:87], v[36:37], 2, v[8:9]
	global_store_dword v[86:87], v85, off
	s_cbranch_vccnz .LBB80_57
; %bb.56:
	v_lshl_add_u64 v[84:85], v[32:33], 2, v[12:13]
	flat_load_dword v84, v[84:85]
	s_waitcnt vmcnt(0) lgkmcnt(0)
	v_mul_f32_e32 v84, s12, v84
.LBB80_57:
	v_min_f32_e32 v86, v107, v42
	v_min_f32_e32 v87, v108, v43
	v_pk_add_f32 v[86:87], v[86:87], v[92:93]
	v_min_f32_e32 v88, v30, v10
	v_min_f32_e32 v89, v31, v11
	v_pk_add_f32 v[86:87], v[88:89], v[86:87]
	s_and_b64 vcc, exec, s[0:1]
	v_add_f32_e32 v85, v86, v87
	v_add_f32_e32 v86, v85, v84
	v_lshl_add_u64 v[84:85], v[32:33], 2, v[8:9]
	global_store_dword v[84:85], v86, off
	v_mov_b32_e32 v84, 0
	v_mov_b32_e32 v85, 0
	s_cbranch_vccnz .LBB80_59
; %bb.58:
	v_lshl_add_u64 v[86:87], v[28:29], 2, v[12:13]
	flat_load_dword v85, v[86:87]
	s_waitcnt vmcnt(0) lgkmcnt(0)
	v_mul_f32_e32 v85, s12, v85
.LBB80_59:
	v_min_f32_e32 v86, v109, v42
	v_min_f32_e32 v87, v116, v43
	v_pk_add_f32 v[86:87], v[86:87], v[94:95]
	v_min_f32_e32 v88, v26, v10
	v_min_f32_e32 v89, v27, v11
	v_pk_add_f32 v[86:87], v[88:89], v[86:87]
	s_and_b64 vcc, exec, s[0:1]
	v_add_f32_e32 v86, v86, v87
	v_add_f32_e32 v85, v86, v85
	v_lshl_add_u64 v[86:87], v[28:29], 2, v[8:9]
	;; [unrolled: 38-line block ×3, first 2 shown]
	global_store_dword v[86:87], v85, off
	s_cbranch_vccnz .LBB80_65
; %bb.64:
	v_lshl_add_u64 v[12:13], v[16:17], 2, v[12:13]
	flat_load_dword v12, v[12:13]
	s_waitcnt vmcnt(0) lgkmcnt(0)
	v_mul_f32_e32 v84, s12, v12
.LBB80_65:
	v_min_f32_e32 v13, v18, v43
	v_min_f32_e32 v12, v19, v42
	v_pk_add_f32 v[12:13], v[12:13], v[76:77]
	v_min_f32_e32 v11, v15, v11
	v_min_f32_e32 v10, v14, v10
	v_pk_add_f32 v[10:11], v[10:11], v[12:13]
	v_lshl_add_u64 v[8:9], v[16:17], 2, v[8:9]
	v_add_f32_e32 v10, v10, v11
	v_add_f32_e32 v10, v10, v84
	v_add_u32_e32 v13, 64, v102
	global_store_dword v[8:9], v10, off
	v_mad_i64_i32 v[8:9], s[4:5], v13, s14, 0
	v_lshl_add_u64 v[8:9], v[8:9], 2, s[8:9]
	s_and_b64 vcc, exec, s[0:1]
	v_mov_b32_e32 v12, 0
	v_mov_b32_e32 v42, 0
	s_cbranch_vccnz .LBB80_67
; %bb.66:
	v_lshl_add_u64 v[10:11], v[48:49], 2, v[8:9]
	flat_load_dword v10, v[10:11]
	s_waitcnt vmcnt(0) lgkmcnt(0)
	v_mul_f32_e32 v42, s12, v10
.LBB80_67:
	v_max_f32_e32 v10, v4, v4
	v_max_f32_e32 v11, v5, v5
	v_min_f32_e32 v4, v44, v10
	v_min_f32_e32 v5, v103, v11
	v_max_f32_e32 v6, v6, v6
	v_max_f32_e32 v7, v7, v7
	v_pk_add_f32 v[4:5], v[4:5], v[72:73]
	v_min_f32_e32 v72, v45, v6
	v_min_f32_e32 v73, v46, v7
	v_pk_add_f32 v[72:73], v[72:73], v[4:5]
	v_mad_i64_i32 v[4:5], s[4:5], v13, s15, 0
	v_lshl_add_u64 v[4:5], v[4:5], 2, s[2:3]
	v_add_f32_e32 v13, v72, v73
	v_add_f32_e32 v13, v13, v42
	v_lshl_add_u64 v[42:43], v[48:49], 2, v[4:5]
	s_and_b64 vcc, exec, s[0:1]
	global_store_dword v[42:43], v13, off
	s_cbranch_vccnz .LBB80_69
; %bb.68:
	v_lshl_add_u64 v[12:13], v[40:41], 2, v[8:9]
	flat_load_dword v12, v[12:13]
	s_waitcnt vmcnt(0) lgkmcnt(0)
	v_mul_f32_e32 v12, s12, v12
.LBB80_69:
	v_min_f32_e32 v42, v47, v10
	v_min_f32_e32 v43, v104, v11
	v_pk_add_f32 v[42:43], v[42:43], v[68:69]
	v_min_f32_e32 v68, v38, v6
	v_min_f32_e32 v69, v39, v7
	v_pk_add_f32 v[42:43], v[68:69], v[42:43]
	s_and_b64 vcc, exec, s[0:1]
	v_add_f32_e32 v13, v42, v43
	v_add_f32_e32 v42, v13, v12
	v_lshl_add_u64 v[12:13], v[40:41], 2, v[4:5]
	global_store_dword v[12:13], v42, off
	v_mov_b32_e32 v12, 0
	v_mov_b32_e32 v13, 0
	s_cbranch_vccnz .LBB80_71
; %bb.70:
	v_lshl_add_u64 v[42:43], v[36:37], 2, v[8:9]
	flat_load_dword v13, v[42:43]
	s_waitcnt vmcnt(0) lgkmcnt(0)
	v_mul_f32_e32 v13, s12, v13
.LBB80_71:
	v_min_f32_e32 v42, v105, v10
	v_min_f32_e32 v43, v106, v11
	v_pk_add_f32 v[42:43], v[42:43], v[70:71]
	v_min_f32_e32 v68, v34, v6
	v_min_f32_e32 v69, v35, v7
	v_pk_add_f32 v[42:43], v[68:69], v[42:43]
	s_and_b64 vcc, exec, s[0:1]
	v_add_f32_e32 v42, v42, v43
	v_add_f32_e32 v13, v42, v13
	v_lshl_add_u64 v[42:43], v[36:37], 2, v[4:5]
	global_store_dword v[42:43], v13, off
	s_cbranch_vccnz .LBB80_73
; %bb.72:
	v_lshl_add_u64 v[12:13], v[32:33], 2, v[8:9]
	flat_load_dword v12, v[12:13]
	s_waitcnt vmcnt(0) lgkmcnt(0)
	v_mul_f32_e32 v12, s12, v12
.LBB80_73:
	v_min_f32_e32 v42, v107, v10
	v_min_f32_e32 v43, v108, v11
	v_pk_add_f32 v[42:43], v[42:43], v[74:75]
	v_min_f32_e32 v68, v30, v6
	v_min_f32_e32 v69, v31, v7
	v_pk_add_f32 v[42:43], v[68:69], v[42:43]
	s_and_b64 vcc, exec, s[0:1]
	v_add_f32_e32 v13, v42, v43
	v_add_f32_e32 v42, v13, v12
	v_lshl_add_u64 v[12:13], v[32:33], 2, v[4:5]
	global_store_dword v[12:13], v42, off
	v_mov_b32_e32 v12, 0
	v_mov_b32_e32 v13, 0
	s_cbranch_vccnz .LBB80_75
; %bb.74:
	v_lshl_add_u64 v[42:43], v[28:29], 2, v[8:9]
	flat_load_dword v13, v[42:43]
	s_waitcnt vmcnt(0) lgkmcnt(0)
	v_mul_f32_e32 v13, s12, v13
.LBB80_75:
	v_min_f32_e32 v42, v109, v10
	v_min_f32_e32 v43, v116, v11
	v_pk_add_f32 v[42:43], v[42:43], v[78:79]
	v_min_f32_e32 v68, v26, v6
	v_min_f32_e32 v69, v27, v7
	v_pk_add_f32 v[42:43], v[68:69], v[42:43]
	s_and_b64 vcc, exec, s[0:1]
	v_add_f32_e32 v42, v42, v43
	v_add_f32_e32 v13, v42, v13
	v_lshl_add_u64 v[42:43], v[28:29], 2, v[4:5]
	;; [unrolled: 38-line block ×3, first 2 shown]
	global_store_dword v[42:43], v13, off
	s_cbranch_vccnz .LBB80_81
; %bb.80:
	v_lshl_add_u64 v[8:9], v[16:17], 2, v[8:9]
	flat_load_dword v8, v[8:9]
	s_waitcnt vmcnt(0) lgkmcnt(0)
	v_mul_f32_e32 v12, s12, v8
.LBB80_81:
	v_min_f32_e32 v9, v18, v11
	v_min_f32_e32 v8, v19, v10
	v_pk_add_f32 v[8:9], v[8:9], v[62:63]
	v_min_f32_e32 v7, v15, v7
	v_min_f32_e32 v6, v14, v6
	v_pk_add_f32 v[6:7], v[6:7], v[8:9]
	v_lshl_add_u64 v[4:5], v[16:17], 2, v[4:5]
	v_add_f32_e32 v6, v6, v7
	v_add_f32_e32 v6, v6, v12
	v_add_u32_e32 v9, 0x60, v102
	global_store_dword v[4:5], v6, off
	v_mad_i64_i32 v[4:5], s[4:5], v9, s14, 0
	v_lshl_add_u64 v[4:5], v[4:5], 2, s[8:9]
	s_and_b64 vcc, exec, s[0:1]
	v_mov_b32_e32 v8, 0
	v_mov_b32_e32 v10, 0
	s_cbranch_vccnz .LBB80_83
; %bb.82:
	v_lshl_add_u64 v[6:7], v[48:49], 2, v[4:5]
	flat_load_dword v6, v[6:7]
	s_waitcnt vmcnt(0) lgkmcnt(0)
	v_mul_f32_e32 v10, s12, v6
.LBB80_83:
	v_max_f32_e32 v6, v1, v1
	v_max_f32_e32 v7, v0, v0
	v_min_f32_e32 v1, v103, v6
	v_min_f32_e32 v0, v44, v7
	v_max_f32_e32 v3, v3, v3
	v_max_f32_e32 v2, v2, v2
	v_pk_add_f32 v[0:1], v[0:1], v[58:59]
	v_min_f32_e32 v13, v46, v3
	v_min_f32_e32 v12, v45, v2
	v_pk_add_f32 v[12:13], v[12:13], v[0:1]
	v_mad_i64_i32 v[0:1], s[4:5], v9, s15, 0
	v_lshl_add_u64 v[0:1], v[0:1], 2, s[2:3]
	v_add_f32_e32 v9, v12, v13
	v_add_f32_e32 v9, v9, v10
	v_lshl_add_u64 v[10:11], v[48:49], 2, v[0:1]
	s_and_b64 vcc, exec, s[0:1]
	global_store_dword v[10:11], v9, off
	s_cbranch_vccnz .LBB80_85
; %bb.84:
	v_lshl_add_u64 v[8:9], v[40:41], 2, v[4:5]
	flat_load_dword v8, v[8:9]
	s_waitcnt vmcnt(0) lgkmcnt(0)
	v_mul_f32_e32 v8, s12, v8
.LBB80_85:
	v_min_f32_e32 v11, v104, v6
	v_min_f32_e32 v10, v47, v7
	v_pk_add_f32 v[10:11], v[10:11], v[52:53]
	v_min_f32_e32 v13, v39, v3
	v_min_f32_e32 v12, v38, v2
	v_pk_add_f32 v[10:11], v[12:13], v[10:11]
	s_and_b64 vcc, exec, s[0:1]
	v_add_f32_e32 v9, v10, v11
	v_add_f32_e32 v10, v9, v8
	v_lshl_add_u64 v[8:9], v[40:41], 2, v[0:1]
	global_store_dword v[8:9], v10, off
	v_mov_b32_e32 v8, 0
	v_mov_b32_e32 v9, 0
	s_cbranch_vccnz .LBB80_87
; %bb.86:
	v_lshl_add_u64 v[10:11], v[36:37], 2, v[4:5]
	flat_load_dword v9, v[10:11]
	s_waitcnt vmcnt(0) lgkmcnt(0)
	v_mul_f32_e32 v9, s12, v9
.LBB80_87:
	v_min_f32_e32 v11, v106, v6
	v_min_f32_e32 v10, v105, v7
	v_pk_add_f32 v[10:11], v[10:11], v[54:55]
	v_min_f32_e32 v13, v35, v3
	v_min_f32_e32 v12, v34, v2
	v_pk_add_f32 v[10:11], v[12:13], v[10:11]
	s_and_b64 vcc, exec, s[0:1]
	v_add_f32_e32 v10, v10, v11
	v_add_f32_e32 v9, v10, v9
	v_lshl_add_u64 v[10:11], v[36:37], 2, v[0:1]
	global_store_dword v[10:11], v9, off
	s_cbranch_vccnz .LBB80_89
; %bb.88:
	v_lshl_add_u64 v[8:9], v[32:33], 2, v[4:5]
	flat_load_dword v8, v[8:9]
	s_waitcnt vmcnt(0) lgkmcnt(0)
	v_mul_f32_e32 v8, s12, v8
.LBB80_89:
	v_min_f32_e32 v11, v108, v6
	v_min_f32_e32 v10, v107, v7
	v_pk_add_f32 v[10:11], v[10:11], v[56:57]
	v_min_f32_e32 v13, v31, v3
	v_min_f32_e32 v12, v30, v2
	v_pk_add_f32 v[10:11], v[12:13], v[10:11]
	s_and_b64 vcc, exec, s[0:1]
	v_add_f32_e32 v9, v10, v11
	v_add_f32_e32 v10, v9, v8
	v_lshl_add_u64 v[8:9], v[32:33], 2, v[0:1]
	global_store_dword v[8:9], v10, off
	v_mov_b32_e32 v8, 0
	v_mov_b32_e32 v9, 0
	s_cbranch_vccnz .LBB80_91
; %bb.90:
	v_lshl_add_u64 v[10:11], v[28:29], 2, v[4:5]
	flat_load_dword v9, v[10:11]
	s_waitcnt vmcnt(0) lgkmcnt(0)
	v_mul_f32_e32 v9, s12, v9
.LBB80_91:
	v_min_f32_e32 v11, v116, v6
	v_min_f32_e32 v10, v109, v7
	v_pk_add_f32 v[10:11], v[10:11], v[60:61]
	v_min_f32_e32 v13, v27, v3
	v_min_f32_e32 v12, v26, v2
	v_pk_add_f32 v[10:11], v[12:13], v[10:11]
	s_and_b64 vcc, exec, s[0:1]
	v_add_f32_e32 v10, v10, v11
	v_add_f32_e32 v9, v10, v9
	v_lshl_add_u64 v[10:11], v[28:29], 2, v[0:1]
	global_store_dword v[10:11], v9, off
	s_cbranch_vccnz .LBB80_93
; %bb.92:
	v_lshl_add_u64 v[8:9], v[24:25], 2, v[4:5]
	flat_load_dword v8, v[8:9]
	s_waitcnt vmcnt(0) lgkmcnt(0)
	v_mul_f32_e32 v8, s12, v8
.LBB80_93:
	v_min_f32_e32 v11, v115, v6
	v_min_f32_e32 v10, v114, v7
	v_pk_add_f32 v[10:11], v[10:11], v[64:65]
	v_min_f32_e32 v13, v23, v3
	v_min_f32_e32 v12, v22, v2
	v_pk_add_f32 v[10:11], v[12:13], v[10:11]
	v_min_f32_e32 v13, v111, v3
	v_add_f32_e32 v9, v10, v11
	v_min_f32_e32 v11, v113, v6
	v_min_f32_e32 v10, v112, v7
	v_pk_add_f32 v[10:11], v[10:11], v[66:67]
	v_min_f32_e32 v12, v110, v2
	v_pk_add_f32 v[10:11], v[12:13], v[10:11]
	v_add_f32_e32 v12, v9, v8
	v_lshl_add_u64 v[8:9], v[24:25], 2, v[0:1]
	global_store_dword v[8:9], v12, off
	v_add_f32_e32 v8, v10, v11
	s_mov_b64 vcc, s[6:7]
	s_cbranch_vccz .LBB80_96
; %bb.94:
	v_add_f32_e32 v9, 0, v8
	v_lshl_add_u64 v[10:11], v[20:21], 2, v[0:1]
	s_mov_b32 s2, 0
	global_store_dword v[10:11], v9, off
	s_cbranch_execz .LBB80_97
; %bb.95:
	v_mov_b32_e32 v4, s2
	s_branch .LBB80_98
.LBB80_96:
                                        ; implicit-def: $sgpr2
.LBB80_97:
	v_lshlrev_b64 v[10:11], 2, v[20:21]
	v_lshl_add_u64 v[12:13], v[4:5], 0, v[10:11]
	flat_load_dword v9, v[12:13]
	v_lshl_add_u64 v[10:11], v[0:1], 0, v[10:11]
	v_lshl_add_u64 v[4:5], v[16:17], 2, v[4:5]
	s_waitcnt vmcnt(0) lgkmcnt(0)
	v_fmac_f32_e32 v8, s12, v9
	global_store_dword v[10:11], v8, off
	flat_load_dword v4, v[4:5]
	s_waitcnt vmcnt(0) lgkmcnt(0)
	v_mul_f32_e32 v4, s12, v4
.LBB80_98:
	v_min_f32_e32 v9, v18, v6
	v_min_f32_e32 v8, v19, v7
	;; [unrolled: 1-line block ×4, first 2 shown]
	v_pk_add_f32 v[6:7], v[8:9], v[50:51]
	v_lshl_add_u64 v[0:1], v[16:17], 2, v[0:1]
	v_pk_add_f32 v[2:3], v[2:3], v[6:7]
	s_nop 0
	v_add_f32_e32 v2, v2, v3
	v_add_f32_e32 v2, v2, v4
	global_store_dword v[0:1], v2, off
	s_endpgm
	.section	.rodata,"a",@progbits
	.p2align	6, 0x0
	.amdhsa_kernel _ZN12_GLOBAL__N_120geam_min_plus_kernelIf15HIP_vector_typeIfLj2EES2_Li8ELi32ELi64ELi128ELi4ELi64ELi4ELi4ELi64ELc78ELc78ELb0ELb0ELb0EfKffEEviiiT16_PT17_ilS6_ilS4_S6_ilPT18_ili26rocblas_geam_ex_operation_
		.amdhsa_group_segment_fixed_size 6144
		.amdhsa_private_segment_fixed_size 0
		.amdhsa_kernarg_size 128
		.amdhsa_user_sgpr_count 2
		.amdhsa_user_sgpr_dispatch_ptr 0
		.amdhsa_user_sgpr_queue_ptr 0
		.amdhsa_user_sgpr_kernarg_segment_ptr 1
		.amdhsa_user_sgpr_dispatch_id 0
		.amdhsa_user_sgpr_kernarg_preload_length 0
		.amdhsa_user_sgpr_kernarg_preload_offset 0
		.amdhsa_user_sgpr_private_segment_size 0
		.amdhsa_uses_dynamic_stack 0
		.amdhsa_enable_private_segment 0
		.amdhsa_system_sgpr_workgroup_id_x 1
		.amdhsa_system_sgpr_workgroup_id_y 0
		.amdhsa_system_sgpr_workgroup_id_z 1
		.amdhsa_system_sgpr_workgroup_info 0
		.amdhsa_system_vgpr_workitem_id 1
		.amdhsa_next_free_vgpr 227
		.amdhsa_next_free_sgpr 30
		.amdhsa_accum_offset 228
		.amdhsa_reserve_vcc 1
		.amdhsa_float_round_mode_32 0
		.amdhsa_float_round_mode_16_64 0
		.amdhsa_float_denorm_mode_32 3
		.amdhsa_float_denorm_mode_16_64 3
		.amdhsa_dx10_clamp 1
		.amdhsa_ieee_mode 1
		.amdhsa_fp16_overflow 0
		.amdhsa_tg_split 0
		.amdhsa_exception_fp_ieee_invalid_op 0
		.amdhsa_exception_fp_denorm_src 0
		.amdhsa_exception_fp_ieee_div_zero 0
		.amdhsa_exception_fp_ieee_overflow 0
		.amdhsa_exception_fp_ieee_underflow 0
		.amdhsa_exception_fp_ieee_inexact 0
		.amdhsa_exception_int_div_zero 0
	.end_amdhsa_kernel
	.section	.text._ZN12_GLOBAL__N_120geam_min_plus_kernelIf15HIP_vector_typeIfLj2EES2_Li8ELi32ELi64ELi128ELi4ELi64ELi4ELi4ELi64ELc78ELc78ELb0ELb0ELb0EfKffEEviiiT16_PT17_ilS6_ilS4_S6_ilPT18_ili26rocblas_geam_ex_operation_,"axG",@progbits,_ZN12_GLOBAL__N_120geam_min_plus_kernelIf15HIP_vector_typeIfLj2EES2_Li8ELi32ELi64ELi128ELi4ELi64ELi4ELi4ELi64ELc78ELc78ELb0ELb0ELb0EfKffEEviiiT16_PT17_ilS6_ilS4_S6_ilPT18_ili26rocblas_geam_ex_operation_,comdat
.Lfunc_end80:
	.size	_ZN12_GLOBAL__N_120geam_min_plus_kernelIf15HIP_vector_typeIfLj2EES2_Li8ELi32ELi64ELi128ELi4ELi64ELi4ELi4ELi64ELc78ELc78ELb0ELb0ELb0EfKffEEviiiT16_PT17_ilS6_ilS4_S6_ilPT18_ili26rocblas_geam_ex_operation_, .Lfunc_end80-_ZN12_GLOBAL__N_120geam_min_plus_kernelIf15HIP_vector_typeIfLj2EES2_Li8ELi32ELi64ELi128ELi4ELi64ELi4ELi4ELi64ELc78ELc78ELb0ELb0ELb0EfKffEEviiiT16_PT17_ilS6_ilS4_S6_ilPT18_ili26rocblas_geam_ex_operation_
                                        ; -- End function
	.section	.AMDGPU.csdata,"",@progbits
; Kernel info:
; codeLenInByte = 8972
; NumSgprs: 36
; NumVgprs: 227
; NumAgprs: 0
; TotalNumVgprs: 227
; ScratchSize: 0
; MemoryBound: 0
; FloatMode: 240
; IeeeMode: 1
; LDSByteSize: 6144 bytes/workgroup (compile time only)
; SGPRBlocks: 4
; VGPRBlocks: 28
; NumSGPRsForWavesPerEU: 36
; NumVGPRsForWavesPerEU: 227
; AccumOffset: 228
; Occupancy: 2
; WaveLimiterHint : 0
; COMPUTE_PGM_RSRC2:SCRATCH_EN: 0
; COMPUTE_PGM_RSRC2:USER_SGPR: 2
; COMPUTE_PGM_RSRC2:TRAP_HANDLER: 0
; COMPUTE_PGM_RSRC2:TGID_X_EN: 1
; COMPUTE_PGM_RSRC2:TGID_Y_EN: 0
; COMPUTE_PGM_RSRC2:TGID_Z_EN: 1
; COMPUTE_PGM_RSRC2:TIDIG_COMP_CNT: 1
; COMPUTE_PGM_RSRC3_GFX90A:ACCUM_OFFSET: 56
; COMPUTE_PGM_RSRC3_GFX90A:TG_SPLIT: 0
	.section	.text._ZN12_GLOBAL__N_120geam_min_plus_kernelIf15HIP_vector_typeIfLj2EES2_Li8ELi32ELi64ELi128ELi4ELi64ELi4ELi4ELi64ELc78ELc78ELb0ELb1ELb0EPKfS3_fEEviiiT16_PT17_ilS7_ilS5_S7_ilPT18_ili26rocblas_geam_ex_operation_,"axG",@progbits,_ZN12_GLOBAL__N_120geam_min_plus_kernelIf15HIP_vector_typeIfLj2EES2_Li8ELi32ELi64ELi128ELi4ELi64ELi4ELi4ELi64ELc78ELc78ELb0ELb1ELb0EPKfS3_fEEviiiT16_PT17_ilS7_ilS5_S7_ilPT18_ili26rocblas_geam_ex_operation_,comdat
	.globl	_ZN12_GLOBAL__N_120geam_min_plus_kernelIf15HIP_vector_typeIfLj2EES2_Li8ELi32ELi64ELi128ELi4ELi64ELi4ELi4ELi64ELc78ELc78ELb0ELb1ELb0EPKfS3_fEEviiiT16_PT17_ilS7_ilS5_S7_ilPT18_ili26rocblas_geam_ex_operation_ ; -- Begin function _ZN12_GLOBAL__N_120geam_min_plus_kernelIf15HIP_vector_typeIfLj2EES2_Li8ELi32ELi64ELi128ELi4ELi64ELi4ELi4ELi64ELc78ELc78ELb0ELb1ELb0EPKfS3_fEEviiiT16_PT17_ilS7_ilS5_S7_ilPT18_ili26rocblas_geam_ex_operation_
	.p2align	8
	.type	_ZN12_GLOBAL__N_120geam_min_plus_kernelIf15HIP_vector_typeIfLj2EES2_Li8ELi32ELi64ELi128ELi4ELi64ELi4ELi4ELi64ELc78ELc78ELb0ELb1ELb0EPKfS3_fEEviiiT16_PT17_ilS7_ilS5_S7_ilPT18_ili26rocblas_geam_ex_operation_,@function
_ZN12_GLOBAL__N_120geam_min_plus_kernelIf15HIP_vector_typeIfLj2EES2_Li8ELi32ELi64ELi128ELi4ELi64ELi4ELi4ELi64ELc78ELc78ELb0ELb1ELb0EPKfS3_fEEviiiT16_PT17_ilS7_ilS5_S7_ilPT18_ili26rocblas_geam_ex_operation_: ; @_ZN12_GLOBAL__N_120geam_min_plus_kernelIf15HIP_vector_typeIfLj2EES2_Li8ELi32ELi64ELi128ELi4ELi64ELi4ELi4ELi64ELc78ELc78ELb0ELb1ELb0EPKfS3_fEEviiiT16_PT17_ilS7_ilS5_S7_ilPT18_ili26rocblas_geam_ex_operation_
; %bb.0:
	s_load_dwordx4 s[12:15], s[0:1], 0x10
	s_load_dwordx4 s[4:7], s[0:1], 0x28
	s_mov_b32 s16, s3
	s_mov_b32 s17, 0
	s_lshl_b64 s[18:19], s[16:17], 2
	s_waitcnt lgkmcnt(0)
	s_add_u32 s12, s12, s18
	s_load_dwordx4 s[8:11], s[0:1], 0x40
	s_addc_u32 s13, s13, s19
	s_load_dword s17, s[12:13], 0x0
	s_load_dwordx2 s[20:21], s[0:1], 0x50
	s_mov_b64 s[12:13], 0
	s_waitcnt lgkmcnt(0)
	s_add_u32 s22, s10, s18
	s_addc_u32 s23, s11, s19
	v_cmp_eq_f32_e64 s[18:19], s17, 0
	v_cmp_neq_f32_e64 s[10:11], s17, 0
	s_and_b64 vcc, exec, s[18:19]
	s_mov_b64 s[18:19], 0
	s_cbranch_vccnz .LBB81_2
; %bb.1:
	s_mul_i32 s3, s16, s5
	s_mul_hi_u32 s5, s16, s4
	s_add_i32 s5, s5, s3
	s_mul_i32 s4, s16, s4
	s_lshl_b64 s[4:5], s[4:5], 2
	s_add_u32 s18, s14, s4
	s_addc_u32 s19, s15, s5
.LBB81_2:
	s_load_dword s30, s[22:23], 0x0
	s_andn2_b64 vcc, exec, s[10:11]
	s_cbranch_vccnz .LBB81_4
; %bb.3:
	s_mul_i32 s3, s16, s9
	s_mul_hi_u32 s4, s16, s8
	s_add_i32 s5, s4, s3
	s_mul_i32 s4, s16, s8
	s_lshl_b64 s[4:5], s[4:5], 2
	s_add_u32 s12, s6, s4
	s_addc_u32 s13, s7, s5
.LBB81_4:
	s_load_dwordx4 s[4:7], s[0:1], 0x60
	s_waitcnt lgkmcnt(0)
	v_cmp_eq_f32_e64 s[14:15], s30, 0
	v_cmp_neq_f32_e64 s[8:9], s30, 0
	s_and_b64 vcc, exec, s[14:15]
	s_cbranch_vccnz .LBB81_6
; %bb.5:
	s_mul_i32 s3, s16, s5
	s_mul_hi_u32 s5, s16, s4
	s_add_i32 s5, s5, s3
	s_mul_i32 s4, s16, s4
	s_lshl_b64 s[4:5], s[4:5], 2
	s_add_u32 s24, s20, s4
	s_addc_u32 s25, s21, s5
	s_branch .LBB81_7
.LBB81_6:
	s_mov_b64 s[24:25], 0
.LBB81_7:
	s_load_dwordx4 s[20:23], s[0:1], 0x0
	s_load_dword s26, s[0:1], 0x20
	v_and_b32_e32 v204, 0x3ff, v0
	v_bfe_u32 v205, v0, 10, 10
	v_lshl_add_u32 v2, v205, 3, v204
	s_waitcnt lgkmcnt(0)
	s_add_i32 s3, s20, -1
	s_ashr_i32 s4, s3, 31
	s_lshr_b32 s4, s4, 26
	s_add_i32 s3, s3, s4
	s_ashr_i32 s3, s3, 6
	s_add_i32 s15, s3, 1
	v_cvt_f32_u32_e32 v1, s15
	s_not_b32 s3, s3
	s_ashr_i32 s27, s26, 31
	v_and_b32_e32 v10, 63, v2
	v_rcp_iflag_f32_e32 v0, v1
	v_lshrrev_b32_e32 v206, 6, v2
	v_cmp_gt_i32_e64 s[4:5], s22, v206
	v_mov_b32_e32 v9, 0
	v_mul_f32_e32 v0, 0x4f7ffffe, v0
	v_cvt_u32_f32_e32 v0, v0
	v_mov_b32_e32 v11, 0
	v_readfirstlane_b32 s14, v0
	s_mul_i32 s3, s3, s14
	s_mul_hi_u32 s3, s14, s3
	s_add_i32 s14, s14, s3
	s_mul_hi_u32 s3, s2, s14
	s_mul_i32 s14, s3, s15
	s_sub_i32 s14, s2, s14
	s_add_i32 s23, s3, 1
	s_sub_i32 s28, s14, s15
	s_cmp_ge_u32 s14, s15
	s_cselect_b32 s3, s23, s3
	s_cselect_b32 s14, s28, s14
	s_add_i32 s23, s3, 1
	s_cmp_ge_u32 s14, s15
	s_cselect_b32 s14, s23, s3
	s_mul_i32 s3, s14, s15
	s_sub_i32 s2, s2, s3
	s_lshl_b32 s31, s2, 6
	v_or_b32_e32 v0, s31, v10
	v_cmp_gt_i32_e32 vcc, s20, v0
	s_and_b64 s[2:3], s[4:5], vcc
	v_ashrrev_i32_e32 v1, 31, v0
	s_and_b64 s[4:5], s[10:11], s[2:3]
	s_and_saveexec_b64 s[2:3], s[4:5]
	s_cbranch_execz .LBB81_9
; %bb.8:
	v_mad_i64_i32 v[4:5], s[4:5], s26, v206, 0
	v_lshl_add_u64 v[4:5], v[4:5], 2, s[18:19]
	v_lshl_add_u64 v[4:5], v[0:1], 2, v[4:5]
	flat_load_dword v3, v[4:5]
	s_waitcnt vmcnt(0) lgkmcnt(0)
	v_mul_f32_e32 v11, s17, v3
.LBB81_9:
	s_or_b64 exec, exec, s[2:3]
	v_lshrrev_b32_e32 v12, 2, v2
	s_lshl_b32 s33, s14, 7
	s_load_dword s34, s[0:1], 0x38
	v_add_u32_e32 v4, s33, v12
	v_and_b32_e32 v207, 3, v204
	s_add_i32 s23, s22, -1
	v_cmp_le_i32_e64 s[4:5], s21, v4
	s_xor_b64 s[28:29], s[10:11], -1
	v_cmp_le_i32_e64 s[2:3], s22, v207
	v_min_i32_e32 v2, s23, v207
	s_or_b64 s[14:15], s[4:5], s[28:29]
	v_ashrrev_i32_e32 v3, 31, v2
	s_or_b64 s[4:5], s[2:3], s[14:15]
	v_lshl_add_u64 v[2:3], v[2:3], 2, s[12:13]
	s_xor_b64 s[36:37], s[4:5], -1
	s_and_saveexec_b64 s[4:5], s[36:37]
	s_cbranch_execz .LBB81_11
; %bb.10:
	s_waitcnt lgkmcnt(0)
	v_mad_i64_i32 v[6:7], s[36:37], v4, s34, 0
	v_lshl_add_u64 v[6:7], v[6:7], 2, v[2:3]
	flat_load_dword v5, v[6:7]
	s_waitcnt vmcnt(0) lgkmcnt(0)
	v_mul_f32_e32 v9, s17, v5
.LBB81_11:
	s_or_b64 exec, exec, s[4:5]
	v_add_u32_e32 v5, 64, v4
	v_cmp_le_i32_e64 s[4:5], s21, v5
	s_or_b64 s[4:5], s[4:5], s[28:29]
	s_or_b64 s[2:3], s[2:3], s[4:5]
	s_xor_b64 s[28:29], s[2:3], -1
	v_mov_b32_e32 v6, 0
	v_mov_b32_e32 v13, 0
	s_and_saveexec_b64 s[2:3], s[28:29]
	s_cbranch_execz .LBB81_13
; %bb.12:
	s_waitcnt lgkmcnt(0)
	v_mad_i64_i32 v[14:15], s[28:29], v5, s34, 0
	v_lshl_add_u64 v[2:3], v[14:15], 2, v[2:3]
	flat_load_dword v2, v[2:3]
	s_waitcnt vmcnt(0) lgkmcnt(0)
	v_mul_f32_e32 v13, s17, v2
.LBB81_13:
	s_or_b64 exec, exec, s[2:3]
	v_add_u32_e32 v2, 4, v206
	v_cmp_gt_i32_e64 s[2:3], s22, v2
	s_and_b64 s[2:3], vcc, s[2:3]
	s_and_b64 s[28:29], s[10:11], s[2:3]
	s_and_saveexec_b64 s[2:3], s[28:29]
	s_cbranch_execz .LBB81_15
; %bb.14:
	v_mad_u64_u32 v[6:7], s[28:29], s26, v2, 0
	v_mov_b32_e32 v8, v7
	v_mad_u64_u32 v[2:3], s[28:29], s27, v2, v[8:9]
	v_mov_b32_e32 v7, v2
	v_lshl_add_u64 v[2:3], v[6:7], 2, s[18:19]
	v_lshl_add_u64 v[2:3], v[0:1], 2, v[2:3]
	flat_load_dword v2, v[2:3]
	s_waitcnt vmcnt(0) lgkmcnt(0)
	v_mul_f32_e32 v6, s17, v2
.LBB81_15:
	s_or_b64 exec, exec, s[2:3]
	v_or_b32_e32 v2, 4, v207
	v_cmp_le_i32_e64 s[2:3], s22, v2
	v_min_i32_e32 v2, s23, v2
	v_ashrrev_i32_e32 v3, 31, v2
	s_or_b64 s[28:29], s[2:3], s[14:15]
	v_lshl_add_u64 v[2:3], v[2:3], 2, s[12:13]
	s_xor_b64 s[36:37], s[28:29], -1
	v_mov_b32_e32 v7, 0
	v_mov_b32_e32 v8, 0
	s_and_saveexec_b64 s[28:29], s[36:37]
	s_cbranch_execz .LBB81_17
; %bb.16:
	s_waitcnt lgkmcnt(0)
	v_mad_i64_i32 v[14:15], s[36:37], v4, s34, 0
	v_lshl_add_u64 v[14:15], v[14:15], 2, v[2:3]
	flat_load_dword v8, v[14:15]
	s_waitcnt vmcnt(0) lgkmcnt(0)
	v_mul_f32_e32 v8, s17, v8
.LBB81_17:
	s_or_b64 exec, exec, s[28:29]
	s_or_b64 s[2:3], s[2:3], s[4:5]
	s_xor_b64 s[28:29], s[2:3], -1
	s_and_saveexec_b64 s[2:3], s[28:29]
	s_cbranch_execz .LBB81_19
; %bb.18:
	s_waitcnt lgkmcnt(0)
	v_mad_i64_i32 v[14:15], s[28:29], v5, s34, 0
	v_lshl_add_u64 v[2:3], v[14:15], 2, v[2:3]
	flat_load_dword v2, v[2:3]
	s_waitcnt vmcnt(0) lgkmcnt(0)
	v_mul_f32_e32 v7, s17, v2
.LBB81_19:
	s_or_b64 exec, exec, s[2:3]
	v_lshlrev_b32_e32 v2, 4, v10
	v_lshlrev_b32_e32 v3, 2, v207
	v_lshl_add_u32 v2, v206, 2, v2
	v_lshl_or_b32 v210, v12, 4, v3
	v_lshlrev_b32_e32 v209, 4, v205
	ds_write_b32 v2, v11 offset:4096
	ds_write2st64_b32 v210, v9, v13 offset1:4
	s_waitcnt lgkmcnt(0)
	s_barrier
	ds_read_b128 v[10:13], v209
	v_lshlrev_b32_e32 v208, 4, v204
	ds_read_b128 v[14:17], v208 offset:4992
	ds_read_b128 v[18:21], v209 offset:512
	;; [unrolled: 1-line block ×5, first 2 shown]
	s_waitcnt lgkmcnt(5)
	v_max_f32_e32 v3, v11, v11
	v_max_f32_e32 v56, v10, v10
	;; [unrolled: 1-line block ×4, first 2 shown]
	ds_read_b128 v[10:13], v208 offset:4352
	s_waitcnt lgkmcnt(5)
	v_max_f32_e32 v9, v15, v15
	v_max_f32_e32 v60, v14, v14
	s_waitcnt lgkmcnt(4)
	v_max_f32_e32 v58, v19, v19
	v_max_f32_e32 v59, v18, v18
	;; [unrolled: 1-line block ×4, first 2 shown]
	ds_read_b128 v[14:17], v208 offset:4480
	v_max_f32_e32 v124, v21, v21
	v_max_f32_e32 v125, v20, v20
	s_waitcnt lgkmcnt(2)
	v_max_f32_e32 v126, v33, v33
	v_max_f32_e32 v127, v32, v32
	s_waitcnt lgkmcnt(1)
	v_max_f32_e32 v32, v10, v10
	v_max_f32_e32 v33, v11, v11
	;; [unrolled: 1-line block ×3, first 2 shown]
	ds_read_b128 v[18:21], v208 offset:4608
	v_max_f32_e32 v73, v13, v13
	ds_read_b128 v[10:13], v208 offset:4736
	ds_read_b128 v[34:37], v208 offset:4096
	;; [unrolled: 1-line block ×3, first 2 shown]
	v_max_f32_e32 v61, v31, v31
	v_max_f32_e32 v62, v30, v30
	;; [unrolled: 1-line block ×4, first 2 shown]
	s_waitcnt lgkmcnt(2)
	v_max_f32_e32 v54, v10, v10
	v_max_f32_e32 v55, v11, v11
	s_waitcnt lgkmcnt(1)
	v_max_f32_e32 v30, v34, v34
	v_max_f32_e32 v31, v35, v35
	;; [unrolled: 3-line block ×3, first 2 shown]
	v_max_f32_e32 v42, v14, v14
	v_max_f32_e32 v43, v15, v15
	;; [unrolled: 1-line block ×6, first 2 shown]
	v_min_f32_e32 v50, v54, v56
	v_min_f32_e32 v51, v55, v3
	;; [unrolled: 1-line block ×10, first 2 shown]
	v_max_f32_e32 v68, v36, v36
	v_max_f32_e32 v69, v37, v37
	v_max_f32_e32 v128, v29, v29
	v_max_f32_e32 v129, v28, v28
	v_max_f32_e32 v70, v40, v40
	v_max_f32_e32 v85, v17, v17
	v_max_f32_e32 v110, v20, v20
	v_max_f32_e32 v111, v21, v21
	v_max_f32_e32 v130, v12, v12
	v_max_f32_e32 v131, v13, v13
	v_max_f32_e32 v132, v24, v24
	v_min_f32_e32 v10, v30, v56
	v_min_f32_e32 v11, v31, v3
	;; [unrolled: 1-line block ×35, first 2 shown]
	v_pk_add_f32 v[54:55], v[54:55], 0 op_sel_hi:[1,0]
	v_min_f32_e32 v61, v122, v112
	v_min_f32_e32 v60, v123, v113
	v_pk_add_f32 v[96:97], v[54:55], v[60:61]
	v_pk_add_f32 v[54:55], v[56:57], 0 op_sel_hi:[1,0]
	v_min_f32_e32 v57, v122, v124
	v_min_f32_e32 v56, v123, v125
	v_pk_add_f32 v[80:81], v[54:55], v[56:57]
	v_pk_add_f32 v[54:55], v[58:59], 0 op_sel_hi:[1,0]
	v_min_f32_e32 v57, v122, v126
	v_min_f32_e32 v56, v123, v127
	v_max_f32_e32 v84, v16, v16
	v_min_f32_e32 v14, v30, v62
	v_min_f32_e32 v16, v30, v64
	;; [unrolled: 1-line block ×8, first 2 shown]
	v_pk_add_f32 v[64:65], v[54:55], v[56:57]
	v_pk_add_f32 v[10:11], v[10:11], 0 op_sel_hi:[1,0]
	v_min_f32_e32 v54, v68, v113
	v_min_f32_e32 v55, v69, v112
	v_pk_add_f32 v[120:121], v[10:11], v[54:55]
	v_pk_add_f32 v[10:11], v[12:13], 0 op_sel_hi:[1,0]
	v_min_f32_e32 v12, v68, v125
	v_min_f32_e32 v13, v69, v124
	;; [unrolled: 4-line block ×3, first 2 shown]
	v_max_f32_e32 v71, v41, v41
	v_min_f32_e32 v19, v27, v3
	v_pk_add_f32 v[78:79], v[10:11], v[12:13]
	v_min_f32_e32 v11, v69, v128
	v_min_f32_e32 v10, v68, v129
	v_pk_add_f32 v[12:13], v[16:17], 0 op_sel_hi:[1,0]
	v_max_f32_e32 v133, v25, v25
	v_min_f32_e32 v25, v27, v63
	v_min_f32_e32 v27, v33, v3
	;; [unrolled: 1-line block ×9, first 2 shown]
	v_pk_add_f32 v[62:63], v[12:13], v[10:11]
	v_pk_add_f32 v[10:11], v[18:19], 0 op_sel_hi:[1,0]
	v_min_f32_e32 v12, v70, v113
	v_min_f32_e32 v13, v71, v112
	v_pk_add_f32 v[118:119], v[10:11], v[12:13]
	v_pk_add_f32 v[10:11], v[20:21], 0 op_sel_hi:[1,0]
	v_min_f32_e32 v12, v70, v125
	v_min_f32_e32 v13, v71, v124
	v_pk_add_f32 v[92:93], v[10:11], v[12:13]
	v_pk_add_f32 v[10:11], v[22:23], 0 op_sel_hi:[1,0]
	v_min_f32_e32 v12, v70, v127
	v_min_f32_e32 v13, v71, v126
	v_pk_add_f32 v[76:77], v[10:11], v[12:13]
	v_min_f32_e32 v11, v71, v128
	v_min_f32_e32 v10, v70, v129
	v_pk_add_f32 v[12:13], v[24:25], 0 op_sel_hi:[1,0]
	v_min_f32_e32 v99, v74, v3
	v_pk_add_f32 v[60:61], v[12:13], v[10:11]
	v_pk_add_f32 v[10:11], v[26:27], 0 op_sel_hi:[1,0]
	v_min_f32_e32 v12, v72, v113
	v_min_f32_e32 v13, v73, v112
	v_pk_add_f32 v[116:117], v[10:11], v[12:13]
	v_pk_add_f32 v[10:11], v[28:29], 0 op_sel_hi:[1,0]
	v_min_f32_e32 v12, v72, v125
	;; [unrolled: 4-line block ×3, first 2 shown]
	v_min_f32_e32 v13, v73, v126
	v_pk_add_f32 v[74:75], v[10:11], v[12:13]
	v_min_f32_e32 v11, v73, v128
	v_min_f32_e32 v10, v72, v129
	v_pk_add_f32 v[12:13], v[32:33], 0 op_sel_hi:[1,0]
	s_cmp_lt_i32 s22, 9
	v_pk_add_f32 v[58:59], v[12:13], v[10:11]
	v_pk_add_f32 v[10:11], v[34:35], 0 op_sel_hi:[1,0]
	v_min_f32_e32 v12, v84, v113
	v_min_f32_e32 v13, v85, v112
	v_pk_add_f32 v[114:115], v[10:11], v[12:13]
	v_pk_add_f32 v[10:11], v[36:37], 0 op_sel_hi:[1,0]
	v_min_f32_e32 v12, v84, v125
	v_min_f32_e32 v13, v85, v124
	;; [unrolled: 4-line block ×3, first 2 shown]
	v_pk_add_f32 v[72:73], v[10:11], v[12:13]
	v_min_f32_e32 v11, v85, v128
	v_min_f32_e32 v10, v84, v129
	v_pk_add_f32 v[12:13], v[40:41], 0 op_sel_hi:[1,0]
	ds_write2st64_b32 v210, v8, v7 offset0:8 offset1:12
	ds_write_b32 v2, v6 offset:5120
	v_pk_add_f32 v[56:57], v[12:13], v[10:11]
	v_pk_add_f32 v[10:11], v[42:43], 0 op_sel_hi:[1,0]
	v_min_f32_e32 v12, v110, v113
	v_min_f32_e32 v13, v111, v112
	v_pk_add_f32 v[108:109], v[10:11], v[12:13]
	v_pk_add_f32 v[10:11], v[44:45], 0 op_sel_hi:[1,0]
	v_min_f32_e32 v12, v110, v125
	v_min_f32_e32 v13, v111, v124
	v_pk_add_f32 v[86:87], v[10:11], v[12:13]
	v_pk_add_f32 v[10:11], v[46:47], 0 op_sel_hi:[1,0]
	v_min_f32_e32 v12, v110, v127
	v_min_f32_e32 v13, v111, v126
	v_pk_add_f32 v[70:71], v[10:11], v[12:13]
	v_min_f32_e32 v11, v111, v128
	v_min_f32_e32 v10, v110, v129
	v_pk_add_f32 v[12:13], v[48:49], 0 op_sel_hi:[1,0]
	s_waitcnt lgkmcnt(0)
	v_pk_add_f32 v[54:55], v[12:13], v[10:11]
	v_pk_add_f32 v[10:11], v[50:51], 0 op_sel_hi:[1,0]
	v_min_f32_e32 v12, v130, v113
	v_min_f32_e32 v13, v131, v112
	v_pk_add_f32 v[110:111], v[10:11], v[12:13]
	v_pk_add_f32 v[10:11], v[52:53], 0 op_sel_hi:[1,0]
	v_min_f32_e32 v12, v130, v125
	v_min_f32_e32 v13, v131, v124
	;; [unrolled: 4-line block ×3, first 2 shown]
	v_pk_add_f32 v[68:69], v[10:11], v[12:13]
	v_min_f32_e32 v11, v131, v128
	v_min_f32_e32 v10, v130, v129
	v_pk_add_f32 v[12:13], v[82:83], 0 op_sel_hi:[1,0]
	s_barrier
	v_pk_add_f32 v[52:53], v[12:13], v[10:11]
	v_min_f32_e32 v10, v132, v113
	v_min_f32_e32 v11, v133, v112
	v_pk_add_f32 v[12:13], v[98:99], 0 op_sel_hi:[1,0]
	s_nop 0
	v_pk_add_f32 v[112:113], v[12:13], v[10:11]
	v_min_f32_e32 v10, v132, v125
	v_min_f32_e32 v11, v133, v124
	v_pk_add_f32 v[12:13], v[100:101], 0 op_sel_hi:[1,0]
	s_nop 0
	;; [unrolled: 5-line block ×5, first 2 shown]
	v_pk_add_f32 v[48:49], v[12:13], v[10:11]
	s_cbranch_scc1 .LBB81_34
; %bb.20:
	v_lshl_add_u64 v[98:99], v[0:1], 2, s[18:19]
	v_mov_b32_e32 v0, 0x1400
	v_lshl_add_u32 v215, v204, 4, v0
	v_mov_b32_e32 v0, 0x800
	v_lshl_add_u32 v216, v205, 4, v0
	v_add_u32_e32 v0, 12, v206
	v_mad_i64_i32 v[0:1], s[2:3], v0, s26, 0
	v_lshlrev_b64 v[104:105], 2, v[0:1]
	v_add_u32_e32 v0, 8, v206
	v_mad_i64_i32 v[0:1], s[2:3], v0, s26, 0
	v_or_b32_e32 v211, 0x1000, v2
	v_add_u32_e32 v212, 0x1000, v208
	v_add_u32_e32 v213, 0x1400, v2
	;; [unrolled: 1-line block ×3, first 2 shown]
	s_add_i32 s28, s22, -8
	v_mad_i64_i32 v[100:101], s[2:3], v4, s34, 0
	v_mad_i64_i32 v[102:103], s[2:3], v5, s34, 0
	s_lshl_b64 s[18:19], s[26:27], 5
	v_lshlrev_b64 v[106:107], 2, v[0:1]
	s_mov_b32 s29, 0
	s_branch .LBB81_22
.LBB81_21:                              ;   in Loop: Header=BB81_22 Depth=1
	s_or_b64 exec, exec, s[2:3]
	v_pk_add_f32 v[40:41], v[96:97], v[40:41]
	v_pk_add_f32 v[32:33], v[64:65], v[32:33]
	;; [unrolled: 1-line block ×19, first 2 shown]
	ds_read_b128 v[0:3], v209
	ds_read_b128 v[8:11], v209 offset:512
	v_pk_add_f32 v[20:21], v[120:121], v[6:7]
	ds_read_b128 v[4:7], v212 offset:896
	v_pk_add_f32 v[44:45], v[94:95], v[44:45]
	v_pk_add_f32 v[28:29], v[78:79], v[28:29]
	;; [unrolled: 1-line block ×20, first 2 shown]
	ds_read_b128 v[12:15], v212 offset:768
	s_waitcnt lgkmcnt(1)
	v_max_f32_e32 v93, v5, v5
	v_max_f32_e32 v95, v4, v4
	;; [unrolled: 1-line block ×4, first 2 shown]
	v_pk_add_f32 v[76:77], v[36:37], v[38:39]
	v_pk_add_f32 v[72:73], v[28:29], v[30:31]
	;; [unrolled: 1-line block ×6, first 2 shown]
	ds_read_b128 v[80:83], v209 offset:1536
	ds_read_b128 v[84:87], v209 offset:1024
	v_min_f32_e32 v5, v93, v96
	v_min_f32_e32 v4, v95, v97
	v_pk_add_f32 v[60:61], v[62:63], v[168:169]
	v_pk_add_f32 v[62:63], v[78:79], v[166:167]
	;; [unrolled: 1-line block ×3, first 2 shown]
	ds_read_b128 v[76:79], v212
	v_pk_add_f32 v[90:91], v[90:91], v[132:133]
	v_pk_add_f32 v[88:89], v[88:89], v[138:139]
	;; [unrolled: 1-line block ×3, first 2 shown]
	s_waitcnt lgkmcnt(1)
	v_max_f32_e32 v114, v85, v85
	v_max_f32_e32 v115, v84, v84
	v_pk_add_f32 v[116:117], v[54:55], v[148:149]
	v_pk_add_f32 v[54:55], v[90:91], v[172:173]
	;; [unrolled: 1-line block ×3, first 2 shown]
	ds_read_b128 v[88:91], v212 offset:128
	v_max_f32_e32 v92, v1, v1
	v_max_f32_e32 v94, v0, v0
	v_min_f32_e32 v9, v93, v114
	v_min_f32_e32 v8, v95, v115
	s_waitcnt lgkmcnt(1)
	v_max_f32_e32 v84, v76, v76
	v_max_f32_e32 v85, v77, v77
	v_pk_add_f32 v[8:9], v[74:75], v[8:9]
	v_min_f32_e32 v74, v84, v94
	v_min_f32_e32 v75, v85, v92
	v_pk_add_f32 v[74:75], v[68:69], v[74:75]
	v_min_f32_e32 v68, v84, v97
	v_min_f32_e32 v69, v85, v96
	;; [unrolled: 3-line block ×3, first 2 shown]
	v_max_f32_e32 v81, v81, v81
	v_max_f32_e32 v80, v80, v80
	v_pk_add_f32 v[66:67], v[24:25], v[26:27]
	v_pk_add_f32 v[72:73], v[72:73], v[68:69]
	v_min_f32_e32 v69, v85, v81
	v_min_f32_e32 v68, v84, v80
	v_pk_add_f32 v[84:85], v[66:67], v[68:69]
	s_waitcnt lgkmcnt(0)
	v_max_f32_e32 v68, v88, v88
	v_max_f32_e32 v69, v89, v89
	v_min_f32_e32 v66, v68, v94
	v_min_f32_e32 v67, v69, v92
	v_pk_add_f32 v[60:61], v[60:61], v[66:67]
	v_min_f32_e32 v66, v68, v97
	v_min_f32_e32 v67, v69, v96
	v_pk_add_f32 v[108:109], v[108:109], v[146:147]
	v_pk_add_f32 v[88:89], v[62:63], v[66:67]
	v_min_f32_e32 v62, v68, v115
	v_min_f32_e32 v63, v69, v114
	v_pk_add_f32 v[36:37], v[108:109], v[186:187]
	v_pk_add_f32 v[108:109], v[64:65], v[62:63]
	ds_read_b128 v[64:67], v212 offset:256
	v_min_f32_e32 v63, v69, v81
	v_min_f32_e32 v62, v68, v80
	ds_read_b128 v[68:71], v212 offset:384
	v_pk_add_f32 v[58:59], v[58:59], v[62:63]
	s_waitcnt lgkmcnt(1)
	v_max_f32_e32 v64, v64, v64
	v_max_f32_e32 v65, v65, v65
	v_min_f32_e32 v62, v64, v94
	v_min_f32_e32 v63, v65, v92
	v_pk_add_f32 v[52:53], v[52:53], v[62:63]
	v_min_f32_e32 v62, v64, v97
	v_min_f32_e32 v63, v65, v96
	v_pk_add_f32 v[54:55], v[54:55], v[62:63]
	;; [unrolled: 3-line block ×3, first 2 shown]
	v_pk_add_f32 v[56:57], v[56:57], v[62:63]
	v_min_f32_e32 v63, v65, v81
	v_min_f32_e32 v62, v64, v80
	v_pk_add_f32 v[28:29], v[110:111], v[196:197]
	v_pk_add_f32 v[110:111], v[50:51], v[62:63]
	s_waitcnt lgkmcnt(0)
	v_max_f32_e32 v62, v68, v68
	v_max_f32_e32 v63, v69, v69
	v_min_f32_e32 v50, v62, v94
	v_min_f32_e32 v51, v63, v92
	v_pk_add_f32 v[112:113], v[112:113], v[158:159]
	v_pk_add_f32 v[68:69], v[44:45], v[50:51]
	v_min_f32_e32 v44, v62, v97
	v_min_f32_e32 v45, v63, v96
	v_pk_add_f32 v[24:25], v[112:113], v[202:203]
	v_pk_add_f32 v[112:113], v[46:47], v[44:45]
	;; [unrolled: 4-line block ×3, first 2 shown]
	ds_read_b128 v[44:47], v212 offset:512
	v_min_f32_e32 v49, v63, v81
	v_min_f32_e32 v48, v62, v80
	v_pk_add_f32 v[42:43], v[42:43], v[48:49]
	ds_read_b128 v[48:51], v212 offset:640
	s_waitcnt lgkmcnt(1)
	v_max_f32_e32 v62, v44, v44
	v_max_f32_e32 v63, v45, v45
	v_min_f32_e32 v44, v62, v94
	v_min_f32_e32 v45, v63, v92
	v_pk_add_f32 v[36:37], v[36:37], v[44:45]
	v_min_f32_e32 v44, v62, v97
	v_min_f32_e32 v45, v63, v96
	v_pk_add_f32 v[38:39], v[38:39], v[44:45]
	;; [unrolled: 3-line block ×3, first 2 shown]
	v_pk_add_f32 v[40:41], v[40:41], v[44:45]
	v_min_f32_e32 v45, v63, v81
	v_min_f32_e32 v44, v62, v80
	s_waitcnt lgkmcnt(0)
	v_max_f32_e32 v48, v48, v48
	v_max_f32_e32 v49, v49, v49
	v_pk_add_f32 v[34:35], v[34:35], v[44:45]
	v_min_f32_e32 v44, v48, v94
	v_min_f32_e32 v45, v49, v92
	v_pk_add_f32 v[28:29], v[28:29], v[44:45]
	v_min_f32_e32 v44, v48, v97
	v_min_f32_e32 v45, v49, v96
	;; [unrolled: 3-line block ×3, first 2 shown]
	v_pk_add_f32 v[26:27], v[118:119], v[198:199]
	v_pk_add_f32 v[32:33], v[32:33], v[44:45]
	v_min_f32_e32 v45, v49, v81
	v_min_f32_e32 v44, v48, v80
	v_pk_add_f32 v[26:27], v[26:27], v[44:45]
	v_max_f32_e32 v44, v12, v12
	v_max_f32_e32 v45, v13, v13
	v_min_f32_e32 v12, v44, v94
	v_min_f32_e32 v13, v45, v92
	v_pk_add_f32 v[12:13], v[24:25], v[12:13]
	v_min_f32_e32 v24, v44, v97
	v_min_f32_e32 v25, v45, v96
	v_pk_add_f32 v[22:23], v[22:23], v[24:25]
	v_min_f32_e32 v24, v44, v115
	v_min_f32_e32 v25, v45, v114
	v_pk_add_f32 v[18:19], v[18:19], v[24:25]
	v_min_f32_e32 v25, v45, v81
	v_min_f32_e32 v24, v44, v80
	v_pk_add_f32 v[20:21], v[20:21], v[24:25]
	v_min_f32_e32 v25, v93, v81
	v_min_f32_e32 v24, v95, v80
	;; [unrolled: 1-line block ×4, first 2 shown]
	v_pk_add_f32 v[16:17], v[16:17], v[24:25]
	v_max_f32_e32 v24, v3, v3
	v_max_f32_e32 v7, v7, v7
	;; [unrolled: 1-line block ×4, first 2 shown]
	v_pk_add_f32 v[0:1], v[124:125], v[0:1]
	v_min_f32_e32 v3, v7, v24
	v_min_f32_e32 v2, v6, v25
	v_pk_add_f32 v[96:97], v[0:1], v[2:3]
	v_max_f32_e32 v2, v11, v11
	v_max_f32_e32 v3, v10, v10
	v_min_f32_e32 v1, v7, v2
	v_min_f32_e32 v0, v6, v3
	v_pk_add_f32 v[80:81], v[4:5], v[0:1]
	v_max_f32_e32 v4, v87, v87
	v_max_f32_e32 v5, v86, v86
	;; [unrolled: 5-line block ×3, first 2 shown]
	v_min_f32_e32 v0, v8, v25
	v_min_f32_e32 v1, v9, v24
	v_pk_add_f32 v[120:121], v[74:75], v[0:1]
	v_min_f32_e32 v0, v8, v3
	v_min_f32_e32 v1, v9, v2
	v_pk_add_f32 v[94:95], v[76:77], v[0:1]
	v_min_f32_e32 v0, v8, v5
	v_min_f32_e32 v1, v9, v4
	v_max_f32_e32 v10, v83, v83
	v_pk_add_f32 v[78:79], v[72:73], v[0:1]
	v_min_f32_e32 v1, v9, v10
	v_max_f32_e32 v9, v82, v82
	v_min_f32_e32 v0, v8, v9
	v_max_f32_e32 v8, v90, v90
	v_max_f32_e32 v11, v91, v91
	v_pk_add_f32 v[62:63], v[84:85], v[0:1]
	v_min_f32_e32 v0, v8, v25
	v_min_f32_e32 v1, v11, v24
	v_pk_add_f32 v[118:119], v[60:61], v[0:1]
	v_min_f32_e32 v0, v8, v3
	v_min_f32_e32 v1, v11, v2
	v_pk_add_f32 v[92:93], v[88:89], v[0:1]
	v_min_f32_e32 v0, v8, v5
	v_min_f32_e32 v1, v11, v4
	v_pk_add_f32 v[76:77], v[108:109], v[0:1]
	v_min_f32_e32 v1, v11, v10
	v_min_f32_e32 v0, v8, v9
	v_max_f32_e32 v8, v66, v66
	v_max_f32_e32 v11, v67, v67
	v_pk_add_f32 v[60:61], v[58:59], v[0:1]
	v_min_f32_e32 v0, v8, v25
	v_min_f32_e32 v1, v11, v24
	v_pk_add_f32 v[116:117], v[52:53], v[0:1]
	v_min_f32_e32 v0, v8, v3
	v_min_f32_e32 v1, v11, v2
	v_pk_add_f32 v[90:91], v[54:55], v[0:1]
	v_min_f32_e32 v0, v8, v5
	v_min_f32_e32 v1, v11, v4
	v_pk_add_f32 v[74:75], v[56:57], v[0:1]
	v_min_f32_e32 v1, v11, v10
	;; [unrolled: 14-line block ×6, first 2 shown]
	v_min_f32_e32 v0, v8, v9
	v_pk_add_f32 v[50:51], v[20:21], v[0:1]
	v_min_f32_e32 v1, v7, v10
	v_min_f32_e32 v0, v6, v9
	s_add_i32 s29, s29, 8
	v_pk_add_f32 v[48:49], v[16:17], v[0:1]
	s_cmp_ge_i32 s29, s28
	v_lshl_add_u64 v[98:99], v[98:99], 0, s[18:19]
	ds_write_b32 v213, v217
	ds_write2st64_b32 v214, v219, v218 offset1:4
	s_waitcnt lgkmcnt(0)
	s_barrier
	s_cbranch_scc1 .LBB81_34
.LBB81_22:                              ; =>This Inner Loop Header: Depth=1
	v_add_u32_e32 v122, s29, v206
	v_add_u32_e32 v0, 8, v122
	v_cmp_gt_i32_e64 s[2:3], s22, v0
	s_and_b64 s[2:3], vcc, s[2:3]
	s_and_b64 s[26:27], s[10:11], s[2:3]
	v_mov_b32_e32 v124, 0
	v_mov_b32_e32 v125, 0
	s_and_saveexec_b64 s[2:3], s[26:27]
	s_cbranch_execz .LBB81_24
; %bb.23:                               ;   in Loop: Header=BB81_22 Depth=1
	v_lshl_add_u64 v[0:1], v[98:99], 0, v[106:107]
	flat_load_dword v0, v[0:1]
	s_waitcnt vmcnt(0) lgkmcnt(0)
	v_mul_f32_e32 v125, s17, v0
.LBB81_24:                              ;   in Loop: Header=BB81_22 Depth=1
	s_or_b64 exec, exec, s[2:3]
	v_add_u32_e32 v123, s29, v207
	v_add_u32_e32 v0, 8, v123
	v_cmp_le_i32_e64 s[2:3], s22, v0
	v_min_i32_e32 v0, s23, v0
	v_ashrrev_i32_e32 v1, 31, v0
	s_or_b64 s[26:27], s[14:15], s[2:3]
	v_lshl_add_u64 v[0:1], v[0:1], 2, s[12:13]
	s_xor_b64 s[34:35], s[26:27], -1
	s_and_saveexec_b64 s[26:27], s[34:35]
	s_cbranch_execz .LBB81_26
; %bb.25:                               ;   in Loop: Header=BB81_22 Depth=1
	v_lshl_add_u64 v[2:3], v[100:101], 2, v[0:1]
	flat_load_dword v2, v[2:3]
	s_waitcnt vmcnt(0) lgkmcnt(0)
	v_mul_f32_e32 v124, s17, v2
.LBB81_26:                              ;   in Loop: Header=BB81_22 Depth=1
	s_or_b64 exec, exec, s[26:27]
	s_or_b64 s[2:3], s[4:5], s[2:3]
	s_xor_b64 s[26:27], s[2:3], -1
	v_mov_b32_e32 v217, 0
	v_mov_b32_e32 v126, 0
	s_and_saveexec_b64 s[2:3], s[26:27]
	s_cbranch_execz .LBB81_28
; %bb.27:                               ;   in Loop: Header=BB81_22 Depth=1
	v_lshl_add_u64 v[0:1], v[102:103], 2, v[0:1]
	flat_load_dword v0, v[0:1]
	s_waitcnt vmcnt(0) lgkmcnt(0)
	v_mul_f32_e32 v126, s17, v0
.LBB81_28:                              ;   in Loop: Header=BB81_22 Depth=1
	s_or_b64 exec, exec, s[2:3]
	ds_read_b128 v[40:43], v216
	ds_read_b128 v[36:39], v216 offset:512
	ds_read_b128 v[24:27], v216 offset:1536
	;; [unrolled: 1-line block ×3, first 2 shown]
	ds_read_b128 v[28:31], v215
	ds_read_b128 v[20:23], v215 offset:128
	ds_read_b128 v[16:19], v215 offset:256
	;; [unrolled: 1-line block ×7, first 2 shown]
	v_add_u32_e32 v122, 12, v122
	v_cmp_gt_i32_e64 s[2:3], s22, v122
	s_and_b64 s[2:3], vcc, s[2:3]
	s_and_b64 s[26:27], s[10:11], s[2:3]
	ds_write_b32 v211, v125
	ds_write2st64_b32 v210, v124, v126 offset1:4
	s_waitcnt lgkmcnt(0)
	s_barrier
	s_and_saveexec_b64 s[2:3], s[26:27]
	s_cbranch_execz .LBB81_30
; %bb.29:                               ;   in Loop: Header=BB81_22 Depth=1
	v_lshl_add_u64 v[124:125], v[98:99], 0, v[104:105]
	flat_load_dword v122, v[124:125]
	s_waitcnt vmcnt(0) lgkmcnt(0)
	v_mul_f32_e32 v217, s17, v122
.LBB81_30:                              ;   in Loop: Header=BB81_22 Depth=1
	s_or_b64 exec, exec, s[2:3]
	v_add_u32_e32 v122, 12, v123
	v_cmp_le_i32_e64 s[2:3], s22, v122
	v_min_i32_e32 v122, s23, v122
	v_ashrrev_i32_e32 v123, 31, v122
	s_or_b64 s[26:27], s[14:15], s[2:3]
	v_lshl_add_u64 v[122:123], v[122:123], 2, s[12:13]
	s_xor_b64 s[34:35], s[26:27], -1
	v_mov_b32_e32 v218, 0
	v_mov_b32_e32 v219, 0
	s_and_saveexec_b64 s[26:27], s[34:35]
	s_cbranch_execz .LBB81_32
; %bb.31:                               ;   in Loop: Header=BB81_22 Depth=1
	v_lshl_add_u64 v[124:125], v[100:101], 2, v[122:123]
	flat_load_dword v124, v[124:125]
	s_waitcnt vmcnt(0) lgkmcnt(0)
	v_mul_f32_e32 v219, s17, v124
.LBB81_32:                              ;   in Loop: Header=BB81_22 Depth=1
	s_or_b64 exec, exec, s[26:27]
	v_max_f32_e32 v156, v41, v41
	v_max_f32_e32 v162, v45, v45
	v_max_f32_e32 v157, v40, v40
	v_max_f32_e32 v164, v44, v44
	v_max_f32_e32 v160, v37, v37
	v_max_f32_e32 v161, v36, v36
	v_max_f32_e32 v163, v33, v33
	v_max_f32_e32 v165, v32, v32
	v_max_f32_e32 v126, v28, v28
	v_max_f32_e32 v127, v29, v29
	v_max_f32_e32 v166, v25, v25
	v_max_f32_e32 v167, v24, v24
	v_max_f32_e32 v130, v20, v20
	v_max_f32_e32 v131, v21, v21
	v_max_f32_e32 v136, v16, v16
	v_max_f32_e32 v137, v17, v17
	v_max_f32_e32 v142, v12, v12
	v_max_f32_e32 v143, v13, v13
	v_max_f32_e32 v148, v8, v8
	v_max_f32_e32 v149, v9, v9
	v_max_f32_e32 v154, v4, v4
	v_max_f32_e32 v155, v5, v5
	v_max_f32_e32 v168, v0, v0
	v_max_f32_e32 v169, v1, v1
	v_max_f32_e32 v192, v43, v43
	v_max_f32_e32 v200, v42, v42
	v_max_f32_e32 v201, v39, v39
	v_max_f32_e32 v221, v38, v38
	v_max_f32_e32 v222, v35, v35
	v_max_f32_e32 v223, v34, v34
	v_max_f32_e32 v224, v27, v27
	v_max_f32_e32 v225, v26, v26
	v_max_f32_e32 v6, v6, v6
	v_max_f32_e32 v7, v7, v7
	v_min_f32_e32 v41, v162, v156
	v_min_f32_e32 v40, v164, v157
	v_min_f32_e32 v37, v162, v160
	v_min_f32_e32 v36, v164, v161
	v_min_f32_e32 v33, v162, v163
	v_min_f32_e32 v124, v126, v157
	v_min_f32_e32 v125, v127, v156
	v_min_f32_e32 v44, v126, v161
	v_min_f32_e32 v45, v127, v160
	v_min_f32_e32 v28, v126, v165
	v_min_f32_e32 v29, v127, v163
	v_min_f32_e32 v25, v127, v166
	v_min_f32_e32 v24, v126, v167
	v_min_f32_e32 v128, v130, v157
	v_min_f32_e32 v129, v131, v156
	v_min_f32_e32 v126, v130, v161
	v_min_f32_e32 v127, v131, v160
	v_min_f32_e32 v20, v130, v165
	v_min_f32_e32 v21, v131, v163
	v_min_f32_e32 v131, v131, v166
	v_min_f32_e32 v130, v130, v167
	v_min_f32_e32 v134, v136, v157
	v_min_f32_e32 v135, v137, v156
	v_min_f32_e32 v132, v136, v161
	v_min_f32_e32 v133, v137, v160
	v_min_f32_e32 v16, v136, v165
	v_min_f32_e32 v17, v137, v163
	v_min_f32_e32 v137, v137, v166
	v_min_f32_e32 v136, v136, v167
	v_min_f32_e32 v140, v142, v157
	v_min_f32_e32 v141, v143, v156
	v_min_f32_e32 v138, v142, v161
	v_min_f32_e32 v139, v143, v160
	v_min_f32_e32 v12, v142, v165
	v_min_f32_e32 v13, v143, v163
	v_min_f32_e32 v143, v143, v166
	v_min_f32_e32 v142, v142, v167
	v_min_f32_e32 v146, v148, v157
	v_min_f32_e32 v147, v149, v156
	v_min_f32_e32 v144, v148, v161
	v_min_f32_e32 v145, v149, v160
	v_min_f32_e32 v8, v148, v165
	v_min_f32_e32 v9, v149, v163
	v_min_f32_e32 v149, v149, v166
	v_min_f32_e32 v148, v148, v167
	v_min_f32_e32 v152, v154, v157
	v_min_f32_e32 v153, v155, v156
	v_min_f32_e32 v150, v154, v161
	v_min_f32_e32 v151, v155, v160
	v_min_f32_e32 v4, v154, v165
	v_min_f32_e32 v5, v155, v163
	v_min_f32_e32 v155, v155, v166
	v_min_f32_e32 v154, v154, v167
	v_min_f32_e32 v158, v168, v157
	v_min_f32_e32 v159, v169, v156
	v_min_f32_e32 v156, v168, v161
	v_min_f32_e32 v157, v169, v160
	v_min_f32_e32 v1, v169, v163
	v_min_f32_e32 v161, v169, v166
	v_min_f32_e32 v160, v168, v167
	v_min_f32_e32 v163, v162, v166
	v_min_f32_e32 v162, v164, v167
	v_max_f32_e32 v193, v47, v47
	v_max_f32_e32 v220, v46, v46
	;; [unrolled: 1-line block ×12, first 2 shown]
	v_min_f32_e32 v196, v6, v200
	v_min_f32_e32 v197, v7, v192
	;; [unrolled: 1-line block ×8, first 2 shown]
	v_max_f32_e32 v6, v2, v2
	v_max_f32_e32 v7, v3, v3
	s_or_b64 s[2:3], s[4:5], s[2:3]
	v_min_f32_e32 v32, v164, v165
	v_min_f32_e32 v0, v168, v165
	;; [unrolled: 1-line block ×58, first 2 shown]
	s_xor_b64 s[26:27], s[2:3], -1
	s_and_saveexec_b64 s[2:3], s[26:27]
	s_cbranch_execz .LBB81_21
; %bb.33:                               ;   in Loop: Header=BB81_22 Depth=1
	v_lshl_add_u64 v[122:123], v[102:103], 2, v[122:123]
	flat_load_dword v122, v[122:123]
	s_waitcnt vmcnt(0) lgkmcnt(0)
	v_mul_f32_e32 v218, s17, v122
	s_branch .LBB81_21
.LBB81_34:
	s_load_dwordx2 s[2:3], s[0:1], 0x78
	s_load_dword s29, s[0:1], 0x58
	s_load_dword s28, s[0:1], 0x70
	ds_read_b128 v[44:47], v209 offset:2048
	ds_read_b128 v[40:43], v209 offset:2560
	;; [unrolled: 1-line block ×12, first 2 shown]
	v_add_u32_e32 v126, s33, v205
	s_waitcnt lgkmcnt(0)
	s_mul_i32 s1, s16, s3
	s_mul_hi_u32 s3, s16, s2
	s_mul_i32 s0, s16, s2
	s_add_i32 s1, s3, s1
	s_lshl_b64 s[0:1], s[0:1], 2
	s_add_u32 s22, s6, s0
	s_addc_u32 s23, s7, s1
	v_mad_i64_i32 v[100:101], s[0:1], v126, s29, 0
	v_add_u32_e32 v98, s31, v204
	v_lshl_add_u64 v[124:125], v[100:101], 2, s[24:25]
	v_mad_i64_i32 v[100:101], s[0:1], v126, s28, 0
	v_cmp_gt_i32_e64 s[18:19], s21, v126
	v_lshl_add_u64 v[122:123], v[100:101], 2, s[22:23]
	v_cmp_gt_i32_e64 s[2:3], s20, v98
	v_cndmask_b32_e64 v100, 0, 1, s[8:9]
	s_and_b64 s[6:7], s[2:3], s[18:19]
	v_ashrrev_i32_e32 v99, 31, v98
	v_cmp_ne_u32_e64 s[0:1], 1, v100
	s_and_saveexec_b64 s[4:5], s[6:7]
	s_cbranch_execz .LBB81_39
; %bb.35:
	s_and_b64 vcc, exec, s[0:1]
	s_cbranch_vccnz .LBB81_37
; %bb.36:
	v_lshl_add_u64 v[100:101], v[98:99], 2, v[124:125]
	flat_load_dword v100, v[100:101]
	s_waitcnt vmcnt(0) lgkmcnt(0)
	v_mul_f32_e32 v100, s30, v100
	s_branch .LBB81_38
.LBB81_37:
	v_mov_b32_e32 v100, 0
.LBB81_38:
	v_max_f32_e32 v101, v44, v44
	v_max_f32_e32 v102, v32, v32
	v_min_f32_e32 v102, v102, v101
	v_max_f32_e32 v101, v45, v45
	v_max_f32_e32 v103, v33, v33
	v_min_f32_e32 v103, v103, v101
	;; [unrolled: 3-line block ×3, first 2 shown]
	v_max_f32_e32 v101, v47, v47
	v_max_f32_e32 v105, v35, v35
	v_pk_add_f32 v[102:103], v[120:121], v[102:103]
	v_min_f32_e32 v105, v105, v101
	v_pk_add_f32 v[102:103], v[102:103], v[104:105]
	s_nop 0
	v_add_f32_e32 v101, v102, v103
	v_add_f32_e32 v102, v101, v100
	v_lshl_add_u64 v[100:101], v[98:99], 2, v[122:123]
	global_store_dword v[100:101], v102, off
.LBB81_39:
	s_or_b64 exec, exec, s[4:5]
	v_add_u32_e32 v100, 8, v98
	v_cmp_gt_i32_e64 s[4:5], s20, v100
	s_and_b64 s[8:9], s[4:5], s[18:19]
	v_ashrrev_i32_e32 v101, 31, v100
	s_and_saveexec_b64 s[6:7], s[8:9]
	s_cbranch_execz .LBB81_44
; %bb.40:
	s_and_b64 vcc, exec, s[0:1]
	s_cbranch_vccnz .LBB81_42
; %bb.41:
	v_lshl_add_u64 v[102:103], v[100:101], 2, v[124:125]
	flat_load_dword v102, v[102:103]
	s_waitcnt vmcnt(0) lgkmcnt(0)
	v_mul_f32_e32 v102, s30, v102
	s_branch .LBB81_43
.LBB81_42:
	v_mov_b32_e32 v102, 0
.LBB81_43:
	v_max_f32_e32 v103, v44, v44
	v_max_f32_e32 v104, v28, v28
	v_min_f32_e32 v104, v104, v103
	v_max_f32_e32 v103, v45, v45
	v_max_f32_e32 v105, v29, v29
	v_min_f32_e32 v105, v105, v103
	;; [unrolled: 3-line block ×3, first 2 shown]
	v_max_f32_e32 v103, v47, v47
	v_max_f32_e32 v107, v31, v31
	v_pk_add_f32 v[104:105], v[118:119], v[104:105]
	v_min_f32_e32 v107, v107, v103
	v_pk_add_f32 v[104:105], v[104:105], v[106:107]
	s_nop 0
	v_add_f32_e32 v103, v104, v105
	v_add_f32_e32 v104, v103, v102
	v_lshl_add_u64 v[102:103], v[100:101], 2, v[122:123]
	global_store_dword v[102:103], v104, off
.LBB81_44:
	s_or_b64 exec, exec, s[6:7]
	v_add_u32_e32 v102, 16, v98
	v_cmp_gt_i32_e64 s[6:7], s20, v102
	s_and_b64 s[10:11], s[6:7], s[18:19]
	v_ashrrev_i32_e32 v103, 31, v102
	s_and_saveexec_b64 s[8:9], s[10:11]
	s_cbranch_execz .LBB81_49
; %bb.45:
	s_and_b64 vcc, exec, s[0:1]
	s_cbranch_vccnz .LBB81_47
; %bb.46:
	v_lshl_add_u64 v[104:105], v[102:103], 2, v[124:125]
	flat_load_dword v104, v[104:105]
	s_waitcnt vmcnt(0) lgkmcnt(0)
	v_mul_f32_e32 v104, s30, v104
	s_branch .LBB81_48
.LBB81_47:
	v_mov_b32_e32 v104, 0
.LBB81_48:
	v_max_f32_e32 v105, v44, v44
	v_max_f32_e32 v106, v24, v24
	v_min_f32_e32 v106, v106, v105
	v_max_f32_e32 v105, v45, v45
	v_max_f32_e32 v107, v25, v25
	v_min_f32_e32 v107, v107, v105
	v_pk_add_f32 v[106:107], v[116:117], v[106:107]
	v_max_f32_e32 v105, v46, v46
	v_max_f32_e32 v116, v26, v26
	v_min_f32_e32 v116, v116, v105
	v_max_f32_e32 v105, v47, v47
	v_max_f32_e32 v117, v27, v27
	v_min_f32_e32 v117, v117, v105
	v_pk_add_f32 v[106:107], v[106:107], v[116:117]
	s_nop 0
	v_add_f32_e32 v105, v106, v107
	v_add_f32_e32 v106, v105, v104
	v_lshl_add_u64 v[104:105], v[102:103], 2, v[122:123]
	global_store_dword v[104:105], v106, off
.LBB81_49:
	s_or_b64 exec, exec, s[8:9]
	v_add_u32_e32 v104, 24, v98
	v_cmp_gt_i32_e64 s[8:9], s20, v104
	s_and_b64 s[12:13], s[8:9], s[18:19]
	v_ashrrev_i32_e32 v105, 31, v104
	s_and_saveexec_b64 s[10:11], s[12:13]
	s_cbranch_execz .LBB81_54
; %bb.50:
	s_and_b64 vcc, exec, s[0:1]
	s_cbranch_vccnz .LBB81_52
; %bb.51:
	v_lshl_add_u64 v[106:107], v[104:105], 2, v[124:125]
	flat_load_dword v106, v[106:107]
	s_waitcnt vmcnt(0) lgkmcnt(0)
	v_mul_f32_e32 v106, s30, v106
	s_branch .LBB81_53
.LBB81_52:
	v_mov_b32_e32 v106, 0
.LBB81_53:
	v_max_f32_e32 v107, v44, v44
	v_max_f32_e32 v116, v20, v20
	v_min_f32_e32 v116, v116, v107
	v_max_f32_e32 v107, v45, v45
	v_max_f32_e32 v117, v21, v21
	v_min_f32_e32 v117, v117, v107
	v_pk_add_f32 v[114:115], v[114:115], v[116:117]
	v_max_f32_e32 v107, v46, v46
	v_max_f32_e32 v116, v22, v22
	v_min_f32_e32 v116, v116, v107
	v_max_f32_e32 v107, v47, v47
	v_max_f32_e32 v117, v23, v23
	v_min_f32_e32 v117, v117, v107
	v_pk_add_f32 v[114:115], v[114:115], v[116:117]
	s_nop 0
	v_add_f32_e32 v107, v114, v115
	v_add_f32_e32 v114, v107, v106
	v_lshl_add_u64 v[106:107], v[104:105], 2, v[122:123]
	global_store_dword v[106:107], v114, off
.LBB81_54:
	;; [unrolled: 39-line block ×6, first 2 shown]
	s_or_b64 exec, exec, s[18:19]
	v_add_u32_e32 v96, 32, v126
	v_mad_i64_i32 v[44:45], s[26:27], v96, s29, 0
	v_cmp_gt_i32_e64 s[18:19], s21, v96
	v_lshl_add_u64 v[46:47], v[44:45], 2, s[24:25]
	v_mad_i64_i32 v[44:45], s[26:27], v96, s28, 0
	v_lshl_add_u64 v[44:45], v[44:45], 2, s[22:23]
	s_and_b64 s[34:35], s[2:3], s[18:19]
	s_and_saveexec_b64 s[26:27], s[34:35]
	s_cbranch_execnz .LBB81_82
; %bb.75:
	s_or_b64 exec, exec, s[26:27]
	s_and_b64 s[34:35], s[4:5], s[18:19]
	s_and_saveexec_b64 s[26:27], s[34:35]
	s_cbranch_execnz .LBB81_86
.LBB81_76:
	s_or_b64 exec, exec, s[26:27]
	s_and_b64 s[34:35], s[6:7], s[18:19]
	s_and_saveexec_b64 s[26:27], s[34:35]
	s_cbranch_execnz .LBB81_90
.LBB81_77:
	s_or_b64 exec, exec, s[26:27]
	s_and_b64 s[34:35], s[8:9], s[18:19]
	s_and_saveexec_b64 s[26:27], s[34:35]
	s_cbranch_execnz .LBB81_94
.LBB81_78:
	s_or_b64 exec, exec, s[26:27]
	s_and_b64 s[34:35], s[10:11], s[18:19]
	s_and_saveexec_b64 s[26:27], s[34:35]
	s_cbranch_execnz .LBB81_98
.LBB81_79:
	s_or_b64 exec, exec, s[26:27]
	s_and_b64 s[34:35], s[12:13], s[18:19]
	s_and_saveexec_b64 s[26:27], s[34:35]
	s_cbranch_execnz .LBB81_102
.LBB81_80:
	s_or_b64 exec, exec, s[26:27]
	s_and_b64 s[34:35], s[14:15], s[18:19]
	s_and_saveexec_b64 s[26:27], s[34:35]
	s_cbranch_execnz .LBB81_106
.LBB81_81:
	s_or_b64 exec, exec, s[26:27]
	s_and_b64 s[26:27], s[16:17], s[18:19]
	s_and_saveexec_b64 s[18:19], s[26:27]
	s_cbranch_execnz .LBB81_110
	s_branch .LBB81_114
.LBB81_82:
	s_and_b64 vcc, exec, s[0:1]
	s_cbranch_vccnz .LBB81_84
; %bb.83:
	v_lshl_add_u64 v[96:97], v[98:99], 2, v[46:47]
	flat_load_dword v96, v[96:97]
	s_waitcnt vmcnt(0) lgkmcnt(0)
	v_mul_f32_e32 v96, s30, v96
	s_branch .LBB81_85
.LBB81_84:
	v_mov_b32_e32 v96, 0
.LBB81_85:
	v_max_f32_e32 v97, v40, v40
	v_max_f32_e32 v114, v32, v32
	v_min_f32_e32 v114, v114, v97
	v_max_f32_e32 v97, v41, v41
	v_max_f32_e32 v115, v33, v33
	v_min_f32_e32 v115, v115, v97
	v_pk_add_f32 v[94:95], v[94:95], v[114:115]
	v_max_f32_e32 v97, v42, v42
	v_max_f32_e32 v114, v34, v34
	v_min_f32_e32 v114, v114, v97
	v_max_f32_e32 v97, v43, v43
	v_max_f32_e32 v115, v35, v35
	v_min_f32_e32 v115, v115, v97
	v_pk_add_f32 v[94:95], v[94:95], v[114:115]
	s_nop 0
	v_add_f32_e32 v94, v94, v95
	v_add_f32_e32 v96, v94, v96
	v_lshl_add_u64 v[94:95], v[98:99], 2, v[44:45]
	global_store_dword v[94:95], v96, off
	s_or_b64 exec, exec, s[26:27]
	s_and_b64 s[34:35], s[4:5], s[18:19]
	s_and_saveexec_b64 s[26:27], s[34:35]
	s_cbranch_execz .LBB81_76
.LBB81_86:
	s_and_b64 vcc, exec, s[0:1]
	s_cbranch_vccnz .LBB81_88
; %bb.87:
	v_lshl_add_u64 v[94:95], v[100:101], 2, v[46:47]
	flat_load_dword v94, v[94:95]
	s_waitcnt vmcnt(0) lgkmcnt(0)
	v_mul_f32_e32 v94, s30, v94
	s_branch .LBB81_89
.LBB81_88:
	v_mov_b32_e32 v94, 0
.LBB81_89:
	v_max_f32_e32 v95, v40, v40
	v_max_f32_e32 v96, v28, v28
	v_min_f32_e32 v96, v96, v95
	v_max_f32_e32 v95, v41, v41
	v_max_f32_e32 v97, v29, v29
	v_min_f32_e32 v97, v97, v95
	v_pk_add_f32 v[92:93], v[92:93], v[96:97]
	v_max_f32_e32 v95, v42, v42
	v_max_f32_e32 v96, v30, v30
	v_min_f32_e32 v96, v96, v95
	v_max_f32_e32 v95, v43, v43
	v_max_f32_e32 v97, v31, v31
	v_min_f32_e32 v97, v97, v95
	v_pk_add_f32 v[92:93], v[92:93], v[96:97]
	s_nop 0
	v_add_f32_e32 v92, v92, v93
	v_add_f32_e32 v94, v92, v94
	v_lshl_add_u64 v[92:93], v[100:101], 2, v[44:45]
	global_store_dword v[92:93], v94, off
	s_or_b64 exec, exec, s[26:27]
	s_and_b64 s[34:35], s[6:7], s[18:19]
	s_and_saveexec_b64 s[26:27], s[34:35]
	s_cbranch_execz .LBB81_77
.LBB81_90:
	s_and_b64 vcc, exec, s[0:1]
	s_cbranch_vccnz .LBB81_92
; %bb.91:
	v_lshl_add_u64 v[92:93], v[102:103], 2, v[46:47]
	flat_load_dword v92, v[92:93]
	s_waitcnt vmcnt(0) lgkmcnt(0)
	v_mul_f32_e32 v92, s30, v92
	s_branch .LBB81_93
.LBB81_92:
	v_mov_b32_e32 v92, 0
.LBB81_93:
	v_max_f32_e32 v93, v40, v40
	v_max_f32_e32 v94, v24, v24
	v_min_f32_e32 v94, v94, v93
	v_max_f32_e32 v93, v41, v41
	v_max_f32_e32 v95, v25, v25
	v_min_f32_e32 v95, v95, v93
	v_pk_add_f32 v[90:91], v[90:91], v[94:95]
	v_max_f32_e32 v93, v42, v42
	v_max_f32_e32 v94, v26, v26
	v_min_f32_e32 v94, v94, v93
	v_max_f32_e32 v93, v43, v43
	v_max_f32_e32 v95, v27, v27
	v_min_f32_e32 v95, v95, v93
	v_pk_add_f32 v[90:91], v[90:91], v[94:95]
	s_nop 0
	v_add_f32_e32 v90, v90, v91
	v_add_f32_e32 v92, v90, v92
	v_lshl_add_u64 v[90:91], v[102:103], 2, v[44:45]
	global_store_dword v[90:91], v92, off
	s_or_b64 exec, exec, s[26:27]
	s_and_b64 s[34:35], s[8:9], s[18:19]
	s_and_saveexec_b64 s[26:27], s[34:35]
	s_cbranch_execz .LBB81_78
.LBB81_94:
	s_and_b64 vcc, exec, s[0:1]
	s_cbranch_vccnz .LBB81_96
; %bb.95:
	v_lshl_add_u64 v[90:91], v[104:105], 2, v[46:47]
	flat_load_dword v90, v[90:91]
	s_waitcnt vmcnt(0) lgkmcnt(0)
	v_mul_f32_e32 v90, s30, v90
	s_branch .LBB81_97
.LBB81_96:
	v_mov_b32_e32 v90, 0
.LBB81_97:
	v_max_f32_e32 v91, v40, v40
	v_max_f32_e32 v92, v20, v20
	v_min_f32_e32 v92, v92, v91
	v_max_f32_e32 v91, v41, v41
	v_max_f32_e32 v93, v21, v21
	v_min_f32_e32 v93, v93, v91
	v_pk_add_f32 v[88:89], v[88:89], v[92:93]
	v_max_f32_e32 v91, v42, v42
	v_max_f32_e32 v92, v22, v22
	v_min_f32_e32 v92, v92, v91
	v_max_f32_e32 v91, v43, v43
	v_max_f32_e32 v93, v23, v23
	v_min_f32_e32 v93, v93, v91
	v_pk_add_f32 v[88:89], v[88:89], v[92:93]
	s_nop 0
	v_add_f32_e32 v88, v88, v89
	v_add_f32_e32 v90, v88, v90
	v_lshl_add_u64 v[88:89], v[104:105], 2, v[44:45]
	global_store_dword v[88:89], v90, off
	s_or_b64 exec, exec, s[26:27]
	s_and_b64 s[34:35], s[10:11], s[18:19]
	s_and_saveexec_b64 s[26:27], s[34:35]
	s_cbranch_execz .LBB81_79
.LBB81_98:
	s_and_b64 vcc, exec, s[0:1]
	s_cbranch_vccnz .LBB81_100
; %bb.99:
	v_lshl_add_u64 v[88:89], v[106:107], 2, v[46:47]
	flat_load_dword v88, v[88:89]
	s_waitcnt vmcnt(0) lgkmcnt(0)
	v_mul_f32_e32 v88, s30, v88
	s_branch .LBB81_101
.LBB81_100:
	v_mov_b32_e32 v88, 0
.LBB81_101:
	v_max_f32_e32 v89, v40, v40
	v_max_f32_e32 v90, v16, v16
	v_min_f32_e32 v90, v90, v89
	v_max_f32_e32 v89, v41, v41
	v_max_f32_e32 v91, v17, v17
	v_min_f32_e32 v91, v91, v89
	v_pk_add_f32 v[86:87], v[86:87], v[90:91]
	v_max_f32_e32 v89, v42, v42
	v_max_f32_e32 v90, v18, v18
	v_min_f32_e32 v90, v90, v89
	v_max_f32_e32 v89, v43, v43
	v_max_f32_e32 v91, v19, v19
	v_min_f32_e32 v91, v91, v89
	v_pk_add_f32 v[86:87], v[86:87], v[90:91]
	s_nop 0
	v_add_f32_e32 v86, v86, v87
	v_add_f32_e32 v88, v86, v88
	v_lshl_add_u64 v[86:87], v[106:107], 2, v[44:45]
	global_store_dword v[86:87], v88, off
	s_or_b64 exec, exec, s[26:27]
	s_and_b64 s[34:35], s[12:13], s[18:19]
	s_and_saveexec_b64 s[26:27], s[34:35]
	s_cbranch_execz .LBB81_80
.LBB81_102:
	s_and_b64 vcc, exec, s[0:1]
	s_cbranch_vccnz .LBB81_104
; %bb.103:
	v_lshl_add_u64 v[86:87], v[108:109], 2, v[46:47]
	flat_load_dword v86, v[86:87]
	s_waitcnt vmcnt(0) lgkmcnt(0)
	v_mul_f32_e32 v86, s30, v86
	s_branch .LBB81_105
.LBB81_104:
	v_mov_b32_e32 v86, 0
.LBB81_105:
	v_max_f32_e32 v87, v40, v40
	v_max_f32_e32 v88, v12, v12
	v_min_f32_e32 v88, v88, v87
	v_max_f32_e32 v87, v41, v41
	v_max_f32_e32 v89, v13, v13
	v_min_f32_e32 v89, v89, v87
	v_pk_add_f32 v[84:85], v[84:85], v[88:89]
	v_max_f32_e32 v87, v42, v42
	v_max_f32_e32 v88, v14, v14
	v_min_f32_e32 v88, v88, v87
	v_max_f32_e32 v87, v43, v43
	v_max_f32_e32 v89, v15, v15
	v_min_f32_e32 v89, v89, v87
	v_pk_add_f32 v[84:85], v[84:85], v[88:89]
	s_nop 0
	v_add_f32_e32 v84, v84, v85
	v_add_f32_e32 v86, v84, v86
	v_lshl_add_u64 v[84:85], v[108:109], 2, v[44:45]
	global_store_dword v[84:85], v86, off
	s_or_b64 exec, exec, s[26:27]
	s_and_b64 s[34:35], s[14:15], s[18:19]
	s_and_saveexec_b64 s[26:27], s[34:35]
	s_cbranch_execz .LBB81_81
.LBB81_106:
	s_and_b64 vcc, exec, s[0:1]
	s_cbranch_vccnz .LBB81_108
; %bb.107:
	v_lshl_add_u64 v[84:85], v[110:111], 2, v[46:47]
	flat_load_dword v84, v[84:85]
	s_waitcnt vmcnt(0) lgkmcnt(0)
	v_mul_f32_e32 v84, s30, v84
	s_branch .LBB81_109
.LBB81_108:
	v_mov_b32_e32 v84, 0
.LBB81_109:
	v_max_f32_e32 v85, v40, v40
	v_max_f32_e32 v86, v8, v8
	v_min_f32_e32 v86, v86, v85
	v_max_f32_e32 v85, v41, v41
	v_max_f32_e32 v87, v9, v9
	v_min_f32_e32 v87, v87, v85
	v_pk_add_f32 v[82:83], v[82:83], v[86:87]
	v_max_f32_e32 v85, v42, v42
	v_max_f32_e32 v86, v10, v10
	v_min_f32_e32 v86, v86, v85
	v_max_f32_e32 v85, v43, v43
	v_max_f32_e32 v87, v11, v11
	v_min_f32_e32 v87, v87, v85
	v_pk_add_f32 v[82:83], v[82:83], v[86:87]
	s_nop 0
	v_add_f32_e32 v82, v82, v83
	v_add_f32_e32 v84, v82, v84
	v_lshl_add_u64 v[82:83], v[110:111], 2, v[44:45]
	global_store_dword v[82:83], v84, off
	s_or_b64 exec, exec, s[26:27]
	s_and_b64 s[26:27], s[16:17], s[18:19]
	s_and_saveexec_b64 s[18:19], s[26:27]
	s_cbranch_execz .LBB81_114
.LBB81_110:
	s_and_b64 vcc, exec, s[0:1]
	s_cbranch_vccnz .LBB81_112
; %bb.111:
	v_lshl_add_u64 v[46:47], v[112:113], 2, v[46:47]
	flat_load_dword v46, v[46:47]
	s_waitcnt vmcnt(0) lgkmcnt(0)
	v_mul_f32_e32 v46, s30, v46
	s_branch .LBB81_113
.LBB81_112:
	v_mov_b32_e32 v46, 0
.LBB81_113:
	v_max_f32_e32 v41, v41, v41
	v_max_f32_e32 v47, v5, v5
	v_min_f32_e32 v41, v47, v41
	v_max_f32_e32 v40, v40, v40
	v_max_f32_e32 v47, v4, v4
	v_min_f32_e32 v40, v47, v40
	;; [unrolled: 3-line block ×3, first 2 shown]
	v_max_f32_e32 v42, v42, v42
	v_max_f32_e32 v47, v6, v6
	v_pk_add_f32 v[40:41], v[80:81], v[40:41]
	v_min_f32_e32 v42, v47, v42
	v_pk_add_f32 v[40:41], v[40:41], v[42:43]
	s_nop 0
	v_add_f32_e32 v40, v40, v41
	v_add_f32_e32 v42, v40, v46
	v_lshl_add_u64 v[40:41], v[112:113], 2, v[44:45]
	global_store_dword v[40:41], v42, off
.LBB81_114:
	s_or_b64 exec, exec, s[18:19]
	v_add_u32_e32 v44, 64, v126
	v_mad_i64_i32 v[40:41], s[26:27], v44, s29, 0
	v_cmp_gt_i32_e64 s[18:19], s21, v44
	v_lshl_add_u64 v[42:43], v[40:41], 2, s[24:25]
	v_mad_i64_i32 v[40:41], s[26:27], v44, s28, 0
	v_lshl_add_u64 v[40:41], v[40:41], 2, s[22:23]
	s_and_b64 s[34:35], s[2:3], s[18:19]
	s_and_saveexec_b64 s[26:27], s[34:35]
	s_cbranch_execnz .LBB81_122
; %bb.115:
	s_or_b64 exec, exec, s[26:27]
	s_and_b64 s[34:35], s[4:5], s[18:19]
	s_and_saveexec_b64 s[26:27], s[34:35]
	s_cbranch_execnz .LBB81_126
.LBB81_116:
	s_or_b64 exec, exec, s[26:27]
	s_and_b64 s[34:35], s[6:7], s[18:19]
	s_and_saveexec_b64 s[26:27], s[34:35]
	s_cbranch_execnz .LBB81_130
.LBB81_117:
	s_or_b64 exec, exec, s[26:27]
	s_and_b64 s[34:35], s[8:9], s[18:19]
	s_and_saveexec_b64 s[26:27], s[34:35]
	s_cbranch_execnz .LBB81_134
.LBB81_118:
	s_or_b64 exec, exec, s[26:27]
	s_and_b64 s[34:35], s[10:11], s[18:19]
	s_and_saveexec_b64 s[26:27], s[34:35]
	s_cbranch_execnz .LBB81_138
.LBB81_119:
	s_or_b64 exec, exec, s[26:27]
	s_and_b64 s[34:35], s[12:13], s[18:19]
	s_and_saveexec_b64 s[26:27], s[34:35]
	s_cbranch_execnz .LBB81_142
.LBB81_120:
	s_or_b64 exec, exec, s[26:27]
	s_and_b64 s[34:35], s[14:15], s[18:19]
	s_and_saveexec_b64 s[26:27], s[34:35]
	s_cbranch_execnz .LBB81_146
.LBB81_121:
	s_or_b64 exec, exec, s[26:27]
	s_and_b64 s[26:27], s[16:17], s[18:19]
	s_and_saveexec_b64 s[18:19], s[26:27]
	s_cbranch_execnz .LBB81_150
	s_branch .LBB81_154
.LBB81_122:
	s_and_b64 vcc, exec, s[0:1]
	s_cbranch_vccnz .LBB81_124
; %bb.123:
	v_lshl_add_u64 v[44:45], v[98:99], 2, v[42:43]
	flat_load_dword v44, v[44:45]
	s_waitcnt vmcnt(0) lgkmcnt(0)
	v_mul_f32_e32 v44, s30, v44
	s_branch .LBB81_125
.LBB81_124:
	v_mov_b32_e32 v44, 0
.LBB81_125:
	v_max_f32_e32 v45, v36, v36
	v_max_f32_e32 v46, v32, v32
	v_min_f32_e32 v46, v46, v45
	v_max_f32_e32 v45, v37, v37
	v_max_f32_e32 v47, v33, v33
	v_min_f32_e32 v47, v47, v45
	v_pk_add_f32 v[46:47], v[78:79], v[46:47]
	v_max_f32_e32 v45, v38, v38
	v_max_f32_e32 v78, v34, v34
	v_min_f32_e32 v78, v78, v45
	v_max_f32_e32 v45, v39, v39
	v_max_f32_e32 v79, v35, v35
	v_min_f32_e32 v79, v79, v45
	v_pk_add_f32 v[46:47], v[46:47], v[78:79]
	s_nop 0
	v_add_f32_e32 v45, v46, v47
	v_add_f32_e32 v46, v45, v44
	v_lshl_add_u64 v[44:45], v[98:99], 2, v[40:41]
	global_store_dword v[44:45], v46, off
	s_or_b64 exec, exec, s[26:27]
	s_and_b64 s[34:35], s[4:5], s[18:19]
	s_and_saveexec_b64 s[26:27], s[34:35]
	s_cbranch_execz .LBB81_116
.LBB81_126:
	s_and_b64 vcc, exec, s[0:1]
	s_cbranch_vccnz .LBB81_128
; %bb.127:
	v_lshl_add_u64 v[44:45], v[100:101], 2, v[42:43]
	flat_load_dword v44, v[44:45]
	s_waitcnt vmcnt(0) lgkmcnt(0)
	v_mul_f32_e32 v44, s30, v44
	s_branch .LBB81_129
.LBB81_128:
	v_mov_b32_e32 v44, 0
.LBB81_129:
	v_max_f32_e32 v45, v36, v36
	v_max_f32_e32 v46, v28, v28
	v_min_f32_e32 v46, v46, v45
	v_max_f32_e32 v45, v37, v37
	v_max_f32_e32 v47, v29, v29
	v_min_f32_e32 v47, v47, v45
	v_pk_add_f32 v[46:47], v[76:77], v[46:47]
	v_max_f32_e32 v45, v38, v38
	v_max_f32_e32 v76, v30, v30
	v_min_f32_e32 v76, v76, v45
	v_max_f32_e32 v45, v39, v39
	v_max_f32_e32 v77, v31, v31
	v_min_f32_e32 v77, v77, v45
	v_pk_add_f32 v[46:47], v[46:47], v[76:77]
	s_nop 0
	v_add_f32_e32 v45, v46, v47
	v_add_f32_e32 v46, v45, v44
	v_lshl_add_u64 v[44:45], v[100:101], 2, v[40:41]
	global_store_dword v[44:45], v46, off
	s_or_b64 exec, exec, s[26:27]
	s_and_b64 s[34:35], s[6:7], s[18:19]
	s_and_saveexec_b64 s[26:27], s[34:35]
	s_cbranch_execz .LBB81_117
.LBB81_130:
	s_and_b64 vcc, exec, s[0:1]
	s_cbranch_vccnz .LBB81_132
; %bb.131:
	v_lshl_add_u64 v[44:45], v[102:103], 2, v[42:43]
	flat_load_dword v44, v[44:45]
	s_waitcnt vmcnt(0) lgkmcnt(0)
	v_mul_f32_e32 v44, s30, v44
	s_branch .LBB81_133
.LBB81_132:
	v_mov_b32_e32 v44, 0
.LBB81_133:
	v_max_f32_e32 v45, v36, v36
	v_max_f32_e32 v46, v24, v24
	v_min_f32_e32 v46, v46, v45
	v_max_f32_e32 v45, v37, v37
	v_max_f32_e32 v47, v25, v25
	v_min_f32_e32 v47, v47, v45
	v_pk_add_f32 v[46:47], v[74:75], v[46:47]
	v_max_f32_e32 v45, v38, v38
	v_max_f32_e32 v74, v26, v26
	v_min_f32_e32 v74, v74, v45
	v_max_f32_e32 v45, v39, v39
	v_max_f32_e32 v75, v27, v27
	v_min_f32_e32 v75, v75, v45
	v_pk_add_f32 v[46:47], v[46:47], v[74:75]
	s_nop 0
	v_add_f32_e32 v45, v46, v47
	v_add_f32_e32 v46, v45, v44
	v_lshl_add_u64 v[44:45], v[102:103], 2, v[40:41]
	global_store_dword v[44:45], v46, off
	s_or_b64 exec, exec, s[26:27]
	s_and_b64 s[34:35], s[8:9], s[18:19]
	s_and_saveexec_b64 s[26:27], s[34:35]
	s_cbranch_execz .LBB81_118
.LBB81_134:
	s_and_b64 vcc, exec, s[0:1]
	s_cbranch_vccnz .LBB81_136
; %bb.135:
	v_lshl_add_u64 v[44:45], v[104:105], 2, v[42:43]
	flat_load_dword v44, v[44:45]
	s_waitcnt vmcnt(0) lgkmcnt(0)
	v_mul_f32_e32 v44, s30, v44
	s_branch .LBB81_137
.LBB81_136:
	v_mov_b32_e32 v44, 0
.LBB81_137:
	v_max_f32_e32 v45, v36, v36
	v_max_f32_e32 v46, v20, v20
	v_min_f32_e32 v46, v46, v45
	v_max_f32_e32 v45, v37, v37
	v_max_f32_e32 v47, v21, v21
	v_min_f32_e32 v47, v47, v45
	v_pk_add_f32 v[46:47], v[72:73], v[46:47]
	v_max_f32_e32 v45, v38, v38
	v_max_f32_e32 v72, v22, v22
	v_min_f32_e32 v72, v72, v45
	v_max_f32_e32 v45, v39, v39
	v_max_f32_e32 v73, v23, v23
	v_min_f32_e32 v73, v73, v45
	v_pk_add_f32 v[46:47], v[46:47], v[72:73]
	s_nop 0
	v_add_f32_e32 v45, v46, v47
	v_add_f32_e32 v46, v45, v44
	v_lshl_add_u64 v[44:45], v[104:105], 2, v[40:41]
	global_store_dword v[44:45], v46, off
	s_or_b64 exec, exec, s[26:27]
	s_and_b64 s[34:35], s[10:11], s[18:19]
	s_and_saveexec_b64 s[26:27], s[34:35]
	s_cbranch_execz .LBB81_119
.LBB81_138:
	s_and_b64 vcc, exec, s[0:1]
	s_cbranch_vccnz .LBB81_140
; %bb.139:
	v_lshl_add_u64 v[44:45], v[106:107], 2, v[42:43]
	flat_load_dword v44, v[44:45]
	s_waitcnt vmcnt(0) lgkmcnt(0)
	v_mul_f32_e32 v44, s30, v44
	s_branch .LBB81_141
.LBB81_140:
	v_mov_b32_e32 v44, 0
.LBB81_141:
	v_max_f32_e32 v45, v36, v36
	v_max_f32_e32 v46, v16, v16
	v_min_f32_e32 v46, v46, v45
	v_max_f32_e32 v45, v37, v37
	v_max_f32_e32 v47, v17, v17
	v_min_f32_e32 v47, v47, v45
	v_pk_add_f32 v[46:47], v[70:71], v[46:47]
	v_max_f32_e32 v45, v38, v38
	v_max_f32_e32 v70, v18, v18
	v_min_f32_e32 v70, v70, v45
	v_max_f32_e32 v45, v39, v39
	v_max_f32_e32 v71, v19, v19
	v_min_f32_e32 v71, v71, v45
	v_pk_add_f32 v[46:47], v[46:47], v[70:71]
	s_nop 0
	v_add_f32_e32 v45, v46, v47
	v_add_f32_e32 v46, v45, v44
	v_lshl_add_u64 v[44:45], v[106:107], 2, v[40:41]
	global_store_dword v[44:45], v46, off
	s_or_b64 exec, exec, s[26:27]
	s_and_b64 s[34:35], s[12:13], s[18:19]
	s_and_saveexec_b64 s[26:27], s[34:35]
	s_cbranch_execz .LBB81_120
.LBB81_142:
	s_and_b64 vcc, exec, s[0:1]
	s_cbranch_vccnz .LBB81_144
; %bb.143:
	v_lshl_add_u64 v[44:45], v[108:109], 2, v[42:43]
	flat_load_dword v44, v[44:45]
	s_waitcnt vmcnt(0) lgkmcnt(0)
	v_mul_f32_e32 v44, s30, v44
	s_branch .LBB81_145
.LBB81_144:
	v_mov_b32_e32 v44, 0
.LBB81_145:
	v_max_f32_e32 v45, v36, v36
	v_max_f32_e32 v46, v12, v12
	v_min_f32_e32 v46, v46, v45
	v_max_f32_e32 v45, v37, v37
	v_max_f32_e32 v47, v13, v13
	v_min_f32_e32 v47, v47, v45
	v_pk_add_f32 v[46:47], v[68:69], v[46:47]
	v_max_f32_e32 v45, v38, v38
	v_max_f32_e32 v68, v14, v14
	v_min_f32_e32 v68, v68, v45
	v_max_f32_e32 v45, v39, v39
	v_max_f32_e32 v69, v15, v15
	v_min_f32_e32 v69, v69, v45
	v_pk_add_f32 v[46:47], v[46:47], v[68:69]
	s_nop 0
	v_add_f32_e32 v45, v46, v47
	v_add_f32_e32 v46, v45, v44
	v_lshl_add_u64 v[44:45], v[108:109], 2, v[40:41]
	global_store_dword v[44:45], v46, off
	s_or_b64 exec, exec, s[26:27]
	s_and_b64 s[34:35], s[14:15], s[18:19]
	s_and_saveexec_b64 s[26:27], s[34:35]
	s_cbranch_execz .LBB81_121
.LBB81_146:
	s_and_b64 vcc, exec, s[0:1]
	s_cbranch_vccnz .LBB81_148
; %bb.147:
	v_lshl_add_u64 v[44:45], v[110:111], 2, v[42:43]
	flat_load_dword v44, v[44:45]
	s_waitcnt vmcnt(0) lgkmcnt(0)
	v_mul_f32_e32 v44, s30, v44
	s_branch .LBB81_149
.LBB81_148:
	v_mov_b32_e32 v44, 0
.LBB81_149:
	v_max_f32_e32 v45, v36, v36
	v_max_f32_e32 v46, v8, v8
	v_min_f32_e32 v46, v46, v45
	v_max_f32_e32 v45, v37, v37
	v_max_f32_e32 v47, v9, v9
	v_min_f32_e32 v47, v47, v45
	v_pk_add_f32 v[46:47], v[66:67], v[46:47]
	v_max_f32_e32 v45, v38, v38
	v_max_f32_e32 v66, v10, v10
	v_min_f32_e32 v66, v66, v45
	v_max_f32_e32 v45, v39, v39
	v_max_f32_e32 v67, v11, v11
	v_min_f32_e32 v67, v67, v45
	v_pk_add_f32 v[46:47], v[46:47], v[66:67]
	s_nop 0
	v_add_f32_e32 v45, v46, v47
	v_add_f32_e32 v46, v45, v44
	v_lshl_add_u64 v[44:45], v[110:111], 2, v[40:41]
	global_store_dword v[44:45], v46, off
	s_or_b64 exec, exec, s[26:27]
	s_and_b64 s[26:27], s[16:17], s[18:19]
	s_and_saveexec_b64 s[18:19], s[26:27]
	s_cbranch_execz .LBB81_154
.LBB81_150:
	s_and_b64 vcc, exec, s[0:1]
	s_cbranch_vccnz .LBB81_152
; %bb.151:
	v_lshl_add_u64 v[42:43], v[112:113], 2, v[42:43]
	flat_load_dword v42, v[42:43]
	s_waitcnt vmcnt(0) lgkmcnt(0)
	v_mul_f32_e32 v42, s30, v42
	s_branch .LBB81_153
.LBB81_152:
	v_mov_b32_e32 v42, 0
.LBB81_153:
	v_max_f32_e32 v37, v37, v37
	v_max_f32_e32 v43, v5, v5
	v_min_f32_e32 v37, v43, v37
	v_max_f32_e32 v36, v36, v36
	v_max_f32_e32 v43, v4, v4
	v_min_f32_e32 v36, v43, v36
	;; [unrolled: 3-line block ×3, first 2 shown]
	v_max_f32_e32 v38, v38, v38
	v_max_f32_e32 v43, v6, v6
	v_pk_add_f32 v[36:37], v[64:65], v[36:37]
	v_min_f32_e32 v38, v43, v38
	v_pk_add_f32 v[36:37], v[36:37], v[38:39]
	s_nop 0
	v_add_f32_e32 v36, v36, v37
	v_add_f32_e32 v38, v36, v42
	v_lshl_add_u64 v[36:37], v[112:113], 2, v[40:41]
	global_store_dword v[36:37], v38, off
.LBB81_154:
	s_or_b64 exec, exec, s[18:19]
	v_add_u32_e32 v40, 0x60, v126
	v_cmp_gt_i32_e64 s[18:19], s21, v40
	v_mad_i64_i32 v[36:37], s[20:21], v40, s29, 0
	v_lshl_add_u64 v[38:39], v[36:37], 2, s[24:25]
	v_mad_i64_i32 v[36:37], s[20:21], v40, s28, 0
	v_lshl_add_u64 v[36:37], v[36:37], 2, s[22:23]
	s_and_b64 s[20:21], s[2:3], s[18:19]
	s_and_saveexec_b64 s[2:3], s[20:21]
	s_cbranch_execnz .LBB81_163
; %bb.155:
	s_or_b64 exec, exec, s[2:3]
	s_and_b64 s[4:5], s[4:5], s[18:19]
	s_and_saveexec_b64 s[2:3], s[4:5]
	s_cbranch_execnz .LBB81_167
.LBB81_156:
	s_or_b64 exec, exec, s[2:3]
	s_and_b64 s[4:5], s[6:7], s[18:19]
	s_and_saveexec_b64 s[2:3], s[4:5]
	s_cbranch_execnz .LBB81_171
.LBB81_157:
	s_or_b64 exec, exec, s[2:3]
	s_and_b64 s[4:5], s[8:9], s[18:19]
	s_and_saveexec_b64 s[2:3], s[4:5]
	s_cbranch_execnz .LBB81_175
.LBB81_158:
	s_or_b64 exec, exec, s[2:3]
	s_and_b64 s[4:5], s[10:11], s[18:19]
	s_and_saveexec_b64 s[2:3], s[4:5]
	s_cbranch_execnz .LBB81_179
.LBB81_159:
	s_or_b64 exec, exec, s[2:3]
	s_and_b64 s[4:5], s[12:13], s[18:19]
	s_and_saveexec_b64 s[2:3], s[4:5]
	s_cbranch_execnz .LBB81_183
.LBB81_160:
	s_or_b64 exec, exec, s[2:3]
	s_and_b64 s[4:5], s[14:15], s[18:19]
	s_and_saveexec_b64 s[2:3], s[4:5]
	s_cbranch_execnz .LBB81_187
.LBB81_161:
	s_or_b64 exec, exec, s[2:3]
	s_and_b64 s[2:3], s[16:17], s[18:19]
	s_and_saveexec_b64 s[4:5], s[2:3]
	s_cbranch_execnz .LBB81_191
.LBB81_162:
	s_endpgm
.LBB81_163:
	s_and_b64 vcc, exec, s[0:1]
	s_cbranch_vccnz .LBB81_165
; %bb.164:
	v_lshl_add_u64 v[40:41], v[98:99], 2, v[38:39]
	flat_load_dword v40, v[40:41]
	s_waitcnt vmcnt(0) lgkmcnt(0)
	v_mul_f32_e32 v40, s30, v40
	s_branch .LBB81_166
.LBB81_165:
	v_mov_b32_e32 v40, 0
.LBB81_166:
	v_max_f32_e32 v41, v1, v1
	v_max_f32_e32 v33, v33, v33
	v_min_f32_e32 v33, v33, v41
	v_max_f32_e32 v41, v0, v0
	v_max_f32_e32 v32, v32, v32
	v_min_f32_e32 v32, v32, v41
	;; [unrolled: 3-line block ×3, first 2 shown]
	v_max_f32_e32 v41, v2, v2
	v_max_f32_e32 v34, v34, v34
	v_pk_add_f32 v[32:33], v[62:63], v[32:33]
	v_min_f32_e32 v34, v34, v41
	v_pk_add_f32 v[32:33], v[32:33], v[34:35]
	s_nop 0
	v_add_f32_e32 v32, v32, v33
	v_add_f32_e32 v34, v32, v40
	v_lshl_add_u64 v[32:33], v[98:99], 2, v[36:37]
	global_store_dword v[32:33], v34, off
	s_or_b64 exec, exec, s[2:3]
	s_and_b64 s[4:5], s[4:5], s[18:19]
	s_and_saveexec_b64 s[2:3], s[4:5]
	s_cbranch_execz .LBB81_156
.LBB81_167:
	s_and_b64 vcc, exec, s[0:1]
	s_cbranch_vccnz .LBB81_169
; %bb.168:
	v_lshl_add_u64 v[32:33], v[100:101], 2, v[38:39]
	flat_load_dword v32, v[32:33]
	s_waitcnt vmcnt(0) lgkmcnt(0)
	v_mul_f32_e32 v32, s30, v32
	s_branch .LBB81_170
.LBB81_169:
	v_mov_b32_e32 v32, 0
.LBB81_170:
	v_max_f32_e32 v33, v1, v1
	v_max_f32_e32 v29, v29, v29
	v_min_f32_e32 v29, v29, v33
	v_max_f32_e32 v33, v0, v0
	v_max_f32_e32 v28, v28, v28
	v_min_f32_e32 v28, v28, v33
	;; [unrolled: 3-line block ×3, first 2 shown]
	v_max_f32_e32 v33, v2, v2
	v_max_f32_e32 v30, v30, v30
	v_pk_add_f32 v[28:29], v[60:61], v[28:29]
	v_min_f32_e32 v30, v30, v33
	v_pk_add_f32 v[28:29], v[28:29], v[30:31]
	s_nop 0
	v_add_f32_e32 v28, v28, v29
	v_add_f32_e32 v30, v28, v32
	v_lshl_add_u64 v[28:29], v[100:101], 2, v[36:37]
	global_store_dword v[28:29], v30, off
	s_or_b64 exec, exec, s[2:3]
	s_and_b64 s[4:5], s[6:7], s[18:19]
	s_and_saveexec_b64 s[2:3], s[4:5]
	s_cbranch_execz .LBB81_157
.LBB81_171:
	s_and_b64 vcc, exec, s[0:1]
	s_cbranch_vccnz .LBB81_173
; %bb.172:
	v_lshl_add_u64 v[28:29], v[102:103], 2, v[38:39]
	flat_load_dword v28, v[28:29]
	s_waitcnt vmcnt(0) lgkmcnt(0)
	v_mul_f32_e32 v28, s30, v28
	s_branch .LBB81_174
.LBB81_173:
	v_mov_b32_e32 v28, 0
.LBB81_174:
	v_max_f32_e32 v29, v1, v1
	v_max_f32_e32 v25, v25, v25
	v_min_f32_e32 v25, v25, v29
	v_max_f32_e32 v29, v0, v0
	v_max_f32_e32 v24, v24, v24
	v_min_f32_e32 v24, v24, v29
	v_max_f32_e32 v29, v3, v3
	v_max_f32_e32 v27, v27, v27
	v_min_f32_e32 v27, v27, v29
	v_max_f32_e32 v29, v2, v2
	v_max_f32_e32 v26, v26, v26
	v_pk_add_f32 v[24:25], v[58:59], v[24:25]
	v_min_f32_e32 v26, v26, v29
	v_pk_add_f32 v[24:25], v[24:25], v[26:27]
	s_nop 0
	v_add_f32_e32 v24, v24, v25
	v_add_f32_e32 v26, v24, v28
	v_lshl_add_u64 v[24:25], v[102:103], 2, v[36:37]
	global_store_dword v[24:25], v26, off
	s_or_b64 exec, exec, s[2:3]
	s_and_b64 s[4:5], s[8:9], s[18:19]
	s_and_saveexec_b64 s[2:3], s[4:5]
	s_cbranch_execz .LBB81_158
.LBB81_175:
	s_and_b64 vcc, exec, s[0:1]
	s_cbranch_vccnz .LBB81_177
; %bb.176:
	v_lshl_add_u64 v[24:25], v[104:105], 2, v[38:39]
	flat_load_dword v24, v[24:25]
	s_waitcnt vmcnt(0) lgkmcnt(0)
	v_mul_f32_e32 v24, s30, v24
	s_branch .LBB81_178
.LBB81_177:
	v_mov_b32_e32 v24, 0
.LBB81_178:
	v_max_f32_e32 v25, v1, v1
	v_max_f32_e32 v21, v21, v21
	v_min_f32_e32 v21, v21, v25
	v_max_f32_e32 v25, v0, v0
	v_max_f32_e32 v20, v20, v20
	v_min_f32_e32 v20, v20, v25
	;; [unrolled: 3-line block ×3, first 2 shown]
	v_max_f32_e32 v25, v2, v2
	v_max_f32_e32 v22, v22, v22
	v_pk_add_f32 v[20:21], v[56:57], v[20:21]
	v_min_f32_e32 v22, v22, v25
	v_pk_add_f32 v[20:21], v[20:21], v[22:23]
	s_nop 0
	v_add_f32_e32 v20, v20, v21
	v_add_f32_e32 v22, v20, v24
	v_lshl_add_u64 v[20:21], v[104:105], 2, v[36:37]
	global_store_dword v[20:21], v22, off
	s_or_b64 exec, exec, s[2:3]
	s_and_b64 s[4:5], s[10:11], s[18:19]
	s_and_saveexec_b64 s[2:3], s[4:5]
	s_cbranch_execz .LBB81_159
.LBB81_179:
	s_and_b64 vcc, exec, s[0:1]
	s_cbranch_vccnz .LBB81_181
; %bb.180:
	v_lshl_add_u64 v[20:21], v[106:107], 2, v[38:39]
	flat_load_dword v20, v[20:21]
	s_waitcnt vmcnt(0) lgkmcnt(0)
	v_mul_f32_e32 v20, s30, v20
	s_branch .LBB81_182
.LBB81_181:
	v_mov_b32_e32 v20, 0
.LBB81_182:
	v_max_f32_e32 v21, v1, v1
	v_max_f32_e32 v17, v17, v17
	v_min_f32_e32 v17, v17, v21
	v_max_f32_e32 v21, v0, v0
	v_max_f32_e32 v16, v16, v16
	v_min_f32_e32 v16, v16, v21
	;; [unrolled: 3-line block ×3, first 2 shown]
	v_max_f32_e32 v21, v2, v2
	v_max_f32_e32 v18, v18, v18
	v_pk_add_f32 v[16:17], v[54:55], v[16:17]
	v_min_f32_e32 v18, v18, v21
	v_pk_add_f32 v[16:17], v[16:17], v[18:19]
	s_nop 0
	v_add_f32_e32 v16, v16, v17
	v_add_f32_e32 v18, v16, v20
	v_lshl_add_u64 v[16:17], v[106:107], 2, v[36:37]
	global_store_dword v[16:17], v18, off
	s_or_b64 exec, exec, s[2:3]
	s_and_b64 s[4:5], s[12:13], s[18:19]
	s_and_saveexec_b64 s[2:3], s[4:5]
	s_cbranch_execz .LBB81_160
.LBB81_183:
	s_and_b64 vcc, exec, s[0:1]
	s_cbranch_vccnz .LBB81_185
; %bb.184:
	v_lshl_add_u64 v[16:17], v[108:109], 2, v[38:39]
	flat_load_dword v16, v[16:17]
	s_waitcnt vmcnt(0) lgkmcnt(0)
	v_mul_f32_e32 v16, s30, v16
	s_branch .LBB81_186
.LBB81_185:
	v_mov_b32_e32 v16, 0
.LBB81_186:
	v_max_f32_e32 v17, v1, v1
	v_max_f32_e32 v13, v13, v13
	v_min_f32_e32 v13, v13, v17
	v_max_f32_e32 v17, v0, v0
	v_max_f32_e32 v12, v12, v12
	v_min_f32_e32 v12, v12, v17
	;; [unrolled: 3-line block ×3, first 2 shown]
	v_max_f32_e32 v17, v2, v2
	v_max_f32_e32 v14, v14, v14
	v_pk_add_f32 v[12:13], v[52:53], v[12:13]
	v_min_f32_e32 v14, v14, v17
	v_pk_add_f32 v[12:13], v[12:13], v[14:15]
	s_nop 0
	v_add_f32_e32 v12, v12, v13
	v_add_f32_e32 v14, v12, v16
	v_lshl_add_u64 v[12:13], v[108:109], 2, v[36:37]
	global_store_dword v[12:13], v14, off
	s_or_b64 exec, exec, s[2:3]
	s_and_b64 s[4:5], s[14:15], s[18:19]
	s_and_saveexec_b64 s[2:3], s[4:5]
	s_cbranch_execz .LBB81_161
.LBB81_187:
	s_and_b64 vcc, exec, s[0:1]
	s_cbranch_vccnz .LBB81_189
; %bb.188:
	v_lshl_add_u64 v[12:13], v[110:111], 2, v[38:39]
	flat_load_dword v12, v[12:13]
	s_waitcnt vmcnt(0) lgkmcnt(0)
	v_mul_f32_e32 v12, s30, v12
	s_branch .LBB81_190
.LBB81_189:
	v_mov_b32_e32 v12, 0
.LBB81_190:
	v_max_f32_e32 v13, v1, v1
	v_max_f32_e32 v9, v9, v9
	v_min_f32_e32 v9, v9, v13
	v_max_f32_e32 v13, v0, v0
	v_max_f32_e32 v8, v8, v8
	v_min_f32_e32 v8, v8, v13
	;; [unrolled: 3-line block ×3, first 2 shown]
	v_max_f32_e32 v13, v2, v2
	v_max_f32_e32 v10, v10, v10
	v_pk_add_f32 v[8:9], v[50:51], v[8:9]
	v_min_f32_e32 v10, v10, v13
	v_pk_add_f32 v[8:9], v[8:9], v[10:11]
	s_nop 0
	v_add_f32_e32 v8, v8, v9
	v_add_f32_e32 v10, v8, v12
	v_lshl_add_u64 v[8:9], v[110:111], 2, v[36:37]
	global_store_dword v[8:9], v10, off
	s_or_b64 exec, exec, s[2:3]
	s_and_b64 s[2:3], s[16:17], s[18:19]
	s_and_saveexec_b64 s[4:5], s[2:3]
	s_cbranch_execz .LBB81_162
.LBB81_191:
	s_and_b64 vcc, exec, s[0:1]
	s_cbranch_vccnz .LBB81_193
; %bb.192:
	v_lshl_add_u64 v[8:9], v[112:113], 2, v[38:39]
	flat_load_dword v8, v[8:9]
	s_waitcnt vmcnt(0) lgkmcnt(0)
	v_mul_f32_e32 v8, s30, v8
	s_branch .LBB81_194
.LBB81_193:
	v_mov_b32_e32 v8, 0
.LBB81_194:
	v_max_f32_e32 v0, v0, v0
	v_max_f32_e32 v4, v4, v4
	;; [unrolled: 1-line block ×4, first 2 shown]
	v_min_f32_e32 v0, v4, v0
	v_max_f32_e32 v3, v3, v3
	v_max_f32_e32 v4, v7, v7
	v_min_f32_e32 v1, v5, v1
	v_min_f32_e32 v3, v4, v3
	v_max_f32_e32 v2, v2, v2
	v_max_f32_e32 v4, v6, v6
	v_pk_add_f32 v[0:1], v[48:49], v[0:1]
	v_min_f32_e32 v2, v4, v2
	v_pk_add_f32 v[0:1], v[0:1], v[2:3]
	s_nop 0
	v_add_f32_e32 v0, v0, v1
	v_add_f32_e32 v2, v0, v8
	v_lshl_add_u64 v[0:1], v[112:113], 2, v[36:37]
	global_store_dword v[0:1], v2, off
	s_endpgm
	.section	.rodata,"a",@progbits
	.p2align	6, 0x0
	.amdhsa_kernel _ZN12_GLOBAL__N_120geam_min_plus_kernelIf15HIP_vector_typeIfLj2EES2_Li8ELi32ELi64ELi128ELi4ELi64ELi4ELi4ELi64ELc78ELc78ELb0ELb1ELb0EPKfS3_fEEviiiT16_PT17_ilS7_ilS5_S7_ilPT18_ili26rocblas_geam_ex_operation_
		.amdhsa_group_segment_fixed_size 6144
		.amdhsa_private_segment_fixed_size 0
		.amdhsa_kernarg_size 136
		.amdhsa_user_sgpr_count 2
		.amdhsa_user_sgpr_dispatch_ptr 0
		.amdhsa_user_sgpr_queue_ptr 0
		.amdhsa_user_sgpr_kernarg_segment_ptr 1
		.amdhsa_user_sgpr_dispatch_id 0
		.amdhsa_user_sgpr_kernarg_preload_length 0
		.amdhsa_user_sgpr_kernarg_preload_offset 0
		.amdhsa_user_sgpr_private_segment_size 0
		.amdhsa_uses_dynamic_stack 0
		.amdhsa_enable_private_segment 0
		.amdhsa_system_sgpr_workgroup_id_x 1
		.amdhsa_system_sgpr_workgroup_id_y 0
		.amdhsa_system_sgpr_workgroup_id_z 1
		.amdhsa_system_sgpr_workgroup_info 0
		.amdhsa_system_vgpr_workitem_id 1
		.amdhsa_next_free_vgpr 226
		.amdhsa_next_free_sgpr 38
		.amdhsa_accum_offset 228
		.amdhsa_reserve_vcc 1
		.amdhsa_float_round_mode_32 0
		.amdhsa_float_round_mode_16_64 0
		.amdhsa_float_denorm_mode_32 3
		.amdhsa_float_denorm_mode_16_64 3
		.amdhsa_dx10_clamp 1
		.amdhsa_ieee_mode 1
		.amdhsa_fp16_overflow 0
		.amdhsa_tg_split 0
		.amdhsa_exception_fp_ieee_invalid_op 0
		.amdhsa_exception_fp_denorm_src 0
		.amdhsa_exception_fp_ieee_div_zero 0
		.amdhsa_exception_fp_ieee_overflow 0
		.amdhsa_exception_fp_ieee_underflow 0
		.amdhsa_exception_fp_ieee_inexact 0
		.amdhsa_exception_int_div_zero 0
	.end_amdhsa_kernel
	.section	.text._ZN12_GLOBAL__N_120geam_min_plus_kernelIf15HIP_vector_typeIfLj2EES2_Li8ELi32ELi64ELi128ELi4ELi64ELi4ELi4ELi64ELc78ELc78ELb0ELb1ELb0EPKfS3_fEEviiiT16_PT17_ilS7_ilS5_S7_ilPT18_ili26rocblas_geam_ex_operation_,"axG",@progbits,_ZN12_GLOBAL__N_120geam_min_plus_kernelIf15HIP_vector_typeIfLj2EES2_Li8ELi32ELi64ELi128ELi4ELi64ELi4ELi4ELi64ELc78ELc78ELb0ELb1ELb0EPKfS3_fEEviiiT16_PT17_ilS7_ilS5_S7_ilPT18_ili26rocblas_geam_ex_operation_,comdat
.Lfunc_end81:
	.size	_ZN12_GLOBAL__N_120geam_min_plus_kernelIf15HIP_vector_typeIfLj2EES2_Li8ELi32ELi64ELi128ELi4ELi64ELi4ELi4ELi64ELc78ELc78ELb0ELb1ELb0EPKfS3_fEEviiiT16_PT17_ilS7_ilS5_S7_ilPT18_ili26rocblas_geam_ex_operation_, .Lfunc_end81-_ZN12_GLOBAL__N_120geam_min_plus_kernelIf15HIP_vector_typeIfLj2EES2_Li8ELi32ELi64ELi128ELi4ELi64ELi4ELi4ELi64ELc78ELc78ELb0ELb1ELb0EPKfS3_fEEviiiT16_PT17_ilS7_ilS5_S7_ilPT18_ili26rocblas_geam_ex_operation_
                                        ; -- End function
	.section	.AMDGPU.csdata,"",@progbits
; Kernel info:
; codeLenInByte = 11216
; NumSgprs: 44
; NumVgprs: 226
; NumAgprs: 0
; TotalNumVgprs: 226
; ScratchSize: 0
; MemoryBound: 0
; FloatMode: 240
; IeeeMode: 1
; LDSByteSize: 6144 bytes/workgroup (compile time only)
; SGPRBlocks: 5
; VGPRBlocks: 28
; NumSGPRsForWavesPerEU: 44
; NumVGPRsForWavesPerEU: 226
; AccumOffset: 228
; Occupancy: 2
; WaveLimiterHint : 0
; COMPUTE_PGM_RSRC2:SCRATCH_EN: 0
; COMPUTE_PGM_RSRC2:USER_SGPR: 2
; COMPUTE_PGM_RSRC2:TRAP_HANDLER: 0
; COMPUTE_PGM_RSRC2:TGID_X_EN: 1
; COMPUTE_PGM_RSRC2:TGID_Y_EN: 0
; COMPUTE_PGM_RSRC2:TGID_Z_EN: 1
; COMPUTE_PGM_RSRC2:TIDIG_COMP_CNT: 1
; COMPUTE_PGM_RSRC3_GFX90A:ACCUM_OFFSET: 56
; COMPUTE_PGM_RSRC3_GFX90A:TG_SPLIT: 0
	.section	.text._ZN12_GLOBAL__N_120geam_min_plus_kernelIf15HIP_vector_typeIfLj2EES2_Li8ELi32ELi64ELi128ELi4ELi64ELi4ELi4ELi64ELc78ELc78ELb1ELb1ELb0EfKffEEviiiT16_PT17_ilS6_ilS4_S6_ilPT18_ili26rocblas_geam_ex_operation_,"axG",@progbits,_ZN12_GLOBAL__N_120geam_min_plus_kernelIf15HIP_vector_typeIfLj2EES2_Li8ELi32ELi64ELi128ELi4ELi64ELi4ELi4ELi64ELc78ELc78ELb1ELb1ELb0EfKffEEviiiT16_PT17_ilS6_ilS4_S6_ilPT18_ili26rocblas_geam_ex_operation_,comdat
	.globl	_ZN12_GLOBAL__N_120geam_min_plus_kernelIf15HIP_vector_typeIfLj2EES2_Li8ELi32ELi64ELi128ELi4ELi64ELi4ELi4ELi64ELc78ELc78ELb1ELb1ELb0EfKffEEviiiT16_PT17_ilS6_ilS4_S6_ilPT18_ili26rocblas_geam_ex_operation_ ; -- Begin function _ZN12_GLOBAL__N_120geam_min_plus_kernelIf15HIP_vector_typeIfLj2EES2_Li8ELi32ELi64ELi128ELi4ELi64ELi4ELi4ELi64ELc78ELc78ELb1ELb1ELb0EfKffEEviiiT16_PT17_ilS6_ilS4_S6_ilPT18_ili26rocblas_geam_ex_operation_
	.p2align	8
	.type	_ZN12_GLOBAL__N_120geam_min_plus_kernelIf15HIP_vector_typeIfLj2EES2_Li8ELi32ELi64ELi128ELi4ELi64ELi4ELi4ELi64ELc78ELc78ELb1ELb1ELb0EfKffEEviiiT16_PT17_ilS6_ilS4_S6_ilPT18_ili26rocblas_geam_ex_operation_,@function
_ZN12_GLOBAL__N_120geam_min_plus_kernelIf15HIP_vector_typeIfLj2EES2_Li8ELi32ELi64ELi128ELi4ELi64ELi4ELi4ELi64ELc78ELc78ELb1ELb1ELb0EfKffEEviiiT16_PT17_ilS6_ilS4_S6_ilPT18_ili26rocblas_geam_ex_operation_: ; @_ZN12_GLOBAL__N_120geam_min_plus_kernelIf15HIP_vector_typeIfLj2EES2_Li8ELi32ELi64ELi128ELi4ELi64ELi4ELi4ELi64ELc78ELc78ELb1ELb1ELb0EfKffEEviiiT16_PT17_ilS6_ilS4_S6_ilPT18_ili26rocblas_geam_ex_operation_
; %bb.0:
	s_load_dwordx4 s[20:23], s[0:1], 0x0
	s_load_dwordx4 s[4:7], s[0:1], 0x20
	s_waitcnt lgkmcnt(0)
	v_cmp_eq_f32_e64 s[8:9], s23, 0
	s_and_b64 vcc, exec, s[8:9]
	s_cbranch_vccnz .LBB82_3
; %bb.1:
	s_load_dwordx2 s[10:11], s[0:1], 0x10
	s_mul_i32 s5, s3, s5
	s_mul_hi_u32 s12, s3, s4
	s_add_i32 s5, s12, s5
	s_mul_i32 s4, s3, s4
	s_lshl_b64 s[4:5], s[4:5], 2
	s_waitcnt lgkmcnt(0)
	s_add_u32 s18, s10, s4
	s_addc_u32 s19, s11, s5
	s_andn2_b64 vcc, exec, s[8:9]
	s_cbranch_vccnz .LBB82_4
.LBB82_2:
	s_mov_b32 s13, 0
	s_mov_b64 s[26:27], 0
	s_cbranch_execz .LBB82_5
	s_branch .LBB82_6
.LBB82_3:
	s_mov_b64 s[18:19], 0
	s_andn2_b64 vcc, exec, s[8:9]
	s_cbranch_vccz .LBB82_2
.LBB82_4:
                                        ; implicit-def: $sgpr26_sgpr27
                                        ; implicit-def: $sgpr12_sgpr13
.LBB82_5:
	s_load_dwordx2 s[4:5], s[0:1], 0x38
	s_mov_b32 s13, 0
	s_waitcnt lgkmcnt(0)
	s_mul_i32 s5, s3, s5
	s_mul_hi_u32 s8, s3, s4
	s_add_i32 s5, s8, s5
	s_mul_i32 s4, s3, s4
	s_lshl_b64 s[4:5], s[4:5], 2
	s_add_u32 s26, s6, s4
	s_addc_u32 s27, s7, s5
.LBB82_6:
	s_load_dword s30, s[0:1], 0x40
	s_load_dwordx4 s[8:11], s[0:1], 0x58
	s_waitcnt lgkmcnt(0)
	v_cmp_eq_f32_e64 s[4:5], s30, 0
	v_cmp_neq_f32_e64 s[14:15], s30, 0
	s_and_b64 vcc, exec, s[4:5]
	s_cbranch_vccnz .LBB82_8
; %bb.7:
	s_load_dwordx2 s[4:5], s[0:1], 0x48
	s_mul_i32 s6, s3, s9
	s_mul_hi_u32 s7, s3, s8
	s_add_i32 s6, s7, s6
	s_mul_i32 s7, s13, s8
	s_add_i32 s7, s6, s7
	s_mul_i32 s6, s3, s8
	s_lshl_b64 s[6:7], s[6:7], 2
	s_waitcnt lgkmcnt(0)
	s_add_u32 s24, s4, s6
	s_addc_u32 s25, s5, s7
	s_branch .LBB82_9
.LBB82_8:
	s_mov_b64 s[24:25], 0
.LBB82_9:
	s_add_i32 s4, s20, -1
	s_ashr_i32 s5, s4, 31
	s_lshr_b32 s5, s5, 26
	s_add_i32 s4, s4, s5
	s_ashr_i32 s4, s4, 6
	s_add_i32 s5, s4, 1
	v_cvt_f32_u32_e32 v1, s5
	v_and_b32_e32 v206, 0x3ff, v0
	v_bfe_u32 v207, v0, 10, 10
	s_not_b32 s4, s4
	v_rcp_iflag_f32_e32 v1, v1
	s_load_dword s28, s[0:1], 0x18
	v_lshl_add_u32 v2, v207, 3, v206
	v_and_b32_e32 v9, 63, v2
	v_mul_f32_e32 v0, 0x4f7ffffe, v1
	v_cvt_u32_f32_e32 v0, v0
	s_waitcnt lgkmcnt(0)
	s_ashr_i32 s29, s28, 31
	v_lshrrev_b32_e32 v208, 6, v2
	v_mov_b32_e32 v73, 0
	v_readfirstlane_b32 s6, v0
	s_mul_i32 s4, s4, s6
	s_mul_hi_u32 s4, s6, s4
	s_add_i32 s6, s6, s4
	s_mul_hi_u32 s4, s2, s6
	s_mul_i32 s6, s4, s5
	s_sub_i32 s6, s2, s6
	s_add_i32 s7, s4, 1
	s_sub_i32 s8, s6, s5
	s_cmp_ge_u32 s6, s5
	s_cselect_b32 s4, s7, s4
	s_cselect_b32 s6, s8, s6
	s_add_i32 s7, s4, 1
	s_cmp_ge_u32 s6, s5
	s_cselect_b32 s8, s7, s4
	s_mul_i32 s4, s8, s5
	s_sub_i32 s2, s2, s4
	s_lshl_b32 s2, s2, 6
	v_or_b32_e32 v0, s2, v9
	v_cmp_gt_i32_e32 vcc, s20, v0
	v_cmp_gt_i32_e64 s[6:7], s22, v208
	v_cmp_le_i32_e64 s[4:5], s20, v0
	s_and_b64 s[16:17], s[6:7], vcc
	v_ashrrev_i32_e32 v1, 31, v0
	v_mov_b32_e32 v10, 0
	s_and_saveexec_b64 s[6:7], s[16:17]
	s_cbranch_execz .LBB82_11
; %bb.10:
	v_mad_i64_i32 v[4:5], s[16:17], s28, v208, 0
	v_lshl_add_u64 v[4:5], v[4:5], 2, s[18:19]
	v_lshl_add_u64 v[4:5], v[0:1], 2, v[4:5]
	flat_load_dword v10, v[4:5]
.LBB82_11:
	s_or_b64 exec, exec, s[6:7]
	s_load_dword s31, s[0:1], 0x30
	v_lshrrev_b32_e32 v11, 2, v2
	s_lshl_b32 s12, s8, 7
	v_and_b32_e32 v211, 3, v206
	v_add_u32_e32 v4, s12, v11
	v_cmp_le_i32_e64 s[6:7], s22, v211
	v_cmp_le_i32_e32 vcc, s21, v4
	v_lshlrev_b32_e32 v72, 2, v211
	s_or_b64 s[8:9], s[6:7], vcc
	v_lshl_add_u64 v[2:3], s[26:27], 0, v[72:73]
	s_xor_b64 s[16:17], s[8:9], -1
	s_and_saveexec_b64 s[8:9], s[16:17]
	s_cbranch_execz .LBB82_13
; %bb.12:
	s_waitcnt lgkmcnt(0)
	v_mad_i64_i32 v[6:7], s[16:17], v4, s31, 0
	v_lshl_add_u64 v[6:7], v[6:7], 2, v[2:3]
	flat_load_dword v73, v[6:7]
.LBB82_13:
	s_or_b64 exec, exec, s[8:9]
	v_add_u32_e32 v5, 64, v4
	v_cmp_le_i32_e64 s[8:9], s21, v5
	s_or_b64 s[6:7], s[6:7], s[8:9]
	s_xor_b64 s[16:17], s[6:7], -1
	v_mov_b32_e32 v6, 0
	v_mov_b32_e32 v12, 0
	s_and_saveexec_b64 s[6:7], s[16:17]
	s_cbranch_execz .LBB82_15
; %bb.14:
	s_waitcnt lgkmcnt(0)
	v_mad_i64_i32 v[12:13], s[16:17], v5, s31, 0
	v_lshl_add_u64 v[12:13], v[12:13], 2, v[2:3]
	flat_load_dword v12, v[12:13]
.LBB82_15:
	s_or_b64 exec, exec, s[6:7]
	v_add_u32_e32 v7, 4, v208
	v_cmp_gt_i32_e64 s[6:7], s22, v7
	s_xor_b64 s[16:17], s[4:5], -1
	s_and_b64 s[6:7], s[16:17], s[6:7]
	s_and_saveexec_b64 s[4:5], s[6:7]
	s_cbranch_execz .LBB82_17
; %bb.16:
	v_mad_u64_u32 v[14:15], s[6:7], s28, v7, 0
	v_mov_b32_e32 v6, v15
	v_mad_u64_u32 v[6:7], s[6:7], s29, v7, v[6:7]
	v_mov_b32_e32 v15, v6
	v_lshl_add_u64 v[6:7], v[14:15], 2, s[18:19]
	v_lshl_add_u64 v[6:7], v[0:1], 2, v[6:7]
	flat_load_dword v6, v[6:7]
.LBB82_17:
	s_or_b64 exec, exec, s[4:5]
	v_or_b32_e32 v7, 4, v211
	v_cmp_le_i32_e64 s[4:5], s22, v7
	s_or_b64 s[6:7], s[4:5], vcc
	s_xor_b64 s[34:35], s[6:7], -1
	v_mov_b32_e32 v7, 0
	v_mov_b32_e32 v8, 0
	s_and_saveexec_b64 s[6:7], s[34:35]
	s_cbranch_execz .LBB82_19
; %bb.18:
	s_waitcnt lgkmcnt(0)
	v_mad_i64_i32 v[14:15], s[34:35], v4, s31, 0
	v_lshl_add_u64 v[14:15], v[14:15], 2, v[2:3]
	flat_load_dword v8, v[14:15] offset:16
.LBB82_19:
	s_or_b64 exec, exec, s[6:7]
	s_or_b64 s[4:5], s[4:5], s[8:9]
	s_xor_b64 s[6:7], s[4:5], -1
	s_and_saveexec_b64 s[4:5], s[6:7]
	s_cbranch_execz .LBB82_21
; %bb.20:
	s_waitcnt lgkmcnt(0)
	v_mad_i64_i32 v[14:15], s[6:7], v5, s31, 0
	v_lshl_add_u64 v[2:3], v[14:15], 2, v[2:3]
	flat_load_dword v7, v[2:3] offset:16
.LBB82_21:
	s_or_b64 exec, exec, s[4:5]
	v_lshlrev_b32_e32 v2, 4, v9
	v_lshl_add_u32 v2, v208, 2, v2
	v_lshl_or_b32 v212, v11, 4, v72
	v_lshlrev_b32_e32 v210, 4, v207
	s_waitcnt vmcnt(0) lgkmcnt(0)
	ds_write_b32 v2, v10 offset:4096
	ds_write2st64_b32 v212, v73, v12 offset1:4
	s_waitcnt lgkmcnt(0)
	s_barrier
	ds_read_b128 v[10:13], v210
	v_lshlrev_b32_e32 v209, 4, v206
	ds_read_b128 v[14:17], v209 offset:4992
	ds_read_b128 v[18:21], v210 offset:512
	;; [unrolled: 1-line block ×5, first 2 shown]
	s_waitcnt lgkmcnt(5)
	v_max_f32_e32 v3, v11, v11
	s_waitcnt lgkmcnt(4)
	v_max_f32_e32 v9, v15, v15
	v_max_f32_e32 v56, v10, v10
	;; [unrolled: 1-line block ×3, first 2 shown]
	ds_read_b128 v[34:37], v209 offset:4096
	ds_read_b128 v[38:41], v209 offset:4224
	v_max_f32_e32 v73, v13, v13
	v_max_f32_e32 v124, v17, v17
	;; [unrolled: 1-line block ×4, first 2 shown]
	ds_read_b128 v[10:13], v209 offset:4352
	ds_read_b128 v[14:17], v209 offset:4480
	s_waitcnt lgkmcnt(4)
	v_max_f32_e32 v128, v33, v33
	v_max_f32_e32 v129, v32, v32
	s_waitcnt lgkmcnt(2)
	v_max_f32_e32 v70, v40, v40
	s_waitcnt lgkmcnt(1)
	v_max_f32_e32 v32, v10, v10
	v_max_f32_e32 v33, v11, v11
	s_waitcnt lgkmcnt(0)
	v_max_f32_e32 v42, v14, v14
	v_max_f32_e32 v74, v12, v12
	;; [unrolled: 1-line block ×3, first 2 shown]
	ds_read_b128 v[10:13], v209 offset:4608
	v_max_f32_e32 v40, v15, v15
	v_max_f32_e32 v86, v16, v16
	v_max_f32_e32 v87, v17, v17
	ds_read_b128 v[14:17], v209 offset:4736
	v_max_f32_e32 v58, v19, v19
	v_max_f32_e32 v59, v18, v18
	;; [unrolled: 1-line block ×6, first 2 shown]
	s_waitcnt lgkmcnt(0)
	v_max_f32_e32 v54, v14, v14
	v_max_f32_e32 v55, v15, v15
	;; [unrolled: 1-line block ×10, first 2 shown]
	v_min_f32_e32 v50, v54, v56
	v_min_f32_e32 v51, v55, v3
	v_min_f32_e32 v52, v54, v59
	v_min_f32_e32 v53, v55, v58
	v_min_f32_e32 v66, v54, v62
	v_min_f32_e32 v67, v55, v61
	v_min_f32_e32 v85, v55, v63
	v_min_f32_e32 v84, v54, v64
	v_min_f32_e32 v55, v9, v3
	v_min_f32_e32 v54, v60, v56
	v_max_f32_e32 v126, v21, v21
	v_max_f32_e32 v127, v20, v20
	;; [unrolled: 1-line block ×11, first 2 shown]
	v_min_f32_e32 v10, v18, v56
	v_min_f32_e32 v12, v18, v59
	;; [unrolled: 1-line block ×37, first 2 shown]
	v_pk_add_f32 v[54:55], v[54:55], 0 op_sel_hi:[1,0]
	v_min_f32_e32 v61, v124, v73
	v_min_f32_e32 v60, v125, v112
	v_pk_add_f32 v[98:99], v[54:55], v[60:61]
	v_pk_add_f32 v[54:55], v[56:57], 0 op_sel_hi:[1,0]
	v_min_f32_e32 v57, v124, v126
	v_min_f32_e32 v56, v125, v127
	;; [unrolled: 1-line block ×3, first 2 shown]
	v_pk_add_f32 v[82:83], v[54:55], v[56:57]
	v_pk_add_f32 v[54:55], v[58:59], 0 op_sel_hi:[1,0]
	v_min_f32_e32 v57, v124, v128
	v_min_f32_e32 v56, v125, v129
	;; [unrolled: 1-line block ×8, first 2 shown]
	v_pk_add_f32 v[64:65], v[54:55], v[56:57]
	v_pk_add_f32 v[10:11], v[10:11], 0 op_sel_hi:[1,0]
	v_min_f32_e32 v54, v68, v112
	v_min_f32_e32 v55, v69, v73
	v_pk_add_f32 v[122:123], v[10:11], v[54:55]
	v_pk_add_f32 v[10:11], v[12:13], 0 op_sel_hi:[1,0]
	v_min_f32_e32 v12, v68, v127
	v_min_f32_e32 v13, v69, v126
	v_max_f32_e32 v132, v17, v17
	v_min_f32_e32 v17, v19, v63
	v_pk_add_f32 v[96:97], v[10:11], v[12:13]
	v_pk_add_f32 v[10:11], v[14:15], 0 op_sel_hi:[1,0]
	v_min_f32_e32 v12, v68, v129
	v_min_f32_e32 v13, v69, v128
	v_min_f32_e32 v19, v27, v3
	v_pk_add_f32 v[80:81], v[10:11], v[12:13]
	v_min_f32_e32 v11, v69, v130
	v_min_f32_e32 v10, v68, v131
	v_pk_add_f32 v[12:13], v[16:17], 0 op_sel_hi:[1,0]
	v_max_f32_e32 v134, v25, v25
	v_min_f32_e32 v25, v27, v63
	v_min_f32_e32 v27, v33, v3
	;; [unrolled: 1-line block ×7, first 2 shown]
	v_pk_add_f32 v[62:63], v[12:13], v[10:11]
	v_pk_add_f32 v[10:11], v[18:19], 0 op_sel_hi:[1,0]
	v_min_f32_e32 v12, v70, v112
	v_min_f32_e32 v13, v71, v73
	v_pk_add_f32 v[120:121], v[10:11], v[12:13]
	v_pk_add_f32 v[10:11], v[20:21], 0 op_sel_hi:[1,0]
	v_min_f32_e32 v12, v70, v127
	v_min_f32_e32 v13, v71, v126
	;; [unrolled: 4-line block ×3, first 2 shown]
	v_pk_add_f32 v[78:79], v[10:11], v[12:13]
	v_min_f32_e32 v11, v71, v130
	v_min_f32_e32 v10, v70, v131
	v_pk_add_f32 v[12:13], v[24:25], 0 op_sel_hi:[1,0]
	v_min_f32_e32 v101, v76, v3
	v_pk_add_f32 v[60:61], v[12:13], v[10:11]
	v_pk_add_f32 v[10:11], v[26:27], 0 op_sel_hi:[1,0]
	v_min_f32_e32 v12, v74, v112
	v_min_f32_e32 v13, v75, v73
	v_pk_add_f32 v[118:119], v[10:11], v[12:13]
	v_pk_add_f32 v[10:11], v[28:29], 0 op_sel_hi:[1,0]
	v_min_f32_e32 v12, v74, v127
	;; [unrolled: 4-line block ×3, first 2 shown]
	v_min_f32_e32 v13, v75, v128
	v_pk_add_f32 v[76:77], v[10:11], v[12:13]
	v_min_f32_e32 v11, v75, v130
	v_min_f32_e32 v10, v74, v131
	v_pk_add_f32 v[12:13], v[32:33], 0 op_sel_hi:[1,0]
	s_cmp_lt_i32 s22, 9
	v_pk_add_f32 v[58:59], v[12:13], v[10:11]
	v_pk_add_f32 v[10:11], v[34:35], 0 op_sel_hi:[1,0]
	v_min_f32_e32 v12, v86, v112
	v_min_f32_e32 v13, v87, v73
	v_pk_add_f32 v[116:117], v[10:11], v[12:13]
	v_pk_add_f32 v[10:11], v[36:37], 0 op_sel_hi:[1,0]
	v_min_f32_e32 v12, v86, v127
	v_min_f32_e32 v13, v87, v126
	;; [unrolled: 4-line block ×3, first 2 shown]
	v_pk_add_f32 v[74:75], v[10:11], v[12:13]
	v_min_f32_e32 v11, v87, v130
	v_min_f32_e32 v10, v86, v131
	v_pk_add_f32 v[12:13], v[40:41], 0 op_sel_hi:[1,0]
	ds_write2st64_b32 v212, v8, v7 offset0:8 offset1:12
	ds_write_b32 v2, v6 offset:5120
	v_pk_add_f32 v[56:57], v[12:13], v[10:11]
	v_pk_add_f32 v[10:11], v[42:43], 0 op_sel_hi:[1,0]
	v_min_f32_e32 v12, v110, v112
	v_min_f32_e32 v13, v111, v73
	v_pk_add_f32 v[114:115], v[10:11], v[12:13]
	v_pk_add_f32 v[10:11], v[44:45], 0 op_sel_hi:[1,0]
	v_min_f32_e32 v12, v110, v127
	v_min_f32_e32 v13, v111, v126
	;; [unrolled: 4-line block ×3, first 2 shown]
	v_pk_add_f32 v[70:71], v[10:11], v[12:13]
	v_min_f32_e32 v11, v111, v130
	v_min_f32_e32 v10, v110, v131
	v_pk_add_f32 v[12:13], v[48:49], 0 op_sel_hi:[1,0]
	s_waitcnt lgkmcnt(0)
	v_pk_add_f32 v[54:55], v[12:13], v[10:11]
	v_pk_add_f32 v[10:11], v[50:51], 0 op_sel_hi:[1,0]
	v_min_f32_e32 v12, v113, v112
	v_min_f32_e32 v13, v132, v73
	v_pk_add_f32 v[110:111], v[10:11], v[12:13]
	v_pk_add_f32 v[10:11], v[52:53], 0 op_sel_hi:[1,0]
	v_min_f32_e32 v12, v113, v127
	v_min_f32_e32 v13, v132, v126
	v_pk_add_f32 v[86:87], v[10:11], v[12:13]
	v_pk_add_f32 v[10:11], v[66:67], 0 op_sel_hi:[1,0]
	v_min_f32_e32 v12, v113, v129
	v_min_f32_e32 v13, v132, v128
	v_pk_add_f32 v[68:69], v[10:11], v[12:13]
	v_min_f32_e32 v11, v132, v130
	v_min_f32_e32 v10, v113, v131
	v_pk_add_f32 v[12:13], v[84:85], 0 op_sel_hi:[1,0]
	s_barrier
	v_pk_add_f32 v[52:53], v[12:13], v[10:11]
	v_min_f32_e32 v10, v133, v112
	v_min_f32_e32 v11, v134, v73
	v_pk_add_f32 v[12:13], v[100:101], 0 op_sel_hi:[1,0]
	s_nop 0
	v_pk_add_f32 v[112:113], v[12:13], v[10:11]
	v_min_f32_e32 v10, v133, v127
	v_min_f32_e32 v11, v134, v126
	v_pk_add_f32 v[12:13], v[102:103], 0 op_sel_hi:[1,0]
	s_nop 0
	;; [unrolled: 5-line block ×5, first 2 shown]
	v_pk_add_f32 v[48:49], v[12:13], v[10:11]
	s_cbranch_scc1 .LBB82_36
; %bb.22:
	v_lshl_add_u64 v[100:101], v[0:1], 2, s[18:19]
	v_mov_b32_e32 v0, 0x1400
	v_lshl_add_u32 v217, v206, 4, v0
	v_mov_b32_e32 v0, 0x800
	v_lshl_add_u32 v218, v207, 4, v0
	v_mad_i64_i32 v[0:1], s[4:5], s31, v4, 0
	v_lshl_add_u64 v[102:103], v[0:1], 2, s[26:27]
	v_mad_i64_i32 v[0:1], s[4:5], s31, v5, 0
	v_lshl_add_u64 v[104:105], v[0:1], 2, s[26:27]
	v_add_u32_e32 v0, 12, v208
	v_mad_i64_i32 v[0:1], s[4:5], v0, s28, 0
	v_lshlrev_b64 v[106:107], 2, v[0:1]
	v_add_u32_e32 v0, 8, v208
	v_mad_i64_i32 v[0:1], s[4:5], v0, s28, 0
	v_or_b32_e32 v213, 0x1000, v2
	v_add_u32_e32 v214, 0x1000, v209
	v_add_u32_e32 v215, 0x1400, v2
	;; [unrolled: 1-line block ×3, first 2 shown]
	s_add_i32 s23, s22, -8
	v_mov_b32_e32 v73, 0
	s_lshl_b64 s[6:7], s[28:29], 5
	v_lshlrev_b64 v[108:109], 2, v[0:1]
	s_mov_b32 s26, 0
	s_branch .LBB82_24
.LBB82_23:                              ;   in Loop: Header=BB82_24 Depth=1
	s_or_b64 exec, exec, s[4:5]
	v_pk_add_f32 v[40:41], v[98:99], v[40:41]
	v_pk_add_f32 v[32:33], v[64:65], v[32:33]
	;; [unrolled: 1-line block ×19, first 2 shown]
	ds_read_b128 v[0:3], v210
	ds_read_b128 v[8:11], v210 offset:512
	v_pk_add_f32 v[20:21], v[122:123], v[6:7]
	ds_read_b128 v[4:7], v214 offset:896
	v_pk_add_f32 v[44:45], v[96:97], v[44:45]
	v_pk_add_f32 v[28:29], v[80:81], v[28:29]
	;; [unrolled: 1-line block ×20, first 2 shown]
	ds_read_b128 v[12:15], v214 offset:768
	s_waitcnt lgkmcnt(0)
	v_max_f32_e32 v95, v5, v5
	v_max_f32_e32 v97, v4, v4
	;; [unrolled: 1-line block ×4, first 2 shown]
	v_pk_add_f32 v[78:79], v[36:37], v[38:39]
	v_pk_add_f32 v[74:75], v[28:29], v[30:31]
	;; [unrolled: 1-line block ×6, first 2 shown]
	ds_read_b128 v[82:85], v210 offset:1536
	ds_read_b128 v[86:89], v210 offset:1024
	v_min_f32_e32 v5, v95, v98
	v_min_f32_e32 v4, v97, v99
	v_pk_add_f32 v[60:61], v[62:63], v[170:171]
	v_pk_add_f32 v[62:63], v[80:81], v[168:169]
	;; [unrolled: 1-line block ×3, first 2 shown]
	ds_read_b128 v[78:81], v214
	v_pk_add_f32 v[92:93], v[92:93], v[134:135]
	v_pk_add_f32 v[90:91], v[90:91], v[140:141]
	;; [unrolled: 1-line block ×3, first 2 shown]
	s_waitcnt lgkmcnt(0)
	v_max_f32_e32 v116, v87, v87
	v_max_f32_e32 v117, v86, v86
	v_pk_add_f32 v[118:119], v[54:55], v[150:151]
	v_pk_add_f32 v[54:55], v[92:93], v[174:175]
	;; [unrolled: 1-line block ×3, first 2 shown]
	ds_read_b128 v[90:93], v214 offset:128
	v_max_f32_e32 v94, v1, v1
	v_max_f32_e32 v96, v0, v0
	v_min_f32_e32 v9, v95, v116
	v_min_f32_e32 v8, v97, v117
	v_max_f32_e32 v86, v78, v78
	v_max_f32_e32 v87, v79, v79
	v_pk_add_f32 v[8:9], v[76:77], v[8:9]
	v_min_f32_e32 v76, v86, v96
	v_min_f32_e32 v77, v87, v94
	v_pk_add_f32 v[76:77], v[68:69], v[76:77]
	v_min_f32_e32 v68, v86, v99
	v_min_f32_e32 v69, v87, v98
	;; [unrolled: 3-line block ×3, first 2 shown]
	v_max_f32_e32 v83, v83, v83
	v_max_f32_e32 v82, v82, v82
	v_pk_add_f32 v[66:67], v[24:25], v[26:27]
	v_pk_add_f32 v[74:75], v[74:75], v[68:69]
	v_min_f32_e32 v69, v87, v83
	v_min_f32_e32 v68, v86, v82
	v_pk_add_f32 v[86:87], v[66:67], v[68:69]
	s_waitcnt lgkmcnt(0)
	v_max_f32_e32 v68, v90, v90
	v_max_f32_e32 v69, v91, v91
	v_min_f32_e32 v66, v68, v96
	v_min_f32_e32 v67, v69, v94
	v_pk_add_f32 v[60:61], v[60:61], v[66:67]
	v_min_f32_e32 v66, v68, v99
	v_min_f32_e32 v67, v69, v98
	v_pk_add_f32 v[110:111], v[110:111], v[154:155]
	v_pk_add_f32 v[90:91], v[62:63], v[66:67]
	v_min_f32_e32 v62, v68, v117
	v_min_f32_e32 v63, v69, v116
	v_pk_add_f32 v[28:29], v[110:111], v[198:199]
	v_pk_add_f32 v[110:111], v[64:65], v[62:63]
	ds_read_b128 v[64:67], v214 offset:256
	v_min_f32_e32 v63, v69, v83
	v_min_f32_e32 v62, v68, v82
	ds_read_b128 v[68:71], v214 offset:384
	v_pk_add_f32 v[58:59], v[58:59], v[62:63]
	s_waitcnt lgkmcnt(0)
	v_max_f32_e32 v64, v64, v64
	v_max_f32_e32 v65, v65, v65
	v_min_f32_e32 v62, v64, v96
	v_min_f32_e32 v63, v65, v94
	v_pk_add_f32 v[52:53], v[52:53], v[62:63]
	v_min_f32_e32 v62, v64, v99
	v_min_f32_e32 v63, v65, v98
	v_pk_add_f32 v[54:55], v[54:55], v[62:63]
	;; [unrolled: 3-line block ×3, first 2 shown]
	v_pk_add_f32 v[56:57], v[56:57], v[62:63]
	v_min_f32_e32 v63, v65, v83
	v_min_f32_e32 v62, v64, v82
	v_pk_add_f32 v[24:25], v[112:113], v[204:205]
	v_pk_add_f32 v[112:113], v[50:51], v[62:63]
	v_max_f32_e32 v62, v68, v68
	v_max_f32_e32 v63, v69, v69
	v_min_f32_e32 v50, v62, v96
	v_min_f32_e32 v51, v63, v94
	v_pk_add_f32 v[114:115], v[114:115], v[148:149]
	v_pk_add_f32 v[68:69], v[44:45], v[50:51]
	v_min_f32_e32 v44, v62, v99
	v_min_f32_e32 v45, v63, v98
	v_pk_add_f32 v[36:37], v[114:115], v[188:189]
	v_pk_add_f32 v[114:115], v[46:47], v[44:45]
	;; [unrolled: 4-line block ×3, first 2 shown]
	ds_read_b128 v[44:47], v214 offset:512
	v_min_f32_e32 v49, v63, v83
	v_min_f32_e32 v48, v62, v82
	v_pk_add_f32 v[42:43], v[42:43], v[48:49]
	ds_read_b128 v[48:51], v214 offset:640
	s_waitcnt lgkmcnt(0)
	v_max_f32_e32 v62, v44, v44
	v_max_f32_e32 v63, v45, v45
	v_min_f32_e32 v44, v62, v96
	v_min_f32_e32 v45, v63, v94
	v_pk_add_f32 v[36:37], v[36:37], v[44:45]
	v_min_f32_e32 v44, v62, v99
	v_min_f32_e32 v45, v63, v98
	v_pk_add_f32 v[38:39], v[38:39], v[44:45]
	;; [unrolled: 3-line block ×3, first 2 shown]
	v_pk_add_f32 v[40:41], v[40:41], v[44:45]
	v_min_f32_e32 v45, v63, v83
	v_min_f32_e32 v44, v62, v82
	v_max_f32_e32 v48, v48, v48
	v_max_f32_e32 v49, v49, v49
	v_pk_add_f32 v[34:35], v[34:35], v[44:45]
	v_min_f32_e32 v44, v48, v96
	v_min_f32_e32 v45, v49, v94
	v_pk_add_f32 v[28:29], v[28:29], v[44:45]
	v_min_f32_e32 v44, v48, v99
	v_min_f32_e32 v45, v49, v98
	;; [unrolled: 3-line block ×3, first 2 shown]
	v_pk_add_f32 v[26:27], v[120:121], v[200:201]
	v_pk_add_f32 v[32:33], v[32:33], v[44:45]
	v_min_f32_e32 v45, v49, v83
	v_min_f32_e32 v44, v48, v82
	v_pk_add_f32 v[26:27], v[26:27], v[44:45]
	v_max_f32_e32 v44, v12, v12
	v_max_f32_e32 v45, v13, v13
	v_min_f32_e32 v12, v44, v96
	v_min_f32_e32 v13, v45, v94
	v_pk_add_f32 v[12:13], v[24:25], v[12:13]
	v_min_f32_e32 v24, v44, v99
	v_min_f32_e32 v25, v45, v98
	v_pk_add_f32 v[22:23], v[22:23], v[24:25]
	;; [unrolled: 3-line block ×4, first 2 shown]
	v_min_f32_e32 v25, v95, v83
	v_min_f32_e32 v24, v97, v82
	;; [unrolled: 1-line block ×4, first 2 shown]
	v_pk_add_f32 v[16:17], v[16:17], v[24:25]
	v_max_f32_e32 v24, v3, v3
	v_max_f32_e32 v7, v7, v7
	v_max_f32_e32 v25, v2, v2
	v_max_f32_e32 v6, v6, v6
	v_pk_add_f32 v[0:1], v[126:127], v[0:1]
	v_min_f32_e32 v3, v7, v24
	v_min_f32_e32 v2, v6, v25
	v_pk_add_f32 v[98:99], v[0:1], v[2:3]
	v_max_f32_e32 v2, v11, v11
	v_max_f32_e32 v3, v10, v10
	v_min_f32_e32 v1, v7, v2
	v_min_f32_e32 v0, v6, v3
	v_pk_add_f32 v[82:83], v[4:5], v[0:1]
	v_max_f32_e32 v4, v89, v89
	v_max_f32_e32 v5, v88, v88
	;; [unrolled: 5-line block ×3, first 2 shown]
	v_min_f32_e32 v0, v8, v25
	v_min_f32_e32 v1, v9, v24
	v_pk_add_f32 v[122:123], v[76:77], v[0:1]
	v_min_f32_e32 v0, v8, v3
	v_min_f32_e32 v1, v9, v2
	v_pk_add_f32 v[96:97], v[78:79], v[0:1]
	v_min_f32_e32 v0, v8, v5
	v_min_f32_e32 v1, v9, v4
	v_max_f32_e32 v10, v85, v85
	v_pk_add_f32 v[80:81], v[74:75], v[0:1]
	v_min_f32_e32 v1, v9, v10
	v_max_f32_e32 v9, v84, v84
	v_min_f32_e32 v0, v8, v9
	v_max_f32_e32 v8, v92, v92
	v_max_f32_e32 v11, v93, v93
	v_pk_add_f32 v[62:63], v[86:87], v[0:1]
	v_min_f32_e32 v0, v8, v25
	v_min_f32_e32 v1, v11, v24
	v_pk_add_f32 v[120:121], v[60:61], v[0:1]
	v_min_f32_e32 v0, v8, v3
	v_min_f32_e32 v1, v11, v2
	v_pk_add_f32 v[94:95], v[90:91], v[0:1]
	v_min_f32_e32 v0, v8, v5
	v_min_f32_e32 v1, v11, v4
	v_pk_add_f32 v[78:79], v[110:111], v[0:1]
	v_min_f32_e32 v1, v11, v10
	v_min_f32_e32 v0, v8, v9
	v_max_f32_e32 v8, v66, v66
	v_max_f32_e32 v11, v67, v67
	v_pk_add_f32 v[60:61], v[58:59], v[0:1]
	v_min_f32_e32 v0, v8, v25
	v_min_f32_e32 v1, v11, v24
	v_pk_add_f32 v[118:119], v[52:53], v[0:1]
	v_min_f32_e32 v0, v8, v3
	v_min_f32_e32 v1, v11, v2
	v_pk_add_f32 v[92:93], v[54:55], v[0:1]
	v_min_f32_e32 v0, v8, v5
	v_min_f32_e32 v1, v11, v4
	v_pk_add_f32 v[76:77], v[56:57], v[0:1]
	v_min_f32_e32 v1, v11, v10
	;; [unrolled: 14-line block ×6, first 2 shown]
	v_min_f32_e32 v0, v8, v9
	v_pk_add_f32 v[50:51], v[20:21], v[0:1]
	v_min_f32_e32 v1, v7, v10
	v_min_f32_e32 v0, v6, v9
	s_add_i32 s26, s26, 8
	v_pk_add_f32 v[48:49], v[16:17], v[0:1]
	v_lshl_add_u64 v[102:103], v[102:103], 0, 32
	v_lshl_add_u64 v[104:105], v[104:105], 0, 32
	s_cmp_ge_i32 s26, s23
	v_lshl_add_u64 v[100:101], v[100:101], 0, s[6:7]
	s_waitcnt vmcnt(0)
	ds_write_b32 v215, v220
	ds_write2st64_b32 v216, v219, v221 offset1:4
	s_waitcnt lgkmcnt(0)
	s_barrier
	s_cbranch_scc1 .LBB82_36
.LBB82_24:                              ; =>This Inner Loop Header: Depth=1
	v_add_u32_e32 v128, s26, v208
	v_add_u32_e32 v0, 8, v128
	v_cmp_gt_i32_e64 s[4:5], s22, v0
	s_and_b64 s[18:19], s[16:17], s[4:5]
	v_mov_b32_e32 v130, 0
	s_and_saveexec_b64 s[4:5], s[18:19]
	s_cbranch_execz .LBB82_26
; %bb.25:                               ;   in Loop: Header=BB82_24 Depth=1
	v_lshl_add_u64 v[0:1], v[100:101], 0, v[108:109]
	flat_load_dword v130, v[0:1]
.LBB82_26:                              ;   in Loop: Header=BB82_24 Depth=1
	s_or_b64 exec, exec, s[4:5]
	v_add_u32_e32 v129, s26, v211
	v_add_u32_e32 v0, 8, v129
	v_cmp_le_i32_e64 s[4:5], s22, v0
	s_or_b64 s[18:19], vcc, s[4:5]
	s_xor_b64 s[28:29], s[18:19], -1
	v_mov_b32_e32 v131, 0
	v_lshl_add_u64 v[126:127], v[102:103], 0, v[72:73]
	v_mov_b32_e32 v132, 0
	s_and_saveexec_b64 s[18:19], s[28:29]
	s_cbranch_execz .LBB82_28
; %bb.27:                               ;   in Loop: Header=BB82_24 Depth=1
	flat_load_dword v132, v[126:127] offset:32
.LBB82_28:                              ;   in Loop: Header=BB82_24 Depth=1
	s_or_b64 exec, exec, s[18:19]
	s_or_b64 s[4:5], s[8:9], s[4:5]
	s_xor_b64 s[18:19], s[4:5], -1
	v_lshl_add_u64 v[124:125], v[104:105], 0, v[72:73]
	s_and_saveexec_b64 s[4:5], s[18:19]
	s_cbranch_execz .LBB82_30
; %bb.29:                               ;   in Loop: Header=BB82_24 Depth=1
	flat_load_dword v131, v[124:125] offset:32
.LBB82_30:                              ;   in Loop: Header=BB82_24 Depth=1
	s_or_b64 exec, exec, s[4:5]
	ds_read_b128 v[40:43], v218
	ds_read_b128 v[36:39], v218 offset:512
	ds_read_b128 v[24:27], v218 offset:1536
	;; [unrolled: 1-line block ×3, first 2 shown]
	ds_read_b128 v[28:31], v217
	ds_read_b128 v[20:23], v217 offset:128
	ds_read_b128 v[16:19], v217 offset:256
	;; [unrolled: 1-line block ×7, first 2 shown]
	v_add_u32_e32 v128, 12, v128
	v_cmp_gt_i32_e64 s[4:5], s22, v128
	s_and_b64 s[18:19], s[16:17], s[4:5]
	v_mov_b32_e32 v219, 0
	v_mov_b32_e32 v220, 0
	s_waitcnt vmcnt(0) lgkmcnt(0)
	ds_write_b32 v213, v130
	ds_write2st64_b32 v212, v132, v131 offset1:4
	s_waitcnt lgkmcnt(0)
	s_barrier
	s_and_saveexec_b64 s[4:5], s[18:19]
	s_cbranch_execz .LBB82_32
; %bb.31:                               ;   in Loop: Header=BB82_24 Depth=1
	v_lshl_add_u64 v[130:131], v[100:101], 0, v[106:107]
	flat_load_dword v220, v[130:131]
.LBB82_32:                              ;   in Loop: Header=BB82_24 Depth=1
	s_or_b64 exec, exec, s[4:5]
	v_add_u32_e32 v128, 12, v129
	v_cmp_le_i32_e64 s[4:5], s22, v128
	s_or_b64 s[18:19], vcc, s[4:5]
	s_xor_b64 s[28:29], s[18:19], -1
	s_and_saveexec_b64 s[18:19], s[28:29]
	s_cbranch_execz .LBB82_34
; %bb.33:                               ;   in Loop: Header=BB82_24 Depth=1
	flat_load_dword v219, v[126:127] offset:48
.LBB82_34:                              ;   in Loop: Header=BB82_24 Depth=1
	s_or_b64 exec, exec, s[18:19]
	v_max_f32_e32 v158, v41, v41
	v_max_f32_e32 v164, v45, v45
	;; [unrolled: 1-line block ×34, first 2 shown]
	v_min_f32_e32 v41, v164, v158
	v_min_f32_e32 v40, v166, v159
	;; [unrolled: 1-line block ×62, first 2 shown]
	v_max_f32_e32 v195, v47, v47
	v_max_f32_e32 v221, v46, v46
	;; [unrolled: 1-line block ×12, first 2 shown]
	v_min_f32_e32 v198, v6, v202
	v_min_f32_e32 v199, v7, v194
	;; [unrolled: 1-line block ×8, first 2 shown]
	v_max_f32_e32 v6, v2, v2
	v_max_f32_e32 v7, v3, v3
	s_or_b64 s[4:5], s[8:9], s[4:5]
	v_min_f32_e32 v32, v166, v167
	v_min_f32_e32 v0, v170, v167
	v_min_f32_e32 v43, v195, v194
	v_min_f32_e32 v42, v221, v202
	v_min_f32_e32 v39, v195, v203
	v_min_f32_e32 v38, v221, v222
	v_min_f32_e32 v35, v195, v223
	v_min_f32_e32 v34, v221, v224
	v_min_f32_e32 v166, v168, v202
	v_min_f32_e32 v167, v169, v194
	v_min_f32_e32 v46, v168, v222
	v_min_f32_e32 v47, v169, v203
	v_min_f32_e32 v30, v168, v224
	v_min_f32_e32 v31, v169, v223
	v_min_f32_e32 v27, v169, v225
	v_min_f32_e32 v26, v168, v226
	v_min_f32_e32 v170, v172, v202
	v_min_f32_e32 v171, v173, v194
	v_min_f32_e32 v168, v172, v222
	v_min_f32_e32 v169, v173, v203
	v_min_f32_e32 v22, v172, v224
	v_min_f32_e32 v23, v173, v223
	v_min_f32_e32 v173, v173, v225
	v_min_f32_e32 v172, v172, v226
	v_min_f32_e32 v176, v178, v202
	v_min_f32_e32 v177, v179, v194
	v_min_f32_e32 v174, v178, v222
	v_min_f32_e32 v175, v179, v203
	v_min_f32_e32 v18, v178, v224
	v_min_f32_e32 v19, v179, v223
	v_min_f32_e32 v179, v179, v225
	v_min_f32_e32 v178, v178, v226
	v_min_f32_e32 v182, v184, v202
	v_min_f32_e32 v183, v185, v194
	v_min_f32_e32 v180, v184, v222
	v_min_f32_e32 v181, v185, v203
	v_min_f32_e32 v14, v184, v224
	v_min_f32_e32 v15, v185, v223
	v_min_f32_e32 v185, v185, v225
	v_min_f32_e32 v184, v184, v226
	v_min_f32_e32 v188, v190, v202
	v_min_f32_e32 v189, v191, v194
	v_min_f32_e32 v186, v190, v222
	v_min_f32_e32 v187, v191, v203
	v_min_f32_e32 v10, v190, v224
	v_min_f32_e32 v11, v191, v223
	v_min_f32_e32 v191, v191, v225
	v_min_f32_e32 v190, v190, v226
	v_min_f32_e32 v204, v6, v202
	v_min_f32_e32 v205, v7, v194
	v_min_f32_e32 v202, v6, v222
	v_min_f32_e32 v203, v7, v203
	v_min_f32_e32 v2, v6, v224
	v_min_f32_e32 v3, v7, v223
	v_min_f32_e32 v7, v7, v225
	v_min_f32_e32 v6, v6, v226
	v_min_f32_e32 v195, v195, v225
	v_min_f32_e32 v194, v221, v226
	s_xor_b64 s[18:19], s[4:5], -1
	v_mov_b32_e32 v221, 0
	s_and_saveexec_b64 s[4:5], s[18:19]
	s_cbranch_execz .LBB82_23
; %bb.35:                               ;   in Loop: Header=BB82_24 Depth=1
	flat_load_dword v221, v[124:125] offset:48
	s_branch .LBB82_23
.LBB82_36:
	s_load_dwordx2 s[4:5], s[0:1], 0x70
	s_load_dword s29, s[0:1], 0x50
	s_load_dword s28, s[0:1], 0x68
	ds_read_b128 v[44:47], v210 offset:2048
	ds_read_b128 v[40:43], v210 offset:2560
	;; [unrolled: 1-line block ×12, first 2 shown]
	v_add_u32_e32 v128, s12, v207
	s_waitcnt lgkmcnt(0)
	s_mul_i32 s0, s3, s5
	s_mul_hi_u32 s1, s3, s4
	s_mul_i32 s5, s13, s4
	s_add_i32 s0, s1, s0
	s_add_i32 s1, s0, s5
	s_mul_i32 s0, s3, s4
	s_lshl_b64 s[0:1], s[0:1], 2
	s_add_u32 s22, s10, s0
	s_addc_u32 s23, s11, s1
	v_mad_i64_i32 v[100:101], s[0:1], v128, s29, 0
	v_add_u32_e32 v72, s2, v206
	v_lshl_add_u64 v[126:127], v[100:101], 2, s[24:25]
	v_mad_i64_i32 v[100:101], s[0:1], v128, s28, 0
	v_cmp_gt_i32_e64 s[18:19], s21, v128
	v_lshl_add_u64 v[124:125], v[100:101], 2, s[22:23]
	v_cmp_gt_i32_e64 s[2:3], s20, v72
	v_cndmask_b32_e64 v100, 0, 1, s[14:15]
	s_and_b64 s[6:7], s[2:3], s[18:19]
	v_ashrrev_i32_e32 v73, 31, v72
	v_cmp_ne_u32_e64 s[0:1], 1, v100
	s_and_saveexec_b64 s[4:5], s[6:7]
	s_cbranch_execz .LBB82_41
; %bb.37:
	s_and_b64 vcc, exec, s[0:1]
	s_cbranch_vccnz .LBB82_39
; %bb.38:
	v_lshl_add_u64 v[100:101], v[72:73], 2, v[126:127]
	flat_load_dword v100, v[100:101]
	s_waitcnt vmcnt(0) lgkmcnt(0)
	v_mul_f32_e32 v100, s30, v100
	s_branch .LBB82_40
.LBB82_39:
	v_mov_b32_e32 v100, 0
.LBB82_40:
	v_max_f32_e32 v101, v44, v44
	v_max_f32_e32 v102, v32, v32
	v_min_f32_e32 v102, v102, v101
	v_max_f32_e32 v101, v45, v45
	v_max_f32_e32 v103, v33, v33
	v_min_f32_e32 v103, v103, v101
	v_max_f32_e32 v101, v46, v46
	v_max_f32_e32 v104, v34, v34
	v_min_f32_e32 v104, v104, v101
	v_max_f32_e32 v101, v47, v47
	v_max_f32_e32 v105, v35, v35
	v_pk_add_f32 v[102:103], v[122:123], v[102:103]
	v_min_f32_e32 v105, v105, v101
	v_pk_add_f32 v[102:103], v[102:103], v[104:105]
	s_nop 0
	v_add_f32_e32 v101, v102, v103
	v_add_f32_e32 v102, v101, v100
	v_lshl_add_u64 v[100:101], v[72:73], 2, v[124:125]
	global_store_dword v[100:101], v102, off
.LBB82_41:
	s_or_b64 exec, exec, s[4:5]
	v_add_u32_e32 v100, 8, v72
	v_cmp_gt_i32_e64 s[4:5], s20, v100
	s_and_b64 s[8:9], s[4:5], s[18:19]
	v_ashrrev_i32_e32 v101, 31, v100
	s_and_saveexec_b64 s[6:7], s[8:9]
	s_cbranch_execz .LBB82_46
; %bb.42:
	s_and_b64 vcc, exec, s[0:1]
	s_cbranch_vccnz .LBB82_44
; %bb.43:
	v_lshl_add_u64 v[102:103], v[100:101], 2, v[126:127]
	flat_load_dword v102, v[102:103]
	s_waitcnt vmcnt(0) lgkmcnt(0)
	v_mul_f32_e32 v102, s30, v102
	s_branch .LBB82_45
.LBB82_44:
	v_mov_b32_e32 v102, 0
.LBB82_45:
	v_max_f32_e32 v103, v44, v44
	v_max_f32_e32 v104, v28, v28
	v_min_f32_e32 v104, v104, v103
	v_max_f32_e32 v103, v45, v45
	v_max_f32_e32 v105, v29, v29
	v_min_f32_e32 v105, v105, v103
	v_max_f32_e32 v103, v46, v46
	v_max_f32_e32 v106, v30, v30
	v_min_f32_e32 v106, v106, v103
	v_max_f32_e32 v103, v47, v47
	v_max_f32_e32 v107, v31, v31
	v_pk_add_f32 v[104:105], v[120:121], v[104:105]
	v_min_f32_e32 v107, v107, v103
	v_pk_add_f32 v[104:105], v[104:105], v[106:107]
	s_nop 0
	v_add_f32_e32 v103, v104, v105
	v_add_f32_e32 v104, v103, v102
	v_lshl_add_u64 v[102:103], v[100:101], 2, v[124:125]
	global_store_dword v[102:103], v104, off
.LBB82_46:
	s_or_b64 exec, exec, s[6:7]
	v_add_u32_e32 v102, 16, v72
	v_cmp_gt_i32_e64 s[6:7], s20, v102
	s_and_b64 s[10:11], s[6:7], s[18:19]
	v_ashrrev_i32_e32 v103, 31, v102
	s_and_saveexec_b64 s[8:9], s[10:11]
	s_cbranch_execz .LBB82_51
; %bb.47:
	s_and_b64 vcc, exec, s[0:1]
	s_cbranch_vccnz .LBB82_49
; %bb.48:
	v_lshl_add_u64 v[104:105], v[102:103], 2, v[126:127]
	flat_load_dword v104, v[104:105]
	s_waitcnt vmcnt(0) lgkmcnt(0)
	v_mul_f32_e32 v104, s30, v104
	s_branch .LBB82_50
.LBB82_49:
	v_mov_b32_e32 v104, 0
.LBB82_50:
	v_max_f32_e32 v105, v44, v44
	v_max_f32_e32 v106, v24, v24
	v_min_f32_e32 v106, v106, v105
	v_max_f32_e32 v105, v45, v45
	v_max_f32_e32 v107, v25, v25
	v_min_f32_e32 v107, v107, v105
	v_max_f32_e32 v105, v46, v46
	v_max_f32_e32 v108, v26, v26
	v_min_f32_e32 v108, v108, v105
	v_max_f32_e32 v105, v47, v47
	v_max_f32_e32 v109, v27, v27
	v_pk_add_f32 v[106:107], v[118:119], v[106:107]
	v_min_f32_e32 v109, v109, v105
	v_pk_add_f32 v[106:107], v[106:107], v[108:109]
	s_nop 0
	v_add_f32_e32 v105, v106, v107
	v_add_f32_e32 v106, v105, v104
	v_lshl_add_u64 v[104:105], v[102:103], 2, v[124:125]
	global_store_dword v[104:105], v106, off
.LBB82_51:
	s_or_b64 exec, exec, s[8:9]
	v_add_u32_e32 v104, 24, v72
	v_cmp_gt_i32_e64 s[8:9], s20, v104
	s_and_b64 s[12:13], s[8:9], s[18:19]
	v_ashrrev_i32_e32 v105, 31, v104
	s_and_saveexec_b64 s[10:11], s[12:13]
	s_cbranch_execz .LBB82_56
; %bb.52:
	s_and_b64 vcc, exec, s[0:1]
	s_cbranch_vccnz .LBB82_54
; %bb.53:
	v_lshl_add_u64 v[106:107], v[104:105], 2, v[126:127]
	flat_load_dword v106, v[106:107]
	s_waitcnt vmcnt(0) lgkmcnt(0)
	v_mul_f32_e32 v106, s30, v106
	s_branch .LBB82_55
.LBB82_54:
	v_mov_b32_e32 v106, 0
.LBB82_55:
	v_max_f32_e32 v107, v44, v44
	v_max_f32_e32 v108, v20, v20
	v_min_f32_e32 v108, v108, v107
	v_max_f32_e32 v107, v45, v45
	v_max_f32_e32 v109, v21, v21
	v_min_f32_e32 v109, v109, v107
	v_pk_add_f32 v[108:109], v[116:117], v[108:109]
	v_max_f32_e32 v107, v46, v46
	v_max_f32_e32 v116, v22, v22
	v_min_f32_e32 v116, v116, v107
	v_max_f32_e32 v107, v47, v47
	v_max_f32_e32 v117, v23, v23
	v_min_f32_e32 v117, v117, v107
	v_pk_add_f32 v[108:109], v[108:109], v[116:117]
	s_nop 0
	v_add_f32_e32 v107, v108, v109
	v_add_f32_e32 v108, v107, v106
	v_lshl_add_u64 v[106:107], v[104:105], 2, v[124:125]
	global_store_dword v[106:107], v108, off
.LBB82_56:
	s_or_b64 exec, exec, s[10:11]
	v_add_u32_e32 v106, 32, v72
	v_cmp_gt_i32_e64 s[10:11], s20, v106
	s_and_b64 s[14:15], s[10:11], s[18:19]
	v_ashrrev_i32_e32 v107, 31, v106
	s_and_saveexec_b64 s[12:13], s[14:15]
	s_cbranch_execz .LBB82_61
; %bb.57:
	s_and_b64 vcc, exec, s[0:1]
	s_cbranch_vccnz .LBB82_59
; %bb.58:
	v_lshl_add_u64 v[108:109], v[106:107], 2, v[126:127]
	flat_load_dword v108, v[108:109]
	s_waitcnt vmcnt(0) lgkmcnt(0)
	v_mul_f32_e32 v108, s30, v108
	s_branch .LBB82_60
.LBB82_59:
	v_mov_b32_e32 v108, 0
.LBB82_60:
	v_max_f32_e32 v109, v44, v44
	v_max_f32_e32 v116, v16, v16
	v_min_f32_e32 v116, v116, v109
	v_max_f32_e32 v109, v45, v45
	v_max_f32_e32 v117, v17, v17
	v_min_f32_e32 v117, v117, v109
	v_pk_add_f32 v[114:115], v[114:115], v[116:117]
	v_max_f32_e32 v109, v46, v46
	v_max_f32_e32 v116, v18, v18
	v_min_f32_e32 v116, v116, v109
	v_max_f32_e32 v109, v47, v47
	v_max_f32_e32 v117, v19, v19
	v_min_f32_e32 v117, v117, v109
	v_pk_add_f32 v[114:115], v[114:115], v[116:117]
	s_nop 0
	v_add_f32_e32 v109, v114, v115
	v_add_f32_e32 v114, v109, v108
	v_lshl_add_u64 v[108:109], v[106:107], 2, v[124:125]
	global_store_dword v[108:109], v114, off
.LBB82_61:
	s_or_b64 exec, exec, s[12:13]
	v_add_u32_e32 v108, 40, v72
	v_cmp_gt_i32_e64 s[12:13], s20, v108
	s_and_b64 s[16:17], s[12:13], s[18:19]
	v_ashrrev_i32_e32 v109, 31, v108
	;; [unrolled: 39-line block ×4, first 2 shown]
	s_and_saveexec_b64 s[18:19], s[26:27]
	s_cbranch_execz .LBB82_76
; %bb.72:
	s_and_b64 vcc, exec, s[0:1]
	s_cbranch_vccnz .LBB82_74
; %bb.73:
	v_lshl_add_u64 v[114:115], v[112:113], 2, v[126:127]
	flat_load_dword v114, v[114:115]
	s_waitcnt vmcnt(0) lgkmcnt(0)
	v_mul_f32_e32 v114, s30, v114
	s_branch .LBB82_75
.LBB82_74:
	v_mov_b32_e32 v114, 0
.LBB82_75:
	v_max_f32_e32 v45, v45, v45
	v_max_f32_e32 v115, v5, v5
	v_min_f32_e32 v45, v115, v45
	v_max_f32_e32 v44, v44, v44
	v_max_f32_e32 v115, v4, v4
	v_min_f32_e32 v44, v115, v44
	v_pk_add_f32 v[44:45], v[98:99], v[44:45]
	v_max_f32_e32 v47, v47, v47
	v_max_f32_e32 v98, v7, v7
	v_min_f32_e32 v47, v98, v47
	v_max_f32_e32 v46, v46, v46
	v_max_f32_e32 v98, v6, v6
	v_min_f32_e32 v46, v98, v46
	v_pk_add_f32 v[44:45], v[44:45], v[46:47]
	s_nop 0
	v_add_f32_e32 v44, v44, v45
	v_add_f32_e32 v46, v44, v114
	v_lshl_add_u64 v[44:45], v[112:113], 2, v[124:125]
	global_store_dword v[44:45], v46, off
.LBB82_76:
	s_or_b64 exec, exec, s[18:19]
	v_add_u32_e32 v98, 32, v128
	v_mad_i64_i32 v[44:45], s[26:27], v98, s29, 0
	v_cmp_gt_i32_e64 s[18:19], s21, v98
	v_lshl_add_u64 v[46:47], v[44:45], 2, s[24:25]
	v_mad_i64_i32 v[44:45], s[26:27], v98, s28, 0
	v_lshl_add_u64 v[44:45], v[44:45], 2, s[22:23]
	s_and_b64 s[34:35], s[2:3], s[18:19]
	s_and_saveexec_b64 s[26:27], s[34:35]
	s_cbranch_execnz .LBB82_84
; %bb.77:
	s_or_b64 exec, exec, s[26:27]
	s_and_b64 s[34:35], s[4:5], s[18:19]
	s_and_saveexec_b64 s[26:27], s[34:35]
	s_cbranch_execnz .LBB82_88
.LBB82_78:
	s_or_b64 exec, exec, s[26:27]
	s_and_b64 s[34:35], s[6:7], s[18:19]
	s_and_saveexec_b64 s[26:27], s[34:35]
	s_cbranch_execnz .LBB82_92
.LBB82_79:
	s_or_b64 exec, exec, s[26:27]
	s_and_b64 s[34:35], s[8:9], s[18:19]
	s_and_saveexec_b64 s[26:27], s[34:35]
	s_cbranch_execnz .LBB82_96
.LBB82_80:
	s_or_b64 exec, exec, s[26:27]
	s_and_b64 s[34:35], s[10:11], s[18:19]
	s_and_saveexec_b64 s[26:27], s[34:35]
	s_cbranch_execnz .LBB82_100
.LBB82_81:
	s_or_b64 exec, exec, s[26:27]
	s_and_b64 s[34:35], s[12:13], s[18:19]
	s_and_saveexec_b64 s[26:27], s[34:35]
	s_cbranch_execnz .LBB82_104
.LBB82_82:
	s_or_b64 exec, exec, s[26:27]
	s_and_b64 s[34:35], s[14:15], s[18:19]
	s_and_saveexec_b64 s[26:27], s[34:35]
	s_cbranch_execnz .LBB82_108
.LBB82_83:
	s_or_b64 exec, exec, s[26:27]
	s_and_b64 s[26:27], s[16:17], s[18:19]
	s_and_saveexec_b64 s[18:19], s[26:27]
	s_cbranch_execnz .LBB82_112
	s_branch .LBB82_116
.LBB82_84:
	s_and_b64 vcc, exec, s[0:1]
	s_cbranch_vccnz .LBB82_86
; %bb.85:
	v_lshl_add_u64 v[98:99], v[72:73], 2, v[46:47]
	flat_load_dword v98, v[98:99]
	s_waitcnt vmcnt(0) lgkmcnt(0)
	v_mul_f32_e32 v98, s30, v98
	s_branch .LBB82_87
.LBB82_86:
	v_mov_b32_e32 v98, 0
.LBB82_87:
	v_max_f32_e32 v99, v40, v40
	v_max_f32_e32 v114, v32, v32
	v_min_f32_e32 v114, v114, v99
	v_max_f32_e32 v99, v41, v41
	v_max_f32_e32 v115, v33, v33
	v_min_f32_e32 v115, v115, v99
	v_pk_add_f32 v[96:97], v[96:97], v[114:115]
	v_max_f32_e32 v99, v42, v42
	v_max_f32_e32 v114, v34, v34
	v_min_f32_e32 v114, v114, v99
	v_max_f32_e32 v99, v43, v43
	v_max_f32_e32 v115, v35, v35
	v_min_f32_e32 v115, v115, v99
	v_pk_add_f32 v[96:97], v[96:97], v[114:115]
	s_nop 0
	v_add_f32_e32 v96, v96, v97
	v_add_f32_e32 v98, v96, v98
	v_lshl_add_u64 v[96:97], v[72:73], 2, v[44:45]
	global_store_dword v[96:97], v98, off
	s_or_b64 exec, exec, s[26:27]
	s_and_b64 s[34:35], s[4:5], s[18:19]
	s_and_saveexec_b64 s[26:27], s[34:35]
	s_cbranch_execz .LBB82_78
.LBB82_88:
	s_and_b64 vcc, exec, s[0:1]
	s_cbranch_vccnz .LBB82_90
; %bb.89:
	v_lshl_add_u64 v[96:97], v[100:101], 2, v[46:47]
	flat_load_dword v96, v[96:97]
	s_waitcnt vmcnt(0) lgkmcnt(0)
	v_mul_f32_e32 v96, s30, v96
	s_branch .LBB82_91
.LBB82_90:
	v_mov_b32_e32 v96, 0
.LBB82_91:
	v_max_f32_e32 v97, v40, v40
	v_max_f32_e32 v98, v28, v28
	v_min_f32_e32 v98, v98, v97
	v_max_f32_e32 v97, v41, v41
	v_max_f32_e32 v99, v29, v29
	v_min_f32_e32 v99, v99, v97
	v_pk_add_f32 v[94:95], v[94:95], v[98:99]
	v_max_f32_e32 v97, v42, v42
	v_max_f32_e32 v98, v30, v30
	v_min_f32_e32 v98, v98, v97
	v_max_f32_e32 v97, v43, v43
	v_max_f32_e32 v99, v31, v31
	v_min_f32_e32 v99, v99, v97
	v_pk_add_f32 v[94:95], v[94:95], v[98:99]
	s_nop 0
	v_add_f32_e32 v94, v94, v95
	v_add_f32_e32 v96, v94, v96
	v_lshl_add_u64 v[94:95], v[100:101], 2, v[44:45]
	global_store_dword v[94:95], v96, off
	s_or_b64 exec, exec, s[26:27]
	s_and_b64 s[34:35], s[6:7], s[18:19]
	s_and_saveexec_b64 s[26:27], s[34:35]
	s_cbranch_execz .LBB82_79
.LBB82_92:
	s_and_b64 vcc, exec, s[0:1]
	s_cbranch_vccnz .LBB82_94
; %bb.93:
	v_lshl_add_u64 v[94:95], v[102:103], 2, v[46:47]
	flat_load_dword v94, v[94:95]
	s_waitcnt vmcnt(0) lgkmcnt(0)
	v_mul_f32_e32 v94, s30, v94
	s_branch .LBB82_95
.LBB82_94:
	v_mov_b32_e32 v94, 0
.LBB82_95:
	v_max_f32_e32 v95, v40, v40
	v_max_f32_e32 v96, v24, v24
	v_min_f32_e32 v96, v96, v95
	v_max_f32_e32 v95, v41, v41
	v_max_f32_e32 v97, v25, v25
	v_min_f32_e32 v97, v97, v95
	v_pk_add_f32 v[92:93], v[92:93], v[96:97]
	v_max_f32_e32 v95, v42, v42
	v_max_f32_e32 v96, v26, v26
	v_min_f32_e32 v96, v96, v95
	v_max_f32_e32 v95, v43, v43
	v_max_f32_e32 v97, v27, v27
	v_min_f32_e32 v97, v97, v95
	v_pk_add_f32 v[92:93], v[92:93], v[96:97]
	s_nop 0
	v_add_f32_e32 v92, v92, v93
	v_add_f32_e32 v94, v92, v94
	v_lshl_add_u64 v[92:93], v[102:103], 2, v[44:45]
	global_store_dword v[92:93], v94, off
	s_or_b64 exec, exec, s[26:27]
	s_and_b64 s[34:35], s[8:9], s[18:19]
	s_and_saveexec_b64 s[26:27], s[34:35]
	s_cbranch_execz .LBB82_80
.LBB82_96:
	s_and_b64 vcc, exec, s[0:1]
	s_cbranch_vccnz .LBB82_98
; %bb.97:
	v_lshl_add_u64 v[92:93], v[104:105], 2, v[46:47]
	flat_load_dword v92, v[92:93]
	s_waitcnt vmcnt(0) lgkmcnt(0)
	v_mul_f32_e32 v92, s30, v92
	s_branch .LBB82_99
.LBB82_98:
	v_mov_b32_e32 v92, 0
.LBB82_99:
	v_max_f32_e32 v93, v40, v40
	v_max_f32_e32 v94, v20, v20
	v_min_f32_e32 v94, v94, v93
	v_max_f32_e32 v93, v41, v41
	v_max_f32_e32 v95, v21, v21
	v_min_f32_e32 v95, v95, v93
	v_pk_add_f32 v[90:91], v[90:91], v[94:95]
	v_max_f32_e32 v93, v42, v42
	v_max_f32_e32 v94, v22, v22
	v_min_f32_e32 v94, v94, v93
	v_max_f32_e32 v93, v43, v43
	v_max_f32_e32 v95, v23, v23
	v_min_f32_e32 v95, v95, v93
	v_pk_add_f32 v[90:91], v[90:91], v[94:95]
	s_nop 0
	v_add_f32_e32 v90, v90, v91
	v_add_f32_e32 v92, v90, v92
	v_lshl_add_u64 v[90:91], v[104:105], 2, v[44:45]
	global_store_dword v[90:91], v92, off
	s_or_b64 exec, exec, s[26:27]
	s_and_b64 s[34:35], s[10:11], s[18:19]
	s_and_saveexec_b64 s[26:27], s[34:35]
	s_cbranch_execz .LBB82_81
.LBB82_100:
	s_and_b64 vcc, exec, s[0:1]
	s_cbranch_vccnz .LBB82_102
; %bb.101:
	v_lshl_add_u64 v[90:91], v[106:107], 2, v[46:47]
	flat_load_dword v90, v[90:91]
	s_waitcnt vmcnt(0) lgkmcnt(0)
	v_mul_f32_e32 v90, s30, v90
	s_branch .LBB82_103
.LBB82_102:
	v_mov_b32_e32 v90, 0
.LBB82_103:
	v_max_f32_e32 v91, v40, v40
	v_max_f32_e32 v92, v16, v16
	v_min_f32_e32 v92, v92, v91
	v_max_f32_e32 v91, v41, v41
	v_max_f32_e32 v93, v17, v17
	v_min_f32_e32 v93, v93, v91
	v_pk_add_f32 v[88:89], v[88:89], v[92:93]
	v_max_f32_e32 v91, v42, v42
	v_max_f32_e32 v92, v18, v18
	v_min_f32_e32 v92, v92, v91
	v_max_f32_e32 v91, v43, v43
	v_max_f32_e32 v93, v19, v19
	v_min_f32_e32 v93, v93, v91
	v_pk_add_f32 v[88:89], v[88:89], v[92:93]
	s_nop 0
	v_add_f32_e32 v88, v88, v89
	v_add_f32_e32 v90, v88, v90
	v_lshl_add_u64 v[88:89], v[106:107], 2, v[44:45]
	global_store_dword v[88:89], v90, off
	s_or_b64 exec, exec, s[26:27]
	s_and_b64 s[34:35], s[12:13], s[18:19]
	s_and_saveexec_b64 s[26:27], s[34:35]
	s_cbranch_execz .LBB82_82
.LBB82_104:
	s_and_b64 vcc, exec, s[0:1]
	s_cbranch_vccnz .LBB82_106
; %bb.105:
	v_lshl_add_u64 v[88:89], v[108:109], 2, v[46:47]
	flat_load_dword v88, v[88:89]
	s_waitcnt vmcnt(0) lgkmcnt(0)
	v_mul_f32_e32 v88, s30, v88
	s_branch .LBB82_107
.LBB82_106:
	v_mov_b32_e32 v88, 0
.LBB82_107:
	v_max_f32_e32 v89, v40, v40
	v_max_f32_e32 v90, v12, v12
	v_min_f32_e32 v90, v90, v89
	v_max_f32_e32 v89, v41, v41
	v_max_f32_e32 v91, v13, v13
	v_min_f32_e32 v91, v91, v89
	v_pk_add_f32 v[86:87], v[86:87], v[90:91]
	v_max_f32_e32 v89, v42, v42
	v_max_f32_e32 v90, v14, v14
	v_min_f32_e32 v90, v90, v89
	v_max_f32_e32 v89, v43, v43
	v_max_f32_e32 v91, v15, v15
	v_min_f32_e32 v91, v91, v89
	v_pk_add_f32 v[86:87], v[86:87], v[90:91]
	s_nop 0
	v_add_f32_e32 v86, v86, v87
	v_add_f32_e32 v88, v86, v88
	v_lshl_add_u64 v[86:87], v[108:109], 2, v[44:45]
	global_store_dword v[86:87], v88, off
	s_or_b64 exec, exec, s[26:27]
	s_and_b64 s[34:35], s[14:15], s[18:19]
	s_and_saveexec_b64 s[26:27], s[34:35]
	s_cbranch_execz .LBB82_83
.LBB82_108:
	s_and_b64 vcc, exec, s[0:1]
	s_cbranch_vccnz .LBB82_110
; %bb.109:
	v_lshl_add_u64 v[86:87], v[110:111], 2, v[46:47]
	flat_load_dword v86, v[86:87]
	s_waitcnt vmcnt(0) lgkmcnt(0)
	v_mul_f32_e32 v86, s30, v86
	s_branch .LBB82_111
.LBB82_110:
	v_mov_b32_e32 v86, 0
.LBB82_111:
	v_max_f32_e32 v87, v40, v40
	v_max_f32_e32 v88, v8, v8
	v_min_f32_e32 v88, v88, v87
	v_max_f32_e32 v87, v41, v41
	v_max_f32_e32 v89, v9, v9
	v_min_f32_e32 v89, v89, v87
	v_pk_add_f32 v[84:85], v[84:85], v[88:89]
	v_max_f32_e32 v87, v42, v42
	v_max_f32_e32 v88, v10, v10
	v_min_f32_e32 v88, v88, v87
	v_max_f32_e32 v87, v43, v43
	v_max_f32_e32 v89, v11, v11
	v_min_f32_e32 v89, v89, v87
	v_pk_add_f32 v[84:85], v[84:85], v[88:89]
	s_nop 0
	v_add_f32_e32 v84, v84, v85
	v_add_f32_e32 v86, v84, v86
	v_lshl_add_u64 v[84:85], v[110:111], 2, v[44:45]
	global_store_dword v[84:85], v86, off
	s_or_b64 exec, exec, s[26:27]
	s_and_b64 s[26:27], s[16:17], s[18:19]
	s_and_saveexec_b64 s[18:19], s[26:27]
	s_cbranch_execz .LBB82_116
.LBB82_112:
	s_and_b64 vcc, exec, s[0:1]
	s_cbranch_vccnz .LBB82_114
; %bb.113:
	v_lshl_add_u64 v[46:47], v[112:113], 2, v[46:47]
	flat_load_dword v46, v[46:47]
	s_waitcnt vmcnt(0) lgkmcnt(0)
	v_mul_f32_e32 v46, s30, v46
	s_branch .LBB82_115
.LBB82_114:
	v_mov_b32_e32 v46, 0
.LBB82_115:
	v_max_f32_e32 v41, v41, v41
	v_max_f32_e32 v47, v5, v5
	v_min_f32_e32 v41, v47, v41
	v_max_f32_e32 v40, v40, v40
	v_max_f32_e32 v47, v4, v4
	v_min_f32_e32 v40, v47, v40
	;; [unrolled: 3-line block ×3, first 2 shown]
	v_max_f32_e32 v42, v42, v42
	v_max_f32_e32 v47, v6, v6
	v_pk_add_f32 v[40:41], v[82:83], v[40:41]
	v_min_f32_e32 v42, v47, v42
	v_pk_add_f32 v[40:41], v[40:41], v[42:43]
	s_nop 0
	v_add_f32_e32 v40, v40, v41
	v_add_f32_e32 v42, v40, v46
	v_lshl_add_u64 v[40:41], v[112:113], 2, v[44:45]
	global_store_dword v[40:41], v42, off
.LBB82_116:
	s_or_b64 exec, exec, s[18:19]
	v_add_u32_e32 v44, 64, v128
	v_mad_i64_i32 v[40:41], s[26:27], v44, s29, 0
	v_cmp_gt_i32_e64 s[18:19], s21, v44
	v_lshl_add_u64 v[42:43], v[40:41], 2, s[24:25]
	v_mad_i64_i32 v[40:41], s[26:27], v44, s28, 0
	v_lshl_add_u64 v[40:41], v[40:41], 2, s[22:23]
	s_and_b64 s[34:35], s[2:3], s[18:19]
	s_and_saveexec_b64 s[26:27], s[34:35]
	s_cbranch_execnz .LBB82_124
; %bb.117:
	s_or_b64 exec, exec, s[26:27]
	s_and_b64 s[34:35], s[4:5], s[18:19]
	s_and_saveexec_b64 s[26:27], s[34:35]
	s_cbranch_execnz .LBB82_128
.LBB82_118:
	s_or_b64 exec, exec, s[26:27]
	s_and_b64 s[34:35], s[6:7], s[18:19]
	s_and_saveexec_b64 s[26:27], s[34:35]
	s_cbranch_execnz .LBB82_132
.LBB82_119:
	s_or_b64 exec, exec, s[26:27]
	s_and_b64 s[34:35], s[8:9], s[18:19]
	s_and_saveexec_b64 s[26:27], s[34:35]
	s_cbranch_execnz .LBB82_136
.LBB82_120:
	s_or_b64 exec, exec, s[26:27]
	s_and_b64 s[34:35], s[10:11], s[18:19]
	s_and_saveexec_b64 s[26:27], s[34:35]
	s_cbranch_execnz .LBB82_140
.LBB82_121:
	s_or_b64 exec, exec, s[26:27]
	s_and_b64 s[34:35], s[12:13], s[18:19]
	s_and_saveexec_b64 s[26:27], s[34:35]
	s_cbranch_execnz .LBB82_144
.LBB82_122:
	s_or_b64 exec, exec, s[26:27]
	s_and_b64 s[34:35], s[14:15], s[18:19]
	s_and_saveexec_b64 s[26:27], s[34:35]
	s_cbranch_execnz .LBB82_148
.LBB82_123:
	s_or_b64 exec, exec, s[26:27]
	s_and_b64 s[26:27], s[16:17], s[18:19]
	s_and_saveexec_b64 s[18:19], s[26:27]
	s_cbranch_execnz .LBB82_152
	s_branch .LBB82_156
.LBB82_124:
	s_and_b64 vcc, exec, s[0:1]
	s_cbranch_vccnz .LBB82_126
; %bb.125:
	v_lshl_add_u64 v[44:45], v[72:73], 2, v[42:43]
	flat_load_dword v44, v[44:45]
	s_waitcnt vmcnt(0) lgkmcnt(0)
	v_mul_f32_e32 v44, s30, v44
	s_branch .LBB82_127
.LBB82_126:
	v_mov_b32_e32 v44, 0
.LBB82_127:
	v_max_f32_e32 v45, v36, v36
	v_max_f32_e32 v46, v32, v32
	v_min_f32_e32 v46, v46, v45
	v_max_f32_e32 v45, v37, v37
	v_max_f32_e32 v47, v33, v33
	v_min_f32_e32 v47, v47, v45
	v_pk_add_f32 v[46:47], v[80:81], v[46:47]
	v_max_f32_e32 v45, v38, v38
	v_max_f32_e32 v80, v34, v34
	v_min_f32_e32 v80, v80, v45
	v_max_f32_e32 v45, v39, v39
	v_max_f32_e32 v81, v35, v35
	v_min_f32_e32 v81, v81, v45
	v_pk_add_f32 v[46:47], v[46:47], v[80:81]
	s_nop 0
	v_add_f32_e32 v45, v46, v47
	v_add_f32_e32 v46, v45, v44
	v_lshl_add_u64 v[44:45], v[72:73], 2, v[40:41]
	global_store_dword v[44:45], v46, off
	s_or_b64 exec, exec, s[26:27]
	s_and_b64 s[34:35], s[4:5], s[18:19]
	s_and_saveexec_b64 s[26:27], s[34:35]
	s_cbranch_execz .LBB82_118
.LBB82_128:
	s_and_b64 vcc, exec, s[0:1]
	s_cbranch_vccnz .LBB82_130
; %bb.129:
	v_lshl_add_u64 v[44:45], v[100:101], 2, v[42:43]
	flat_load_dword v44, v[44:45]
	s_waitcnt vmcnt(0) lgkmcnt(0)
	v_mul_f32_e32 v44, s30, v44
	s_branch .LBB82_131
.LBB82_130:
	v_mov_b32_e32 v44, 0
.LBB82_131:
	v_max_f32_e32 v45, v36, v36
	v_max_f32_e32 v46, v28, v28
	v_min_f32_e32 v46, v46, v45
	v_max_f32_e32 v45, v37, v37
	v_max_f32_e32 v47, v29, v29
	v_min_f32_e32 v47, v47, v45
	v_pk_add_f32 v[46:47], v[78:79], v[46:47]
	v_max_f32_e32 v45, v38, v38
	v_max_f32_e32 v78, v30, v30
	v_min_f32_e32 v78, v78, v45
	v_max_f32_e32 v45, v39, v39
	v_max_f32_e32 v79, v31, v31
	v_min_f32_e32 v79, v79, v45
	v_pk_add_f32 v[46:47], v[46:47], v[78:79]
	s_nop 0
	v_add_f32_e32 v45, v46, v47
	v_add_f32_e32 v46, v45, v44
	v_lshl_add_u64 v[44:45], v[100:101], 2, v[40:41]
	global_store_dword v[44:45], v46, off
	s_or_b64 exec, exec, s[26:27]
	s_and_b64 s[34:35], s[6:7], s[18:19]
	s_and_saveexec_b64 s[26:27], s[34:35]
	s_cbranch_execz .LBB82_119
.LBB82_132:
	s_and_b64 vcc, exec, s[0:1]
	s_cbranch_vccnz .LBB82_134
; %bb.133:
	v_lshl_add_u64 v[44:45], v[102:103], 2, v[42:43]
	flat_load_dword v44, v[44:45]
	s_waitcnt vmcnt(0) lgkmcnt(0)
	v_mul_f32_e32 v44, s30, v44
	s_branch .LBB82_135
.LBB82_134:
	v_mov_b32_e32 v44, 0
.LBB82_135:
	v_max_f32_e32 v45, v36, v36
	v_max_f32_e32 v46, v24, v24
	v_min_f32_e32 v46, v46, v45
	v_max_f32_e32 v45, v37, v37
	v_max_f32_e32 v47, v25, v25
	v_min_f32_e32 v47, v47, v45
	v_pk_add_f32 v[46:47], v[76:77], v[46:47]
	v_max_f32_e32 v45, v38, v38
	v_max_f32_e32 v76, v26, v26
	v_min_f32_e32 v76, v76, v45
	v_max_f32_e32 v45, v39, v39
	v_max_f32_e32 v77, v27, v27
	v_min_f32_e32 v77, v77, v45
	v_pk_add_f32 v[46:47], v[46:47], v[76:77]
	s_nop 0
	v_add_f32_e32 v45, v46, v47
	v_add_f32_e32 v46, v45, v44
	v_lshl_add_u64 v[44:45], v[102:103], 2, v[40:41]
	global_store_dword v[44:45], v46, off
	s_or_b64 exec, exec, s[26:27]
	s_and_b64 s[34:35], s[8:9], s[18:19]
	s_and_saveexec_b64 s[26:27], s[34:35]
	s_cbranch_execz .LBB82_120
.LBB82_136:
	s_and_b64 vcc, exec, s[0:1]
	s_cbranch_vccnz .LBB82_138
; %bb.137:
	v_lshl_add_u64 v[44:45], v[104:105], 2, v[42:43]
	flat_load_dword v44, v[44:45]
	s_waitcnt vmcnt(0) lgkmcnt(0)
	v_mul_f32_e32 v44, s30, v44
	s_branch .LBB82_139
.LBB82_138:
	v_mov_b32_e32 v44, 0
.LBB82_139:
	v_max_f32_e32 v45, v36, v36
	v_max_f32_e32 v46, v20, v20
	v_min_f32_e32 v46, v46, v45
	v_max_f32_e32 v45, v37, v37
	v_max_f32_e32 v47, v21, v21
	v_min_f32_e32 v47, v47, v45
	v_pk_add_f32 v[46:47], v[74:75], v[46:47]
	v_max_f32_e32 v45, v38, v38
	v_max_f32_e32 v74, v22, v22
	v_min_f32_e32 v74, v74, v45
	v_max_f32_e32 v45, v39, v39
	v_max_f32_e32 v75, v23, v23
	v_min_f32_e32 v75, v75, v45
	v_pk_add_f32 v[46:47], v[46:47], v[74:75]
	s_nop 0
	v_add_f32_e32 v45, v46, v47
	v_add_f32_e32 v46, v45, v44
	v_lshl_add_u64 v[44:45], v[104:105], 2, v[40:41]
	global_store_dword v[44:45], v46, off
	s_or_b64 exec, exec, s[26:27]
	s_and_b64 s[34:35], s[10:11], s[18:19]
	s_and_saveexec_b64 s[26:27], s[34:35]
	s_cbranch_execz .LBB82_121
.LBB82_140:
	s_and_b64 vcc, exec, s[0:1]
	s_cbranch_vccnz .LBB82_142
; %bb.141:
	v_lshl_add_u64 v[44:45], v[106:107], 2, v[42:43]
	flat_load_dword v44, v[44:45]
	s_waitcnt vmcnt(0) lgkmcnt(0)
	v_mul_f32_e32 v44, s30, v44
	s_branch .LBB82_143
.LBB82_142:
	v_mov_b32_e32 v44, 0
.LBB82_143:
	v_max_f32_e32 v45, v36, v36
	v_max_f32_e32 v46, v16, v16
	v_min_f32_e32 v46, v46, v45
	v_max_f32_e32 v45, v37, v37
	v_max_f32_e32 v47, v17, v17
	v_min_f32_e32 v47, v47, v45
	v_pk_add_f32 v[46:47], v[70:71], v[46:47]
	v_max_f32_e32 v45, v38, v38
	v_max_f32_e32 v70, v18, v18
	v_min_f32_e32 v70, v70, v45
	v_max_f32_e32 v45, v39, v39
	v_max_f32_e32 v71, v19, v19
	v_min_f32_e32 v71, v71, v45
	v_pk_add_f32 v[46:47], v[46:47], v[70:71]
	s_nop 0
	v_add_f32_e32 v45, v46, v47
	v_add_f32_e32 v46, v45, v44
	v_lshl_add_u64 v[44:45], v[106:107], 2, v[40:41]
	global_store_dword v[44:45], v46, off
	s_or_b64 exec, exec, s[26:27]
	s_and_b64 s[34:35], s[12:13], s[18:19]
	s_and_saveexec_b64 s[26:27], s[34:35]
	s_cbranch_execz .LBB82_122
.LBB82_144:
	s_and_b64 vcc, exec, s[0:1]
	s_cbranch_vccnz .LBB82_146
; %bb.145:
	v_lshl_add_u64 v[44:45], v[108:109], 2, v[42:43]
	flat_load_dword v44, v[44:45]
	s_waitcnt vmcnt(0) lgkmcnt(0)
	v_mul_f32_e32 v44, s30, v44
	s_branch .LBB82_147
.LBB82_146:
	v_mov_b32_e32 v44, 0
.LBB82_147:
	v_max_f32_e32 v45, v36, v36
	v_max_f32_e32 v46, v12, v12
	v_min_f32_e32 v46, v46, v45
	v_max_f32_e32 v45, v37, v37
	v_max_f32_e32 v47, v13, v13
	v_min_f32_e32 v47, v47, v45
	v_pk_add_f32 v[46:47], v[68:69], v[46:47]
	v_max_f32_e32 v45, v38, v38
	v_max_f32_e32 v68, v14, v14
	v_min_f32_e32 v68, v68, v45
	v_max_f32_e32 v45, v39, v39
	v_max_f32_e32 v69, v15, v15
	v_min_f32_e32 v69, v69, v45
	v_pk_add_f32 v[46:47], v[46:47], v[68:69]
	s_nop 0
	v_add_f32_e32 v45, v46, v47
	v_add_f32_e32 v46, v45, v44
	v_lshl_add_u64 v[44:45], v[108:109], 2, v[40:41]
	global_store_dword v[44:45], v46, off
	s_or_b64 exec, exec, s[26:27]
	s_and_b64 s[34:35], s[14:15], s[18:19]
	s_and_saveexec_b64 s[26:27], s[34:35]
	s_cbranch_execz .LBB82_123
.LBB82_148:
	s_and_b64 vcc, exec, s[0:1]
	s_cbranch_vccnz .LBB82_150
; %bb.149:
	v_lshl_add_u64 v[44:45], v[110:111], 2, v[42:43]
	flat_load_dword v44, v[44:45]
	s_waitcnt vmcnt(0) lgkmcnt(0)
	v_mul_f32_e32 v44, s30, v44
	s_branch .LBB82_151
.LBB82_150:
	v_mov_b32_e32 v44, 0
.LBB82_151:
	v_max_f32_e32 v45, v36, v36
	v_max_f32_e32 v46, v8, v8
	v_min_f32_e32 v46, v46, v45
	v_max_f32_e32 v45, v37, v37
	v_max_f32_e32 v47, v9, v9
	v_min_f32_e32 v47, v47, v45
	v_pk_add_f32 v[46:47], v[66:67], v[46:47]
	v_max_f32_e32 v45, v38, v38
	v_max_f32_e32 v66, v10, v10
	v_min_f32_e32 v66, v66, v45
	v_max_f32_e32 v45, v39, v39
	v_max_f32_e32 v67, v11, v11
	v_min_f32_e32 v67, v67, v45
	v_pk_add_f32 v[46:47], v[46:47], v[66:67]
	s_nop 0
	v_add_f32_e32 v45, v46, v47
	v_add_f32_e32 v46, v45, v44
	v_lshl_add_u64 v[44:45], v[110:111], 2, v[40:41]
	global_store_dword v[44:45], v46, off
	s_or_b64 exec, exec, s[26:27]
	s_and_b64 s[26:27], s[16:17], s[18:19]
	s_and_saveexec_b64 s[18:19], s[26:27]
	s_cbranch_execz .LBB82_156
.LBB82_152:
	s_and_b64 vcc, exec, s[0:1]
	s_cbranch_vccnz .LBB82_154
; %bb.153:
	v_lshl_add_u64 v[42:43], v[112:113], 2, v[42:43]
	flat_load_dword v42, v[42:43]
	s_waitcnt vmcnt(0) lgkmcnt(0)
	v_mul_f32_e32 v42, s30, v42
	s_branch .LBB82_155
.LBB82_154:
	v_mov_b32_e32 v42, 0
.LBB82_155:
	v_max_f32_e32 v37, v37, v37
	v_max_f32_e32 v43, v5, v5
	v_min_f32_e32 v37, v43, v37
	v_max_f32_e32 v36, v36, v36
	v_max_f32_e32 v43, v4, v4
	v_min_f32_e32 v36, v43, v36
	v_max_f32_e32 v39, v39, v39
	v_max_f32_e32 v43, v7, v7
	v_min_f32_e32 v39, v43, v39
	v_max_f32_e32 v38, v38, v38
	v_max_f32_e32 v43, v6, v6
	v_pk_add_f32 v[36:37], v[64:65], v[36:37]
	v_min_f32_e32 v38, v43, v38
	v_pk_add_f32 v[36:37], v[36:37], v[38:39]
	s_nop 0
	v_add_f32_e32 v36, v36, v37
	v_add_f32_e32 v38, v36, v42
	v_lshl_add_u64 v[36:37], v[112:113], 2, v[40:41]
	global_store_dword v[36:37], v38, off
.LBB82_156:
	s_or_b64 exec, exec, s[18:19]
	v_add_u32_e32 v40, 0x60, v128
	v_cmp_gt_i32_e64 s[18:19], s21, v40
	v_mad_i64_i32 v[36:37], s[20:21], v40, s29, 0
	v_lshl_add_u64 v[38:39], v[36:37], 2, s[24:25]
	v_mad_i64_i32 v[36:37], s[20:21], v40, s28, 0
	v_lshl_add_u64 v[36:37], v[36:37], 2, s[22:23]
	s_and_b64 s[20:21], s[2:3], s[18:19]
	s_and_saveexec_b64 s[2:3], s[20:21]
	s_cbranch_execnz .LBB82_165
; %bb.157:
	s_or_b64 exec, exec, s[2:3]
	s_and_b64 s[4:5], s[4:5], s[18:19]
	s_and_saveexec_b64 s[2:3], s[4:5]
	s_cbranch_execnz .LBB82_169
.LBB82_158:
	s_or_b64 exec, exec, s[2:3]
	s_and_b64 s[4:5], s[6:7], s[18:19]
	s_and_saveexec_b64 s[2:3], s[4:5]
	s_cbranch_execnz .LBB82_173
.LBB82_159:
	s_or_b64 exec, exec, s[2:3]
	s_and_b64 s[4:5], s[8:9], s[18:19]
	s_and_saveexec_b64 s[2:3], s[4:5]
	s_cbranch_execnz .LBB82_177
.LBB82_160:
	s_or_b64 exec, exec, s[2:3]
	s_and_b64 s[4:5], s[10:11], s[18:19]
	s_and_saveexec_b64 s[2:3], s[4:5]
	s_cbranch_execnz .LBB82_181
.LBB82_161:
	s_or_b64 exec, exec, s[2:3]
	s_and_b64 s[4:5], s[12:13], s[18:19]
	s_and_saveexec_b64 s[2:3], s[4:5]
	s_cbranch_execnz .LBB82_185
.LBB82_162:
	s_or_b64 exec, exec, s[2:3]
	s_and_b64 s[4:5], s[14:15], s[18:19]
	s_and_saveexec_b64 s[2:3], s[4:5]
	s_cbranch_execnz .LBB82_189
.LBB82_163:
	s_or_b64 exec, exec, s[2:3]
	s_and_b64 s[2:3], s[16:17], s[18:19]
	s_and_saveexec_b64 s[4:5], s[2:3]
	s_cbranch_execnz .LBB82_193
.LBB82_164:
	s_endpgm
.LBB82_165:
	s_and_b64 vcc, exec, s[0:1]
	s_cbranch_vccnz .LBB82_167
; %bb.166:
	v_lshl_add_u64 v[40:41], v[72:73], 2, v[38:39]
	flat_load_dword v40, v[40:41]
	s_waitcnt vmcnt(0) lgkmcnt(0)
	v_mul_f32_e32 v40, s30, v40
	s_branch .LBB82_168
.LBB82_167:
	v_mov_b32_e32 v40, 0
.LBB82_168:
	v_max_f32_e32 v41, v1, v1
	v_max_f32_e32 v33, v33, v33
	v_min_f32_e32 v33, v33, v41
	v_max_f32_e32 v41, v0, v0
	v_max_f32_e32 v32, v32, v32
	v_min_f32_e32 v32, v32, v41
	;; [unrolled: 3-line block ×3, first 2 shown]
	v_max_f32_e32 v41, v2, v2
	v_max_f32_e32 v34, v34, v34
	v_pk_add_f32 v[32:33], v[62:63], v[32:33]
	v_min_f32_e32 v34, v34, v41
	v_pk_add_f32 v[32:33], v[32:33], v[34:35]
	s_nop 0
	v_add_f32_e32 v32, v32, v33
	v_add_f32_e32 v34, v32, v40
	v_lshl_add_u64 v[32:33], v[72:73], 2, v[36:37]
	global_store_dword v[32:33], v34, off
	s_or_b64 exec, exec, s[2:3]
	s_and_b64 s[4:5], s[4:5], s[18:19]
	s_and_saveexec_b64 s[2:3], s[4:5]
	s_cbranch_execz .LBB82_158
.LBB82_169:
	s_and_b64 vcc, exec, s[0:1]
	s_cbranch_vccnz .LBB82_171
; %bb.170:
	v_lshl_add_u64 v[32:33], v[100:101], 2, v[38:39]
	flat_load_dword v32, v[32:33]
	s_waitcnt vmcnt(0) lgkmcnt(0)
	v_mul_f32_e32 v32, s30, v32
	s_branch .LBB82_172
.LBB82_171:
	v_mov_b32_e32 v32, 0
.LBB82_172:
	v_max_f32_e32 v33, v1, v1
	v_max_f32_e32 v29, v29, v29
	v_min_f32_e32 v29, v29, v33
	v_max_f32_e32 v33, v0, v0
	v_max_f32_e32 v28, v28, v28
	v_min_f32_e32 v28, v28, v33
	;; [unrolled: 3-line block ×3, first 2 shown]
	v_max_f32_e32 v33, v2, v2
	v_max_f32_e32 v30, v30, v30
	v_pk_add_f32 v[28:29], v[60:61], v[28:29]
	v_min_f32_e32 v30, v30, v33
	v_pk_add_f32 v[28:29], v[28:29], v[30:31]
	s_nop 0
	v_add_f32_e32 v28, v28, v29
	v_add_f32_e32 v30, v28, v32
	v_lshl_add_u64 v[28:29], v[100:101], 2, v[36:37]
	global_store_dword v[28:29], v30, off
	s_or_b64 exec, exec, s[2:3]
	s_and_b64 s[4:5], s[6:7], s[18:19]
	s_and_saveexec_b64 s[2:3], s[4:5]
	s_cbranch_execz .LBB82_159
.LBB82_173:
	s_and_b64 vcc, exec, s[0:1]
	s_cbranch_vccnz .LBB82_175
; %bb.174:
	v_lshl_add_u64 v[28:29], v[102:103], 2, v[38:39]
	flat_load_dword v28, v[28:29]
	s_waitcnt vmcnt(0) lgkmcnt(0)
	v_mul_f32_e32 v28, s30, v28
	s_branch .LBB82_176
.LBB82_175:
	v_mov_b32_e32 v28, 0
.LBB82_176:
	v_max_f32_e32 v29, v1, v1
	v_max_f32_e32 v25, v25, v25
	v_min_f32_e32 v25, v25, v29
	v_max_f32_e32 v29, v0, v0
	v_max_f32_e32 v24, v24, v24
	v_min_f32_e32 v24, v24, v29
	;; [unrolled: 3-line block ×3, first 2 shown]
	v_max_f32_e32 v29, v2, v2
	v_max_f32_e32 v26, v26, v26
	v_pk_add_f32 v[24:25], v[58:59], v[24:25]
	v_min_f32_e32 v26, v26, v29
	v_pk_add_f32 v[24:25], v[24:25], v[26:27]
	s_nop 0
	v_add_f32_e32 v24, v24, v25
	v_add_f32_e32 v26, v24, v28
	v_lshl_add_u64 v[24:25], v[102:103], 2, v[36:37]
	global_store_dword v[24:25], v26, off
	s_or_b64 exec, exec, s[2:3]
	s_and_b64 s[4:5], s[8:9], s[18:19]
	s_and_saveexec_b64 s[2:3], s[4:5]
	s_cbranch_execz .LBB82_160
.LBB82_177:
	s_and_b64 vcc, exec, s[0:1]
	s_cbranch_vccnz .LBB82_179
; %bb.178:
	v_lshl_add_u64 v[24:25], v[104:105], 2, v[38:39]
	flat_load_dword v24, v[24:25]
	s_waitcnt vmcnt(0) lgkmcnt(0)
	v_mul_f32_e32 v24, s30, v24
	s_branch .LBB82_180
.LBB82_179:
	v_mov_b32_e32 v24, 0
.LBB82_180:
	v_max_f32_e32 v25, v1, v1
	v_max_f32_e32 v21, v21, v21
	v_min_f32_e32 v21, v21, v25
	v_max_f32_e32 v25, v0, v0
	v_max_f32_e32 v20, v20, v20
	v_min_f32_e32 v20, v20, v25
	;; [unrolled: 3-line block ×3, first 2 shown]
	v_max_f32_e32 v25, v2, v2
	v_max_f32_e32 v22, v22, v22
	v_pk_add_f32 v[20:21], v[56:57], v[20:21]
	v_min_f32_e32 v22, v22, v25
	v_pk_add_f32 v[20:21], v[20:21], v[22:23]
	s_nop 0
	v_add_f32_e32 v20, v20, v21
	v_add_f32_e32 v22, v20, v24
	v_lshl_add_u64 v[20:21], v[104:105], 2, v[36:37]
	global_store_dword v[20:21], v22, off
	s_or_b64 exec, exec, s[2:3]
	s_and_b64 s[4:5], s[10:11], s[18:19]
	s_and_saveexec_b64 s[2:3], s[4:5]
	s_cbranch_execz .LBB82_161
.LBB82_181:
	s_and_b64 vcc, exec, s[0:1]
	s_cbranch_vccnz .LBB82_183
; %bb.182:
	v_lshl_add_u64 v[20:21], v[106:107], 2, v[38:39]
	flat_load_dword v20, v[20:21]
	s_waitcnt vmcnt(0) lgkmcnt(0)
	v_mul_f32_e32 v20, s30, v20
	s_branch .LBB82_184
.LBB82_183:
	v_mov_b32_e32 v20, 0
.LBB82_184:
	v_max_f32_e32 v21, v1, v1
	v_max_f32_e32 v17, v17, v17
	v_min_f32_e32 v17, v17, v21
	v_max_f32_e32 v21, v0, v0
	v_max_f32_e32 v16, v16, v16
	v_min_f32_e32 v16, v16, v21
	v_max_f32_e32 v21, v3, v3
	v_max_f32_e32 v19, v19, v19
	v_min_f32_e32 v19, v19, v21
	v_max_f32_e32 v21, v2, v2
	v_max_f32_e32 v18, v18, v18
	v_pk_add_f32 v[16:17], v[54:55], v[16:17]
	v_min_f32_e32 v18, v18, v21
	v_pk_add_f32 v[16:17], v[16:17], v[18:19]
	s_nop 0
	v_add_f32_e32 v16, v16, v17
	v_add_f32_e32 v18, v16, v20
	v_lshl_add_u64 v[16:17], v[106:107], 2, v[36:37]
	global_store_dword v[16:17], v18, off
	s_or_b64 exec, exec, s[2:3]
	s_and_b64 s[4:5], s[12:13], s[18:19]
	s_and_saveexec_b64 s[2:3], s[4:5]
	s_cbranch_execz .LBB82_162
.LBB82_185:
	s_and_b64 vcc, exec, s[0:1]
	s_cbranch_vccnz .LBB82_187
; %bb.186:
	v_lshl_add_u64 v[16:17], v[108:109], 2, v[38:39]
	flat_load_dword v16, v[16:17]
	s_waitcnt vmcnt(0) lgkmcnt(0)
	v_mul_f32_e32 v16, s30, v16
	s_branch .LBB82_188
.LBB82_187:
	v_mov_b32_e32 v16, 0
.LBB82_188:
	v_max_f32_e32 v17, v1, v1
	v_max_f32_e32 v13, v13, v13
	v_min_f32_e32 v13, v13, v17
	v_max_f32_e32 v17, v0, v0
	v_max_f32_e32 v12, v12, v12
	v_min_f32_e32 v12, v12, v17
	;; [unrolled: 3-line block ×3, first 2 shown]
	v_max_f32_e32 v17, v2, v2
	v_max_f32_e32 v14, v14, v14
	v_pk_add_f32 v[12:13], v[52:53], v[12:13]
	v_min_f32_e32 v14, v14, v17
	v_pk_add_f32 v[12:13], v[12:13], v[14:15]
	s_nop 0
	v_add_f32_e32 v12, v12, v13
	v_add_f32_e32 v14, v12, v16
	v_lshl_add_u64 v[12:13], v[108:109], 2, v[36:37]
	global_store_dword v[12:13], v14, off
	s_or_b64 exec, exec, s[2:3]
	s_and_b64 s[4:5], s[14:15], s[18:19]
	s_and_saveexec_b64 s[2:3], s[4:5]
	s_cbranch_execz .LBB82_163
.LBB82_189:
	s_and_b64 vcc, exec, s[0:1]
	s_cbranch_vccnz .LBB82_191
; %bb.190:
	v_lshl_add_u64 v[12:13], v[110:111], 2, v[38:39]
	flat_load_dword v12, v[12:13]
	s_waitcnt vmcnt(0) lgkmcnt(0)
	v_mul_f32_e32 v12, s30, v12
	s_branch .LBB82_192
.LBB82_191:
	v_mov_b32_e32 v12, 0
.LBB82_192:
	v_max_f32_e32 v13, v1, v1
	v_max_f32_e32 v9, v9, v9
	v_min_f32_e32 v9, v9, v13
	v_max_f32_e32 v13, v0, v0
	v_max_f32_e32 v8, v8, v8
	v_min_f32_e32 v8, v8, v13
	;; [unrolled: 3-line block ×3, first 2 shown]
	v_max_f32_e32 v13, v2, v2
	v_max_f32_e32 v10, v10, v10
	v_pk_add_f32 v[8:9], v[50:51], v[8:9]
	v_min_f32_e32 v10, v10, v13
	v_pk_add_f32 v[8:9], v[8:9], v[10:11]
	s_nop 0
	v_add_f32_e32 v8, v8, v9
	v_add_f32_e32 v10, v8, v12
	v_lshl_add_u64 v[8:9], v[110:111], 2, v[36:37]
	global_store_dword v[8:9], v10, off
	s_or_b64 exec, exec, s[2:3]
	s_and_b64 s[2:3], s[16:17], s[18:19]
	s_and_saveexec_b64 s[4:5], s[2:3]
	s_cbranch_execz .LBB82_164
.LBB82_193:
	s_and_b64 vcc, exec, s[0:1]
	s_cbranch_vccnz .LBB82_195
; %bb.194:
	v_lshl_add_u64 v[8:9], v[112:113], 2, v[38:39]
	flat_load_dword v8, v[8:9]
	s_waitcnt vmcnt(0) lgkmcnt(0)
	v_mul_f32_e32 v8, s30, v8
	s_branch .LBB82_196
.LBB82_195:
	v_mov_b32_e32 v8, 0
.LBB82_196:
	v_max_f32_e32 v0, v0, v0
	v_max_f32_e32 v4, v4, v4
	;; [unrolled: 1-line block ×4, first 2 shown]
	v_min_f32_e32 v0, v4, v0
	v_max_f32_e32 v3, v3, v3
	v_max_f32_e32 v4, v7, v7
	v_min_f32_e32 v1, v5, v1
	v_min_f32_e32 v3, v4, v3
	v_max_f32_e32 v2, v2, v2
	v_max_f32_e32 v4, v6, v6
	v_pk_add_f32 v[0:1], v[48:49], v[0:1]
	v_min_f32_e32 v2, v4, v2
	v_pk_add_f32 v[0:1], v[0:1], v[2:3]
	s_nop 0
	v_add_f32_e32 v0, v0, v1
	v_add_f32_e32 v2, v0, v8
	v_lshl_add_u64 v[0:1], v[112:113], 2, v[36:37]
	global_store_dword v[0:1], v2, off
	s_endpgm
	.section	.rodata,"a",@progbits
	.p2align	6, 0x0
	.amdhsa_kernel _ZN12_GLOBAL__N_120geam_min_plus_kernelIf15HIP_vector_typeIfLj2EES2_Li8ELi32ELi64ELi128ELi4ELi64ELi4ELi4ELi64ELc78ELc78ELb1ELb1ELb0EfKffEEviiiT16_PT17_ilS6_ilS4_S6_ilPT18_ili26rocblas_geam_ex_operation_
		.amdhsa_group_segment_fixed_size 6144
		.amdhsa_private_segment_fixed_size 0
		.amdhsa_kernarg_size 128
		.amdhsa_user_sgpr_count 2
		.amdhsa_user_sgpr_dispatch_ptr 0
		.amdhsa_user_sgpr_queue_ptr 0
		.amdhsa_user_sgpr_kernarg_segment_ptr 1
		.amdhsa_user_sgpr_dispatch_id 0
		.amdhsa_user_sgpr_kernarg_preload_length 0
		.amdhsa_user_sgpr_kernarg_preload_offset 0
		.amdhsa_user_sgpr_private_segment_size 0
		.amdhsa_uses_dynamic_stack 0
		.amdhsa_enable_private_segment 0
		.amdhsa_system_sgpr_workgroup_id_x 1
		.amdhsa_system_sgpr_workgroup_id_y 0
		.amdhsa_system_sgpr_workgroup_id_z 1
		.amdhsa_system_sgpr_workgroup_info 0
		.amdhsa_system_vgpr_workitem_id 1
		.amdhsa_next_free_vgpr 227
		.amdhsa_next_free_sgpr 36
		.amdhsa_accum_offset 228
		.amdhsa_reserve_vcc 1
		.amdhsa_float_round_mode_32 0
		.amdhsa_float_round_mode_16_64 0
		.amdhsa_float_denorm_mode_32 3
		.amdhsa_float_denorm_mode_16_64 3
		.amdhsa_dx10_clamp 1
		.amdhsa_ieee_mode 1
		.amdhsa_fp16_overflow 0
		.amdhsa_tg_split 0
		.amdhsa_exception_fp_ieee_invalid_op 0
		.amdhsa_exception_fp_denorm_src 0
		.amdhsa_exception_fp_ieee_div_zero 0
		.amdhsa_exception_fp_ieee_overflow 0
		.amdhsa_exception_fp_ieee_underflow 0
		.amdhsa_exception_fp_ieee_inexact 0
		.amdhsa_exception_int_div_zero 0
	.end_amdhsa_kernel
	.section	.text._ZN12_GLOBAL__N_120geam_min_plus_kernelIf15HIP_vector_typeIfLj2EES2_Li8ELi32ELi64ELi128ELi4ELi64ELi4ELi4ELi64ELc78ELc78ELb1ELb1ELb0EfKffEEviiiT16_PT17_ilS6_ilS4_S6_ilPT18_ili26rocblas_geam_ex_operation_,"axG",@progbits,_ZN12_GLOBAL__N_120geam_min_plus_kernelIf15HIP_vector_typeIfLj2EES2_Li8ELi32ELi64ELi128ELi4ELi64ELi4ELi4ELi64ELc78ELc78ELb1ELb1ELb0EfKffEEviiiT16_PT17_ilS6_ilS4_S6_ilPT18_ili26rocblas_geam_ex_operation_,comdat
.Lfunc_end82:
	.size	_ZN12_GLOBAL__N_120geam_min_plus_kernelIf15HIP_vector_typeIfLj2EES2_Li8ELi32ELi64ELi128ELi4ELi64ELi4ELi4ELi64ELc78ELc78ELb1ELb1ELb0EfKffEEviiiT16_PT17_ilS6_ilS4_S6_ilPT18_ili26rocblas_geam_ex_operation_, .Lfunc_end82-_ZN12_GLOBAL__N_120geam_min_plus_kernelIf15HIP_vector_typeIfLj2EES2_Li8ELi32ELi64ELi128ELi4ELi64ELi4ELi4ELi64ELc78ELc78ELb1ELb1ELb0EfKffEEviiiT16_PT17_ilS6_ilS4_S6_ilPT18_ili26rocblas_geam_ex_operation_
                                        ; -- End function
	.section	.AMDGPU.csdata,"",@progbits
; Kernel info:
; codeLenInByte = 11060
; NumSgprs: 42
; NumVgprs: 227
; NumAgprs: 0
; TotalNumVgprs: 227
; ScratchSize: 0
; MemoryBound: 0
; FloatMode: 240
; IeeeMode: 1
; LDSByteSize: 6144 bytes/workgroup (compile time only)
; SGPRBlocks: 5
; VGPRBlocks: 28
; NumSGPRsForWavesPerEU: 42
; NumVGPRsForWavesPerEU: 227
; AccumOffset: 228
; Occupancy: 2
; WaveLimiterHint : 0
; COMPUTE_PGM_RSRC2:SCRATCH_EN: 0
; COMPUTE_PGM_RSRC2:USER_SGPR: 2
; COMPUTE_PGM_RSRC2:TRAP_HANDLER: 0
; COMPUTE_PGM_RSRC2:TGID_X_EN: 1
; COMPUTE_PGM_RSRC2:TGID_Y_EN: 0
; COMPUTE_PGM_RSRC2:TGID_Z_EN: 1
; COMPUTE_PGM_RSRC2:TIDIG_COMP_CNT: 1
; COMPUTE_PGM_RSRC3_GFX90A:ACCUM_OFFSET: 56
; COMPUTE_PGM_RSRC3_GFX90A:TG_SPLIT: 0
	.section	.text._ZN12_GLOBAL__N_120geam_min_plus_kernelIf15HIP_vector_typeIfLj2EES2_Li8ELi32ELi64ELi128ELi4ELi64ELi4ELi4ELi64ELc78ELc78ELb0ELb1ELb0EfKffEEviiiT16_PT17_ilS6_ilS4_S6_ilPT18_ili26rocblas_geam_ex_operation_,"axG",@progbits,_ZN12_GLOBAL__N_120geam_min_plus_kernelIf15HIP_vector_typeIfLj2EES2_Li8ELi32ELi64ELi128ELi4ELi64ELi4ELi4ELi64ELc78ELc78ELb0ELb1ELb0EfKffEEviiiT16_PT17_ilS6_ilS4_S6_ilPT18_ili26rocblas_geam_ex_operation_,comdat
	.globl	_ZN12_GLOBAL__N_120geam_min_plus_kernelIf15HIP_vector_typeIfLj2EES2_Li8ELi32ELi64ELi128ELi4ELi64ELi4ELi4ELi64ELc78ELc78ELb0ELb1ELb0EfKffEEviiiT16_PT17_ilS6_ilS4_S6_ilPT18_ili26rocblas_geam_ex_operation_ ; -- Begin function _ZN12_GLOBAL__N_120geam_min_plus_kernelIf15HIP_vector_typeIfLj2EES2_Li8ELi32ELi64ELi128ELi4ELi64ELi4ELi4ELi64ELc78ELc78ELb0ELb1ELb0EfKffEEviiiT16_PT17_ilS6_ilS4_S6_ilPT18_ili26rocblas_geam_ex_operation_
	.p2align	8
	.type	_ZN12_GLOBAL__N_120geam_min_plus_kernelIf15HIP_vector_typeIfLj2EES2_Li8ELi32ELi64ELi128ELi4ELi64ELi4ELi4ELi64ELc78ELc78ELb0ELb1ELb0EfKffEEviiiT16_PT17_ilS6_ilS4_S6_ilPT18_ili26rocblas_geam_ex_operation_,@function
_ZN12_GLOBAL__N_120geam_min_plus_kernelIf15HIP_vector_typeIfLj2EES2_Li8ELi32ELi64ELi128ELi4ELi64ELi4ELi4ELi64ELc78ELc78ELb0ELb1ELb0EfKffEEviiiT16_PT17_ilS6_ilS4_S6_ilPT18_ili26rocblas_geam_ex_operation_: ; @_ZN12_GLOBAL__N_120geam_min_plus_kernelIf15HIP_vector_typeIfLj2EES2_Li8ELi32ELi64ELi128ELi4ELi64ELi4ELi4ELi64ELc78ELc78ELb0ELb1ELb0EfKffEEviiiT16_PT17_ilS6_ilS4_S6_ilPT18_ili26rocblas_geam_ex_operation_
; %bb.0:
	s_load_dwordx4 s[20:23], s[0:1], 0x0
	s_load_dwordx4 s[4:7], s[0:1], 0x20
	s_waitcnt lgkmcnt(0)
	v_cmp_eq_f32_e64 s[8:9], s23, 0
	v_cmp_neq_f32_e64 s[16:17], s23, 0
	s_and_b64 vcc, exec, s[8:9]
	s_cbranch_vccnz .LBB83_3
; %bb.1:
	s_load_dwordx2 s[10:11], s[0:1], 0x10
	s_mul_i32 s5, s3, s5
	s_mul_hi_u32 s12, s3, s4
	s_add_i32 s5, s12, s5
	s_mul_i32 s4, s3, s4
	s_lshl_b64 s[4:5], s[4:5], 2
	s_waitcnt lgkmcnt(0)
	s_add_u32 s26, s10, s4
	s_addc_u32 s27, s11, s5
	s_andn2_b64 vcc, exec, s[8:9]
	s_cbranch_vccnz .LBB83_4
.LBB83_2:
	s_mov_b32 s13, 0
	s_mov_b64 s[18:19], 0
	s_cbranch_execz .LBB83_5
	s_branch .LBB83_6
.LBB83_3:
	s_mov_b64 s[26:27], 0
	s_andn2_b64 vcc, exec, s[8:9]
	s_cbranch_vccz .LBB83_2
.LBB83_4:
                                        ; implicit-def: $sgpr18_sgpr19
                                        ; implicit-def: $sgpr12_sgpr13
.LBB83_5:
	s_load_dwordx2 s[4:5], s[0:1], 0x38
	s_mov_b32 s13, 0
	s_waitcnt lgkmcnt(0)
	s_mul_i32 s5, s3, s5
	s_mul_hi_u32 s8, s3, s4
	s_add_i32 s5, s8, s5
	s_mul_i32 s4, s3, s4
	s_lshl_b64 s[4:5], s[4:5], 2
	s_add_u32 s18, s6, s4
	s_addc_u32 s19, s7, s5
.LBB83_6:
	s_load_dword s33, s[0:1], 0x40
	s_load_dwordx4 s[8:11], s[0:1], 0x58
	s_waitcnt lgkmcnt(0)
	v_cmp_eq_f32_e64 s[4:5], s33, 0
	v_cmp_neq_f32_e64 s[14:15], s33, 0
	s_and_b64 vcc, exec, s[4:5]
	s_cbranch_vccnz .LBB83_8
; %bb.7:
	s_load_dwordx2 s[4:5], s[0:1], 0x48
	s_mul_i32 s6, s3, s9
	s_mul_hi_u32 s7, s3, s8
	s_add_i32 s6, s7, s6
	s_mul_i32 s7, s13, s8
	s_add_i32 s7, s6, s7
	s_mul_i32 s6, s3, s8
	s_lshl_b64 s[6:7], s[6:7], 2
	s_waitcnt lgkmcnt(0)
	s_add_u32 s24, s4, s6
	s_addc_u32 s25, s5, s7
	s_branch .LBB83_9
.LBB83_8:
	s_mov_b64 s[24:25], 0
.LBB83_9:
	s_add_i32 s4, s20, -1
	s_ashr_i32 s5, s4, 31
	s_lshr_b32 s5, s5, 26
	s_add_i32 s4, s4, s5
	s_ashr_i32 s4, s4, 6
	s_add_i32 s5, s4, 1
	v_cvt_f32_u32_e32 v1, s5
	v_and_b32_e32 v204, 0x3ff, v0
	v_bfe_u32 v205, v0, 10, 10
	s_not_b32 s4, s4
	v_rcp_iflag_f32_e32 v1, v1
	s_load_dword s28, s[0:1], 0x18
	v_lshl_add_u32 v2, v205, 3, v204
	v_and_b32_e32 v9, 63, v2
	v_mul_f32_e32 v0, 0x4f7ffffe, v1
	v_cvt_u32_f32_e32 v0, v0
	s_waitcnt lgkmcnt(0)
	s_ashr_i32 s29, s28, 31
	v_lshrrev_b32_e32 v206, 6, v2
	v_mov_b32_e32 v10, 0
	v_readfirstlane_b32 s6, v0
	s_mul_i32 s4, s4, s6
	s_mul_hi_u32 s4, s6, s4
	s_add_i32 s6, s6, s4
	s_mul_hi_u32 s4, s2, s6
	s_mul_i32 s6, s4, s5
	s_sub_i32 s6, s2, s6
	s_add_i32 s7, s4, 1
	s_sub_i32 s8, s6, s5
	s_cmp_ge_u32 s6, s5
	s_cselect_b32 s4, s7, s4
	s_cselect_b32 s6, s8, s6
	s_add_i32 s7, s4, 1
	s_cmp_ge_u32 s6, s5
	s_cselect_b32 s6, s7, s4
	s_mul_i32 s4, s6, s5
	s_sub_i32 s2, s2, s4
	s_lshl_b32 s2, s2, 6
	v_or_b32_e32 v0, s2, v9
	v_cmp_gt_i32_e32 vcc, s20, v0
	v_cmp_gt_i32_e64 s[4:5], s22, v206
	s_and_b64 s[4:5], s[4:5], vcc
	s_and_b64 s[8:9], s[16:17], s[4:5]
	v_ashrrev_i32_e32 v1, 31, v0
	v_mov_b32_e32 v11, 0
	s_and_saveexec_b64 s[4:5], s[8:9]
	s_cbranch_execz .LBB83_11
; %bb.10:
	v_mad_i64_i32 v[4:5], s[8:9], s28, v206, 0
	v_lshl_add_u64 v[4:5], v[4:5], 2, s[26:27]
	v_lshl_add_u64 v[4:5], v[0:1], 2, v[4:5]
	flat_load_dword v3, v[4:5]
	s_waitcnt vmcnt(0) lgkmcnt(0)
	v_mul_f32_e32 v11, s23, v3
.LBB83_11:
	s_or_b64 exec, exec, s[4:5]
	v_lshrrev_b32_e32 v12, 2, v2
	s_lshl_b32 s12, s6, 7
	s_load_dword s35, s[0:1], 0x30
	v_add_u32_e32 v4, s12, v12
	v_and_b32_e32 v207, 3, v204
	s_add_i32 s34, s22, -1
	v_cmp_le_i32_e64 s[6:7], s21, v4
	s_xor_b64 s[30:31], s[16:17], -1
	v_cmp_le_i32_e64 s[4:5], s22, v207
	v_min_i32_e32 v2, s34, v207
	s_or_b64 s[8:9], s[6:7], s[30:31]
	v_ashrrev_i32_e32 v3, 31, v2
	s_or_b64 s[6:7], s[4:5], s[8:9]
	v_lshl_add_u64 v[2:3], v[2:3], 2, s[18:19]
	s_xor_b64 s[36:37], s[6:7], -1
	s_and_saveexec_b64 s[6:7], s[36:37]
	s_cbranch_execz .LBB83_13
; %bb.12:
	s_waitcnt lgkmcnt(0)
	v_mad_i64_i32 v[6:7], s[36:37], v4, s35, 0
	v_lshl_add_u64 v[6:7], v[6:7], 2, v[2:3]
	flat_load_dword v5, v[6:7]
	s_waitcnt vmcnt(0) lgkmcnt(0)
	v_mul_f32_e32 v10, s23, v5
.LBB83_13:
	s_or_b64 exec, exec, s[6:7]
	v_add_u32_e32 v5, 64, v4
	v_cmp_le_i32_e64 s[6:7], s21, v5
	s_or_b64 s[6:7], s[6:7], s[30:31]
	s_or_b64 s[4:5], s[4:5], s[6:7]
	s_xor_b64 s[30:31], s[4:5], -1
	v_mov_b32_e32 v6, 0
	v_mov_b32_e32 v13, 0
	s_and_saveexec_b64 s[4:5], s[30:31]
	s_cbranch_execz .LBB83_15
; %bb.14:
	s_waitcnt lgkmcnt(0)
	v_mad_i64_i32 v[14:15], s[30:31], v5, s35, 0
	v_lshl_add_u64 v[2:3], v[14:15], 2, v[2:3]
	flat_load_dword v2, v[2:3]
	s_waitcnt vmcnt(0) lgkmcnt(0)
	v_mul_f32_e32 v13, s23, v2
.LBB83_15:
	s_or_b64 exec, exec, s[4:5]
	v_add_u32_e32 v2, 4, v206
	v_cmp_gt_i32_e64 s[4:5], s22, v2
	s_and_b64 s[4:5], vcc, s[4:5]
	s_and_b64 s[30:31], s[16:17], s[4:5]
	s_and_saveexec_b64 s[4:5], s[30:31]
	s_cbranch_execz .LBB83_17
; %bb.16:
	v_mad_u64_u32 v[6:7], s[30:31], s28, v2, 0
	v_mov_b32_e32 v8, v7
	v_mad_u64_u32 v[2:3], s[30:31], s29, v2, v[8:9]
	v_mov_b32_e32 v7, v2
	v_lshl_add_u64 v[2:3], v[6:7], 2, s[26:27]
	v_lshl_add_u64 v[2:3], v[0:1], 2, v[2:3]
	flat_load_dword v2, v[2:3]
	s_waitcnt vmcnt(0) lgkmcnt(0)
	v_mul_f32_e32 v6, s23, v2
.LBB83_17:
	s_or_b64 exec, exec, s[4:5]
	v_or_b32_e32 v2, 4, v207
	v_cmp_le_i32_e64 s[4:5], s22, v2
	v_min_i32_e32 v2, s34, v2
	v_ashrrev_i32_e32 v3, 31, v2
	s_or_b64 s[30:31], s[4:5], s[8:9]
	v_lshl_add_u64 v[2:3], v[2:3], 2, s[18:19]
	s_xor_b64 s[36:37], s[30:31], -1
	v_mov_b32_e32 v7, 0
	v_mov_b32_e32 v8, 0
	s_and_saveexec_b64 s[30:31], s[36:37]
	s_cbranch_execz .LBB83_19
; %bb.18:
	s_waitcnt lgkmcnt(0)
	v_mad_i64_i32 v[14:15], s[36:37], v4, s35, 0
	v_lshl_add_u64 v[14:15], v[14:15], 2, v[2:3]
	flat_load_dword v8, v[14:15]
	s_waitcnt vmcnt(0) lgkmcnt(0)
	v_mul_f32_e32 v8, s23, v8
.LBB83_19:
	s_or_b64 exec, exec, s[30:31]
	s_or_b64 s[4:5], s[4:5], s[6:7]
	s_xor_b64 s[30:31], s[4:5], -1
	s_and_saveexec_b64 s[4:5], s[30:31]
	s_cbranch_execz .LBB83_21
; %bb.20:
	s_waitcnt lgkmcnt(0)
	v_mad_i64_i32 v[14:15], s[30:31], v5, s35, 0
	v_lshl_add_u64 v[2:3], v[14:15], 2, v[2:3]
	flat_load_dword v2, v[2:3]
	s_waitcnt vmcnt(0) lgkmcnt(0)
	v_mul_f32_e32 v7, s23, v2
.LBB83_21:
	s_or_b64 exec, exec, s[4:5]
	v_lshlrev_b32_e32 v2, 4, v9
	v_lshlrev_b32_e32 v3, 2, v207
	v_lshl_add_u32 v2, v206, 2, v2
	v_lshl_or_b32 v210, v12, 4, v3
	v_lshlrev_b32_e32 v209, 4, v205
	ds_write_b32 v2, v11 offset:4096
	ds_write2st64_b32 v210, v10, v13 offset1:4
	s_waitcnt lgkmcnt(0)
	s_barrier
	ds_read_b128 v[10:13], v209
	v_lshlrev_b32_e32 v208, 4, v204
	ds_read_b128 v[14:17], v208 offset:4992
	ds_read_b128 v[18:21], v209 offset:512
	;; [unrolled: 1-line block ×5, first 2 shown]
	s_waitcnt lgkmcnt(5)
	v_max_f32_e32 v3, v11, v11
	v_max_f32_e32 v56, v10, v10
	v_max_f32_e32 v112, v13, v13
	v_max_f32_e32 v113, v12, v12
	ds_read_b128 v[10:13], v208 offset:4352
	s_waitcnt lgkmcnt(5)
	v_max_f32_e32 v9, v15, v15
	v_max_f32_e32 v60, v14, v14
	s_waitcnt lgkmcnt(4)
	v_max_f32_e32 v58, v19, v19
	v_max_f32_e32 v59, v18, v18
	;; [unrolled: 1-line block ×4, first 2 shown]
	ds_read_b128 v[14:17], v208 offset:4480
	v_max_f32_e32 v124, v21, v21
	v_max_f32_e32 v125, v20, v20
	s_waitcnt lgkmcnt(2)
	v_max_f32_e32 v126, v33, v33
	v_max_f32_e32 v127, v32, v32
	s_waitcnt lgkmcnt(1)
	v_max_f32_e32 v32, v10, v10
	v_max_f32_e32 v33, v11, v11
	;; [unrolled: 1-line block ×3, first 2 shown]
	ds_read_b128 v[18:21], v208 offset:4608
	v_max_f32_e32 v73, v13, v13
	ds_read_b128 v[10:13], v208 offset:4736
	ds_read_b128 v[34:37], v208 offset:4096
	;; [unrolled: 1-line block ×3, first 2 shown]
	v_max_f32_e32 v61, v31, v31
	v_max_f32_e32 v62, v30, v30
	;; [unrolled: 1-line block ×4, first 2 shown]
	s_waitcnt lgkmcnt(2)
	v_max_f32_e32 v54, v10, v10
	v_max_f32_e32 v55, v11, v11
	s_waitcnt lgkmcnt(1)
	v_max_f32_e32 v30, v34, v34
	v_max_f32_e32 v31, v35, v35
	;; [unrolled: 3-line block ×3, first 2 shown]
	v_max_f32_e32 v42, v14, v14
	v_max_f32_e32 v43, v15, v15
	;; [unrolled: 1-line block ×6, first 2 shown]
	v_min_f32_e32 v50, v54, v56
	v_min_f32_e32 v51, v55, v3
	;; [unrolled: 1-line block ×10, first 2 shown]
	v_max_f32_e32 v68, v36, v36
	v_max_f32_e32 v69, v37, v37
	;; [unrolled: 1-line block ×11, first 2 shown]
	v_min_f32_e32 v10, v30, v56
	v_min_f32_e32 v11, v31, v3
	;; [unrolled: 1-line block ×35, first 2 shown]
	v_pk_add_f32 v[54:55], v[54:55], 0 op_sel_hi:[1,0]
	v_min_f32_e32 v61, v122, v112
	v_min_f32_e32 v60, v123, v113
	v_pk_add_f32 v[96:97], v[54:55], v[60:61]
	v_pk_add_f32 v[54:55], v[56:57], 0 op_sel_hi:[1,0]
	v_min_f32_e32 v57, v122, v124
	v_min_f32_e32 v56, v123, v125
	v_pk_add_f32 v[80:81], v[54:55], v[56:57]
	v_pk_add_f32 v[54:55], v[58:59], 0 op_sel_hi:[1,0]
	v_min_f32_e32 v57, v122, v126
	v_min_f32_e32 v56, v123, v127
	v_max_f32_e32 v84, v16, v16
	v_min_f32_e32 v14, v30, v62
	v_min_f32_e32 v16, v30, v64
	;; [unrolled: 1-line block ×8, first 2 shown]
	v_pk_add_f32 v[64:65], v[54:55], v[56:57]
	v_pk_add_f32 v[10:11], v[10:11], 0 op_sel_hi:[1,0]
	v_min_f32_e32 v54, v68, v113
	v_min_f32_e32 v55, v69, v112
	v_pk_add_f32 v[120:121], v[10:11], v[54:55]
	v_pk_add_f32 v[10:11], v[12:13], 0 op_sel_hi:[1,0]
	v_min_f32_e32 v12, v68, v125
	v_min_f32_e32 v13, v69, v124
	;; [unrolled: 4-line block ×3, first 2 shown]
	v_max_f32_e32 v71, v41, v41
	v_min_f32_e32 v19, v27, v3
	v_pk_add_f32 v[78:79], v[10:11], v[12:13]
	v_min_f32_e32 v11, v69, v128
	v_min_f32_e32 v10, v68, v129
	v_pk_add_f32 v[12:13], v[16:17], 0 op_sel_hi:[1,0]
	v_max_f32_e32 v133, v25, v25
	v_min_f32_e32 v25, v27, v63
	v_min_f32_e32 v27, v33, v3
	;; [unrolled: 1-line block ×9, first 2 shown]
	v_pk_add_f32 v[62:63], v[12:13], v[10:11]
	v_pk_add_f32 v[10:11], v[18:19], 0 op_sel_hi:[1,0]
	v_min_f32_e32 v12, v70, v113
	v_min_f32_e32 v13, v71, v112
	v_pk_add_f32 v[118:119], v[10:11], v[12:13]
	v_pk_add_f32 v[10:11], v[20:21], 0 op_sel_hi:[1,0]
	v_min_f32_e32 v12, v70, v125
	v_min_f32_e32 v13, v71, v124
	v_pk_add_f32 v[92:93], v[10:11], v[12:13]
	v_pk_add_f32 v[10:11], v[22:23], 0 op_sel_hi:[1,0]
	v_min_f32_e32 v12, v70, v127
	v_min_f32_e32 v13, v71, v126
	v_pk_add_f32 v[76:77], v[10:11], v[12:13]
	v_min_f32_e32 v11, v71, v128
	v_min_f32_e32 v10, v70, v129
	v_pk_add_f32 v[12:13], v[24:25], 0 op_sel_hi:[1,0]
	v_min_f32_e32 v99, v74, v3
	v_pk_add_f32 v[60:61], v[12:13], v[10:11]
	v_pk_add_f32 v[10:11], v[26:27], 0 op_sel_hi:[1,0]
	v_min_f32_e32 v12, v72, v113
	v_min_f32_e32 v13, v73, v112
	v_pk_add_f32 v[116:117], v[10:11], v[12:13]
	v_pk_add_f32 v[10:11], v[28:29], 0 op_sel_hi:[1,0]
	v_min_f32_e32 v12, v72, v125
	;; [unrolled: 4-line block ×3, first 2 shown]
	v_min_f32_e32 v13, v73, v126
	v_pk_add_f32 v[74:75], v[10:11], v[12:13]
	v_min_f32_e32 v11, v73, v128
	v_min_f32_e32 v10, v72, v129
	v_pk_add_f32 v[12:13], v[32:33], 0 op_sel_hi:[1,0]
	s_cmp_lt_i32 s22, 9
	v_pk_add_f32 v[58:59], v[12:13], v[10:11]
	v_pk_add_f32 v[10:11], v[34:35], 0 op_sel_hi:[1,0]
	v_min_f32_e32 v12, v84, v113
	v_min_f32_e32 v13, v85, v112
	v_pk_add_f32 v[114:115], v[10:11], v[12:13]
	v_pk_add_f32 v[10:11], v[36:37], 0 op_sel_hi:[1,0]
	v_min_f32_e32 v12, v84, v125
	v_min_f32_e32 v13, v85, v124
	;; [unrolled: 4-line block ×3, first 2 shown]
	v_pk_add_f32 v[72:73], v[10:11], v[12:13]
	v_min_f32_e32 v11, v85, v128
	v_min_f32_e32 v10, v84, v129
	v_pk_add_f32 v[12:13], v[40:41], 0 op_sel_hi:[1,0]
	ds_write2st64_b32 v210, v8, v7 offset0:8 offset1:12
	ds_write_b32 v2, v6 offset:5120
	v_pk_add_f32 v[56:57], v[12:13], v[10:11]
	v_pk_add_f32 v[10:11], v[42:43], 0 op_sel_hi:[1,0]
	v_min_f32_e32 v12, v110, v113
	v_min_f32_e32 v13, v111, v112
	v_pk_add_f32 v[108:109], v[10:11], v[12:13]
	v_pk_add_f32 v[10:11], v[44:45], 0 op_sel_hi:[1,0]
	v_min_f32_e32 v12, v110, v125
	v_min_f32_e32 v13, v111, v124
	;; [unrolled: 4-line block ×3, first 2 shown]
	v_pk_add_f32 v[70:71], v[10:11], v[12:13]
	v_min_f32_e32 v11, v111, v128
	v_min_f32_e32 v10, v110, v129
	v_pk_add_f32 v[12:13], v[48:49], 0 op_sel_hi:[1,0]
	s_waitcnt lgkmcnt(0)
	v_pk_add_f32 v[54:55], v[12:13], v[10:11]
	v_pk_add_f32 v[10:11], v[50:51], 0 op_sel_hi:[1,0]
	v_min_f32_e32 v12, v130, v113
	v_min_f32_e32 v13, v131, v112
	v_pk_add_f32 v[110:111], v[10:11], v[12:13]
	v_pk_add_f32 v[10:11], v[52:53], 0 op_sel_hi:[1,0]
	v_min_f32_e32 v12, v130, v125
	v_min_f32_e32 v13, v131, v124
	;; [unrolled: 4-line block ×3, first 2 shown]
	v_pk_add_f32 v[68:69], v[10:11], v[12:13]
	v_min_f32_e32 v11, v131, v128
	v_min_f32_e32 v10, v130, v129
	v_pk_add_f32 v[12:13], v[82:83], 0 op_sel_hi:[1,0]
	s_barrier
	v_pk_add_f32 v[52:53], v[12:13], v[10:11]
	v_min_f32_e32 v10, v132, v113
	v_min_f32_e32 v11, v133, v112
	v_pk_add_f32 v[12:13], v[98:99], 0 op_sel_hi:[1,0]
	s_nop 0
	v_pk_add_f32 v[112:113], v[12:13], v[10:11]
	v_min_f32_e32 v10, v132, v125
	v_min_f32_e32 v11, v133, v124
	v_pk_add_f32 v[12:13], v[100:101], 0 op_sel_hi:[1,0]
	s_nop 0
	;; [unrolled: 5-line block ×5, first 2 shown]
	v_pk_add_f32 v[48:49], v[12:13], v[10:11]
	s_cbranch_scc1 .LBB83_36
; %bb.22:
	v_lshl_add_u64 v[98:99], v[0:1], 2, s[26:27]
	v_mov_b32_e32 v0, 0x1400
	v_lshl_add_u32 v215, v204, 4, v0
	v_mov_b32_e32 v0, 0x800
	v_lshl_add_u32 v216, v205, 4, v0
	v_add_u32_e32 v0, 12, v206
	v_mad_i64_i32 v[0:1], s[4:5], v0, s28, 0
	v_lshlrev_b64 v[104:105], 2, v[0:1]
	v_add_u32_e32 v0, 8, v206
	v_mad_i64_i32 v[0:1], s[4:5], v0, s28, 0
	v_or_b32_e32 v211, 0x1000, v2
	v_add_u32_e32 v212, 0x1000, v208
	v_add_u32_e32 v213, 0x1400, v2
	;; [unrolled: 1-line block ×3, first 2 shown]
	s_add_i32 s30, s22, -8
	v_mad_i64_i32 v[100:101], s[4:5], v4, s35, 0
	v_mad_i64_i32 v[102:103], s[4:5], v5, s35, 0
	s_lshl_b64 s[26:27], s[28:29], 5
	v_lshlrev_b64 v[106:107], 2, v[0:1]
	s_mov_b32 s31, 0
	s_branch .LBB83_24
.LBB83_23:                              ;   in Loop: Header=BB83_24 Depth=1
	s_or_b64 exec, exec, s[4:5]
	v_pk_add_f32 v[40:41], v[96:97], v[40:41]
	v_pk_add_f32 v[32:33], v[64:65], v[32:33]
	;; [unrolled: 1-line block ×19, first 2 shown]
	ds_read_b128 v[0:3], v209
	ds_read_b128 v[8:11], v209 offset:512
	v_pk_add_f32 v[20:21], v[120:121], v[6:7]
	ds_read_b128 v[4:7], v212 offset:896
	v_pk_add_f32 v[44:45], v[94:95], v[44:45]
	v_pk_add_f32 v[28:29], v[78:79], v[28:29]
	;; [unrolled: 1-line block ×20, first 2 shown]
	ds_read_b128 v[12:15], v212 offset:768
	s_waitcnt lgkmcnt(1)
	v_max_f32_e32 v93, v5, v5
	v_max_f32_e32 v95, v4, v4
	;; [unrolled: 1-line block ×4, first 2 shown]
	v_pk_add_f32 v[76:77], v[36:37], v[38:39]
	v_pk_add_f32 v[72:73], v[28:29], v[30:31]
	;; [unrolled: 1-line block ×6, first 2 shown]
	ds_read_b128 v[80:83], v209 offset:1536
	ds_read_b128 v[84:87], v209 offset:1024
	v_min_f32_e32 v5, v93, v96
	v_min_f32_e32 v4, v95, v97
	v_pk_add_f32 v[60:61], v[62:63], v[168:169]
	v_pk_add_f32 v[62:63], v[78:79], v[166:167]
	;; [unrolled: 1-line block ×3, first 2 shown]
	ds_read_b128 v[76:79], v212
	v_pk_add_f32 v[90:91], v[90:91], v[132:133]
	v_pk_add_f32 v[88:89], v[88:89], v[138:139]
	;; [unrolled: 1-line block ×3, first 2 shown]
	s_waitcnt lgkmcnt(1)
	v_max_f32_e32 v114, v85, v85
	v_max_f32_e32 v115, v84, v84
	v_pk_add_f32 v[116:117], v[54:55], v[148:149]
	v_pk_add_f32 v[54:55], v[90:91], v[172:173]
	;; [unrolled: 1-line block ×3, first 2 shown]
	ds_read_b128 v[88:91], v212 offset:128
	v_max_f32_e32 v92, v1, v1
	v_max_f32_e32 v94, v0, v0
	v_min_f32_e32 v9, v93, v114
	v_min_f32_e32 v8, v95, v115
	s_waitcnt lgkmcnt(1)
	v_max_f32_e32 v84, v76, v76
	v_max_f32_e32 v85, v77, v77
	v_pk_add_f32 v[8:9], v[74:75], v[8:9]
	v_min_f32_e32 v74, v84, v94
	v_min_f32_e32 v75, v85, v92
	v_pk_add_f32 v[74:75], v[68:69], v[74:75]
	v_min_f32_e32 v68, v84, v97
	v_min_f32_e32 v69, v85, v96
	;; [unrolled: 3-line block ×3, first 2 shown]
	v_max_f32_e32 v81, v81, v81
	v_max_f32_e32 v80, v80, v80
	v_pk_add_f32 v[66:67], v[24:25], v[26:27]
	v_pk_add_f32 v[72:73], v[72:73], v[68:69]
	v_min_f32_e32 v69, v85, v81
	v_min_f32_e32 v68, v84, v80
	v_pk_add_f32 v[84:85], v[66:67], v[68:69]
	s_waitcnt lgkmcnt(0)
	v_max_f32_e32 v68, v88, v88
	v_max_f32_e32 v69, v89, v89
	v_min_f32_e32 v66, v68, v94
	v_min_f32_e32 v67, v69, v92
	v_pk_add_f32 v[60:61], v[60:61], v[66:67]
	v_min_f32_e32 v66, v68, v97
	v_min_f32_e32 v67, v69, v96
	v_pk_add_f32 v[108:109], v[108:109], v[146:147]
	v_pk_add_f32 v[88:89], v[62:63], v[66:67]
	v_min_f32_e32 v62, v68, v115
	v_min_f32_e32 v63, v69, v114
	v_pk_add_f32 v[36:37], v[108:109], v[186:187]
	v_pk_add_f32 v[108:109], v[64:65], v[62:63]
	ds_read_b128 v[64:67], v212 offset:256
	v_min_f32_e32 v63, v69, v81
	v_min_f32_e32 v62, v68, v80
	ds_read_b128 v[68:71], v212 offset:384
	v_pk_add_f32 v[58:59], v[58:59], v[62:63]
	s_waitcnt lgkmcnt(1)
	v_max_f32_e32 v64, v64, v64
	v_max_f32_e32 v65, v65, v65
	v_min_f32_e32 v62, v64, v94
	v_min_f32_e32 v63, v65, v92
	v_pk_add_f32 v[52:53], v[52:53], v[62:63]
	v_min_f32_e32 v62, v64, v97
	v_min_f32_e32 v63, v65, v96
	v_pk_add_f32 v[54:55], v[54:55], v[62:63]
	;; [unrolled: 3-line block ×3, first 2 shown]
	v_pk_add_f32 v[56:57], v[56:57], v[62:63]
	v_min_f32_e32 v63, v65, v81
	v_min_f32_e32 v62, v64, v80
	v_pk_add_f32 v[28:29], v[110:111], v[196:197]
	v_pk_add_f32 v[110:111], v[50:51], v[62:63]
	s_waitcnt lgkmcnt(0)
	v_max_f32_e32 v62, v68, v68
	v_max_f32_e32 v63, v69, v69
	v_min_f32_e32 v50, v62, v94
	v_min_f32_e32 v51, v63, v92
	v_pk_add_f32 v[112:113], v[112:113], v[158:159]
	v_pk_add_f32 v[68:69], v[44:45], v[50:51]
	v_min_f32_e32 v44, v62, v97
	v_min_f32_e32 v45, v63, v96
	v_pk_add_f32 v[24:25], v[112:113], v[202:203]
	v_pk_add_f32 v[112:113], v[46:47], v[44:45]
	;; [unrolled: 4-line block ×3, first 2 shown]
	ds_read_b128 v[44:47], v212 offset:512
	v_min_f32_e32 v49, v63, v81
	v_min_f32_e32 v48, v62, v80
	v_pk_add_f32 v[42:43], v[42:43], v[48:49]
	ds_read_b128 v[48:51], v212 offset:640
	s_waitcnt lgkmcnt(1)
	v_max_f32_e32 v62, v44, v44
	v_max_f32_e32 v63, v45, v45
	v_min_f32_e32 v44, v62, v94
	v_min_f32_e32 v45, v63, v92
	v_pk_add_f32 v[36:37], v[36:37], v[44:45]
	v_min_f32_e32 v44, v62, v97
	v_min_f32_e32 v45, v63, v96
	v_pk_add_f32 v[38:39], v[38:39], v[44:45]
	;; [unrolled: 3-line block ×3, first 2 shown]
	v_pk_add_f32 v[40:41], v[40:41], v[44:45]
	v_min_f32_e32 v45, v63, v81
	v_min_f32_e32 v44, v62, v80
	s_waitcnt lgkmcnt(0)
	v_max_f32_e32 v48, v48, v48
	v_max_f32_e32 v49, v49, v49
	v_pk_add_f32 v[34:35], v[34:35], v[44:45]
	v_min_f32_e32 v44, v48, v94
	v_min_f32_e32 v45, v49, v92
	v_pk_add_f32 v[28:29], v[28:29], v[44:45]
	v_min_f32_e32 v44, v48, v97
	v_min_f32_e32 v45, v49, v96
	;; [unrolled: 3-line block ×3, first 2 shown]
	v_pk_add_f32 v[26:27], v[118:119], v[198:199]
	v_pk_add_f32 v[32:33], v[32:33], v[44:45]
	v_min_f32_e32 v45, v49, v81
	v_min_f32_e32 v44, v48, v80
	v_pk_add_f32 v[26:27], v[26:27], v[44:45]
	v_max_f32_e32 v44, v12, v12
	v_max_f32_e32 v45, v13, v13
	v_min_f32_e32 v12, v44, v94
	v_min_f32_e32 v13, v45, v92
	v_pk_add_f32 v[12:13], v[24:25], v[12:13]
	v_min_f32_e32 v24, v44, v97
	v_min_f32_e32 v25, v45, v96
	v_pk_add_f32 v[22:23], v[22:23], v[24:25]
	v_min_f32_e32 v24, v44, v115
	v_min_f32_e32 v25, v45, v114
	v_pk_add_f32 v[18:19], v[18:19], v[24:25]
	v_min_f32_e32 v25, v45, v81
	v_min_f32_e32 v24, v44, v80
	v_pk_add_f32 v[20:21], v[20:21], v[24:25]
	v_min_f32_e32 v25, v93, v81
	v_min_f32_e32 v24, v95, v80
	;; [unrolled: 1-line block ×4, first 2 shown]
	v_pk_add_f32 v[16:17], v[16:17], v[24:25]
	v_max_f32_e32 v24, v3, v3
	v_max_f32_e32 v7, v7, v7
	;; [unrolled: 1-line block ×4, first 2 shown]
	v_pk_add_f32 v[0:1], v[124:125], v[0:1]
	v_min_f32_e32 v3, v7, v24
	v_min_f32_e32 v2, v6, v25
	v_pk_add_f32 v[96:97], v[0:1], v[2:3]
	v_max_f32_e32 v2, v11, v11
	v_max_f32_e32 v3, v10, v10
	v_min_f32_e32 v1, v7, v2
	v_min_f32_e32 v0, v6, v3
	v_pk_add_f32 v[80:81], v[4:5], v[0:1]
	v_max_f32_e32 v4, v87, v87
	v_max_f32_e32 v5, v86, v86
	;; [unrolled: 5-line block ×3, first 2 shown]
	v_min_f32_e32 v0, v8, v25
	v_min_f32_e32 v1, v9, v24
	v_pk_add_f32 v[120:121], v[74:75], v[0:1]
	v_min_f32_e32 v0, v8, v3
	v_min_f32_e32 v1, v9, v2
	v_pk_add_f32 v[94:95], v[76:77], v[0:1]
	v_min_f32_e32 v0, v8, v5
	v_min_f32_e32 v1, v9, v4
	v_max_f32_e32 v10, v83, v83
	v_pk_add_f32 v[78:79], v[72:73], v[0:1]
	v_min_f32_e32 v1, v9, v10
	v_max_f32_e32 v9, v82, v82
	v_min_f32_e32 v0, v8, v9
	v_max_f32_e32 v8, v90, v90
	v_max_f32_e32 v11, v91, v91
	v_pk_add_f32 v[62:63], v[84:85], v[0:1]
	v_min_f32_e32 v0, v8, v25
	v_min_f32_e32 v1, v11, v24
	v_pk_add_f32 v[118:119], v[60:61], v[0:1]
	v_min_f32_e32 v0, v8, v3
	v_min_f32_e32 v1, v11, v2
	v_pk_add_f32 v[92:93], v[88:89], v[0:1]
	v_min_f32_e32 v0, v8, v5
	v_min_f32_e32 v1, v11, v4
	v_pk_add_f32 v[76:77], v[108:109], v[0:1]
	v_min_f32_e32 v1, v11, v10
	v_min_f32_e32 v0, v8, v9
	v_max_f32_e32 v8, v66, v66
	v_max_f32_e32 v11, v67, v67
	v_pk_add_f32 v[60:61], v[58:59], v[0:1]
	v_min_f32_e32 v0, v8, v25
	v_min_f32_e32 v1, v11, v24
	v_pk_add_f32 v[116:117], v[52:53], v[0:1]
	v_min_f32_e32 v0, v8, v3
	v_min_f32_e32 v1, v11, v2
	v_pk_add_f32 v[90:91], v[54:55], v[0:1]
	v_min_f32_e32 v0, v8, v5
	v_min_f32_e32 v1, v11, v4
	v_pk_add_f32 v[74:75], v[56:57], v[0:1]
	v_min_f32_e32 v1, v11, v10
	;; [unrolled: 14-line block ×6, first 2 shown]
	v_min_f32_e32 v0, v8, v9
	v_pk_add_f32 v[50:51], v[20:21], v[0:1]
	v_min_f32_e32 v1, v7, v10
	v_min_f32_e32 v0, v6, v9
	s_add_i32 s31, s31, 8
	v_pk_add_f32 v[48:49], v[16:17], v[0:1]
	s_cmp_ge_i32 s31, s30
	v_lshl_add_u64 v[98:99], v[98:99], 0, s[26:27]
	ds_write_b32 v213, v217
	ds_write2st64_b32 v214, v219, v218 offset1:4
	s_waitcnt lgkmcnt(0)
	s_barrier
	s_cbranch_scc1 .LBB83_36
.LBB83_24:                              ; =>This Inner Loop Header: Depth=1
	v_add_u32_e32 v122, s31, v206
	v_add_u32_e32 v0, 8, v122
	v_cmp_gt_i32_e64 s[4:5], s22, v0
	s_and_b64 s[4:5], vcc, s[4:5]
	s_and_b64 s[28:29], s[16:17], s[4:5]
	v_mov_b32_e32 v124, 0
	v_mov_b32_e32 v125, 0
	s_and_saveexec_b64 s[4:5], s[28:29]
	s_cbranch_execz .LBB83_26
; %bb.25:                               ;   in Loop: Header=BB83_24 Depth=1
	v_lshl_add_u64 v[0:1], v[98:99], 0, v[106:107]
	flat_load_dword v0, v[0:1]
	s_waitcnt vmcnt(0) lgkmcnt(0)
	v_mul_f32_e32 v125, s23, v0
.LBB83_26:                              ;   in Loop: Header=BB83_24 Depth=1
	s_or_b64 exec, exec, s[4:5]
	v_add_u32_e32 v123, s31, v207
	v_add_u32_e32 v0, 8, v123
	v_cmp_le_i32_e64 s[4:5], s22, v0
	v_min_i32_e32 v0, s34, v0
	v_ashrrev_i32_e32 v1, 31, v0
	s_or_b64 s[28:29], s[8:9], s[4:5]
	v_lshl_add_u64 v[0:1], v[0:1], 2, s[18:19]
	s_xor_b64 s[36:37], s[28:29], -1
	s_and_saveexec_b64 s[28:29], s[36:37]
	s_cbranch_execz .LBB83_28
; %bb.27:                               ;   in Loop: Header=BB83_24 Depth=1
	v_lshl_add_u64 v[2:3], v[100:101], 2, v[0:1]
	flat_load_dword v2, v[2:3]
	s_waitcnt vmcnt(0) lgkmcnt(0)
	v_mul_f32_e32 v124, s23, v2
.LBB83_28:                              ;   in Loop: Header=BB83_24 Depth=1
	s_or_b64 exec, exec, s[28:29]
	s_or_b64 s[4:5], s[6:7], s[4:5]
	s_xor_b64 s[28:29], s[4:5], -1
	v_mov_b32_e32 v217, 0
	v_mov_b32_e32 v126, 0
	s_and_saveexec_b64 s[4:5], s[28:29]
	s_cbranch_execz .LBB83_30
; %bb.29:                               ;   in Loop: Header=BB83_24 Depth=1
	v_lshl_add_u64 v[0:1], v[102:103], 2, v[0:1]
	flat_load_dword v0, v[0:1]
	s_waitcnt vmcnt(0) lgkmcnt(0)
	v_mul_f32_e32 v126, s23, v0
.LBB83_30:                              ;   in Loop: Header=BB83_24 Depth=1
	s_or_b64 exec, exec, s[4:5]
	ds_read_b128 v[40:43], v216
	ds_read_b128 v[36:39], v216 offset:512
	ds_read_b128 v[24:27], v216 offset:1536
	;; [unrolled: 1-line block ×3, first 2 shown]
	ds_read_b128 v[28:31], v215
	ds_read_b128 v[20:23], v215 offset:128
	ds_read_b128 v[16:19], v215 offset:256
	;; [unrolled: 1-line block ×7, first 2 shown]
	v_add_u32_e32 v122, 12, v122
	v_cmp_gt_i32_e64 s[4:5], s22, v122
	s_and_b64 s[4:5], vcc, s[4:5]
	s_and_b64 s[28:29], s[16:17], s[4:5]
	ds_write_b32 v211, v125
	ds_write2st64_b32 v210, v124, v126 offset1:4
	s_waitcnt lgkmcnt(0)
	s_barrier
	s_and_saveexec_b64 s[4:5], s[28:29]
	s_cbranch_execz .LBB83_32
; %bb.31:                               ;   in Loop: Header=BB83_24 Depth=1
	v_lshl_add_u64 v[124:125], v[98:99], 0, v[104:105]
	flat_load_dword v122, v[124:125]
	s_waitcnt vmcnt(0) lgkmcnt(0)
	v_mul_f32_e32 v217, s23, v122
.LBB83_32:                              ;   in Loop: Header=BB83_24 Depth=1
	s_or_b64 exec, exec, s[4:5]
	v_add_u32_e32 v122, 12, v123
	v_cmp_le_i32_e64 s[4:5], s22, v122
	v_min_i32_e32 v122, s34, v122
	v_ashrrev_i32_e32 v123, 31, v122
	s_or_b64 s[28:29], s[8:9], s[4:5]
	v_lshl_add_u64 v[122:123], v[122:123], 2, s[18:19]
	s_xor_b64 s[36:37], s[28:29], -1
	v_mov_b32_e32 v218, 0
	v_mov_b32_e32 v219, 0
	s_and_saveexec_b64 s[28:29], s[36:37]
	s_cbranch_execz .LBB83_34
; %bb.33:                               ;   in Loop: Header=BB83_24 Depth=1
	v_lshl_add_u64 v[124:125], v[100:101], 2, v[122:123]
	flat_load_dword v124, v[124:125]
	s_waitcnt vmcnt(0) lgkmcnt(0)
	v_mul_f32_e32 v219, s23, v124
.LBB83_34:                              ;   in Loop: Header=BB83_24 Depth=1
	s_or_b64 exec, exec, s[28:29]
	v_max_f32_e32 v156, v41, v41
	v_max_f32_e32 v162, v45, v45
	;; [unrolled: 1-line block ×34, first 2 shown]
	v_min_f32_e32 v41, v162, v156
	v_min_f32_e32 v40, v164, v157
	;; [unrolled: 1-line block ×62, first 2 shown]
	v_max_f32_e32 v193, v47, v47
	v_max_f32_e32 v220, v46, v46
	;; [unrolled: 1-line block ×12, first 2 shown]
	v_min_f32_e32 v196, v6, v200
	v_min_f32_e32 v197, v7, v192
	;; [unrolled: 1-line block ×8, first 2 shown]
	v_max_f32_e32 v6, v2, v2
	v_max_f32_e32 v7, v3, v3
	s_or_b64 s[4:5], s[6:7], s[4:5]
	v_min_f32_e32 v32, v164, v165
	v_min_f32_e32 v0, v168, v165
	;; [unrolled: 1-line block ×58, first 2 shown]
	s_xor_b64 s[28:29], s[4:5], -1
	s_and_saveexec_b64 s[4:5], s[28:29]
	s_cbranch_execz .LBB83_23
; %bb.35:                               ;   in Loop: Header=BB83_24 Depth=1
	v_lshl_add_u64 v[122:123], v[102:103], 2, v[122:123]
	flat_load_dword v122, v[122:123]
	s_waitcnt vmcnt(0) lgkmcnt(0)
	v_mul_f32_e32 v218, s23, v122
	s_branch .LBB83_23
.LBB83_36:
	s_load_dwordx2 s[4:5], s[0:1], 0x70
	s_load_dword s29, s[0:1], 0x50
	s_load_dword s28, s[0:1], 0x68
	ds_read_b128 v[44:47], v209 offset:2048
	ds_read_b128 v[40:43], v209 offset:2560
	;; [unrolled: 1-line block ×12, first 2 shown]
	v_add_u32_e32 v126, s12, v205
	s_waitcnt lgkmcnt(0)
	s_mul_i32 s0, s3, s5
	s_mul_hi_u32 s1, s3, s4
	s_mul_i32 s5, s13, s4
	s_add_i32 s0, s1, s0
	s_add_i32 s1, s0, s5
	s_mul_i32 s0, s3, s4
	s_lshl_b64 s[0:1], s[0:1], 2
	s_add_u32 s22, s10, s0
	s_addc_u32 s23, s11, s1
	v_mad_i64_i32 v[100:101], s[0:1], v126, s29, 0
	v_add_u32_e32 v98, s2, v204
	v_lshl_add_u64 v[124:125], v[100:101], 2, s[24:25]
	v_mad_i64_i32 v[100:101], s[0:1], v126, s28, 0
	v_cmp_gt_i32_e64 s[18:19], s21, v126
	v_lshl_add_u64 v[122:123], v[100:101], 2, s[22:23]
	v_cmp_gt_i32_e64 s[2:3], s20, v98
	v_cndmask_b32_e64 v100, 0, 1, s[14:15]
	s_and_b64 s[6:7], s[2:3], s[18:19]
	v_ashrrev_i32_e32 v99, 31, v98
	v_cmp_ne_u32_e64 s[0:1], 1, v100
	s_and_saveexec_b64 s[4:5], s[6:7]
	s_cbranch_execz .LBB83_41
; %bb.37:
	s_and_b64 vcc, exec, s[0:1]
	s_cbranch_vccnz .LBB83_39
; %bb.38:
	v_lshl_add_u64 v[100:101], v[98:99], 2, v[124:125]
	flat_load_dword v100, v[100:101]
	s_waitcnt vmcnt(0) lgkmcnt(0)
	v_mul_f32_e32 v100, s33, v100
	s_branch .LBB83_40
.LBB83_39:
	v_mov_b32_e32 v100, 0
.LBB83_40:
	v_max_f32_e32 v101, v44, v44
	v_max_f32_e32 v102, v32, v32
	v_min_f32_e32 v102, v102, v101
	v_max_f32_e32 v101, v45, v45
	v_max_f32_e32 v103, v33, v33
	v_min_f32_e32 v103, v103, v101
	;; [unrolled: 3-line block ×3, first 2 shown]
	v_max_f32_e32 v101, v47, v47
	v_max_f32_e32 v105, v35, v35
	v_pk_add_f32 v[102:103], v[120:121], v[102:103]
	v_min_f32_e32 v105, v105, v101
	v_pk_add_f32 v[102:103], v[102:103], v[104:105]
	s_nop 0
	v_add_f32_e32 v101, v102, v103
	v_add_f32_e32 v102, v101, v100
	v_lshl_add_u64 v[100:101], v[98:99], 2, v[122:123]
	global_store_dword v[100:101], v102, off
.LBB83_41:
	s_or_b64 exec, exec, s[4:5]
	v_add_u32_e32 v100, 8, v98
	v_cmp_gt_i32_e64 s[4:5], s20, v100
	s_and_b64 s[8:9], s[4:5], s[18:19]
	v_ashrrev_i32_e32 v101, 31, v100
	s_and_saveexec_b64 s[6:7], s[8:9]
	s_cbranch_execz .LBB83_46
; %bb.42:
	s_and_b64 vcc, exec, s[0:1]
	s_cbranch_vccnz .LBB83_44
; %bb.43:
	v_lshl_add_u64 v[102:103], v[100:101], 2, v[124:125]
	flat_load_dword v102, v[102:103]
	s_waitcnt vmcnt(0) lgkmcnt(0)
	v_mul_f32_e32 v102, s33, v102
	s_branch .LBB83_45
.LBB83_44:
	v_mov_b32_e32 v102, 0
.LBB83_45:
	v_max_f32_e32 v103, v44, v44
	v_max_f32_e32 v104, v28, v28
	v_min_f32_e32 v104, v104, v103
	v_max_f32_e32 v103, v45, v45
	v_max_f32_e32 v105, v29, v29
	v_min_f32_e32 v105, v105, v103
	;; [unrolled: 3-line block ×3, first 2 shown]
	v_max_f32_e32 v103, v47, v47
	v_max_f32_e32 v107, v31, v31
	v_pk_add_f32 v[104:105], v[118:119], v[104:105]
	v_min_f32_e32 v107, v107, v103
	v_pk_add_f32 v[104:105], v[104:105], v[106:107]
	s_nop 0
	v_add_f32_e32 v103, v104, v105
	v_add_f32_e32 v104, v103, v102
	v_lshl_add_u64 v[102:103], v[100:101], 2, v[122:123]
	global_store_dword v[102:103], v104, off
.LBB83_46:
	s_or_b64 exec, exec, s[6:7]
	v_add_u32_e32 v102, 16, v98
	v_cmp_gt_i32_e64 s[6:7], s20, v102
	s_and_b64 s[10:11], s[6:7], s[18:19]
	v_ashrrev_i32_e32 v103, 31, v102
	s_and_saveexec_b64 s[8:9], s[10:11]
	s_cbranch_execz .LBB83_51
; %bb.47:
	s_and_b64 vcc, exec, s[0:1]
	s_cbranch_vccnz .LBB83_49
; %bb.48:
	v_lshl_add_u64 v[104:105], v[102:103], 2, v[124:125]
	flat_load_dword v104, v[104:105]
	s_waitcnt vmcnt(0) lgkmcnt(0)
	v_mul_f32_e32 v104, s33, v104
	s_branch .LBB83_50
.LBB83_49:
	v_mov_b32_e32 v104, 0
.LBB83_50:
	v_max_f32_e32 v105, v44, v44
	v_max_f32_e32 v106, v24, v24
	v_min_f32_e32 v106, v106, v105
	v_max_f32_e32 v105, v45, v45
	v_max_f32_e32 v107, v25, v25
	v_min_f32_e32 v107, v107, v105
	v_pk_add_f32 v[106:107], v[116:117], v[106:107]
	v_max_f32_e32 v105, v46, v46
	v_max_f32_e32 v116, v26, v26
	v_min_f32_e32 v116, v116, v105
	v_max_f32_e32 v105, v47, v47
	v_max_f32_e32 v117, v27, v27
	v_min_f32_e32 v117, v117, v105
	v_pk_add_f32 v[106:107], v[106:107], v[116:117]
	s_nop 0
	v_add_f32_e32 v105, v106, v107
	v_add_f32_e32 v106, v105, v104
	v_lshl_add_u64 v[104:105], v[102:103], 2, v[122:123]
	global_store_dword v[104:105], v106, off
.LBB83_51:
	s_or_b64 exec, exec, s[8:9]
	v_add_u32_e32 v104, 24, v98
	v_cmp_gt_i32_e64 s[8:9], s20, v104
	s_and_b64 s[12:13], s[8:9], s[18:19]
	v_ashrrev_i32_e32 v105, 31, v104
	s_and_saveexec_b64 s[10:11], s[12:13]
	s_cbranch_execz .LBB83_56
; %bb.52:
	s_and_b64 vcc, exec, s[0:1]
	s_cbranch_vccnz .LBB83_54
; %bb.53:
	v_lshl_add_u64 v[106:107], v[104:105], 2, v[124:125]
	flat_load_dword v106, v[106:107]
	s_waitcnt vmcnt(0) lgkmcnt(0)
	v_mul_f32_e32 v106, s33, v106
	s_branch .LBB83_55
.LBB83_54:
	v_mov_b32_e32 v106, 0
.LBB83_55:
	v_max_f32_e32 v107, v44, v44
	v_max_f32_e32 v116, v20, v20
	v_min_f32_e32 v116, v116, v107
	v_max_f32_e32 v107, v45, v45
	v_max_f32_e32 v117, v21, v21
	v_min_f32_e32 v117, v117, v107
	v_pk_add_f32 v[114:115], v[114:115], v[116:117]
	v_max_f32_e32 v107, v46, v46
	v_max_f32_e32 v116, v22, v22
	v_min_f32_e32 v116, v116, v107
	v_max_f32_e32 v107, v47, v47
	v_max_f32_e32 v117, v23, v23
	v_min_f32_e32 v117, v117, v107
	v_pk_add_f32 v[114:115], v[114:115], v[116:117]
	s_nop 0
	v_add_f32_e32 v107, v114, v115
	v_add_f32_e32 v114, v107, v106
	v_lshl_add_u64 v[106:107], v[104:105], 2, v[122:123]
	global_store_dword v[106:107], v114, off
.LBB83_56:
	;; [unrolled: 39-line block ×6, first 2 shown]
	s_or_b64 exec, exec, s[18:19]
	v_add_u32_e32 v96, 32, v126
	v_mad_i64_i32 v[44:45], s[26:27], v96, s29, 0
	v_cmp_gt_i32_e64 s[18:19], s21, v96
	v_lshl_add_u64 v[46:47], v[44:45], 2, s[24:25]
	v_mad_i64_i32 v[44:45], s[26:27], v96, s28, 0
	v_lshl_add_u64 v[44:45], v[44:45], 2, s[22:23]
	s_and_b64 s[30:31], s[2:3], s[18:19]
	s_and_saveexec_b64 s[26:27], s[30:31]
	s_cbranch_execnz .LBB83_84
; %bb.77:
	s_or_b64 exec, exec, s[26:27]
	s_and_b64 s[30:31], s[4:5], s[18:19]
	s_and_saveexec_b64 s[26:27], s[30:31]
	s_cbranch_execnz .LBB83_88
.LBB83_78:
	s_or_b64 exec, exec, s[26:27]
	s_and_b64 s[30:31], s[6:7], s[18:19]
	s_and_saveexec_b64 s[26:27], s[30:31]
	s_cbranch_execnz .LBB83_92
.LBB83_79:
	s_or_b64 exec, exec, s[26:27]
	s_and_b64 s[30:31], s[8:9], s[18:19]
	s_and_saveexec_b64 s[26:27], s[30:31]
	s_cbranch_execnz .LBB83_96
.LBB83_80:
	s_or_b64 exec, exec, s[26:27]
	s_and_b64 s[30:31], s[10:11], s[18:19]
	s_and_saveexec_b64 s[26:27], s[30:31]
	s_cbranch_execnz .LBB83_100
.LBB83_81:
	s_or_b64 exec, exec, s[26:27]
	s_and_b64 s[30:31], s[12:13], s[18:19]
	s_and_saveexec_b64 s[26:27], s[30:31]
	s_cbranch_execnz .LBB83_104
.LBB83_82:
	s_or_b64 exec, exec, s[26:27]
	s_and_b64 s[30:31], s[14:15], s[18:19]
	s_and_saveexec_b64 s[26:27], s[30:31]
	s_cbranch_execnz .LBB83_108
.LBB83_83:
	s_or_b64 exec, exec, s[26:27]
	s_and_b64 s[26:27], s[16:17], s[18:19]
	s_and_saveexec_b64 s[18:19], s[26:27]
	s_cbranch_execnz .LBB83_112
	s_branch .LBB83_116
.LBB83_84:
	s_and_b64 vcc, exec, s[0:1]
	s_cbranch_vccnz .LBB83_86
; %bb.85:
	v_lshl_add_u64 v[96:97], v[98:99], 2, v[46:47]
	flat_load_dword v96, v[96:97]
	s_waitcnt vmcnt(0) lgkmcnt(0)
	v_mul_f32_e32 v96, s33, v96
	s_branch .LBB83_87
.LBB83_86:
	v_mov_b32_e32 v96, 0
.LBB83_87:
	v_max_f32_e32 v97, v40, v40
	v_max_f32_e32 v114, v32, v32
	v_min_f32_e32 v114, v114, v97
	v_max_f32_e32 v97, v41, v41
	v_max_f32_e32 v115, v33, v33
	v_min_f32_e32 v115, v115, v97
	v_pk_add_f32 v[94:95], v[94:95], v[114:115]
	v_max_f32_e32 v97, v42, v42
	v_max_f32_e32 v114, v34, v34
	v_min_f32_e32 v114, v114, v97
	v_max_f32_e32 v97, v43, v43
	v_max_f32_e32 v115, v35, v35
	v_min_f32_e32 v115, v115, v97
	v_pk_add_f32 v[94:95], v[94:95], v[114:115]
	s_nop 0
	v_add_f32_e32 v94, v94, v95
	v_add_f32_e32 v96, v94, v96
	v_lshl_add_u64 v[94:95], v[98:99], 2, v[44:45]
	global_store_dword v[94:95], v96, off
	s_or_b64 exec, exec, s[26:27]
	s_and_b64 s[30:31], s[4:5], s[18:19]
	s_and_saveexec_b64 s[26:27], s[30:31]
	s_cbranch_execz .LBB83_78
.LBB83_88:
	s_and_b64 vcc, exec, s[0:1]
	s_cbranch_vccnz .LBB83_90
; %bb.89:
	v_lshl_add_u64 v[94:95], v[100:101], 2, v[46:47]
	flat_load_dword v94, v[94:95]
	s_waitcnt vmcnt(0) lgkmcnt(0)
	v_mul_f32_e32 v94, s33, v94
	s_branch .LBB83_91
.LBB83_90:
	v_mov_b32_e32 v94, 0
.LBB83_91:
	v_max_f32_e32 v95, v40, v40
	v_max_f32_e32 v96, v28, v28
	v_min_f32_e32 v96, v96, v95
	v_max_f32_e32 v95, v41, v41
	v_max_f32_e32 v97, v29, v29
	v_min_f32_e32 v97, v97, v95
	v_pk_add_f32 v[92:93], v[92:93], v[96:97]
	v_max_f32_e32 v95, v42, v42
	v_max_f32_e32 v96, v30, v30
	v_min_f32_e32 v96, v96, v95
	v_max_f32_e32 v95, v43, v43
	v_max_f32_e32 v97, v31, v31
	v_min_f32_e32 v97, v97, v95
	v_pk_add_f32 v[92:93], v[92:93], v[96:97]
	s_nop 0
	v_add_f32_e32 v92, v92, v93
	v_add_f32_e32 v94, v92, v94
	v_lshl_add_u64 v[92:93], v[100:101], 2, v[44:45]
	global_store_dword v[92:93], v94, off
	s_or_b64 exec, exec, s[26:27]
	s_and_b64 s[30:31], s[6:7], s[18:19]
	s_and_saveexec_b64 s[26:27], s[30:31]
	s_cbranch_execz .LBB83_79
.LBB83_92:
	s_and_b64 vcc, exec, s[0:1]
	s_cbranch_vccnz .LBB83_94
; %bb.93:
	v_lshl_add_u64 v[92:93], v[102:103], 2, v[46:47]
	flat_load_dword v92, v[92:93]
	s_waitcnt vmcnt(0) lgkmcnt(0)
	v_mul_f32_e32 v92, s33, v92
	s_branch .LBB83_95
.LBB83_94:
	v_mov_b32_e32 v92, 0
.LBB83_95:
	v_max_f32_e32 v93, v40, v40
	v_max_f32_e32 v94, v24, v24
	v_min_f32_e32 v94, v94, v93
	v_max_f32_e32 v93, v41, v41
	v_max_f32_e32 v95, v25, v25
	v_min_f32_e32 v95, v95, v93
	v_pk_add_f32 v[90:91], v[90:91], v[94:95]
	v_max_f32_e32 v93, v42, v42
	v_max_f32_e32 v94, v26, v26
	v_min_f32_e32 v94, v94, v93
	v_max_f32_e32 v93, v43, v43
	v_max_f32_e32 v95, v27, v27
	v_min_f32_e32 v95, v95, v93
	v_pk_add_f32 v[90:91], v[90:91], v[94:95]
	s_nop 0
	v_add_f32_e32 v90, v90, v91
	v_add_f32_e32 v92, v90, v92
	v_lshl_add_u64 v[90:91], v[102:103], 2, v[44:45]
	global_store_dword v[90:91], v92, off
	s_or_b64 exec, exec, s[26:27]
	s_and_b64 s[30:31], s[8:9], s[18:19]
	s_and_saveexec_b64 s[26:27], s[30:31]
	s_cbranch_execz .LBB83_80
.LBB83_96:
	s_and_b64 vcc, exec, s[0:1]
	s_cbranch_vccnz .LBB83_98
; %bb.97:
	v_lshl_add_u64 v[90:91], v[104:105], 2, v[46:47]
	flat_load_dword v90, v[90:91]
	s_waitcnt vmcnt(0) lgkmcnt(0)
	v_mul_f32_e32 v90, s33, v90
	s_branch .LBB83_99
.LBB83_98:
	v_mov_b32_e32 v90, 0
.LBB83_99:
	v_max_f32_e32 v91, v40, v40
	v_max_f32_e32 v92, v20, v20
	v_min_f32_e32 v92, v92, v91
	v_max_f32_e32 v91, v41, v41
	v_max_f32_e32 v93, v21, v21
	v_min_f32_e32 v93, v93, v91
	v_pk_add_f32 v[88:89], v[88:89], v[92:93]
	v_max_f32_e32 v91, v42, v42
	v_max_f32_e32 v92, v22, v22
	v_min_f32_e32 v92, v92, v91
	v_max_f32_e32 v91, v43, v43
	v_max_f32_e32 v93, v23, v23
	v_min_f32_e32 v93, v93, v91
	v_pk_add_f32 v[88:89], v[88:89], v[92:93]
	s_nop 0
	v_add_f32_e32 v88, v88, v89
	v_add_f32_e32 v90, v88, v90
	v_lshl_add_u64 v[88:89], v[104:105], 2, v[44:45]
	global_store_dword v[88:89], v90, off
	s_or_b64 exec, exec, s[26:27]
	s_and_b64 s[30:31], s[10:11], s[18:19]
	s_and_saveexec_b64 s[26:27], s[30:31]
	s_cbranch_execz .LBB83_81
.LBB83_100:
	s_and_b64 vcc, exec, s[0:1]
	s_cbranch_vccnz .LBB83_102
; %bb.101:
	v_lshl_add_u64 v[88:89], v[106:107], 2, v[46:47]
	flat_load_dword v88, v[88:89]
	s_waitcnt vmcnt(0) lgkmcnt(0)
	v_mul_f32_e32 v88, s33, v88
	s_branch .LBB83_103
.LBB83_102:
	v_mov_b32_e32 v88, 0
.LBB83_103:
	v_max_f32_e32 v89, v40, v40
	v_max_f32_e32 v90, v16, v16
	v_min_f32_e32 v90, v90, v89
	v_max_f32_e32 v89, v41, v41
	v_max_f32_e32 v91, v17, v17
	v_min_f32_e32 v91, v91, v89
	v_pk_add_f32 v[86:87], v[86:87], v[90:91]
	v_max_f32_e32 v89, v42, v42
	v_max_f32_e32 v90, v18, v18
	v_min_f32_e32 v90, v90, v89
	v_max_f32_e32 v89, v43, v43
	v_max_f32_e32 v91, v19, v19
	v_min_f32_e32 v91, v91, v89
	v_pk_add_f32 v[86:87], v[86:87], v[90:91]
	s_nop 0
	v_add_f32_e32 v86, v86, v87
	v_add_f32_e32 v88, v86, v88
	v_lshl_add_u64 v[86:87], v[106:107], 2, v[44:45]
	global_store_dword v[86:87], v88, off
	s_or_b64 exec, exec, s[26:27]
	s_and_b64 s[30:31], s[12:13], s[18:19]
	s_and_saveexec_b64 s[26:27], s[30:31]
	s_cbranch_execz .LBB83_82
.LBB83_104:
	s_and_b64 vcc, exec, s[0:1]
	s_cbranch_vccnz .LBB83_106
; %bb.105:
	v_lshl_add_u64 v[86:87], v[108:109], 2, v[46:47]
	flat_load_dword v86, v[86:87]
	s_waitcnt vmcnt(0) lgkmcnt(0)
	v_mul_f32_e32 v86, s33, v86
	s_branch .LBB83_107
.LBB83_106:
	v_mov_b32_e32 v86, 0
.LBB83_107:
	v_max_f32_e32 v87, v40, v40
	v_max_f32_e32 v88, v12, v12
	v_min_f32_e32 v88, v88, v87
	v_max_f32_e32 v87, v41, v41
	v_max_f32_e32 v89, v13, v13
	v_min_f32_e32 v89, v89, v87
	v_pk_add_f32 v[84:85], v[84:85], v[88:89]
	v_max_f32_e32 v87, v42, v42
	v_max_f32_e32 v88, v14, v14
	v_min_f32_e32 v88, v88, v87
	v_max_f32_e32 v87, v43, v43
	v_max_f32_e32 v89, v15, v15
	v_min_f32_e32 v89, v89, v87
	v_pk_add_f32 v[84:85], v[84:85], v[88:89]
	s_nop 0
	v_add_f32_e32 v84, v84, v85
	v_add_f32_e32 v86, v84, v86
	v_lshl_add_u64 v[84:85], v[108:109], 2, v[44:45]
	global_store_dword v[84:85], v86, off
	s_or_b64 exec, exec, s[26:27]
	s_and_b64 s[30:31], s[14:15], s[18:19]
	s_and_saveexec_b64 s[26:27], s[30:31]
	s_cbranch_execz .LBB83_83
.LBB83_108:
	s_and_b64 vcc, exec, s[0:1]
	s_cbranch_vccnz .LBB83_110
; %bb.109:
	v_lshl_add_u64 v[84:85], v[110:111], 2, v[46:47]
	flat_load_dword v84, v[84:85]
	s_waitcnt vmcnt(0) lgkmcnt(0)
	v_mul_f32_e32 v84, s33, v84
	s_branch .LBB83_111
.LBB83_110:
	v_mov_b32_e32 v84, 0
.LBB83_111:
	v_max_f32_e32 v85, v40, v40
	v_max_f32_e32 v86, v8, v8
	v_min_f32_e32 v86, v86, v85
	v_max_f32_e32 v85, v41, v41
	v_max_f32_e32 v87, v9, v9
	v_min_f32_e32 v87, v87, v85
	v_pk_add_f32 v[82:83], v[82:83], v[86:87]
	v_max_f32_e32 v85, v42, v42
	v_max_f32_e32 v86, v10, v10
	v_min_f32_e32 v86, v86, v85
	v_max_f32_e32 v85, v43, v43
	v_max_f32_e32 v87, v11, v11
	v_min_f32_e32 v87, v87, v85
	v_pk_add_f32 v[82:83], v[82:83], v[86:87]
	s_nop 0
	v_add_f32_e32 v82, v82, v83
	v_add_f32_e32 v84, v82, v84
	v_lshl_add_u64 v[82:83], v[110:111], 2, v[44:45]
	global_store_dword v[82:83], v84, off
	s_or_b64 exec, exec, s[26:27]
	s_and_b64 s[26:27], s[16:17], s[18:19]
	s_and_saveexec_b64 s[18:19], s[26:27]
	s_cbranch_execz .LBB83_116
.LBB83_112:
	s_and_b64 vcc, exec, s[0:1]
	s_cbranch_vccnz .LBB83_114
; %bb.113:
	v_lshl_add_u64 v[46:47], v[112:113], 2, v[46:47]
	flat_load_dword v46, v[46:47]
	s_waitcnt vmcnt(0) lgkmcnt(0)
	v_mul_f32_e32 v46, s33, v46
	s_branch .LBB83_115
.LBB83_114:
	v_mov_b32_e32 v46, 0
.LBB83_115:
	v_max_f32_e32 v41, v41, v41
	v_max_f32_e32 v47, v5, v5
	v_min_f32_e32 v41, v47, v41
	v_max_f32_e32 v40, v40, v40
	v_max_f32_e32 v47, v4, v4
	v_min_f32_e32 v40, v47, v40
	;; [unrolled: 3-line block ×3, first 2 shown]
	v_max_f32_e32 v42, v42, v42
	v_max_f32_e32 v47, v6, v6
	v_pk_add_f32 v[40:41], v[80:81], v[40:41]
	v_min_f32_e32 v42, v47, v42
	v_pk_add_f32 v[40:41], v[40:41], v[42:43]
	s_nop 0
	v_add_f32_e32 v40, v40, v41
	v_add_f32_e32 v42, v40, v46
	v_lshl_add_u64 v[40:41], v[112:113], 2, v[44:45]
	global_store_dword v[40:41], v42, off
.LBB83_116:
	s_or_b64 exec, exec, s[18:19]
	v_add_u32_e32 v44, 64, v126
	v_mad_i64_i32 v[40:41], s[26:27], v44, s29, 0
	v_cmp_gt_i32_e64 s[18:19], s21, v44
	v_lshl_add_u64 v[42:43], v[40:41], 2, s[24:25]
	v_mad_i64_i32 v[40:41], s[26:27], v44, s28, 0
	v_lshl_add_u64 v[40:41], v[40:41], 2, s[22:23]
	s_and_b64 s[30:31], s[2:3], s[18:19]
	s_and_saveexec_b64 s[26:27], s[30:31]
	s_cbranch_execnz .LBB83_124
; %bb.117:
	s_or_b64 exec, exec, s[26:27]
	s_and_b64 s[30:31], s[4:5], s[18:19]
	s_and_saveexec_b64 s[26:27], s[30:31]
	s_cbranch_execnz .LBB83_128
.LBB83_118:
	s_or_b64 exec, exec, s[26:27]
	s_and_b64 s[30:31], s[6:7], s[18:19]
	s_and_saveexec_b64 s[26:27], s[30:31]
	s_cbranch_execnz .LBB83_132
.LBB83_119:
	s_or_b64 exec, exec, s[26:27]
	s_and_b64 s[30:31], s[8:9], s[18:19]
	s_and_saveexec_b64 s[26:27], s[30:31]
	s_cbranch_execnz .LBB83_136
.LBB83_120:
	s_or_b64 exec, exec, s[26:27]
	s_and_b64 s[30:31], s[10:11], s[18:19]
	s_and_saveexec_b64 s[26:27], s[30:31]
	s_cbranch_execnz .LBB83_140
.LBB83_121:
	s_or_b64 exec, exec, s[26:27]
	s_and_b64 s[30:31], s[12:13], s[18:19]
	s_and_saveexec_b64 s[26:27], s[30:31]
	s_cbranch_execnz .LBB83_144
.LBB83_122:
	s_or_b64 exec, exec, s[26:27]
	s_and_b64 s[30:31], s[14:15], s[18:19]
	s_and_saveexec_b64 s[26:27], s[30:31]
	s_cbranch_execnz .LBB83_148
.LBB83_123:
	s_or_b64 exec, exec, s[26:27]
	s_and_b64 s[26:27], s[16:17], s[18:19]
	s_and_saveexec_b64 s[18:19], s[26:27]
	s_cbranch_execnz .LBB83_152
	s_branch .LBB83_156
.LBB83_124:
	s_and_b64 vcc, exec, s[0:1]
	s_cbranch_vccnz .LBB83_126
; %bb.125:
	v_lshl_add_u64 v[44:45], v[98:99], 2, v[42:43]
	flat_load_dword v44, v[44:45]
	s_waitcnt vmcnt(0) lgkmcnt(0)
	v_mul_f32_e32 v44, s33, v44
	s_branch .LBB83_127
.LBB83_126:
	v_mov_b32_e32 v44, 0
.LBB83_127:
	v_max_f32_e32 v45, v36, v36
	v_max_f32_e32 v46, v32, v32
	v_min_f32_e32 v46, v46, v45
	v_max_f32_e32 v45, v37, v37
	v_max_f32_e32 v47, v33, v33
	v_min_f32_e32 v47, v47, v45
	v_pk_add_f32 v[46:47], v[78:79], v[46:47]
	v_max_f32_e32 v45, v38, v38
	v_max_f32_e32 v78, v34, v34
	v_min_f32_e32 v78, v78, v45
	v_max_f32_e32 v45, v39, v39
	v_max_f32_e32 v79, v35, v35
	v_min_f32_e32 v79, v79, v45
	v_pk_add_f32 v[46:47], v[46:47], v[78:79]
	s_nop 0
	v_add_f32_e32 v45, v46, v47
	v_add_f32_e32 v46, v45, v44
	v_lshl_add_u64 v[44:45], v[98:99], 2, v[40:41]
	global_store_dword v[44:45], v46, off
	s_or_b64 exec, exec, s[26:27]
	s_and_b64 s[30:31], s[4:5], s[18:19]
	s_and_saveexec_b64 s[26:27], s[30:31]
	s_cbranch_execz .LBB83_118
.LBB83_128:
	s_and_b64 vcc, exec, s[0:1]
	s_cbranch_vccnz .LBB83_130
; %bb.129:
	v_lshl_add_u64 v[44:45], v[100:101], 2, v[42:43]
	flat_load_dword v44, v[44:45]
	s_waitcnt vmcnt(0) lgkmcnt(0)
	v_mul_f32_e32 v44, s33, v44
	s_branch .LBB83_131
.LBB83_130:
	v_mov_b32_e32 v44, 0
.LBB83_131:
	v_max_f32_e32 v45, v36, v36
	v_max_f32_e32 v46, v28, v28
	v_min_f32_e32 v46, v46, v45
	v_max_f32_e32 v45, v37, v37
	v_max_f32_e32 v47, v29, v29
	v_min_f32_e32 v47, v47, v45
	v_pk_add_f32 v[46:47], v[76:77], v[46:47]
	v_max_f32_e32 v45, v38, v38
	v_max_f32_e32 v76, v30, v30
	v_min_f32_e32 v76, v76, v45
	v_max_f32_e32 v45, v39, v39
	v_max_f32_e32 v77, v31, v31
	v_min_f32_e32 v77, v77, v45
	v_pk_add_f32 v[46:47], v[46:47], v[76:77]
	s_nop 0
	v_add_f32_e32 v45, v46, v47
	v_add_f32_e32 v46, v45, v44
	v_lshl_add_u64 v[44:45], v[100:101], 2, v[40:41]
	global_store_dword v[44:45], v46, off
	s_or_b64 exec, exec, s[26:27]
	s_and_b64 s[30:31], s[6:7], s[18:19]
	s_and_saveexec_b64 s[26:27], s[30:31]
	s_cbranch_execz .LBB83_119
.LBB83_132:
	s_and_b64 vcc, exec, s[0:1]
	s_cbranch_vccnz .LBB83_134
; %bb.133:
	v_lshl_add_u64 v[44:45], v[102:103], 2, v[42:43]
	flat_load_dword v44, v[44:45]
	s_waitcnt vmcnt(0) lgkmcnt(0)
	v_mul_f32_e32 v44, s33, v44
	s_branch .LBB83_135
.LBB83_134:
	v_mov_b32_e32 v44, 0
.LBB83_135:
	v_max_f32_e32 v45, v36, v36
	v_max_f32_e32 v46, v24, v24
	v_min_f32_e32 v46, v46, v45
	v_max_f32_e32 v45, v37, v37
	v_max_f32_e32 v47, v25, v25
	v_min_f32_e32 v47, v47, v45
	v_pk_add_f32 v[46:47], v[74:75], v[46:47]
	v_max_f32_e32 v45, v38, v38
	v_max_f32_e32 v74, v26, v26
	v_min_f32_e32 v74, v74, v45
	v_max_f32_e32 v45, v39, v39
	v_max_f32_e32 v75, v27, v27
	v_min_f32_e32 v75, v75, v45
	v_pk_add_f32 v[46:47], v[46:47], v[74:75]
	s_nop 0
	v_add_f32_e32 v45, v46, v47
	v_add_f32_e32 v46, v45, v44
	v_lshl_add_u64 v[44:45], v[102:103], 2, v[40:41]
	global_store_dword v[44:45], v46, off
	s_or_b64 exec, exec, s[26:27]
	s_and_b64 s[30:31], s[8:9], s[18:19]
	s_and_saveexec_b64 s[26:27], s[30:31]
	s_cbranch_execz .LBB83_120
.LBB83_136:
	s_and_b64 vcc, exec, s[0:1]
	s_cbranch_vccnz .LBB83_138
; %bb.137:
	v_lshl_add_u64 v[44:45], v[104:105], 2, v[42:43]
	flat_load_dword v44, v[44:45]
	s_waitcnt vmcnt(0) lgkmcnt(0)
	v_mul_f32_e32 v44, s33, v44
	s_branch .LBB83_139
.LBB83_138:
	v_mov_b32_e32 v44, 0
.LBB83_139:
	v_max_f32_e32 v45, v36, v36
	v_max_f32_e32 v46, v20, v20
	v_min_f32_e32 v46, v46, v45
	v_max_f32_e32 v45, v37, v37
	v_max_f32_e32 v47, v21, v21
	v_min_f32_e32 v47, v47, v45
	v_pk_add_f32 v[46:47], v[72:73], v[46:47]
	v_max_f32_e32 v45, v38, v38
	v_max_f32_e32 v72, v22, v22
	v_min_f32_e32 v72, v72, v45
	v_max_f32_e32 v45, v39, v39
	v_max_f32_e32 v73, v23, v23
	v_min_f32_e32 v73, v73, v45
	v_pk_add_f32 v[46:47], v[46:47], v[72:73]
	s_nop 0
	v_add_f32_e32 v45, v46, v47
	v_add_f32_e32 v46, v45, v44
	v_lshl_add_u64 v[44:45], v[104:105], 2, v[40:41]
	global_store_dword v[44:45], v46, off
	s_or_b64 exec, exec, s[26:27]
	s_and_b64 s[30:31], s[10:11], s[18:19]
	s_and_saveexec_b64 s[26:27], s[30:31]
	s_cbranch_execz .LBB83_121
.LBB83_140:
	s_and_b64 vcc, exec, s[0:1]
	s_cbranch_vccnz .LBB83_142
; %bb.141:
	v_lshl_add_u64 v[44:45], v[106:107], 2, v[42:43]
	flat_load_dword v44, v[44:45]
	s_waitcnt vmcnt(0) lgkmcnt(0)
	v_mul_f32_e32 v44, s33, v44
	s_branch .LBB83_143
.LBB83_142:
	v_mov_b32_e32 v44, 0
.LBB83_143:
	v_max_f32_e32 v45, v36, v36
	v_max_f32_e32 v46, v16, v16
	v_min_f32_e32 v46, v46, v45
	v_max_f32_e32 v45, v37, v37
	v_max_f32_e32 v47, v17, v17
	v_min_f32_e32 v47, v47, v45
	v_pk_add_f32 v[46:47], v[70:71], v[46:47]
	v_max_f32_e32 v45, v38, v38
	v_max_f32_e32 v70, v18, v18
	v_min_f32_e32 v70, v70, v45
	v_max_f32_e32 v45, v39, v39
	v_max_f32_e32 v71, v19, v19
	v_min_f32_e32 v71, v71, v45
	v_pk_add_f32 v[46:47], v[46:47], v[70:71]
	s_nop 0
	v_add_f32_e32 v45, v46, v47
	v_add_f32_e32 v46, v45, v44
	v_lshl_add_u64 v[44:45], v[106:107], 2, v[40:41]
	global_store_dword v[44:45], v46, off
	s_or_b64 exec, exec, s[26:27]
	s_and_b64 s[30:31], s[12:13], s[18:19]
	s_and_saveexec_b64 s[26:27], s[30:31]
	s_cbranch_execz .LBB83_122
.LBB83_144:
	s_and_b64 vcc, exec, s[0:1]
	s_cbranch_vccnz .LBB83_146
; %bb.145:
	v_lshl_add_u64 v[44:45], v[108:109], 2, v[42:43]
	flat_load_dword v44, v[44:45]
	s_waitcnt vmcnt(0) lgkmcnt(0)
	v_mul_f32_e32 v44, s33, v44
	s_branch .LBB83_147
.LBB83_146:
	v_mov_b32_e32 v44, 0
.LBB83_147:
	v_max_f32_e32 v45, v36, v36
	v_max_f32_e32 v46, v12, v12
	v_min_f32_e32 v46, v46, v45
	v_max_f32_e32 v45, v37, v37
	v_max_f32_e32 v47, v13, v13
	v_min_f32_e32 v47, v47, v45
	v_pk_add_f32 v[46:47], v[68:69], v[46:47]
	v_max_f32_e32 v45, v38, v38
	v_max_f32_e32 v68, v14, v14
	v_min_f32_e32 v68, v68, v45
	v_max_f32_e32 v45, v39, v39
	v_max_f32_e32 v69, v15, v15
	v_min_f32_e32 v69, v69, v45
	v_pk_add_f32 v[46:47], v[46:47], v[68:69]
	s_nop 0
	v_add_f32_e32 v45, v46, v47
	v_add_f32_e32 v46, v45, v44
	v_lshl_add_u64 v[44:45], v[108:109], 2, v[40:41]
	global_store_dword v[44:45], v46, off
	s_or_b64 exec, exec, s[26:27]
	s_and_b64 s[30:31], s[14:15], s[18:19]
	s_and_saveexec_b64 s[26:27], s[30:31]
	s_cbranch_execz .LBB83_123
.LBB83_148:
	s_and_b64 vcc, exec, s[0:1]
	s_cbranch_vccnz .LBB83_150
; %bb.149:
	v_lshl_add_u64 v[44:45], v[110:111], 2, v[42:43]
	flat_load_dword v44, v[44:45]
	s_waitcnt vmcnt(0) lgkmcnt(0)
	v_mul_f32_e32 v44, s33, v44
	s_branch .LBB83_151
.LBB83_150:
	v_mov_b32_e32 v44, 0
.LBB83_151:
	v_max_f32_e32 v45, v36, v36
	v_max_f32_e32 v46, v8, v8
	v_min_f32_e32 v46, v46, v45
	v_max_f32_e32 v45, v37, v37
	v_max_f32_e32 v47, v9, v9
	v_min_f32_e32 v47, v47, v45
	v_pk_add_f32 v[46:47], v[66:67], v[46:47]
	v_max_f32_e32 v45, v38, v38
	v_max_f32_e32 v66, v10, v10
	v_min_f32_e32 v66, v66, v45
	v_max_f32_e32 v45, v39, v39
	v_max_f32_e32 v67, v11, v11
	v_min_f32_e32 v67, v67, v45
	v_pk_add_f32 v[46:47], v[46:47], v[66:67]
	s_nop 0
	v_add_f32_e32 v45, v46, v47
	v_add_f32_e32 v46, v45, v44
	v_lshl_add_u64 v[44:45], v[110:111], 2, v[40:41]
	global_store_dword v[44:45], v46, off
	s_or_b64 exec, exec, s[26:27]
	s_and_b64 s[26:27], s[16:17], s[18:19]
	s_and_saveexec_b64 s[18:19], s[26:27]
	s_cbranch_execz .LBB83_156
.LBB83_152:
	s_and_b64 vcc, exec, s[0:1]
	s_cbranch_vccnz .LBB83_154
; %bb.153:
	v_lshl_add_u64 v[42:43], v[112:113], 2, v[42:43]
	flat_load_dword v42, v[42:43]
	s_waitcnt vmcnt(0) lgkmcnt(0)
	v_mul_f32_e32 v42, s33, v42
	s_branch .LBB83_155
.LBB83_154:
	v_mov_b32_e32 v42, 0
.LBB83_155:
	v_max_f32_e32 v37, v37, v37
	v_max_f32_e32 v43, v5, v5
	v_min_f32_e32 v37, v43, v37
	v_max_f32_e32 v36, v36, v36
	v_max_f32_e32 v43, v4, v4
	v_min_f32_e32 v36, v43, v36
	;; [unrolled: 3-line block ×3, first 2 shown]
	v_max_f32_e32 v38, v38, v38
	v_max_f32_e32 v43, v6, v6
	v_pk_add_f32 v[36:37], v[64:65], v[36:37]
	v_min_f32_e32 v38, v43, v38
	v_pk_add_f32 v[36:37], v[36:37], v[38:39]
	s_nop 0
	v_add_f32_e32 v36, v36, v37
	v_add_f32_e32 v38, v36, v42
	v_lshl_add_u64 v[36:37], v[112:113], 2, v[40:41]
	global_store_dword v[36:37], v38, off
.LBB83_156:
	s_or_b64 exec, exec, s[18:19]
	v_add_u32_e32 v40, 0x60, v126
	v_cmp_gt_i32_e64 s[18:19], s21, v40
	v_mad_i64_i32 v[36:37], s[20:21], v40, s29, 0
	v_lshl_add_u64 v[38:39], v[36:37], 2, s[24:25]
	v_mad_i64_i32 v[36:37], s[20:21], v40, s28, 0
	v_lshl_add_u64 v[36:37], v[36:37], 2, s[22:23]
	s_and_b64 s[20:21], s[2:3], s[18:19]
	s_and_saveexec_b64 s[2:3], s[20:21]
	s_cbranch_execnz .LBB83_165
; %bb.157:
	s_or_b64 exec, exec, s[2:3]
	s_and_b64 s[4:5], s[4:5], s[18:19]
	s_and_saveexec_b64 s[2:3], s[4:5]
	s_cbranch_execnz .LBB83_169
.LBB83_158:
	s_or_b64 exec, exec, s[2:3]
	s_and_b64 s[4:5], s[6:7], s[18:19]
	s_and_saveexec_b64 s[2:3], s[4:5]
	s_cbranch_execnz .LBB83_173
.LBB83_159:
	s_or_b64 exec, exec, s[2:3]
	s_and_b64 s[4:5], s[8:9], s[18:19]
	s_and_saveexec_b64 s[2:3], s[4:5]
	s_cbranch_execnz .LBB83_177
.LBB83_160:
	s_or_b64 exec, exec, s[2:3]
	s_and_b64 s[4:5], s[10:11], s[18:19]
	s_and_saveexec_b64 s[2:3], s[4:5]
	s_cbranch_execnz .LBB83_181
.LBB83_161:
	s_or_b64 exec, exec, s[2:3]
	s_and_b64 s[4:5], s[12:13], s[18:19]
	s_and_saveexec_b64 s[2:3], s[4:5]
	s_cbranch_execnz .LBB83_185
.LBB83_162:
	s_or_b64 exec, exec, s[2:3]
	s_and_b64 s[4:5], s[14:15], s[18:19]
	s_and_saveexec_b64 s[2:3], s[4:5]
	s_cbranch_execnz .LBB83_189
.LBB83_163:
	s_or_b64 exec, exec, s[2:3]
	s_and_b64 s[2:3], s[16:17], s[18:19]
	s_and_saveexec_b64 s[4:5], s[2:3]
	s_cbranch_execnz .LBB83_193
.LBB83_164:
	s_endpgm
.LBB83_165:
	s_and_b64 vcc, exec, s[0:1]
	s_cbranch_vccnz .LBB83_167
; %bb.166:
	v_lshl_add_u64 v[40:41], v[98:99], 2, v[38:39]
	flat_load_dword v40, v[40:41]
	s_waitcnt vmcnt(0) lgkmcnt(0)
	v_mul_f32_e32 v40, s33, v40
	s_branch .LBB83_168
.LBB83_167:
	v_mov_b32_e32 v40, 0
.LBB83_168:
	v_max_f32_e32 v41, v1, v1
	v_max_f32_e32 v33, v33, v33
	v_min_f32_e32 v33, v33, v41
	v_max_f32_e32 v41, v0, v0
	v_max_f32_e32 v32, v32, v32
	v_min_f32_e32 v32, v32, v41
	;; [unrolled: 3-line block ×3, first 2 shown]
	v_max_f32_e32 v41, v2, v2
	v_max_f32_e32 v34, v34, v34
	v_pk_add_f32 v[32:33], v[62:63], v[32:33]
	v_min_f32_e32 v34, v34, v41
	v_pk_add_f32 v[32:33], v[32:33], v[34:35]
	s_nop 0
	v_add_f32_e32 v32, v32, v33
	v_add_f32_e32 v34, v32, v40
	v_lshl_add_u64 v[32:33], v[98:99], 2, v[36:37]
	global_store_dword v[32:33], v34, off
	s_or_b64 exec, exec, s[2:3]
	s_and_b64 s[4:5], s[4:5], s[18:19]
	s_and_saveexec_b64 s[2:3], s[4:5]
	s_cbranch_execz .LBB83_158
.LBB83_169:
	s_and_b64 vcc, exec, s[0:1]
	s_cbranch_vccnz .LBB83_171
; %bb.170:
	v_lshl_add_u64 v[32:33], v[100:101], 2, v[38:39]
	flat_load_dword v32, v[32:33]
	s_waitcnt vmcnt(0) lgkmcnt(0)
	v_mul_f32_e32 v32, s33, v32
	s_branch .LBB83_172
.LBB83_171:
	v_mov_b32_e32 v32, 0
.LBB83_172:
	v_max_f32_e32 v33, v1, v1
	v_max_f32_e32 v29, v29, v29
	v_min_f32_e32 v29, v29, v33
	v_max_f32_e32 v33, v0, v0
	v_max_f32_e32 v28, v28, v28
	v_min_f32_e32 v28, v28, v33
	;; [unrolled: 3-line block ×3, first 2 shown]
	v_max_f32_e32 v33, v2, v2
	v_max_f32_e32 v30, v30, v30
	v_pk_add_f32 v[28:29], v[60:61], v[28:29]
	v_min_f32_e32 v30, v30, v33
	v_pk_add_f32 v[28:29], v[28:29], v[30:31]
	s_nop 0
	v_add_f32_e32 v28, v28, v29
	v_add_f32_e32 v30, v28, v32
	v_lshl_add_u64 v[28:29], v[100:101], 2, v[36:37]
	global_store_dword v[28:29], v30, off
	s_or_b64 exec, exec, s[2:3]
	s_and_b64 s[4:5], s[6:7], s[18:19]
	s_and_saveexec_b64 s[2:3], s[4:5]
	s_cbranch_execz .LBB83_159
.LBB83_173:
	s_and_b64 vcc, exec, s[0:1]
	s_cbranch_vccnz .LBB83_175
; %bb.174:
	v_lshl_add_u64 v[28:29], v[102:103], 2, v[38:39]
	flat_load_dword v28, v[28:29]
	s_waitcnt vmcnt(0) lgkmcnt(0)
	v_mul_f32_e32 v28, s33, v28
	s_branch .LBB83_176
.LBB83_175:
	v_mov_b32_e32 v28, 0
.LBB83_176:
	v_max_f32_e32 v29, v1, v1
	v_max_f32_e32 v25, v25, v25
	v_min_f32_e32 v25, v25, v29
	v_max_f32_e32 v29, v0, v0
	v_max_f32_e32 v24, v24, v24
	v_min_f32_e32 v24, v24, v29
	;; [unrolled: 3-line block ×3, first 2 shown]
	v_max_f32_e32 v29, v2, v2
	v_max_f32_e32 v26, v26, v26
	v_pk_add_f32 v[24:25], v[58:59], v[24:25]
	v_min_f32_e32 v26, v26, v29
	v_pk_add_f32 v[24:25], v[24:25], v[26:27]
	s_nop 0
	v_add_f32_e32 v24, v24, v25
	v_add_f32_e32 v26, v24, v28
	v_lshl_add_u64 v[24:25], v[102:103], 2, v[36:37]
	global_store_dword v[24:25], v26, off
	s_or_b64 exec, exec, s[2:3]
	s_and_b64 s[4:5], s[8:9], s[18:19]
	s_and_saveexec_b64 s[2:3], s[4:5]
	s_cbranch_execz .LBB83_160
.LBB83_177:
	s_and_b64 vcc, exec, s[0:1]
	s_cbranch_vccnz .LBB83_179
; %bb.178:
	v_lshl_add_u64 v[24:25], v[104:105], 2, v[38:39]
	flat_load_dword v24, v[24:25]
	s_waitcnt vmcnt(0) lgkmcnt(0)
	v_mul_f32_e32 v24, s33, v24
	s_branch .LBB83_180
.LBB83_179:
	v_mov_b32_e32 v24, 0
.LBB83_180:
	v_max_f32_e32 v25, v1, v1
	v_max_f32_e32 v21, v21, v21
	v_min_f32_e32 v21, v21, v25
	v_max_f32_e32 v25, v0, v0
	v_max_f32_e32 v20, v20, v20
	v_min_f32_e32 v20, v20, v25
	;; [unrolled: 3-line block ×3, first 2 shown]
	v_max_f32_e32 v25, v2, v2
	v_max_f32_e32 v22, v22, v22
	v_pk_add_f32 v[20:21], v[56:57], v[20:21]
	v_min_f32_e32 v22, v22, v25
	v_pk_add_f32 v[20:21], v[20:21], v[22:23]
	s_nop 0
	v_add_f32_e32 v20, v20, v21
	v_add_f32_e32 v22, v20, v24
	v_lshl_add_u64 v[20:21], v[104:105], 2, v[36:37]
	global_store_dword v[20:21], v22, off
	s_or_b64 exec, exec, s[2:3]
	s_and_b64 s[4:5], s[10:11], s[18:19]
	s_and_saveexec_b64 s[2:3], s[4:5]
	s_cbranch_execz .LBB83_161
.LBB83_181:
	s_and_b64 vcc, exec, s[0:1]
	s_cbranch_vccnz .LBB83_183
; %bb.182:
	v_lshl_add_u64 v[20:21], v[106:107], 2, v[38:39]
	flat_load_dword v20, v[20:21]
	s_waitcnt vmcnt(0) lgkmcnt(0)
	v_mul_f32_e32 v20, s33, v20
	s_branch .LBB83_184
.LBB83_183:
	v_mov_b32_e32 v20, 0
.LBB83_184:
	v_max_f32_e32 v21, v1, v1
	v_max_f32_e32 v17, v17, v17
	v_min_f32_e32 v17, v17, v21
	v_max_f32_e32 v21, v0, v0
	v_max_f32_e32 v16, v16, v16
	v_min_f32_e32 v16, v16, v21
	;; [unrolled: 3-line block ×3, first 2 shown]
	v_max_f32_e32 v21, v2, v2
	v_max_f32_e32 v18, v18, v18
	v_pk_add_f32 v[16:17], v[54:55], v[16:17]
	v_min_f32_e32 v18, v18, v21
	v_pk_add_f32 v[16:17], v[16:17], v[18:19]
	s_nop 0
	v_add_f32_e32 v16, v16, v17
	v_add_f32_e32 v18, v16, v20
	v_lshl_add_u64 v[16:17], v[106:107], 2, v[36:37]
	global_store_dword v[16:17], v18, off
	s_or_b64 exec, exec, s[2:3]
	s_and_b64 s[4:5], s[12:13], s[18:19]
	s_and_saveexec_b64 s[2:3], s[4:5]
	s_cbranch_execz .LBB83_162
.LBB83_185:
	s_and_b64 vcc, exec, s[0:1]
	s_cbranch_vccnz .LBB83_187
; %bb.186:
	v_lshl_add_u64 v[16:17], v[108:109], 2, v[38:39]
	flat_load_dword v16, v[16:17]
	s_waitcnt vmcnt(0) lgkmcnt(0)
	v_mul_f32_e32 v16, s33, v16
	s_branch .LBB83_188
.LBB83_187:
	v_mov_b32_e32 v16, 0
.LBB83_188:
	v_max_f32_e32 v17, v1, v1
	v_max_f32_e32 v13, v13, v13
	v_min_f32_e32 v13, v13, v17
	v_max_f32_e32 v17, v0, v0
	v_max_f32_e32 v12, v12, v12
	v_min_f32_e32 v12, v12, v17
	;; [unrolled: 3-line block ×3, first 2 shown]
	v_max_f32_e32 v17, v2, v2
	v_max_f32_e32 v14, v14, v14
	v_pk_add_f32 v[12:13], v[52:53], v[12:13]
	v_min_f32_e32 v14, v14, v17
	v_pk_add_f32 v[12:13], v[12:13], v[14:15]
	s_nop 0
	v_add_f32_e32 v12, v12, v13
	v_add_f32_e32 v14, v12, v16
	v_lshl_add_u64 v[12:13], v[108:109], 2, v[36:37]
	global_store_dword v[12:13], v14, off
	s_or_b64 exec, exec, s[2:3]
	s_and_b64 s[4:5], s[14:15], s[18:19]
	s_and_saveexec_b64 s[2:3], s[4:5]
	s_cbranch_execz .LBB83_163
.LBB83_189:
	s_and_b64 vcc, exec, s[0:1]
	s_cbranch_vccnz .LBB83_191
; %bb.190:
	v_lshl_add_u64 v[12:13], v[110:111], 2, v[38:39]
	flat_load_dword v12, v[12:13]
	s_waitcnt vmcnt(0) lgkmcnt(0)
	v_mul_f32_e32 v12, s33, v12
	s_branch .LBB83_192
.LBB83_191:
	v_mov_b32_e32 v12, 0
.LBB83_192:
	v_max_f32_e32 v13, v1, v1
	v_max_f32_e32 v9, v9, v9
	v_min_f32_e32 v9, v9, v13
	v_max_f32_e32 v13, v0, v0
	v_max_f32_e32 v8, v8, v8
	v_min_f32_e32 v8, v8, v13
	;; [unrolled: 3-line block ×3, first 2 shown]
	v_max_f32_e32 v13, v2, v2
	v_max_f32_e32 v10, v10, v10
	v_pk_add_f32 v[8:9], v[50:51], v[8:9]
	v_min_f32_e32 v10, v10, v13
	v_pk_add_f32 v[8:9], v[8:9], v[10:11]
	s_nop 0
	v_add_f32_e32 v8, v8, v9
	v_add_f32_e32 v10, v8, v12
	v_lshl_add_u64 v[8:9], v[110:111], 2, v[36:37]
	global_store_dword v[8:9], v10, off
	s_or_b64 exec, exec, s[2:3]
	s_and_b64 s[2:3], s[16:17], s[18:19]
	s_and_saveexec_b64 s[4:5], s[2:3]
	s_cbranch_execz .LBB83_164
.LBB83_193:
	s_and_b64 vcc, exec, s[0:1]
	s_cbranch_vccnz .LBB83_195
; %bb.194:
	v_lshl_add_u64 v[8:9], v[112:113], 2, v[38:39]
	flat_load_dword v8, v[8:9]
	s_waitcnt vmcnt(0) lgkmcnt(0)
	v_mul_f32_e32 v8, s33, v8
	s_branch .LBB83_196
.LBB83_195:
	v_mov_b32_e32 v8, 0
.LBB83_196:
	v_max_f32_e32 v0, v0, v0
	v_max_f32_e32 v4, v4, v4
	;; [unrolled: 1-line block ×4, first 2 shown]
	v_min_f32_e32 v0, v4, v0
	v_max_f32_e32 v3, v3, v3
	v_max_f32_e32 v4, v7, v7
	v_min_f32_e32 v1, v5, v1
	v_min_f32_e32 v3, v4, v3
	v_max_f32_e32 v2, v2, v2
	v_max_f32_e32 v4, v6, v6
	v_pk_add_f32 v[0:1], v[48:49], v[0:1]
	v_min_f32_e32 v2, v4, v2
	v_pk_add_f32 v[0:1], v[0:1], v[2:3]
	s_nop 0
	v_add_f32_e32 v0, v0, v1
	v_add_f32_e32 v2, v0, v8
	v_lshl_add_u64 v[0:1], v[112:113], 2, v[36:37]
	global_store_dword v[0:1], v2, off
	s_endpgm
	.section	.rodata,"a",@progbits
	.p2align	6, 0x0
	.amdhsa_kernel _ZN12_GLOBAL__N_120geam_min_plus_kernelIf15HIP_vector_typeIfLj2EES2_Li8ELi32ELi64ELi128ELi4ELi64ELi4ELi4ELi64ELc78ELc78ELb0ELb1ELb0EfKffEEviiiT16_PT17_ilS6_ilS4_S6_ilPT18_ili26rocblas_geam_ex_operation_
		.amdhsa_group_segment_fixed_size 6144
		.amdhsa_private_segment_fixed_size 0
		.amdhsa_kernarg_size 128
		.amdhsa_user_sgpr_count 2
		.amdhsa_user_sgpr_dispatch_ptr 0
		.amdhsa_user_sgpr_queue_ptr 0
		.amdhsa_user_sgpr_kernarg_segment_ptr 1
		.amdhsa_user_sgpr_dispatch_id 0
		.amdhsa_user_sgpr_kernarg_preload_length 0
		.amdhsa_user_sgpr_kernarg_preload_offset 0
		.amdhsa_user_sgpr_private_segment_size 0
		.amdhsa_uses_dynamic_stack 0
		.amdhsa_enable_private_segment 0
		.amdhsa_system_sgpr_workgroup_id_x 1
		.amdhsa_system_sgpr_workgroup_id_y 0
		.amdhsa_system_sgpr_workgroup_id_z 1
		.amdhsa_system_sgpr_workgroup_info 0
		.amdhsa_system_vgpr_workitem_id 1
		.amdhsa_next_free_vgpr 226
		.amdhsa_next_free_sgpr 38
		.amdhsa_accum_offset 228
		.amdhsa_reserve_vcc 1
		.amdhsa_float_round_mode_32 0
		.amdhsa_float_round_mode_16_64 0
		.amdhsa_float_denorm_mode_32 3
		.amdhsa_float_denorm_mode_16_64 3
		.amdhsa_dx10_clamp 1
		.amdhsa_ieee_mode 1
		.amdhsa_fp16_overflow 0
		.amdhsa_tg_split 0
		.amdhsa_exception_fp_ieee_invalid_op 0
		.amdhsa_exception_fp_denorm_src 0
		.amdhsa_exception_fp_ieee_div_zero 0
		.amdhsa_exception_fp_ieee_overflow 0
		.amdhsa_exception_fp_ieee_underflow 0
		.amdhsa_exception_fp_ieee_inexact 0
		.amdhsa_exception_int_div_zero 0
	.end_amdhsa_kernel
	.section	.text._ZN12_GLOBAL__N_120geam_min_plus_kernelIf15HIP_vector_typeIfLj2EES2_Li8ELi32ELi64ELi128ELi4ELi64ELi4ELi4ELi64ELc78ELc78ELb0ELb1ELb0EfKffEEviiiT16_PT17_ilS6_ilS4_S6_ilPT18_ili26rocblas_geam_ex_operation_,"axG",@progbits,_ZN12_GLOBAL__N_120geam_min_plus_kernelIf15HIP_vector_typeIfLj2EES2_Li8ELi32ELi64ELi128ELi4ELi64ELi4ELi4ELi64ELc78ELc78ELb0ELb1ELb0EfKffEEviiiT16_PT17_ilS6_ilS4_S6_ilPT18_ili26rocblas_geam_ex_operation_,comdat
.Lfunc_end83:
	.size	_ZN12_GLOBAL__N_120geam_min_plus_kernelIf15HIP_vector_typeIfLj2EES2_Li8ELi32ELi64ELi128ELi4ELi64ELi4ELi4ELi64ELc78ELc78ELb0ELb1ELb0EfKffEEviiiT16_PT17_ilS6_ilS4_S6_ilPT18_ili26rocblas_geam_ex_operation_, .Lfunc_end83-_ZN12_GLOBAL__N_120geam_min_plus_kernelIf15HIP_vector_typeIfLj2EES2_Li8ELi32ELi64ELi128ELi4ELi64ELi4ELi4ELi64ELc78ELc78ELb0ELb1ELb0EfKffEEviiiT16_PT17_ilS6_ilS4_S6_ilPT18_ili26rocblas_geam_ex_operation_
                                        ; -- End function
	.section	.AMDGPU.csdata,"",@progbits
; Kernel info:
; codeLenInByte = 11228
; NumSgprs: 44
; NumVgprs: 226
; NumAgprs: 0
; TotalNumVgprs: 226
; ScratchSize: 0
; MemoryBound: 0
; FloatMode: 240
; IeeeMode: 1
; LDSByteSize: 6144 bytes/workgroup (compile time only)
; SGPRBlocks: 5
; VGPRBlocks: 28
; NumSGPRsForWavesPerEU: 44
; NumVGPRsForWavesPerEU: 226
; AccumOffset: 228
; Occupancy: 2
; WaveLimiterHint : 0
; COMPUTE_PGM_RSRC2:SCRATCH_EN: 0
; COMPUTE_PGM_RSRC2:USER_SGPR: 2
; COMPUTE_PGM_RSRC2:TRAP_HANDLER: 0
; COMPUTE_PGM_RSRC2:TGID_X_EN: 1
; COMPUTE_PGM_RSRC2:TGID_Y_EN: 0
; COMPUTE_PGM_RSRC2:TGID_Z_EN: 1
; COMPUTE_PGM_RSRC2:TIDIG_COMP_CNT: 1
; COMPUTE_PGM_RSRC3_GFX90A:ACCUM_OFFSET: 56
; COMPUTE_PGM_RSRC3_GFX90A:TG_SPLIT: 0
	.section	.text._ZN12_GLOBAL__N_120geam_min_plus_kernelIf15HIP_vector_typeIfLj2EES2_Li8ELi32ELi64ELi128ELi4ELi4ELi64ELi4ELi64ELc84ELc78ELb0ELb0ELb0EPKfS3_fEEviiiT16_PT17_ilS7_ilS5_S7_ilPT18_ili26rocblas_geam_ex_operation_,"axG",@progbits,_ZN12_GLOBAL__N_120geam_min_plus_kernelIf15HIP_vector_typeIfLj2EES2_Li8ELi32ELi64ELi128ELi4ELi4ELi64ELi4ELi64ELc84ELc78ELb0ELb0ELb0EPKfS3_fEEviiiT16_PT17_ilS7_ilS5_S7_ilPT18_ili26rocblas_geam_ex_operation_,comdat
	.globl	_ZN12_GLOBAL__N_120geam_min_plus_kernelIf15HIP_vector_typeIfLj2EES2_Li8ELi32ELi64ELi128ELi4ELi4ELi64ELi4ELi64ELc84ELc78ELb0ELb0ELb0EPKfS3_fEEviiiT16_PT17_ilS7_ilS5_S7_ilPT18_ili26rocblas_geam_ex_operation_ ; -- Begin function _ZN12_GLOBAL__N_120geam_min_plus_kernelIf15HIP_vector_typeIfLj2EES2_Li8ELi32ELi64ELi128ELi4ELi4ELi64ELi4ELi64ELc84ELc78ELb0ELb0ELb0EPKfS3_fEEviiiT16_PT17_ilS7_ilS5_S7_ilPT18_ili26rocblas_geam_ex_operation_
	.p2align	8
	.type	_ZN12_GLOBAL__N_120geam_min_plus_kernelIf15HIP_vector_typeIfLj2EES2_Li8ELi32ELi64ELi128ELi4ELi4ELi64ELi4ELi64ELc84ELc78ELb0ELb0ELb0EPKfS3_fEEviiiT16_PT17_ilS7_ilS5_S7_ilPT18_ili26rocblas_geam_ex_operation_,@function
_ZN12_GLOBAL__N_120geam_min_plus_kernelIf15HIP_vector_typeIfLj2EES2_Li8ELi32ELi64ELi128ELi4ELi4ELi64ELi4ELi64ELc84ELc78ELb0ELb0ELb0EPKfS3_fEEviiiT16_PT17_ilS7_ilS5_S7_ilPT18_ili26rocblas_geam_ex_operation_: ; @_ZN12_GLOBAL__N_120geam_min_plus_kernelIf15HIP_vector_typeIfLj2EES2_Li8ELi32ELi64ELi128ELi4ELi4ELi64ELi4ELi64ELc84ELc78ELb0ELb0ELb0EPKfS3_fEEviiiT16_PT17_ilS7_ilS5_S7_ilPT18_ili26rocblas_geam_ex_operation_
; %bb.0:
	s_load_dwordx4 s[12:15], s[0:1], 0x10
	s_load_dwordx4 s[4:7], s[0:1], 0x28
	s_mov_b32 s16, s3
	s_mov_b32 s17, 0
	s_lshl_b64 s[18:19], s[16:17], 2
	s_waitcnt lgkmcnt(0)
	s_add_u32 s20, s12, s18
	s_load_dwordx4 s[8:11], s[0:1], 0x40
	s_addc_u32 s21, s13, s19
	s_load_dword s12, s[20:21], 0x0
	s_load_dwordx2 s[22:23], s[0:1], 0x50
	s_waitcnt lgkmcnt(0)
	s_add_u32 s10, s10, s18
	v_cmp_eq_f32_e64 s[20:21], s12, 0
	s_addc_u32 s11, s11, s19
	v_cmp_neq_f32_e64 s[24:25], s12, 0
	s_mov_b64 s[18:19], 0
	s_and_b64 vcc, exec, s[20:21]
	s_mov_b64 s[20:21], 0
	s_cbranch_vccnz .LBB84_2
; %bb.1:
	s_mul_i32 s3, s16, s5
	s_mul_hi_u32 s5, s16, s4
	s_add_i32 s5, s5, s3
	s_mul_i32 s4, s16, s4
	s_lshl_b64 s[4:5], s[4:5], 2
	s_add_u32 s20, s14, s4
	s_addc_u32 s21, s15, s5
.LBB84_2:
	s_load_dword s14, s[10:11], 0x0
	v_cndmask_b32_e64 v1, 0, 1, s[24:25]
	v_cmp_ne_u32_e64 s[4:5], 1, v1
	s_andn2_b64 vcc, exec, s[24:25]
	s_cbranch_vccnz .LBB84_4
; %bb.3:
	s_mul_i32 s3, s16, s9
	s_mul_hi_u32 s9, s16, s8
	s_add_i32 s9, s9, s3
	s_mul_i32 s8, s16, s8
	s_lshl_b64 s[8:9], s[8:9], 2
	s_add_u32 s18, s6, s8
	s_addc_u32 s19, s7, s9
.LBB84_4:
	s_load_dwordx4 s[8:11], s[0:1], 0x60
	s_waitcnt lgkmcnt(0)
	v_cmp_eq_f32_e64 s[6:7], s14, 0
	s_and_b64 s[6:7], exec, s[6:7]
	s_mov_b64 vcc, s[6:7]
	s_cbranch_vccnz .LBB84_6
; %bb.5:
	s_mul_i32 s3, s16, s9
	s_mul_hi_u32 s9, s16, s8
	s_add_i32 s9, s9, s3
	s_mul_i32 s8, s16, s8
	s_lshl_b64 s[8:9], s[8:9], 2
	s_add_u32 s8, s22, s8
	s_addc_u32 s9, s23, s9
	s_branch .LBB84_7
.LBB84_6:
	s_mov_b64 s[8:9], 0
.LBB84_7:
	s_load_dword s3, s[0:1], 0x0
	s_load_dword s13, s[0:1], 0x20
	v_and_b32_e32 v206, 0x3ff, v0
	v_bfe_u32 v207, v0, 10, 10
	v_lshl_add_u32 v0, v207, 3, v206
	s_waitcnt lgkmcnt(0)
	s_add_i32 s3, s3, -1
	s_ashr_i32 s15, s3, 31
	s_lshr_b32 s15, s15, 26
	s_add_i32 s3, s3, s15
	s_ashr_i32 s3, s3, 6
	s_add_i32 s15, s3, 1
	v_cvt_f32_u32_e32 v1, s15
	s_not_b32 s3, s3
	v_and_b32_e32 v2, 3, v206
	v_lshrrev_b32_e32 v8, 2, v0
	v_rcp_iflag_f32_e32 v1, v1
	v_lshlrev_b32_e32 v48, 2, v2
	v_mul_f32_e32 v1, 0x4f7ffffe, v1
	v_cvt_u32_f32_e32 v1, v1
	s_nop 0
	v_readfirstlane_b32 s17, v1
	s_mul_i32 s3, s3, s17
	s_mul_hi_u32 s3, s17, s3
	s_add_i32 s17, s17, s3
	s_mul_hi_u32 s3, s2, s17
	s_mul_i32 s17, s3, s15
	s_sub_i32 s17, s2, s17
	s_add_i32 s22, s3, 1
	s_sub_i32 s23, s17, s15
	s_cmp_ge_u32 s17, s15
	s_cselect_b32 s3, s22, s3
	s_cselect_b32 s17, s23, s17
	s_add_i32 s22, s3, 1
	s_cmp_ge_u32 s17, s15
	s_cselect_b32 s3, s22, s3
	s_mul_i32 s15, s3, s15
	s_sub_i32 s2, s2, s15
	s_lshl_b32 s2, s2, 6
	s_and_b64 vcc, exec, s[4:5]
	v_add_u32_e32 v4, s2, v8
	s_cbranch_vccnz .LBB84_9
; %bb.8:
	v_mad_i64_i32 v[0:1], s[22:23], v4, s13, 0
	v_lshl_add_u64 v[0:1], v[0:1], 2, s[20:21]
	v_mov_b32_e32 v49, 0
	v_lshl_add_u64 v[0:1], v[0:1], 0, v[48:49]
	flat_load_dword v0, v[0:1]
	s_waitcnt vmcnt(0) lgkmcnt(0)
	v_mul_f32_e32 v9, s12, v0
	s_branch .LBB84_10
.LBB84_9:
	v_mov_b32_e32 v9, 0
.LBB84_10:
	s_load_dword s17, s[0:1], 0x38
	s_lshl_b32 s3, s3, 7
	v_add_u32_e32 v5, s3, v8
	s_and_b64 vcc, exec, s[4:5]
	v_add_u32_e32 v6, 64, v5
	s_cbranch_vccnz .LBB84_14
; %bb.11:
	v_mov_b32_e32 v49, 0
	v_lshl_add_u64 v[0:1], s[18:19], 0, v[48:49]
	s_waitcnt lgkmcnt(0)
	v_mad_i64_i32 v[2:3], s[22:23], v5, s17, 0
	v_lshl_add_u64 v[2:3], v[2:3], 2, v[0:1]
	v_mad_i64_i32 v[10:11], s[22:23], v6, s17, 0
	v_lshl_add_u64 v[0:1], v[10:11], 2, v[0:1]
	flat_load_dword v10, v[2:3]
	flat_load_dword v11, v[0:1]
	s_waitcnt vmcnt(0) lgkmcnt(0)
	v_pk_mul_f32 v[2:3], s[12:13], v[10:11] op_sel_hi:[0,1]
	s_and_b64 vcc, exec, s[4:5]
	s_cbranch_vccnz .LBB84_15
.LBB84_12:
	v_mad_i64_i32 v[0:1], s[22:23], v4, s13, 0
	v_lshl_add_u64 v[0:1], v[0:1], 2, s[20:21]
	v_mov_b32_e32 v49, 0
	v_lshl_add_u64 v[0:1], v[0:1], 0, v[48:49]
	flat_load_dword v0, v[0:1] offset:16
	s_waitcnt vmcnt(0) lgkmcnt(0)
	v_mul_f32_e32 v7, s12, v0
	s_and_b64 vcc, exec, s[4:5]
	s_cbranch_vccnz .LBB84_16
.LBB84_13:
	v_mov_b32_e32 v49, 0
	v_lshl_add_u64 v[0:1], s[18:19], 0, v[48:49]
	s_waitcnt lgkmcnt(0)
	v_mad_i64_i32 v[10:11], s[22:23], v5, s17, 0
	v_lshl_add_u64 v[10:11], v[10:11], 2, v[0:1]
	v_mad_i64_i32 v[12:13], s[22:23], v6, s17, 0
	v_lshl_add_u64 v[0:1], v[12:13], 2, v[0:1]
	flat_load_dword v12, v[10:11] offset:16
	flat_load_dword v13, v[0:1] offset:16
	s_waitcnt vmcnt(0) lgkmcnt(0)
	v_pk_mul_f32 v[0:1], s[12:13], v[12:13] op_sel_hi:[0,1]
	s_branch .LBB84_17
.LBB84_14:
	v_mov_b32_e32 v2, 0
	v_mov_b32_e32 v3, 0
	s_and_b64 vcc, exec, s[4:5]
	s_cbranch_vccz .LBB84_12
.LBB84_15:
	v_mov_b32_e32 v7, 0
	s_and_b64 vcc, exec, s[4:5]
	s_cbranch_vccz .LBB84_13
.LBB84_16:
	v_mov_b32_e32 v0, 0
	v_mov_b32_e32 v1, 0
.LBB84_17:
	v_lshl_or_b32 v210, v8, 4, v48
	v_lshlrev_b32_e32 v209, 4, v207
	ds_write_b32 v210, v9 offset:4096
	ds_write2st64_b32 v210, v2, v3 offset1:4
	s_waitcnt lgkmcnt(0)
	s_barrier
	ds_read_b128 v[8:11], v209
	v_lshlrev_b32_e32 v208, 4, v206
	ds_read_b128 v[12:15], v208 offset:4992
	ds_read_b128 v[16:19], v209 offset:512
	;; [unrolled: 1-line block ×5, first 2 shown]
	s_waitcnt lgkmcnt(5)
	v_max_f32_e32 v49, v9, v9
	v_max_f32_e32 v54, v8, v8
	ds_read_b128 v[32:35], v208 offset:4096
	ds_read_b128 v[36:39], v208 offset:4224
	v_max_f32_e32 v106, v11, v11
	v_max_f32_e32 v107, v10, v10
	ds_read_b128 v[8:11], v208 offset:4352
	s_waitcnt lgkmcnt(7)
	v_max_f32_e32 v58, v13, v13
	v_max_f32_e32 v59, v12, v12
	s_waitcnt lgkmcnt(6)
	v_max_f32_e32 v56, v17, v17
	v_max_f32_e32 v57, v16, v16
	s_waitcnt lgkmcnt(3)
	v_max_f32_e32 v61, v28, v28
	s_waitcnt lgkmcnt(2)
	v_max_f32_e32 v28, v32, v32
	v_max_f32_e32 v120, v15, v15
	;; [unrolled: 1-line block ×3, first 2 shown]
	ds_read_b128 v[12:15], v208 offset:4480
	v_max_f32_e32 v122, v19, v19
	v_max_f32_e32 v123, v18, v18
	s_waitcnt lgkmcnt(1)
	v_max_f32_e32 v32, v8, v8
	v_max_f32_e32 v125, v30, v30
	;; [unrolled: 1-line block ×4, first 2 shown]
	ds_read_b128 v[16:19], v208 offset:4608
	v_max_f32_e32 v75, v11, v11
	ds_read_b128 v[8:11], v208 offset:4736
	v_max_f32_e32 v60, v29, v29
	v_max_f32_e32 v62, v25, v25
	;; [unrolled: 1-line block ×4, first 2 shown]
	s_waitcnt lgkmcnt(0)
	v_max_f32_e32 v52, v8, v8
	v_max_f32_e32 v53, v9, v9
	v_max_f32_e32 v24, v36, v36
	v_max_f32_e32 v25, v37, v37
	v_max_f32_e32 v36, v12, v12
	v_max_f32_e32 v37, v13, v13
	v_max_f32_e32 v44, v16, v16
	v_max_f32_e32 v45, v17, v17
	v_max_f32_e32 v72, v20, v20
	v_max_f32_e32 v73, v21, v21
	v_min_f32_e32 v46, v52, v54
	v_min_f32_e32 v47, v53, v49
	;; [unrolled: 1-line block ×10, first 2 shown]
	v_max_f32_e32 v126, v27, v27
	v_max_f32_e32 v127, v26, v26
	;; [unrolled: 1-line block ×11, first 2 shown]
	v_min_f32_e32 v2, v28, v54
	v_min_f32_e32 v3, v29, v49
	;; [unrolled: 1-line block ×39, first 2 shown]
	v_pk_add_f32 v[52:53], v[52:53], 0 op_sel_hi:[1,0]
	v_min_f32_e32 v59, v120, v106
	v_min_f32_e32 v58, v121, v107
	v_max_f32_e32 v124, v31, v31
	v_pk_add_f32 v[90:91], v[58:59], v[52:53]
	v_pk_add_f32 v[52:53], v[54:55], 0 op_sel_hi:[1,0]
	v_min_f32_e32 v55, v120, v122
	v_min_f32_e32 v54, v121, v123
	v_max_f32_e32 v68, v34, v34
	v_max_f32_e32 v69, v35, v35
	v_pk_add_f32 v[76:77], v[54:55], v[52:53]
	v_pk_add_f32 v[52:53], v[56:57], 0 op_sel_hi:[1,0]
	v_min_f32_e32 v55, v120, v124
	v_min_f32_e32 v54, v121, v125
	v_max_f32_e32 v71, v39, v39
	v_min_f32_e32 v31, v37, v49
	v_min_f32_e32 v34, v36, v61
	;; [unrolled: 1-line block ×12, first 2 shown]
	v_pk_add_f32 v[62:63], v[54:55], v[52:53]
	v_pk_add_f32 v[2:3], v[2:3], 0 op_sel_hi:[1,0]
	v_min_f32_e32 v52, v68, v107
	v_min_f32_e32 v53, v69, v106
	v_pk_add_f32 v[118:119], v[52:53], v[2:3]
	v_pk_add_f32 v[2:3], v[8:9], 0 op_sel_hi:[1,0]
	v_min_f32_e32 v8, v68, v123
	v_min_f32_e32 v9, v69, v122
	;; [unrolled: 4-line block ×3, first 2 shown]
	v_min_f32_e32 v83, v73, v49
	v_min_f32_e32 v100, v72, v61
	;; [unrolled: 1-line block ×3, first 2 shown]
	v_pk_add_f32 v[72:73], v[8:9], v[2:3]
	v_min_f32_e32 v3, v69, v126
	v_min_f32_e32 v2, v68, v127
	v_pk_add_f32 v[8:9], v[12:13], 0 op_sel_hi:[1,0]
	s_load_dword s15, s[0:1], 0x8
	v_pk_add_f32 v[58:59], v[2:3], v[8:9]
	v_pk_add_f32 v[2:3], v[14:15], 0 op_sel_hi:[1,0]
	v_min_f32_e32 v8, v70, v107
	v_min_f32_e32 v9, v71, v106
	v_pk_add_f32 v[116:117], v[8:9], v[2:3]
	v_pk_add_f32 v[2:3], v[16:17], 0 op_sel_hi:[1,0]
	v_min_f32_e32 v8, v70, v123
	v_min_f32_e32 v9, v71, v122
	;; [unrolled: 4-line block ×3, first 2 shown]
	v_pk_add_f32 v[68:69], v[8:9], v[2:3]
	v_min_f32_e32 v3, v71, v126
	v_min_f32_e32 v2, v70, v127
	v_pk_add_f32 v[8:9], v[20:21], 0 op_sel_hi:[1,0]
	s_waitcnt lgkmcnt(0)
	s_cmp_lt_i32 s15, 9
	v_pk_add_f32 v[52:53], v[2:3], v[8:9]
	v_pk_add_f32 v[2:3], v[22:23], 0 op_sel_hi:[1,0]
	v_min_f32_e32 v8, v74, v107
	v_min_f32_e32 v9, v75, v106
	v_pk_add_f32 v[114:115], v[8:9], v[2:3]
	v_pk_add_f32 v[2:3], v[24:25], 0 op_sel_hi:[1,0]
	v_min_f32_e32 v8, v74, v123
	v_min_f32_e32 v9, v75, v122
	;; [unrolled: 4-line block ×3, first 2 shown]
	v_pk_add_f32 v[70:71], v[8:9], v[2:3]
	v_min_f32_e32 v3, v75, v126
	v_min_f32_e32 v2, v74, v127
	v_pk_add_f32 v[8:9], v[28:29], 0 op_sel_hi:[1,0]
	ds_write2st64_b32 v210, v0, v1 offset0:8 offset1:12
	ds_write_b32 v210, v7 offset:5120
	v_pk_add_f32 v[54:55], v[2:3], v[8:9]
	v_pk_add_f32 v[2:3], v[30:31], 0 op_sel_hi:[1,0]
	v_min_f32_e32 v8, v78, v107
	v_min_f32_e32 v9, v79, v106
	v_pk_add_f32 v[112:113], v[8:9], v[2:3]
	v_pk_add_f32 v[2:3], v[32:33], 0 op_sel_hi:[1,0]
	v_min_f32_e32 v8, v78, v123
	v_min_f32_e32 v9, v79, v122
	;; [unrolled: 4-line block ×3, first 2 shown]
	v_pk_add_f32 v[74:75], v[8:9], v[2:3]
	v_min_f32_e32 v3, v79, v126
	v_min_f32_e32 v2, v78, v127
	v_pk_add_f32 v[8:9], v[36:37], 0 op_sel_hi:[1,0]
	s_waitcnt lgkmcnt(0)
	v_pk_add_f32 v[56:57], v[2:3], v[8:9]
	v_pk_add_f32 v[2:3], v[38:39], 0 op_sel_hi:[1,0]
	v_min_f32_e32 v8, v80, v107
	v_min_f32_e32 v9, v81, v106
	v_pk_add_f32 v[110:111], v[8:9], v[2:3]
	v_pk_add_f32 v[2:3], v[40:41], 0 op_sel_hi:[1,0]
	v_min_f32_e32 v8, v80, v123
	v_min_f32_e32 v9, v81, v122
	;; [unrolled: 4-line block ×3, first 2 shown]
	v_pk_add_f32 v[78:79], v[8:9], v[2:3]
	v_min_f32_e32 v3, v81, v126
	v_min_f32_e32 v2, v80, v127
	v_pk_add_f32 v[8:9], v[44:45], 0 op_sel_hi:[1,0]
	s_barrier
	v_pk_add_f32 v[60:61], v[2:3], v[8:9]
	v_pk_add_f32 v[2:3], v[46:47], 0 op_sel_hi:[1,0]
	v_min_f32_e32 v8, v128, v107
	v_min_f32_e32 v9, v129, v106
	v_pk_add_f32 v[108:109], v[8:9], v[2:3]
	v_pk_add_f32 v[2:3], v[50:51], 0 op_sel_hi:[1,0]
	v_min_f32_e32 v8, v128, v123
	v_min_f32_e32 v9, v129, v122
	;; [unrolled: 4-line block ×3, first 2 shown]
	v_pk_add_f32 v[80:81], v[8:9], v[2:3]
	v_min_f32_e32 v3, v129, v126
	v_min_f32_e32 v2, v128, v127
	v_pk_add_f32 v[8:9], v[66:67], 0 op_sel_hi:[1,0]
	s_nop 0
	v_pk_add_f32 v[64:65], v[2:3], v[8:9]
	v_min_f32_e32 v2, v130, v107
	v_min_f32_e32 v3, v131, v106
	v_pk_add_f32 v[8:9], v[82:83], 0 op_sel_hi:[1,0]
	s_nop 0
	;; [unrolled: 5-line block ×6, first 2 shown]
	v_pk_add_f32 v[50:51], v[2:3], v[8:9]
	s_cbranch_scc1 .LBB84_31
; %bb.18:
	v_mad_i64_i32 v[0:1], s[22:23], v4, s13, 0
	v_lshl_add_u64 v[100:101], v[0:1], 2, s[20:21]
	v_mov_b32_e32 v0, 0x1400
	v_lshl_add_u32 v215, v206, 4, v0
	v_mov_b32_e32 v0, 0x800
	v_lshl_add_u32 v216, v207, 4, v0
	v_mad_i64_i32 v[0:1], s[20:21], s17, v6, 0
	v_lshl_add_u64 v[102:103], v[0:1], 2, s[18:19]
	v_mad_i64_i32 v[0:1], s[20:21], s17, v5, 0
	v_add_u32_e32 v211, 0x1000, v210
	v_add_u32_e32 v212, 0x1000, v208
	;; [unrolled: 1-line block ×4, first 2 shown]
	s_add_i32 s15, s15, -8
	s_mov_b32 s13, s12
	v_mov_b32_e32 v49, 0
	v_lshl_add_u64 v[104:105], v[0:1], 2, s[18:19]
	s_mov_b32 s17, 0
	s_branch .LBB84_21
.LBB84_19:                              ;   in Loop: Header=BB84_21 Depth=1
	flat_load_dword v16, v[120:121] offset:48
	flat_load_dword v17, v[122:123] offset:48
	s_waitcnt vmcnt(0) lgkmcnt(0)
	v_pk_mul_f32 v[16:17], s[12:13], v[16:17]
.LBB84_20:                              ;   in Loop: Header=BB84_21 Depth=1
	v_pk_add_f32 v[40:41], v[40:41], v[90:91]
	v_pk_add_f32 v[32:33], v[32:33], v[62:63]
	;; [unrolled: 1-line block ×32, first 2 shown]
	ds_read_b128 v[0:3], v209
	ds_read_b128 v[8:11], v209 offset:512
	v_pk_add_f32 v[22:23], v[6:7], v[82:83]
	ds_read_b128 v[4:7], v212 offset:896
	ds_read_b128 v[12:15], v212 offset:768
	;; [unrolled: 1-line block ×4, first 2 shown]
	v_pk_add_f32 v[90:91], v[132:133], v[70:71]
	v_pk_add_f32 v[92:93], v[140:141], v[92:93]
	;; [unrolled: 1-line block ×6, first 2 shown]
	ds_read_b128 v[90:93], v212
	v_pk_add_f32 v[36:37], v[36:37], v[76:77]
	v_pk_add_f32 v[112:113], v[142:143], v[112:113]
	;; [unrolled: 1-line block ×9, first 2 shown]
	s_waitcnt lgkmcnt(4)
	v_max_f32_e32 v113, v5, v5
	v_max_f32_e32 v115, v4, v4
	;; [unrolled: 1-line block ×4, first 2 shown]
	s_waitcnt lgkmcnt(1)
	v_max_f32_e32 v118, v87, v87
	v_max_f32_e32 v119, v86, v86
	v_min_f32_e32 v5, v113, v116
	v_min_f32_e32 v4, v115, v117
	;; [unrolled: 1-line block ×4, first 2 shown]
	v_max_f32_e32 v112, v1, v1
	v_max_f32_e32 v114, v0, v0
	v_pk_add_f32 v[4:5], v[4:5], v[80:81]
	v_pk_add_f32 v[8:9], v[8:9], v[78:79]
	ds_read_b128 v[78:81], v212 offset:128
	s_waitcnt lgkmcnt(1)
	v_max_f32_e32 v90, v90, v90
	v_max_f32_e32 v91, v91, v91
	v_min_f32_e32 v86, v90, v114
	v_min_f32_e32 v87, v91, v112
	v_pk_add_f32 v[94:95], v[146:147], v[94:95]
	v_pk_add_f32 v[86:87], v[86:87], v[72:73]
	v_min_f32_e32 v72, v90, v117
	v_min_f32_e32 v73, v91, v116
	v_pk_add_f32 v[96:97], v[152:153], v[96:97]
	v_pk_add_f32 v[40:41], v[186:187], v[94:95]
	;; [unrolled: 1-line block ×3, first 2 shown]
	v_min_f32_e32 v72, v90, v119
	v_min_f32_e32 v73, v91, v118
	v_pk_add_f32 v[32:33], v[196:197], v[96:97]
	v_pk_add_f32 v[96:97], v[72:73], v[76:77]
	v_max_f32_e32 v76, v83, v83
	v_max_f32_e32 v77, v82, v82
	v_pk_add_f32 v[70:71], v[26:27], v[24:25]
	v_min_f32_e32 v73, v91, v76
	v_min_f32_e32 v72, v90, v77
	s_waitcnt lgkmcnt(0)
	v_max_f32_e32 v74, v78, v78
	v_max_f32_e32 v75, v79, v79
	v_pk_add_f32 v[70:71], v[72:73], v[70:71]
	v_min_f32_e32 v72, v74, v114
	v_min_f32_e32 v73, v75, v112
	v_pk_add_f32 v[78:79], v[72:73], v[64:65]
	v_min_f32_e32 v64, v74, v117
	v_min_f32_e32 v65, v75, v116
	;; [unrolled: 3-line block ×3, first 2 shown]
	v_pk_add_f32 v[68:69], v[64:65], v[68:69]
	ds_read_b128 v[64:67], v212 offset:256
	v_pk_add_f32 v[98:99], v[158:159], v[98:99]
	v_min_f32_e32 v73, v75, v76
	v_min_f32_e32 v72, v74, v77
	v_pk_add_f32 v[24:25], v[202:203], v[98:99]
	v_pk_add_f32 v[98:99], v[72:73], v[62:63]
	ds_read_b128 v[72:75], v212 offset:384
	s_waitcnt lgkmcnt(1)
	v_max_f32_e32 v90, v64, v64
	v_max_f32_e32 v91, v65, v65
	v_min_f32_e32 v62, v90, v114
	v_min_f32_e32 v63, v91, v112
	v_pk_add_f32 v[56:57], v[62:63], v[56:57]
	v_min_f32_e32 v62, v90, v117
	v_min_f32_e32 v63, v91, v116
	v_pk_add_f32 v[54:55], v[138:139], v[54:55]
	v_pk_add_f32 v[106:107], v[160:161], v[106:107]
	;; [unrolled: 1-line block ×3, first 2 shown]
	v_min_f32_e32 v58, v90, v119
	v_min_f32_e32 v59, v91, v118
	v_pk_add_f32 v[54:55], v[178:179], v[54:55]
	v_pk_add_f32 v[26:27], v[204:205], v[106:107]
	;; [unrolled: 1-line block ×3, first 2 shown]
	v_min_f32_e32 v59, v91, v76
	v_min_f32_e32 v58, v90, v77
	s_waitcnt lgkmcnt(0)
	v_max_f32_e32 v62, v72, v72
	v_max_f32_e32 v63, v73, v73
	v_pk_add_f32 v[108:109], v[154:155], v[108:109]
	v_pk_add_f32 v[54:55], v[58:59], v[54:55]
	v_min_f32_e32 v58, v62, v114
	v_min_f32_e32 v59, v63, v112
	v_pk_add_f32 v[30:31], v[198:199], v[108:109]
	v_pk_add_f32 v[108:109], v[58:59], v[46:47]
	ds_read_b128 v[58:61], v212 offset:512
	v_min_f32_e32 v46, v62, v117
	v_min_f32_e32 v47, v63, v116
	v_pk_add_f32 v[110:111], v[148:149], v[110:111]
	v_pk_add_f32 v[50:51], v[46:47], v[50:51]
	v_min_f32_e32 v46, v62, v119
	v_min_f32_e32 v47, v63, v118
	v_pk_add_f32 v[38:39], v[188:189], v[110:111]
	v_pk_add_f32 v[110:111], v[46:47], v[52:53]
	;; [unrolled: 4-line block ×3, first 2 shown]
	ds_read_b128 v[44:47], v212 offset:640
	s_waitcnt lgkmcnt(1)
	v_max_f32_e32 v58, v58, v58
	v_max_f32_e32 v59, v59, v59
	v_min_f32_e32 v52, v58, v114
	v_min_f32_e32 v53, v59, v112
	v_pk_add_f32 v[38:39], v[52:53], v[38:39]
	v_min_f32_e32 v52, v58, v117
	v_min_f32_e32 v53, v59, v116
	v_pk_add_f32 v[40:41], v[52:53], v[40:41]
	;; [unrolled: 3-line block ×4, first 2 shown]
	s_waitcnt lgkmcnt(0)
	v_max_f32_e32 v52, v44, v44
	v_max_f32_e32 v53, v45, v45
	v_min_f32_e32 v44, v52, v114
	v_min_f32_e32 v45, v53, v112
	v_pk_add_f32 v[30:31], v[44:45], v[30:31]
	v_min_f32_e32 v44, v52, v117
	v_min_f32_e32 v45, v53, v116
	v_pk_add_f32 v[32:33], v[44:45], v[32:33]
	;; [unrolled: 3-line block ×4, first 2 shown]
	v_max_f32_e32 v44, v12, v12
	v_max_f32_e32 v45, v13, v13
	v_min_f32_e32 v12, v44, v114
	v_min_f32_e32 v13, v45, v112
	v_pk_add_f32 v[12:13], v[12:13], v[26:27]
	v_min_f32_e32 v26, v44, v117
	v_min_f32_e32 v27, v45, v116
	v_pk_add_f32 v[24:25], v[26:27], v[24:25]
	;; [unrolled: 3-line block ×4, first 2 shown]
	v_min_f32_e32 v27, v113, v76
	v_min_f32_e32 v26, v115, v77
	v_min_f32_e32 v1, v113, v112
	v_min_f32_e32 v0, v115, v114
	v_pk_add_f32 v[18:19], v[26:27], v[18:19]
	v_max_f32_e32 v26, v3, v3
	v_max_f32_e32 v7, v7, v7
	;; [unrolled: 1-line block ×4, first 2 shown]
	v_pk_add_f32 v[0:1], v[0:1], v[122:123]
	v_min_f32_e32 v3, v7, v26
	v_min_f32_e32 v2, v6, v27
	v_pk_add_f32 v[90:91], v[2:3], v[0:1]
	v_max_f32_e32 v2, v11, v11
	v_max_f32_e32 v3, v10, v10
	v_min_f32_e32 v1, v7, v2
	v_min_f32_e32 v0, v6, v3
	v_pk_add_f32 v[76:77], v[0:1], v[4:5]
	v_max_f32_e32 v4, v89, v89
	v_max_f32_e32 v5, v88, v88
	;; [unrolled: 5-line block ×3, first 2 shown]
	v_min_f32_e32 v0, v8, v27
	v_min_f32_e32 v1, v9, v26
	v_pk_add_f32 v[118:119], v[0:1], v[86:87]
	v_min_f32_e32 v0, v8, v3
	v_min_f32_e32 v1, v9, v2
	v_pk_add_f32 v[88:89], v[0:1], v[94:95]
	v_min_f32_e32 v0, v8, v5
	v_min_f32_e32 v1, v9, v4
	v_max_f32_e32 v10, v85, v85
	v_pk_add_f32 v[72:73], v[0:1], v[96:97]
	v_min_f32_e32 v1, v9, v10
	v_max_f32_e32 v9, v84, v84
	v_min_f32_e32 v0, v8, v9
	v_max_f32_e32 v8, v80, v80
	v_max_f32_e32 v11, v81, v81
	v_pk_add_f32 v[58:59], v[0:1], v[70:71]
	v_min_f32_e32 v0, v8, v27
	v_min_f32_e32 v1, v11, v26
	v_pk_add_f32 v[116:117], v[0:1], v[78:79]
	v_min_f32_e32 v0, v8, v3
	v_min_f32_e32 v1, v11, v2
	v_pk_add_f32 v[84:85], v[0:1], v[82:83]
	v_min_f32_e32 v0, v8, v5
	v_min_f32_e32 v1, v11, v4
	v_pk_add_f32 v[68:69], v[0:1], v[68:69]
	v_min_f32_e32 v1, v11, v10
	v_min_f32_e32 v0, v8, v9
	v_max_f32_e32 v8, v66, v66
	v_max_f32_e32 v11, v67, v67
	v_pk_add_f32 v[52:53], v[0:1], v[98:99]
	v_min_f32_e32 v0, v8, v27
	v_min_f32_e32 v1, v11, v26
	v_pk_add_f32 v[114:115], v[0:1], v[56:57]
	v_min_f32_e32 v0, v8, v3
	v_min_f32_e32 v1, v11, v2
	v_pk_add_f32 v[86:87], v[0:1], v[64:65]
	v_min_f32_e32 v0, v8, v5
	v_min_f32_e32 v1, v11, v4
	v_pk_add_f32 v[70:71], v[0:1], v[106:107]
	v_min_f32_e32 v1, v11, v10
	;; [unrolled: 14-line block ×6, first 2 shown]
	v_min_f32_e32 v0, v8, v9
	v_pk_add_f32 v[66:67], v[0:1], v[22:23]
	v_min_f32_e32 v1, v7, v10
	v_min_f32_e32 v0, v6, v9
	s_add_i32 s17, s17, 8
	v_pk_add_f32 v[50:51], v[0:1], v[18:19]
	v_lshl_add_u64 v[102:103], v[102:103], 0, 32
	v_lshl_add_u64 v[104:105], v[104:105], 0, 32
	s_cmp_ge_i32 s17, s15
	v_lshl_add_u64 v[100:101], v[100:101], 0, 32
	ds_write_b32 v213, v217
	ds_write2st64_b32 v214, v16, v17 offset1:4
	s_waitcnt lgkmcnt(0)
	s_barrier
	s_cbranch_scc1 .LBB84_31
.LBB84_21:                              ; =>This Inner Loop Header: Depth=1
	s_and_b64 vcc, exec, s[4:5]
	v_lshl_add_u64 v[124:125], v[100:101], 0, v[48:49]
	v_mov_b32_e32 v128, 0
	s_cbranch_vccnz .LBB84_23
; %bb.22:                               ;   in Loop: Header=BB84_21 Depth=1
	flat_load_dword v0, v[124:125] offset:32
	s_waitcnt vmcnt(0) lgkmcnt(0)
	v_mul_f32_e32 v128, s12, v0
.LBB84_23:                              ;   in Loop: Header=BB84_21 Depth=1
	s_and_b64 vcc, exec, s[4:5]
	v_lshl_add_u64 v[120:121], v[104:105], 0, v[48:49]
	v_lshl_add_u64 v[122:123], v[102:103], 0, v[48:49]
	s_cbranch_vccnz .LBB84_25
; %bb.24:                               ;   in Loop: Header=BB84_21 Depth=1
	flat_load_dword v0, v[120:121] offset:32
	flat_load_dword v1, v[122:123] offset:32
	s_waitcnt vmcnt(0) lgkmcnt(0)
	v_pk_mul_f32 v[126:127], s[12:13], v[0:1]
	s_branch .LBB84_26
.LBB84_25:                              ;   in Loop: Header=BB84_21 Depth=1
	v_mov_b32_e32 v126, 0
	v_mov_b32_e32 v127, 0
.LBB84_26:                              ;   in Loop: Header=BB84_21 Depth=1
	ds_read_b128 v[40:43], v216
	ds_read_b128 v[36:39], v216 offset:512
	ds_read_b128 v[24:27], v216 offset:1536
	;; [unrolled: 1-line block ×3, first 2 shown]
	ds_read_b128 v[28:31], v215
	ds_read_b128 v[20:23], v215 offset:128
	ds_read_b128 v[16:19], v215 offset:256
	;; [unrolled: 1-line block ×7, first 2 shown]
	s_and_b64 vcc, exec, s[4:5]
	ds_write_b32 v211, v128
	ds_write2st64_b32 v210, v126, v127 offset1:4
	s_waitcnt lgkmcnt(0)
	s_barrier
	s_cbranch_vccnz .LBB84_28
; %bb.27:                               ;   in Loop: Header=BB84_21 Depth=1
	flat_load_dword v124, v[124:125] offset:48
	s_waitcnt vmcnt(0) lgkmcnt(0)
	v_mul_f32_e32 v217, s12, v124
	s_branch .LBB84_29
.LBB84_28:                              ;   in Loop: Header=BB84_21 Depth=1
	v_mov_b32_e32 v217, 0
.LBB84_29:                              ;   in Loop: Header=BB84_21 Depth=1
	v_max_f32_e32 v158, v41, v41
	v_max_f32_e32 v159, v40, v40
	;; [unrolled: 1-line block ×10, first 2 shown]
	v_min_f32_e32 v136, v16, v159
	v_min_f32_e32 v137, v17, v158
	v_min_f32_e32 v134, v16, v163
	v_min_f32_e32 v135, v17, v162
	v_min_f32_e32 v132, v16, v167
	v_min_f32_e32 v133, v17, v165
	v_min_f32_e32 v139, v17, v168
	v_min_f32_e32 v138, v16, v169
	v_max_f32_e32 v16, v12, v12
	v_max_f32_e32 v17, v13, v13
	v_min_f32_e32 v142, v16, v159
	v_min_f32_e32 v143, v17, v158
	v_min_f32_e32 v140, v16, v163
	v_min_f32_e32 v141, v17, v162
	v_min_f32_e32 v12, v16, v167
	v_min_f32_e32 v13, v17, v165
	v_min_f32_e32 v145, v17, v168
	v_min_f32_e32 v144, v16, v169
	v_max_f32_e32 v16, v8, v8
	v_max_f32_e32 v17, v9, v9
	;; [unrolled: 10-line block ×3, first 2 shown]
	v_max_f32_e32 v164, v45, v45
	v_max_f32_e32 v166, v44, v44
	;; [unrolled: 1-line block ×6, first 2 shown]
	v_min_f32_e32 v154, v16, v159
	v_min_f32_e32 v155, v17, v158
	;; [unrolled: 1-line block ×8, first 2 shown]
	v_max_f32_e32 v16, v0, v0
	v_max_f32_e32 v17, v1, v1
	v_min_f32_e32 v41, v164, v158
	v_min_f32_e32 v40, v166, v159
	;; [unrolled: 1-line block ×17, first 2 shown]
	v_max_f32_e32 v16, v43, v43
	v_max_f32_e32 v194, v42, v42
	;; [unrolled: 1-line block ×10, first 2 shown]
	v_min_f32_e32 v36, v166, v163
	v_min_f32_e32 v33, v164, v165
	;; [unrolled: 1-line block ×14, first 2 shown]
	v_max_f32_e32 v17, v47, v47
	v_max_f32_e32 v218, v46, v46
	;; [unrolled: 1-line block ×12, first 2 shown]
	v_min_f32_e32 v198, v6, v194
	v_min_f32_e32 v199, v7, v16
	;; [unrolled: 1-line block ×8, first 2 shown]
	v_max_f32_e32 v6, v2, v2
	v_max_f32_e32 v7, v3, v3
	v_min_f32_e32 v32, v166, v167
	v_min_f32_e32 v43, v17, v16
	;; [unrolled: 1-line block ×56, first 2 shown]
	s_and_b64 vcc, exec, s[4:5]
	v_min_f32_e32 v194, v218, v222
	s_cbranch_vccz .LBB84_19
; %bb.30:                               ;   in Loop: Header=BB84_21 Depth=1
	v_mov_b32_e32 v16, 0
	v_mov_b32_e32 v17, 0
	s_branch .LBB84_20
.LBB84_31:
	s_load_dword s12, s[0:1], 0x58
	ds_read_b128 v[40:43], v209 offset:2048
	ds_read_b128 v[44:47], v208 offset:5120
	v_add_u32_e32 v102, s3, v207
	v_cmp_neq_f32_e64 s[4:5], s14, 0
	v_add_u32_e32 v48, s2, v206
	s_waitcnt lgkmcnt(0)
	v_mad_i64_i32 v[0:1], s[2:3], v102, s12, 0
	v_ashrrev_i32_e32 v49, 31, v48
	v_lshl_add_u64 v[100:101], v[0:1], 2, s[8:9]
	s_and_b64 vcc, exec, s[4:5]
	v_mov_b32_e32 v105, 0
	v_mov_b32_e32 v104, 0
	s_cbranch_vccz .LBB84_33
; %bb.32:
	v_lshl_add_u64 v[0:1], v[48:49], 2, v[100:101]
	flat_load_dword v0, v[0:1]
	s_waitcnt vmcnt(0) lgkmcnt(0)
	v_mul_f32_e32 v104, s14, v0
.LBB84_33:
	ds_read_b128 v[12:15], v208 offset:6016
	ds_read_b128 v[0:3], v209 offset:3584
	ds_read_b128 v[8:11], v209 offset:2560
	ds_read_b128 v[4:7], v209 offset:3072
	ds_read_b128 v[36:39], v208 offset:5248
	ds_read_b128 v[32:35], v208 offset:5376
	s_load_dword s13, s[0:1], 0x70
	s_load_dwordx2 s[2:3], s[0:1], 0x78
	v_max_f32_e32 v120, v40, v40
	v_max_f32_e32 v44, v44, v44
	;; [unrolled: 1-line block ×4, first 2 shown]
	ds_read_b128 v[28:31], v208 offset:5504
	ds_read_b128 v[24:27], v208 offset:5632
	ds_read_b128 v[20:23], v208 offset:5760
	ds_read_b128 v[16:19], v208 offset:5888
	s_waitcnt lgkmcnt(0)
	s_mul_i32 s0, s16, s3
	s_mul_hi_u32 s1, s16, s2
	v_min_f32_e32 v40, v44, v120
	v_min_f32_e32 v41, v103, v121
	s_add_i32 s1, s1, s0
	s_mul_i32 s0, s16, s2
	v_pk_add_f32 v[40:41], v[40:41], v[118:119]
	v_max_f32_e32 v118, v42, v42
	v_max_f32_e32 v45, v46, v46
	v_max_f32_e32 v119, v43, v43
	v_max_f32_e32 v46, v47, v47
	s_lshl_b64 s[0:1], s[0:1], 2
	v_min_f32_e32 v42, v45, v118
	v_min_f32_e32 v43, v46, v119
	s_add_u32 s2, s10, s0
	v_pk_add_f32 v[122:123], v[42:43], v[40:41]
	s_addc_u32 s3, s11, s1
	v_mad_i64_i32 v[42:43], s[0:1], v102, s13, 0
	v_add_f32_e32 v47, v122, v123
	v_add_u32_e32 v40, 8, v48
	v_lshl_add_u64 v[42:43], v[42:43], 2, s[2:3]
	v_add_f32_e32 v47, v47, v104
	v_cndmask_b32_e64 v104, 0, 1, s[4:5]
	v_ashrrev_i32_e32 v41, 31, v40
	v_lshl_add_u64 v[122:123], v[48:49], 2, v[42:43]
	v_cmp_ne_u32_e64 s[0:1], 1, v104
	s_andn2_b64 vcc, exec, s[4:5]
	global_store_dword v[122:123], v47, off
	s_cbranch_vccnz .LBB84_35
; %bb.34:
	v_lshl_add_u64 v[104:105], v[40:41], 2, v[100:101]
	flat_load_dword v47, v[104:105]
	s_waitcnt vmcnt(0) lgkmcnt(0)
	v_mul_f32_e32 v105, s14, v47
.LBB84_35:
	v_max_f32_e32 v47, v36, v36
	v_max_f32_e32 v104, v37, v37
	v_min_f32_e32 v36, v47, v120
	v_min_f32_e32 v37, v104, v121
	v_max_f32_e32 v38, v38, v38
	v_max_f32_e32 v39, v39, v39
	v_pk_add_f32 v[36:37], v[36:37], v[116:117]
	v_min_f32_e32 v116, v38, v118
	v_min_f32_e32 v117, v39, v119
	v_pk_add_f32 v[36:37], v[116:117], v[36:37]
	s_and_b64 vcc, exec, s[0:1]
	v_add_f32_e32 v116, v36, v37
	v_add_u32_e32 v36, 16, v48
	v_add_f32_e32 v105, v116, v105
	v_lshl_add_u64 v[116:117], v[40:41], 2, v[42:43]
	v_ashrrev_i32_e32 v37, 31, v36
	global_store_dword v[116:117], v105, off
	v_mov_b32_e32 v117, 0
	v_mov_b32_e32 v122, 0
	s_cbranch_vccnz .LBB84_37
; %bb.36:
	v_lshl_add_u64 v[122:123], v[36:37], 2, v[100:101]
	flat_load_dword v105, v[122:123]
	s_waitcnt vmcnt(0) lgkmcnt(0)
	v_mul_f32_e32 v122, s14, v105
.LBB84_37:
	v_max_f32_e32 v105, v32, v32
	v_max_f32_e32 v116, v33, v33
	v_min_f32_e32 v32, v105, v120
	v_min_f32_e32 v33, v116, v121
	v_max_f32_e32 v34, v34, v34
	v_max_f32_e32 v35, v35, v35
	v_pk_add_f32 v[32:33], v[32:33], v[114:115]
	v_min_f32_e32 v114, v34, v118
	v_min_f32_e32 v115, v35, v119
	v_pk_add_f32 v[32:33], v[114:115], v[32:33]
	s_and_b64 vcc, exec, s[0:1]
	v_add_f32_e32 v114, v32, v33
	v_add_u32_e32 v32, 24, v48
	v_ashrrev_i32_e32 v33, 31, v32
	v_add_f32_e32 v122, v114, v122
	v_lshl_add_u64 v[114:115], v[36:37], 2, v[42:43]
	global_store_dword v[114:115], v122, off
	s_cbranch_vccnz .LBB84_39
; %bb.38:
	v_lshl_add_u64 v[114:115], v[32:33], 2, v[100:101]
	flat_load_dword v114, v[114:115]
	s_waitcnt vmcnt(0) lgkmcnt(0)
	v_mul_f32_e32 v117, s14, v114
.LBB84_39:
	v_max_f32_e32 v114, v28, v28
	v_max_f32_e32 v115, v29, v29
	v_min_f32_e32 v28, v114, v120
	v_min_f32_e32 v29, v115, v121
	v_max_f32_e32 v30, v30, v30
	v_max_f32_e32 v31, v31, v31
	v_pk_add_f32 v[28:29], v[28:29], v[112:113]
	v_min_f32_e32 v112, v30, v118
	v_min_f32_e32 v113, v31, v119
	v_pk_add_f32 v[28:29], v[112:113], v[28:29]
	s_and_b64 vcc, exec, s[0:1]
	v_add_f32_e32 v112, v28, v29
	v_add_u32_e32 v28, 32, v48
	v_add_f32_e32 v117, v112, v117
	v_lshl_add_u64 v[112:113], v[32:33], 2, v[42:43]
	v_ashrrev_i32_e32 v29, 31, v28
	global_store_dword v[112:113], v117, off
	v_mov_b32_e32 v117, 0
	v_mov_b32_e32 v122, 0
	s_cbranch_vccnz .LBB84_41
; %bb.40:
	v_lshl_add_u64 v[112:113], v[28:29], 2, v[100:101]
	flat_load_dword v112, v[112:113]
	s_waitcnt vmcnt(0) lgkmcnt(0)
	v_mul_f32_e32 v122, s14, v112
.LBB84_41:
	v_max_f32_e32 v112, v24, v24
	v_max_f32_e32 v113, v25, v25
	v_min_f32_e32 v24, v112, v120
	v_min_f32_e32 v25, v113, v121
	v_max_f32_e32 v26, v26, v26
	v_max_f32_e32 v27, v27, v27
	v_pk_add_f32 v[24:25], v[24:25], v[110:111]
	v_min_f32_e32 v110, v26, v118
	v_min_f32_e32 v111, v27, v119
	v_pk_add_f32 v[24:25], v[110:111], v[24:25]
	s_and_b64 vcc, exec, s[0:1]
	v_add_f32_e32 v110, v24, v25
	v_add_u32_e32 v24, 40, v48
	v_ashrrev_i32_e32 v25, 31, v24
	v_add_f32_e32 v122, v110, v122
	v_lshl_add_u64 v[110:111], v[28:29], 2, v[42:43]
	global_store_dword v[110:111], v122, off
	s_cbranch_vccnz .LBB84_43
; %bb.42:
	v_lshl_add_u64 v[110:111], v[24:25], 2, v[100:101]
	flat_load_dword v110, v[110:111]
	s_waitcnt vmcnt(0) lgkmcnt(0)
	v_mul_f32_e32 v117, s14, v110
.LBB84_43:
	v_max_f32_e32 v110, v20, v20
	v_max_f32_e32 v111, v21, v21
	v_min_f32_e32 v20, v110, v120
	v_min_f32_e32 v21, v111, v121
	v_max_f32_e32 v22, v22, v22
	v_max_f32_e32 v23, v23, v23
	v_pk_add_f32 v[20:21], v[20:21], v[108:109]
	v_min_f32_e32 v108, v22, v118
	v_min_f32_e32 v109, v23, v119
	v_pk_add_f32 v[20:21], v[108:109], v[20:21]
	s_and_b64 vcc, exec, s[0:1]
	v_add_f32_e32 v108, v20, v21
	v_add_u32_e32 v20, 48, v48
	v_add_f32_e32 v117, v108, v117
	v_lshl_add_u64 v[108:109], v[24:25], 2, v[42:43]
	v_ashrrev_i32_e32 v21, 31, v20
	global_store_dword v[108:109], v117, off
	v_mov_b32_e32 v117, 0
	v_mov_b32_e32 v122, 0
	s_cbranch_vccnz .LBB84_45
; %bb.44:
	v_lshl_add_u64 v[108:109], v[20:21], 2, v[100:101]
	flat_load_dword v108, v[108:109]
	s_waitcnt vmcnt(0) lgkmcnt(0)
	v_mul_f32_e32 v122, s14, v108
.LBB84_45:
	v_max_f32_e32 v108, v16, v16
	v_max_f32_e32 v109, v17, v17
	v_min_f32_e32 v16, v108, v120
	v_min_f32_e32 v17, v109, v121
	v_pk_add_f32 v[16:17], v[16:17], v[106:107]
	v_max_f32_e32 v106, v18, v18
	v_max_f32_e32 v107, v19, v19
	v_min_f32_e32 v18, v106, v118
	v_min_f32_e32 v19, v107, v119
	v_pk_add_f32 v[16:17], v[18:19], v[16:17]
	s_and_b64 vcc, exec, s[0:1]
	v_add_f32_e32 v18, v16, v17
	v_add_u32_e32 v16, 56, v48
	v_ashrrev_i32_e32 v17, 31, v16
	v_add_f32_e32 v122, v18, v122
	v_lshl_add_u64 v[18:19], v[20:21], 2, v[42:43]
	global_store_dword v[18:19], v122, off
	s_cbranch_vccnz .LBB84_47
; %bb.46:
	v_lshl_add_u64 v[18:19], v[16:17], 2, v[100:101]
	flat_load_dword v18, v[18:19]
	s_waitcnt vmcnt(0) lgkmcnt(0)
	v_mul_f32_e32 v117, s14, v18
.LBB84_47:
	v_max_f32_e32 v18, v13, v13
	v_max_f32_e32 v19, v12, v12
	v_min_f32_e32 v13, v18, v121
	v_min_f32_e32 v12, v19, v120
	v_max_f32_e32 v15, v15, v15
	v_max_f32_e32 v14, v14, v14
	v_pk_add_f32 v[12:13], v[12:13], v[90:91]
	v_min_f32_e32 v91, v15, v119
	v_min_f32_e32 v90, v14, v118
	v_pk_add_f32 v[12:13], v[90:91], v[12:13]
	v_add_u32_e32 v91, 32, v102
	v_add_f32_e32 v12, v12, v13
	v_add_f32_e32 v90, v12, v117
	v_lshl_add_u64 v[12:13], v[16:17], 2, v[42:43]
	global_store_dword v[12:13], v90, off
	v_mad_i64_i32 v[12:13], s[4:5], v91, s12, 0
	v_lshl_add_u64 v[12:13], v[12:13], 2, s[8:9]
	s_and_b64 vcc, exec, s[0:1]
	v_mov_b32_e32 v90, 0
	v_mov_b32_e32 v100, 0
	s_cbranch_vccnz .LBB84_49
; %bb.48:
	v_lshl_add_u64 v[42:43], v[48:49], 2, v[12:13]
	flat_load_dword v42, v[42:43]
	s_waitcnt vmcnt(0) lgkmcnt(0)
	v_mul_f32_e32 v100, s14, v42
.LBB84_49:
	v_max_f32_e32 v42, v8, v8
	v_max_f32_e32 v43, v9, v9
	v_min_f32_e32 v8, v44, v42
	v_min_f32_e32 v9, v103, v43
	v_max_f32_e32 v10, v10, v10
	v_max_f32_e32 v11, v11, v11
	v_pk_add_f32 v[8:9], v[8:9], v[88:89]
	v_min_f32_e32 v88, v45, v10
	v_min_f32_e32 v89, v46, v11
	v_pk_add_f32 v[88:89], v[88:89], v[8:9]
	v_mad_i64_i32 v[8:9], s[4:5], v91, s13, 0
	v_lshl_add_u64 v[8:9], v[8:9], 2, s[2:3]
	v_add_f32_e32 v88, v88, v89
	v_add_f32_e32 v91, v88, v100
	v_lshl_add_u64 v[88:89], v[48:49], 2, v[8:9]
	s_and_b64 vcc, exec, s[0:1]
	global_store_dword v[88:89], v91, off
	s_cbranch_vccnz .LBB84_51
; %bb.50:
	v_lshl_add_u64 v[88:89], v[40:41], 2, v[12:13]
	flat_load_dword v88, v[88:89]
	s_waitcnt vmcnt(0) lgkmcnt(0)
	v_mul_f32_e32 v90, s14, v88
.LBB84_51:
	v_min_f32_e32 v88, v47, v42
	v_min_f32_e32 v89, v104, v43
	v_pk_add_f32 v[84:85], v[88:89], v[84:85]
	v_min_f32_e32 v88, v38, v10
	v_min_f32_e32 v89, v39, v11
	v_pk_add_f32 v[84:85], v[88:89], v[84:85]
	s_and_b64 vcc, exec, s[0:1]
	v_add_f32_e32 v84, v84, v85
	v_add_f32_e32 v88, v84, v90
	v_lshl_add_u64 v[84:85], v[40:41], 2, v[8:9]
	global_store_dword v[84:85], v88, off
	v_mov_b32_e32 v84, 0
	v_mov_b32_e32 v85, 0
	s_cbranch_vccnz .LBB84_53
; %bb.52:
	v_lshl_add_u64 v[88:89], v[36:37], 2, v[12:13]
	flat_load_dword v85, v[88:89]
	s_waitcnt vmcnt(0) lgkmcnt(0)
	v_mul_f32_e32 v85, s14, v85
.LBB84_53:
	v_min_f32_e32 v88, v105, v42
	v_min_f32_e32 v89, v116, v43
	v_pk_add_f32 v[86:87], v[88:89], v[86:87]
	v_min_f32_e32 v88, v34, v10
	v_min_f32_e32 v89, v35, v11
	v_pk_add_f32 v[86:87], v[88:89], v[86:87]
	s_and_b64 vcc, exec, s[0:1]
	v_add_f32_e32 v86, v86, v87
	v_add_f32_e32 v85, v86, v85
	v_lshl_add_u64 v[86:87], v[36:37], 2, v[8:9]
	global_store_dword v[86:87], v85, off
	s_cbranch_vccnz .LBB84_55
; %bb.54:
	v_lshl_add_u64 v[84:85], v[32:33], 2, v[12:13]
	flat_load_dword v84, v[84:85]
	s_waitcnt vmcnt(0) lgkmcnt(0)
	v_mul_f32_e32 v84, s14, v84
.LBB84_55:
	v_min_f32_e32 v86, v114, v42
	v_min_f32_e32 v87, v115, v43
	v_pk_add_f32 v[86:87], v[86:87], v[92:93]
	v_min_f32_e32 v88, v30, v10
	v_min_f32_e32 v89, v31, v11
	v_pk_add_f32 v[86:87], v[88:89], v[86:87]
	s_and_b64 vcc, exec, s[0:1]
	v_add_f32_e32 v85, v86, v87
	v_add_f32_e32 v86, v85, v84
	v_lshl_add_u64 v[84:85], v[32:33], 2, v[8:9]
	global_store_dword v[84:85], v86, off
	v_mov_b32_e32 v84, 0
	v_mov_b32_e32 v85, 0
	s_cbranch_vccnz .LBB84_57
; %bb.56:
	v_lshl_add_u64 v[86:87], v[28:29], 2, v[12:13]
	flat_load_dword v85, v[86:87]
	s_waitcnt vmcnt(0) lgkmcnt(0)
	v_mul_f32_e32 v85, s14, v85
.LBB84_57:
	v_min_f32_e32 v86, v112, v42
	v_min_f32_e32 v87, v113, v43
	v_pk_add_f32 v[86:87], v[86:87], v[94:95]
	v_min_f32_e32 v88, v26, v10
	v_min_f32_e32 v89, v27, v11
	v_pk_add_f32 v[86:87], v[88:89], v[86:87]
	s_and_b64 vcc, exec, s[0:1]
	v_add_f32_e32 v86, v86, v87
	v_add_f32_e32 v85, v86, v85
	v_lshl_add_u64 v[86:87], v[28:29], 2, v[8:9]
	;; [unrolled: 38-line block ×3, first 2 shown]
	global_store_dword v[86:87], v85, off
	s_cbranch_vccnz .LBB84_63
; %bb.62:
	v_lshl_add_u64 v[12:13], v[16:17], 2, v[12:13]
	flat_load_dword v12, v[12:13]
	s_waitcnt vmcnt(0) lgkmcnt(0)
	v_mul_f32_e32 v84, s14, v12
.LBB84_63:
	v_min_f32_e32 v13, v18, v43
	v_min_f32_e32 v12, v19, v42
	v_pk_add_f32 v[12:13], v[12:13], v[76:77]
	v_min_f32_e32 v11, v15, v11
	v_min_f32_e32 v10, v14, v10
	v_pk_add_f32 v[10:11], v[10:11], v[12:13]
	v_lshl_add_u64 v[8:9], v[16:17], 2, v[8:9]
	v_add_f32_e32 v10, v10, v11
	v_add_f32_e32 v10, v10, v84
	v_add_u32_e32 v13, 64, v102
	global_store_dword v[8:9], v10, off
	v_mad_i64_i32 v[8:9], s[4:5], v13, s12, 0
	v_lshl_add_u64 v[8:9], v[8:9], 2, s[8:9]
	s_and_b64 vcc, exec, s[0:1]
	v_mov_b32_e32 v12, 0
	v_mov_b32_e32 v42, 0
	s_cbranch_vccnz .LBB84_65
; %bb.64:
	v_lshl_add_u64 v[10:11], v[48:49], 2, v[8:9]
	flat_load_dword v10, v[10:11]
	s_waitcnt vmcnt(0) lgkmcnt(0)
	v_mul_f32_e32 v42, s14, v10
.LBB84_65:
	v_max_f32_e32 v10, v4, v4
	v_max_f32_e32 v11, v5, v5
	v_min_f32_e32 v4, v44, v10
	v_min_f32_e32 v5, v103, v11
	v_max_f32_e32 v6, v6, v6
	v_max_f32_e32 v7, v7, v7
	v_pk_add_f32 v[4:5], v[4:5], v[72:73]
	v_min_f32_e32 v72, v45, v6
	v_min_f32_e32 v73, v46, v7
	v_pk_add_f32 v[72:73], v[72:73], v[4:5]
	v_mad_i64_i32 v[4:5], s[4:5], v13, s13, 0
	v_lshl_add_u64 v[4:5], v[4:5], 2, s[2:3]
	v_add_f32_e32 v13, v72, v73
	v_add_f32_e32 v13, v13, v42
	v_lshl_add_u64 v[42:43], v[48:49], 2, v[4:5]
	s_and_b64 vcc, exec, s[0:1]
	global_store_dword v[42:43], v13, off
	s_cbranch_vccnz .LBB84_67
; %bb.66:
	v_lshl_add_u64 v[12:13], v[40:41], 2, v[8:9]
	flat_load_dword v12, v[12:13]
	s_waitcnt vmcnt(0) lgkmcnt(0)
	v_mul_f32_e32 v12, s14, v12
.LBB84_67:
	v_min_f32_e32 v42, v47, v10
	v_min_f32_e32 v43, v104, v11
	v_pk_add_f32 v[42:43], v[42:43], v[68:69]
	v_min_f32_e32 v68, v38, v6
	v_min_f32_e32 v69, v39, v7
	v_pk_add_f32 v[42:43], v[68:69], v[42:43]
	s_and_b64 vcc, exec, s[0:1]
	v_add_f32_e32 v13, v42, v43
	v_add_f32_e32 v42, v13, v12
	v_lshl_add_u64 v[12:13], v[40:41], 2, v[4:5]
	global_store_dword v[12:13], v42, off
	v_mov_b32_e32 v12, 0
	v_mov_b32_e32 v13, 0
	s_cbranch_vccnz .LBB84_69
; %bb.68:
	v_lshl_add_u64 v[42:43], v[36:37], 2, v[8:9]
	flat_load_dword v13, v[42:43]
	s_waitcnt vmcnt(0) lgkmcnt(0)
	v_mul_f32_e32 v13, s14, v13
.LBB84_69:
	v_min_f32_e32 v42, v105, v10
	v_min_f32_e32 v43, v116, v11
	v_pk_add_f32 v[42:43], v[42:43], v[70:71]
	v_min_f32_e32 v68, v34, v6
	v_min_f32_e32 v69, v35, v7
	v_pk_add_f32 v[42:43], v[68:69], v[42:43]
	s_and_b64 vcc, exec, s[0:1]
	v_add_f32_e32 v42, v42, v43
	v_add_f32_e32 v13, v42, v13
	v_lshl_add_u64 v[42:43], v[36:37], 2, v[4:5]
	global_store_dword v[42:43], v13, off
	s_cbranch_vccnz .LBB84_71
; %bb.70:
	v_lshl_add_u64 v[12:13], v[32:33], 2, v[8:9]
	flat_load_dword v12, v[12:13]
	s_waitcnt vmcnt(0) lgkmcnt(0)
	v_mul_f32_e32 v12, s14, v12
.LBB84_71:
	v_min_f32_e32 v42, v114, v10
	v_min_f32_e32 v43, v115, v11
	v_pk_add_f32 v[42:43], v[42:43], v[74:75]
	v_min_f32_e32 v68, v30, v6
	v_min_f32_e32 v69, v31, v7
	v_pk_add_f32 v[42:43], v[68:69], v[42:43]
	s_and_b64 vcc, exec, s[0:1]
	v_add_f32_e32 v13, v42, v43
	v_add_f32_e32 v42, v13, v12
	v_lshl_add_u64 v[12:13], v[32:33], 2, v[4:5]
	global_store_dword v[12:13], v42, off
	v_mov_b32_e32 v12, 0
	v_mov_b32_e32 v13, 0
	s_cbranch_vccnz .LBB84_73
; %bb.72:
	v_lshl_add_u64 v[42:43], v[28:29], 2, v[8:9]
	flat_load_dword v13, v[42:43]
	s_waitcnt vmcnt(0) lgkmcnt(0)
	v_mul_f32_e32 v13, s14, v13
.LBB84_73:
	v_min_f32_e32 v42, v112, v10
	v_min_f32_e32 v43, v113, v11
	v_pk_add_f32 v[42:43], v[42:43], v[78:79]
	v_min_f32_e32 v68, v26, v6
	v_min_f32_e32 v69, v27, v7
	v_pk_add_f32 v[42:43], v[68:69], v[42:43]
	s_and_b64 vcc, exec, s[0:1]
	v_add_f32_e32 v42, v42, v43
	v_add_f32_e32 v13, v42, v13
	v_lshl_add_u64 v[42:43], v[28:29], 2, v[4:5]
	;; [unrolled: 38-line block ×3, first 2 shown]
	global_store_dword v[42:43], v13, off
	s_cbranch_vccnz .LBB84_79
; %bb.78:
	v_lshl_add_u64 v[8:9], v[16:17], 2, v[8:9]
	flat_load_dword v8, v[8:9]
	s_waitcnt vmcnt(0) lgkmcnt(0)
	v_mul_f32_e32 v12, s14, v8
.LBB84_79:
	v_min_f32_e32 v9, v18, v11
	v_min_f32_e32 v8, v19, v10
	v_pk_add_f32 v[8:9], v[8:9], v[62:63]
	v_min_f32_e32 v7, v15, v7
	v_min_f32_e32 v6, v14, v6
	v_pk_add_f32 v[6:7], v[6:7], v[8:9]
	v_lshl_add_u64 v[4:5], v[16:17], 2, v[4:5]
	v_add_f32_e32 v6, v6, v7
	v_add_f32_e32 v6, v6, v12
	v_add_u32_e32 v9, 0x60, v102
	global_store_dword v[4:5], v6, off
	v_mad_i64_i32 v[4:5], s[4:5], v9, s12, 0
	v_lshl_add_u64 v[4:5], v[4:5], 2, s[8:9]
	s_and_b64 vcc, exec, s[0:1]
	v_mov_b32_e32 v8, 0
	v_mov_b32_e32 v10, 0
	s_cbranch_vccnz .LBB84_81
; %bb.80:
	v_lshl_add_u64 v[6:7], v[48:49], 2, v[4:5]
	flat_load_dword v6, v[6:7]
	s_waitcnt vmcnt(0) lgkmcnt(0)
	v_mul_f32_e32 v10, s14, v6
.LBB84_81:
	v_max_f32_e32 v6, v1, v1
	v_max_f32_e32 v7, v0, v0
	v_min_f32_e32 v1, v103, v6
	v_min_f32_e32 v0, v44, v7
	v_max_f32_e32 v3, v3, v3
	v_max_f32_e32 v2, v2, v2
	v_pk_add_f32 v[0:1], v[0:1], v[58:59]
	v_min_f32_e32 v13, v46, v3
	v_min_f32_e32 v12, v45, v2
	v_pk_add_f32 v[12:13], v[12:13], v[0:1]
	v_mad_i64_i32 v[0:1], s[4:5], v9, s13, 0
	v_lshl_add_u64 v[0:1], v[0:1], 2, s[2:3]
	v_add_f32_e32 v9, v12, v13
	v_add_f32_e32 v9, v9, v10
	v_lshl_add_u64 v[10:11], v[48:49], 2, v[0:1]
	s_and_b64 vcc, exec, s[0:1]
	global_store_dword v[10:11], v9, off
	s_cbranch_vccnz .LBB84_83
; %bb.82:
	v_lshl_add_u64 v[8:9], v[40:41], 2, v[4:5]
	flat_load_dword v8, v[8:9]
	s_waitcnt vmcnt(0) lgkmcnt(0)
	v_mul_f32_e32 v8, s14, v8
.LBB84_83:
	v_min_f32_e32 v11, v104, v6
	v_min_f32_e32 v10, v47, v7
	v_pk_add_f32 v[10:11], v[10:11], v[52:53]
	v_min_f32_e32 v13, v39, v3
	v_min_f32_e32 v12, v38, v2
	v_pk_add_f32 v[10:11], v[12:13], v[10:11]
	s_and_b64 vcc, exec, s[0:1]
	v_add_f32_e32 v9, v10, v11
	v_add_f32_e32 v10, v9, v8
	v_lshl_add_u64 v[8:9], v[40:41], 2, v[0:1]
	global_store_dword v[8:9], v10, off
	v_mov_b32_e32 v8, 0
	v_mov_b32_e32 v9, 0
	s_cbranch_vccnz .LBB84_85
; %bb.84:
	v_lshl_add_u64 v[10:11], v[36:37], 2, v[4:5]
	flat_load_dword v9, v[10:11]
	s_waitcnt vmcnt(0) lgkmcnt(0)
	v_mul_f32_e32 v9, s14, v9
.LBB84_85:
	v_min_f32_e32 v11, v116, v6
	v_min_f32_e32 v10, v105, v7
	v_pk_add_f32 v[10:11], v[10:11], v[54:55]
	v_min_f32_e32 v13, v35, v3
	v_min_f32_e32 v12, v34, v2
	v_pk_add_f32 v[10:11], v[12:13], v[10:11]
	s_and_b64 vcc, exec, s[0:1]
	v_add_f32_e32 v10, v10, v11
	v_add_f32_e32 v9, v10, v9
	v_lshl_add_u64 v[10:11], v[36:37], 2, v[0:1]
	global_store_dword v[10:11], v9, off
	s_cbranch_vccnz .LBB84_87
; %bb.86:
	v_lshl_add_u64 v[8:9], v[32:33], 2, v[4:5]
	flat_load_dword v8, v[8:9]
	s_waitcnt vmcnt(0) lgkmcnt(0)
	v_mul_f32_e32 v8, s14, v8
.LBB84_87:
	v_min_f32_e32 v11, v115, v6
	v_min_f32_e32 v10, v114, v7
	v_pk_add_f32 v[10:11], v[10:11], v[56:57]
	v_min_f32_e32 v13, v31, v3
	v_min_f32_e32 v12, v30, v2
	v_pk_add_f32 v[10:11], v[12:13], v[10:11]
	s_and_b64 vcc, exec, s[0:1]
	v_add_f32_e32 v9, v10, v11
	v_add_f32_e32 v10, v9, v8
	v_lshl_add_u64 v[8:9], v[32:33], 2, v[0:1]
	global_store_dword v[8:9], v10, off
	v_mov_b32_e32 v8, 0
	v_mov_b32_e32 v9, 0
	s_cbranch_vccnz .LBB84_89
; %bb.88:
	v_lshl_add_u64 v[10:11], v[28:29], 2, v[4:5]
	flat_load_dword v9, v[10:11]
	s_waitcnt vmcnt(0) lgkmcnt(0)
	v_mul_f32_e32 v9, s14, v9
.LBB84_89:
	v_min_f32_e32 v11, v113, v6
	v_min_f32_e32 v10, v112, v7
	v_pk_add_f32 v[10:11], v[10:11], v[60:61]
	v_min_f32_e32 v13, v27, v3
	v_min_f32_e32 v12, v26, v2
	v_pk_add_f32 v[10:11], v[12:13], v[10:11]
	s_and_b64 vcc, exec, s[0:1]
	v_add_f32_e32 v10, v10, v11
	v_add_f32_e32 v9, v10, v9
	v_lshl_add_u64 v[10:11], v[28:29], 2, v[0:1]
	global_store_dword v[10:11], v9, off
	s_cbranch_vccnz .LBB84_91
; %bb.90:
	v_lshl_add_u64 v[8:9], v[24:25], 2, v[4:5]
	flat_load_dword v8, v[8:9]
	s_waitcnt vmcnt(0) lgkmcnt(0)
	v_mul_f32_e32 v8, s14, v8
.LBB84_91:
	v_min_f32_e32 v11, v111, v6
	v_min_f32_e32 v10, v110, v7
	v_pk_add_f32 v[10:11], v[10:11], v[64:65]
	v_min_f32_e32 v13, v23, v3
	v_min_f32_e32 v12, v22, v2
	v_pk_add_f32 v[10:11], v[12:13], v[10:11]
	v_min_f32_e32 v13, v107, v3
	v_add_f32_e32 v9, v10, v11
	v_min_f32_e32 v11, v109, v6
	v_min_f32_e32 v10, v108, v7
	v_pk_add_f32 v[10:11], v[10:11], v[66:67]
	v_min_f32_e32 v12, v106, v2
	v_pk_add_f32 v[10:11], v[12:13], v[10:11]
	v_add_f32_e32 v12, v9, v8
	v_lshl_add_u64 v[8:9], v[24:25], 2, v[0:1]
	global_store_dword v[8:9], v12, off
	v_add_f32_e32 v8, v10, v11
	s_mov_b64 vcc, s[6:7]
	s_cbranch_vccz .LBB84_94
; %bb.92:
	v_add_f32_e32 v9, 0, v8
	v_lshl_add_u64 v[10:11], v[20:21], 2, v[0:1]
	s_mov_b32 s2, 0
	global_store_dword v[10:11], v9, off
	s_cbranch_execz .LBB84_95
; %bb.93:
	v_mov_b32_e32 v4, s2
	s_branch .LBB84_96
.LBB84_94:
                                        ; implicit-def: $sgpr2
.LBB84_95:
	v_lshlrev_b64 v[10:11], 2, v[20:21]
	v_lshl_add_u64 v[12:13], v[4:5], 0, v[10:11]
	flat_load_dword v9, v[12:13]
	v_lshl_add_u64 v[10:11], v[0:1], 0, v[10:11]
	v_lshl_add_u64 v[4:5], v[16:17], 2, v[4:5]
	s_waitcnt vmcnt(0) lgkmcnt(0)
	v_fmac_f32_e32 v8, s14, v9
	global_store_dword v[10:11], v8, off
	flat_load_dword v4, v[4:5]
	s_waitcnt vmcnt(0) lgkmcnt(0)
	v_mul_f32_e32 v4, s14, v4
.LBB84_96:
	v_min_f32_e32 v9, v18, v6
	v_min_f32_e32 v8, v19, v7
	v_min_f32_e32 v3, v15, v3
	v_min_f32_e32 v2, v14, v2
	v_pk_add_f32 v[6:7], v[8:9], v[50:51]
	v_lshl_add_u64 v[0:1], v[16:17], 2, v[0:1]
	v_pk_add_f32 v[2:3], v[2:3], v[6:7]
	s_nop 0
	v_add_f32_e32 v2, v2, v3
	v_add_f32_e32 v2, v2, v4
	global_store_dword v[0:1], v2, off
	s_endpgm
	.section	.rodata,"a",@progbits
	.p2align	6, 0x0
	.amdhsa_kernel _ZN12_GLOBAL__N_120geam_min_plus_kernelIf15HIP_vector_typeIfLj2EES2_Li8ELi32ELi64ELi128ELi4ELi4ELi64ELi4ELi64ELc84ELc78ELb0ELb0ELb0EPKfS3_fEEviiiT16_PT17_ilS7_ilS5_S7_ilPT18_ili26rocblas_geam_ex_operation_
		.amdhsa_group_segment_fixed_size 6144
		.amdhsa_private_segment_fixed_size 0
		.amdhsa_kernarg_size 136
		.amdhsa_user_sgpr_count 2
		.amdhsa_user_sgpr_dispatch_ptr 0
		.amdhsa_user_sgpr_queue_ptr 0
		.amdhsa_user_sgpr_kernarg_segment_ptr 1
		.amdhsa_user_sgpr_dispatch_id 0
		.amdhsa_user_sgpr_kernarg_preload_length 0
		.amdhsa_user_sgpr_kernarg_preload_offset 0
		.amdhsa_user_sgpr_private_segment_size 0
		.amdhsa_uses_dynamic_stack 0
		.amdhsa_enable_private_segment 0
		.amdhsa_system_sgpr_workgroup_id_x 1
		.amdhsa_system_sgpr_workgroup_id_y 0
		.amdhsa_system_sgpr_workgroup_id_z 1
		.amdhsa_system_sgpr_workgroup_info 0
		.amdhsa_system_vgpr_workitem_id 1
		.amdhsa_next_free_vgpr 223
		.amdhsa_next_free_sgpr 26
		.amdhsa_accum_offset 224
		.amdhsa_reserve_vcc 1
		.amdhsa_float_round_mode_32 0
		.amdhsa_float_round_mode_16_64 0
		.amdhsa_float_denorm_mode_32 3
		.amdhsa_float_denorm_mode_16_64 3
		.amdhsa_dx10_clamp 1
		.amdhsa_ieee_mode 1
		.amdhsa_fp16_overflow 0
		.amdhsa_tg_split 0
		.amdhsa_exception_fp_ieee_invalid_op 0
		.amdhsa_exception_fp_denorm_src 0
		.amdhsa_exception_fp_ieee_div_zero 0
		.amdhsa_exception_fp_ieee_overflow 0
		.amdhsa_exception_fp_ieee_underflow 0
		.amdhsa_exception_fp_ieee_inexact 0
		.amdhsa_exception_int_div_zero 0
	.end_amdhsa_kernel
	.section	.text._ZN12_GLOBAL__N_120geam_min_plus_kernelIf15HIP_vector_typeIfLj2EES2_Li8ELi32ELi64ELi128ELi4ELi4ELi64ELi4ELi64ELc84ELc78ELb0ELb0ELb0EPKfS3_fEEviiiT16_PT17_ilS7_ilS5_S7_ilPT18_ili26rocblas_geam_ex_operation_,"axG",@progbits,_ZN12_GLOBAL__N_120geam_min_plus_kernelIf15HIP_vector_typeIfLj2EES2_Li8ELi32ELi64ELi128ELi4ELi4ELi64ELi4ELi64ELc84ELc78ELb0ELb0ELb0EPKfS3_fEEviiiT16_PT17_ilS7_ilS5_S7_ilPT18_ili26rocblas_geam_ex_operation_,comdat
.Lfunc_end84:
	.size	_ZN12_GLOBAL__N_120geam_min_plus_kernelIf15HIP_vector_typeIfLj2EES2_Li8ELi32ELi64ELi128ELi4ELi4ELi64ELi4ELi64ELc84ELc78ELb0ELb0ELb0EPKfS3_fEEviiiT16_PT17_ilS7_ilS5_S7_ilPT18_ili26rocblas_geam_ex_operation_, .Lfunc_end84-_ZN12_GLOBAL__N_120geam_min_plus_kernelIf15HIP_vector_typeIfLj2EES2_Li8ELi32ELi64ELi128ELi4ELi4ELi64ELi4ELi64ELc84ELc78ELb0ELb0ELb0EPKfS3_fEEviiiT16_PT17_ilS7_ilS5_S7_ilPT18_ili26rocblas_geam_ex_operation_
                                        ; -- End function
	.section	.AMDGPU.csdata,"",@progbits
; Kernel info:
; codeLenInByte = 8848
; NumSgprs: 32
; NumVgprs: 223
; NumAgprs: 0
; TotalNumVgprs: 223
; ScratchSize: 0
; MemoryBound: 0
; FloatMode: 240
; IeeeMode: 1
; LDSByteSize: 6144 bytes/workgroup (compile time only)
; SGPRBlocks: 3
; VGPRBlocks: 27
; NumSGPRsForWavesPerEU: 32
; NumVGPRsForWavesPerEU: 223
; AccumOffset: 224
; Occupancy: 2
; WaveLimiterHint : 0
; COMPUTE_PGM_RSRC2:SCRATCH_EN: 0
; COMPUTE_PGM_RSRC2:USER_SGPR: 2
; COMPUTE_PGM_RSRC2:TRAP_HANDLER: 0
; COMPUTE_PGM_RSRC2:TGID_X_EN: 1
; COMPUTE_PGM_RSRC2:TGID_Y_EN: 0
; COMPUTE_PGM_RSRC2:TGID_Z_EN: 1
; COMPUTE_PGM_RSRC2:TIDIG_COMP_CNT: 1
; COMPUTE_PGM_RSRC3_GFX90A:ACCUM_OFFSET: 55
; COMPUTE_PGM_RSRC3_GFX90A:TG_SPLIT: 0
	.section	.text._ZN12_GLOBAL__N_120geam_min_plus_kernelIf15HIP_vector_typeIfLj2EES2_Li8ELi32ELi64ELi128ELi4ELi4ELi64ELi4ELi64ELc84ELc78ELb1ELb0ELb0EfKffEEviiiT16_PT17_ilS6_ilS4_S6_ilPT18_ili26rocblas_geam_ex_operation_,"axG",@progbits,_ZN12_GLOBAL__N_120geam_min_plus_kernelIf15HIP_vector_typeIfLj2EES2_Li8ELi32ELi64ELi128ELi4ELi4ELi64ELi4ELi64ELc84ELc78ELb1ELb0ELb0EfKffEEviiiT16_PT17_ilS6_ilS4_S6_ilPT18_ili26rocblas_geam_ex_operation_,comdat
	.globl	_ZN12_GLOBAL__N_120geam_min_plus_kernelIf15HIP_vector_typeIfLj2EES2_Li8ELi32ELi64ELi128ELi4ELi4ELi64ELi4ELi64ELc84ELc78ELb1ELb0ELb0EfKffEEviiiT16_PT17_ilS6_ilS4_S6_ilPT18_ili26rocblas_geam_ex_operation_ ; -- Begin function _ZN12_GLOBAL__N_120geam_min_plus_kernelIf15HIP_vector_typeIfLj2EES2_Li8ELi32ELi64ELi128ELi4ELi4ELi64ELi4ELi64ELc84ELc78ELb1ELb0ELb0EfKffEEviiiT16_PT17_ilS6_ilS4_S6_ilPT18_ili26rocblas_geam_ex_operation_
	.p2align	8
	.type	_ZN12_GLOBAL__N_120geam_min_plus_kernelIf15HIP_vector_typeIfLj2EES2_Li8ELi32ELi64ELi128ELi4ELi4ELi64ELi4ELi64ELc84ELc78ELb1ELb0ELb0EfKffEEviiiT16_PT17_ilS6_ilS4_S6_ilPT18_ili26rocblas_geam_ex_operation_,@function
_ZN12_GLOBAL__N_120geam_min_plus_kernelIf15HIP_vector_typeIfLj2EES2_Li8ELi32ELi64ELi128ELi4ELi4ELi64ELi4ELi64ELc84ELc78ELb1ELb0ELb0EfKffEEviiiT16_PT17_ilS6_ilS4_S6_ilPT18_ili26rocblas_geam_ex_operation_: ; @_ZN12_GLOBAL__N_120geam_min_plus_kernelIf15HIP_vector_typeIfLj2EES2_Li8ELi32ELi64ELi128ELi4ELi4ELi64ELi4ELi64ELc84ELc78ELb1ELb0ELb0EfKffEEviiiT16_PT17_ilS6_ilS4_S6_ilPT18_ili26rocblas_geam_ex_operation_
; %bb.0:
	s_load_dwordx2 s[14:15], s[0:1], 0x8
	s_load_dwordx4 s[4:7], s[0:1], 0x20
	s_waitcnt lgkmcnt(0)
	v_cmp_eq_f32_e64 s[8:9], s15, 0
	s_and_b64 vcc, exec, s[8:9]
	s_cbranch_vccnz .LBB85_3
; %bb.1:
	s_load_dwordx2 s[10:11], s[0:1], 0x10
	s_mul_i32 s5, s3, s5
	s_mul_hi_u32 s12, s3, s4
	s_add_i32 s5, s12, s5
	s_mul_i32 s4, s3, s4
	s_lshl_b64 s[4:5], s[4:5], 2
	s_waitcnt lgkmcnt(0)
	s_add_u32 s18, s10, s4
	s_addc_u32 s19, s11, s5
	s_andn2_b64 vcc, exec, s[8:9]
	s_cbranch_vccnz .LBB85_4
.LBB85_2:
	s_mov_b32 s13, 0
	s_mov_b64 s[16:17], 0
	s_cbranch_execz .LBB85_5
	s_branch .LBB85_6
.LBB85_3:
	s_mov_b64 s[18:19], 0
	s_andn2_b64 vcc, exec, s[8:9]
	s_cbranch_vccz .LBB85_2
.LBB85_4:
                                        ; implicit-def: $sgpr16_sgpr17
                                        ; implicit-def: $sgpr12_sgpr13
.LBB85_5:
	s_load_dwordx2 s[4:5], s[0:1], 0x38
	s_mov_b32 s13, 0
	s_waitcnt lgkmcnt(0)
	s_mul_i32 s5, s3, s5
	s_mul_hi_u32 s8, s3, s4
	s_add_i32 s5, s8, s5
	s_mul_i32 s4, s3, s4
	s_lshl_b64 s[4:5], s[4:5], 2
	s_add_u32 s16, s6, s4
	s_addc_u32 s17, s7, s5
.LBB85_6:
	s_load_dword s12, s[0:1], 0x40
	s_load_dwordx4 s[8:11], s[0:1], 0x58
	s_waitcnt lgkmcnt(0)
	v_cmp_eq_f32_e64 s[4:5], s12, 0
	s_and_b64 s[4:5], exec, s[4:5]
	s_mov_b64 vcc, s[4:5]
	s_cbranch_vccnz .LBB85_8
; %bb.7:
	s_load_dwordx2 s[6:7], s[0:1], 0x48
	s_mul_i32 s9, s3, s9
	s_mul_hi_u32 s15, s3, s8
	s_add_i32 s9, s15, s9
	s_mul_i32 s15, s13, s8
	s_add_i32 s9, s9, s15
	s_mul_i32 s8, s3, s8
	s_lshl_b64 s[8:9], s[8:9], 2
	s_waitcnt lgkmcnt(0)
	s_add_u32 s6, s6, s8
	s_addc_u32 s7, s7, s9
	s_branch .LBB85_9
.LBB85_8:
	s_mov_b64 s[6:7], 0
.LBB85_9:
	s_load_dword s8, s[0:1], 0x0
	s_load_dword s9, s[0:1], 0x18
	;; [unrolled: 1-line block ×3, first 2 shown]
	v_and_b32_e32 v140, 0x3ff, v0
	v_bfe_u32 v141, v0, 10, 10
	s_waitcnt lgkmcnt(0)
	s_add_i32 s8, s8, -1
	s_ashr_i32 s15, s8, 31
	s_lshr_b32 s15, s15, 26
	s_add_i32 s8, s8, s15
	s_ashr_i32 s8, s8, 6
	s_add_i32 s15, s8, 1
	v_cvt_f32_u32_e32 v1, s15
	s_not_b32 s8, s8
	v_lshl_add_u32 v0, v141, 3, v140
	v_lshrrev_b32_e32 v6, 2, v0
	v_rcp_iflag_f32_e32 v1, v1
	v_and_b32_e32 v2, 3, v140
	v_lshlrev_b32_e32 v40, 2, v2
	v_mov_b32_e32 v41, 0
	v_mul_f32_e32 v1, 0x4f7ffffe, v1
	v_cvt_u32_f32_e32 v1, v1
	v_lshl_add_u64 v[2:3], s[16:17], 0, v[40:41]
	v_lshlrev_b32_e32 v143, 4, v141
	v_lshl_or_b32 v144, v6, 4, v40
	v_readfirstlane_b32 s21, v1
	s_mul_i32 s8, s8, s21
	s_mul_hi_u32 s8, s21, s8
	s_add_i32 s21, s21, s8
	s_mul_hi_u32 s8, s2, s21
	s_mul_i32 s21, s8, s15
	s_sub_i32 s21, s2, s21
	s_add_i32 s22, s8, 1
	s_sub_i32 s23, s21, s15
	s_cmp_ge_u32 s21, s15
	s_cselect_b32 s8, s22, s8
	s_cselect_b32 s21, s23, s21
	s_add_i32 s22, s8, 1
	s_cmp_ge_u32 s21, s15
	s_cselect_b32 s8, s22, s8
	s_mul_i32 s21, s8, s15
	s_sub_i32 s2, s2, s21
	s_lshl_b32 s15, s8, 7
	s_lshl_b32 s2, s2, 6
	v_add_u32_e32 v0, s2, v6
	v_add_u32_e32 v7, s15, v6
	v_mad_i64_i32 v[0:1], s[8:9], v0, s9, 0
	v_mad_i64_i32 v[28:29], s[8:9], v7, s20, 0
	v_add_u32_e32 v7, 64, v7
	v_mad_i64_i32 v[30:31], s[8:9], v7, s20, 0
	v_lshl_add_u64 v[42:43], v[0:1], 2, s[18:19]
	v_lshl_add_u64 v[4:5], v[28:29], 2, v[2:3]
	;; [unrolled: 1-line block ×4, first 2 shown]
	flat_load_dword v8, v[4:5]
	flat_load_dword v7, v[2:3]
	;; [unrolled: 1-line block ×3, first 2 shown]
	flat_load_dword v32, v[2:3] offset:16
	flat_load_dword v34, v[4:5] offset:16
	;; [unrolled: 1-line block ×3, first 2 shown]
	v_lshlrev_b32_e32 v142, 4, v140
	s_cmp_lt_i32 s14, 9
	s_waitcnt vmcnt(0) lgkmcnt(0)
	ds_write2st64_b32 v144, v8, v7 offset1:4
	ds_write_b32 v144, v9 offset:4096
	s_waitcnt lgkmcnt(0)
	s_barrier
	ds_read_b128 v[4:7], v143
	ds_read_b128 v[8:11], v143 offset:512
	ds_read_b128 v[0:3], v143 offset:1536
	;; [unrolled: 1-line block ×11, first 2 shown]
	s_waitcnt lgkmcnt(11)
	v_max_f32_e32 v35, v5, v5
	s_waitcnt lgkmcnt(3)
	v_max_f32_e32 v62, v45, v45
	v_max_f32_e32 v63, v4, v4
	;; [unrolled: 1-line block ×13, first 2 shown]
	s_waitcnt lgkmcnt(1)
	v_max_f32_e32 v100, v54, v54
	v_max_f32_e32 v101, v55, v55
	s_waitcnt lgkmcnt(0)
	v_max_f32_e32 v54, v56, v56
	v_max_f32_e32 v55, v57, v57
	;; [unrolled: 1-line block ×6, first 2 shown]
	v_min_f32_e32 v49, v62, v35
	v_min_f32_e32 v48, v64, v63
	v_max_f32_e32 v120, v11, v11
	v_max_f32_e32 v121, v10, v10
	;; [unrolled: 1-line block ×11, first 2 shown]
	v_min_f32_e32 v74, v54, v63
	v_min_f32_e32 v75, v55, v35
	;; [unrolled: 1-line block ×10, first 2 shown]
	v_pk_add_f32 v[48:49], v[48:49], 0 op_sel_hi:[1,0]
	v_min_f32_e32 v55, v118, v116
	v_min_f32_e32 v54, v119, v117
	v_max_f32_e32 v6, v16, v16
	v_max_f32_e32 v122, v15, v15
	;; [unrolled: 1-line block ×13, first 2 shown]
	v_min_f32_e32 v16, v24, v63
	v_min_f32_e32 v17, v22, v35
	;; [unrolled: 1-line block ×26, first 2 shown]
	v_pk_add_f32 v[86:87], v[54:55], v[48:49]
	v_pk_add_f32 v[48:49], v[50:51], 0 op_sel_hi:[1,0]
	v_min_f32_e32 v51, v118, v120
	v_min_f32_e32 v50, v119, v121
	v_max_f32_e32 v125, v2, v2
	v_min_f32_e32 v0, v6, v63
	v_min_f32_e32 v1, v7, v35
	;; [unrolled: 1-line block ×11, first 2 shown]
	v_pk_add_f32 v[70:71], v[50:51], v[48:49]
	v_pk_add_f32 v[48:49], v[52:53], 0 op_sel_hi:[1,0]
	v_min_f32_e32 v51, v118, v122
	v_min_f32_e32 v50, v119, v123
	v_max_f32_e32 v124, v3, v3
	v_min_f32_e32 v3, v7, v65
	v_pk_add_f32 v[54:55], v[50:51], v[48:49]
	v_pk_add_f32 v[0:1], v[0:1], 0 op_sel_hi:[1,0]
	v_min_f32_e32 v48, v72, v117
	v_min_f32_e32 v49, v73, v116
	v_min_f32_e32 v5, v7, v67
	v_pk_add_f32 v[98:99], v[48:49], v[0:1]
	v_pk_add_f32 v[0:1], v[2:3], 0 op_sel_hi:[1,0]
	v_min_f32_e32 v2, v72, v121
	v_min_f32_e32 v3, v73, v120
	;; [unrolled: 5-line block ×3, first 2 shown]
	v_min_f32_e32 v9, v15, v35
	v_min_f32_e32 v11, v15, v65
	;; [unrolled: 1-line block ×7, first 2 shown]
	v_pk_add_f32 v[68:69], v[2:3], v[0:1]
	v_min_f32_e32 v1, v73, v124
	v_min_f32_e32 v0, v72, v125
	v_pk_add_f32 v[2:3], v[6:7], 0 op_sel_hi:[1,0]
	v_min_f32_e32 v106, v58, v63
	v_min_f32_e32 v107, v59, v35
	;; [unrolled: 1-line block ×5, first 2 shown]
	v_pk_add_f32 v[58:59], v[0:1], v[2:3]
	v_pk_add_f32 v[0:1], v[8:9], 0 op_sel_hi:[1,0]
	v_min_f32_e32 v2, v76, v117
	v_min_f32_e32 v3, v77, v116
	v_pk_add_f32 v[94:95], v[2:3], v[0:1]
	v_pk_add_f32 v[0:1], v[10:11], 0 op_sel_hi:[1,0]
	v_min_f32_e32 v2, v76, v121
	v_min_f32_e32 v3, v77, v120
	;; [unrolled: 4-line block ×3, first 2 shown]
	v_pk_add_f32 v[64:65], v[2:3], v[0:1]
	v_min_f32_e32 v1, v77, v124
	v_min_f32_e32 v0, v76, v125
	v_pk_add_f32 v[2:3], v[14:15], 0 op_sel_hi:[1,0]
	ds_write2st64_b32 v144, v34, v32 offset0:8 offset1:12
	ds_write_b32 v144, v33 offset:5120
	v_pk_add_f32 v[50:51], v[0:1], v[2:3]
	v_pk_add_f32 v[0:1], v[16:17], 0 op_sel_hi:[1,0]
	v_min_f32_e32 v2, v80, v117
	v_min_f32_e32 v3, v81, v116
	v_pk_add_f32 v[90:91], v[2:3], v[0:1]
	v_pk_add_f32 v[0:1], v[18:19], 0 op_sel_hi:[1,0]
	v_min_f32_e32 v2, v80, v121
	v_min_f32_e32 v3, v81, v120
	;; [unrolled: 4-line block ×3, first 2 shown]
	v_pk_add_f32 v[62:63], v[2:3], v[0:1]
	v_min_f32_e32 v1, v81, v124
	v_min_f32_e32 v0, v80, v125
	v_pk_add_f32 v[2:3], v[22:23], 0 op_sel_hi:[1,0]
	s_waitcnt lgkmcnt(0)
	v_pk_add_f32 v[48:49], v[0:1], v[2:3]
	v_pk_add_f32 v[0:1], v[24:25], 0 op_sel_hi:[1,0]
	v_min_f32_e32 v2, v84, v117
	v_min_f32_e32 v3, v85, v116
	v_pk_add_f32 v[92:93], v[2:3], v[0:1]
	v_pk_add_f32 v[0:1], v[26:27], 0 op_sel_hi:[1,0]
	v_min_f32_e32 v2, v84, v121
	v_min_f32_e32 v3, v85, v120
	;; [unrolled: 4-line block ×3, first 2 shown]
	v_pk_add_f32 v[66:67], v[2:3], v[0:1]
	v_min_f32_e32 v1, v85, v124
	v_min_f32_e32 v0, v84, v125
	v_pk_add_f32 v[2:3], v[38:39], 0 op_sel_hi:[1,0]
	s_barrier
	v_pk_add_f32 v[52:53], v[0:1], v[2:3]
	v_pk_add_f32 v[0:1], v[44:45], 0 op_sel_hi:[1,0]
	v_min_f32_e32 v2, v100, v117
	v_min_f32_e32 v3, v101, v116
	v_pk_add_f32 v[96:97], v[2:3], v[0:1]
	v_pk_add_f32 v[0:1], v[46:47], 0 op_sel_hi:[1,0]
	v_min_f32_e32 v2, v100, v121
	v_min_f32_e32 v3, v101, v120
	;; [unrolled: 4-line block ×3, first 2 shown]
	v_pk_add_f32 v[72:73], v[2:3], v[0:1]
	v_min_f32_e32 v1, v101, v124
	v_min_f32_e32 v0, v100, v125
	v_pk_add_f32 v[2:3], v[60:61], 0 op_sel_hi:[1,0]
	s_nop 0
	v_pk_add_f32 v[56:57], v[0:1], v[2:3]
	v_pk_add_f32 v[0:1], v[74:75], 0 op_sel_hi:[1,0]
	v_min_f32_e32 v2, v126, v117
	v_min_f32_e32 v3, v127, v116
	v_pk_add_f32 v[100:101], v[2:3], v[0:1]
	v_pk_add_f32 v[0:1], v[88:89], 0 op_sel_hi:[1,0]
	v_min_f32_e32 v2, v126, v121
	v_min_f32_e32 v3, v127, v120
	;; [unrolled: 4-line block ×3, first 2 shown]
	v_pk_add_f32 v[74:75], v[2:3], v[0:1]
	v_min_f32_e32 v1, v127, v124
	v_min_f32_e32 v0, v126, v125
	v_pk_add_f32 v[2:3], v[104:105], 0 op_sel_hi:[1,0]
	s_nop 0
	v_pk_add_f32 v[60:61], v[0:1], v[2:3]
	v_min_f32_e32 v0, v128, v117
	v_min_f32_e32 v1, v129, v116
	v_pk_add_f32 v[2:3], v[106:107], 0 op_sel_hi:[1,0]
	s_nop 0
	;; [unrolled: 5-line block ×6, first 2 shown]
	v_pk_add_f32 v[102:103], v[0:1], v[2:3]
	s_cbranch_scc1 .LBB85_12
; %bb.10:
	v_mov_b32_e32 v0, 0x1400
	v_lshl_add_u32 v149, v140, 4, v0
	v_mov_b32_e32 v0, 0x800
	v_add_u32_e32 v145, 0x1000, v144
	v_add_u32_e32 v146, 0x1000, v142
	;; [unrolled: 1-line block ×4, first 2 shown]
	s_add_i32 s8, s14, -8
	v_lshl_add_u32 v150, v141, 4, v0
	v_lshl_add_u64 v[44:45], v[30:31], 2, s[16:17]
	v_lshl_add_u64 v[46:47], v[28:29], 2, s[16:17]
	s_mov_b32 s9, 0
.LBB85_11:                              ; =>This Inner Loop Header: Depth=1
	v_lshl_add_u64 v[112:113], v[42:43], 0, v[40:41]
	flat_load_dword v153, v[112:113] offset:32
	v_lshl_add_u64 v[110:111], v[46:47], 0, v[40:41]
	v_lshl_add_u64 v[114:115], v[44:45], 0, v[40:41]
	flat_load_dword v151, v[110:111] offset:32
	flat_load_dword v152, v[114:115] offset:32
	ds_read_b128 v[10:13], v149 offset:896
	ds_read_b128 v[0:3], v150 offset:1536
	ds_read_b128 v[16:19], v150
	ds_read_b128 v[20:23], v150 offset:512
	ds_read_b128 v[24:27], v150 offset:1024
	ds_read_b128 v[28:31], v149
	ds_read_b128 v[32:35], v149 offset:128
	s_waitcnt lgkmcnt(0)
	v_max_f32_e32 v154, v17, v17
	v_max_f32_e32 v155, v11, v11
	;; [unrolled: 1-line block ×4, first 2 shown]
	v_min_f32_e32 v5, v155, v154
	v_min_f32_e32 v4, v157, v156
	ds_read_b128 v[8:11], v149 offset:512
	v_max_f32_e32 v21, v21, v21
	v_max_f32_e32 v20, v20, v20
	v_pk_add_f32 v[86:87], v[4:5], v[86:87]
	v_min_f32_e32 v5, v155, v21
	v_min_f32_e32 v4, v157, v20
	v_max_f32_e32 v158, v25, v25
	v_max_f32_e32 v159, v24, v24
	v_pk_add_f32 v[118:119], v[4:5], v[70:71]
	v_min_f32_e32 v5, v155, v158
	v_min_f32_e32 v4, v157, v159
	;; [unrolled: 5-line block ×3, first 2 shown]
	v_pk_add_f32 v[98:99], v[4:5], v[98:99]
	v_min_f32_e32 v4, v6, v20
	v_min_f32_e32 v5, v7, v21
	v_pk_add_f32 v[122:123], v[4:5], v[82:83]
	v_min_f32_e32 v4, v6, v159
	v_min_f32_e32 v5, v7, v158
	v_max_f32_e32 v160, v1, v1
	v_max_f32_e32 v161, v0, v0
	ds_read_b128 v[36:39], v149 offset:256
	ds_read_b128 v[14:17], v149 offset:384
	v_pk_add_f32 v[124:125], v[4:5], v[68:69]
	v_min_f32_e32 v1, v7, v160
	v_min_f32_e32 v0, v6, v161
	v_max_f32_e32 v4, v32, v32
	v_max_f32_e32 v5, v33, v33
	v_pk_add_f32 v[68:69], v[0:1], v[58:59]
	v_min_f32_e32 v0, v4, v156
	v_min_f32_e32 v1, v5, v154
	v_pk_add_f32 v[94:95], v[0:1], v[94:95]
	v_min_f32_e32 v0, v4, v20
	v_min_f32_e32 v1, v5, v21
	;; [unrolled: 3-line block ×4, first 2 shown]
	s_waitcnt lgkmcnt(0)
	v_max_f32_e32 v4, v36, v36
	v_max_f32_e32 v5, v37, v37
	v_pk_add_f32 v[130:131], v[0:1], v[50:51]
	v_min_f32_e32 v0, v4, v156
	v_min_f32_e32 v1, v5, v154
	v_pk_add_f32 v[132:133], v[0:1], v[90:91]
	v_min_f32_e32 v0, v4, v20
	v_min_f32_e32 v1, v5, v21
	;; [unrolled: 3-line block ×4, first 2 shown]
	v_max_f32_e32 v4, v14, v14
	v_max_f32_e32 v5, v15, v15
	v_pk_add_f32 v[138:139], v[0:1], v[48:49]
	v_min_f32_e32 v0, v4, v156
	v_min_f32_e32 v1, v5, v154
	v_pk_add_f32 v[78:79], v[0:1], v[92:93]
	v_min_f32_e32 v0, v4, v20
	v_min_f32_e32 v1, v5, v21
	;; [unrolled: 3-line block ×4, first 2 shown]
	v_max_f32_e32 v4, v8, v8
	v_max_f32_e32 v5, v9, v9
	ds_read_b128 v[6:9], v149 offset:640
	v_pk_add_f32 v[90:91], v[0:1], v[52:53]
	v_min_f32_e32 v0, v4, v156
	v_min_f32_e32 v1, v5, v154
	v_pk_add_f32 v[64:65], v[0:1], v[96:97]
	v_min_f32_e32 v0, v4, v20
	v_min_f32_e32 v1, v5, v21
	;; [unrolled: 3-line block ×4, first 2 shown]
	s_waitcnt lgkmcnt(0)
	v_max_f32_e32 v4, v6, v6
	v_max_f32_e32 v5, v7, v7
	v_pk_add_f32 v[76:77], v[0:1], v[56:57]
	v_min_f32_e32 v0, v4, v156
	v_min_f32_e32 v1, v5, v154
	v_pk_add_f32 v[28:29], v[0:1], v[100:101]
	v_min_f32_e32 v0, v4, v20
	v_min_f32_e32 v1, v5, v21
	;; [unrolled: 3-line block ×4, first 2 shown]
	ds_read_b128 v[4:7], v149 offset:768
	v_max_f32_e32 v96, v19, v19
	v_max_f32_e32 v97, v18, v18
	;; [unrolled: 1-line block ×8, first 2 shown]
	v_min_f32_e32 v16, v88, v97
	v_min_f32_e32 v17, v89, v96
	s_waitcnt lgkmcnt(0)
	v_max_f32_e32 v4, v4, v4
	v_max_f32_e32 v5, v5, v5
	;; [unrolled: 1-line block ×6, first 2 shown]
	v_min_f32_e32 v30, v50, v97
	v_min_f32_e32 v31, v51, v96
	v_pk_add_f32 v[74:75], v[16:17], v[78:79]
	v_min_f32_e32 v16, v88, v22
	v_min_f32_e32 v17, v89, v23
	v_pk_add_f32 v[58:59], v[0:1], v[60:61]
	v_min_f32_e32 v0, v4, v156
	v_min_f32_e32 v1, v5, v154
	;; [unrolled: 1-line block ×4, first 2 shown]
	v_pk_add_f32 v[30:31], v[30:31], v[98:99]
	v_max_f32_e32 v98, v3, v3
	v_max_f32_e32 v99, v2, v2
	v_pk_add_f32 v[84:85], v[16:17], v[80:81]
	v_min_f32_e32 v16, v88, v26
	v_min_f32_e32 v17, v89, v27
	v_pk_add_f32 v[24:25], v[0:1], v[116:117]
	v_min_f32_e32 v0, v4, v20
	v_min_f32_e32 v1, v5, v21
	v_pk_add_f32 v[12:13], v[12:13], v[86:87]
	v_pk_add_f32 v[86:87], v[16:17], v[82:83]
	v_min_f32_e32 v17, v89, v98
	v_min_f32_e32 v16, v88, v99
	v_pk_add_f32 v[20:21], v[0:1], v[108:109]
	v_min_f32_e32 v0, v4, v159
	v_min_f32_e32 v1, v5, v158
	v_pk_add_f32 v[88:89], v[16:17], v[90:91]
	v_max_f32_e32 v16, v10, v10
	v_max_f32_e32 v17, v11, v11
	v_pk_add_f32 v[14:15], v[0:1], v[106:107]
	v_min_f32_e32 v1, v5, v160
	v_min_f32_e32 v0, v4, v161
	;; [unrolled: 1-line block ×4, first 2 shown]
	v_pk_add_f32 v[4:5], v[0:1], v[104:105]
	v_min_f32_e32 v1, v155, v160
	v_min_f32_e32 v0, v157, v161
	v_pk_add_f32 v[100:101], v[10:11], v[64:65]
	v_min_f32_e32 v10, v16, v22
	v_min_f32_e32 v11, v17, v23
	v_pk_add_f32 v[0:1], v[0:1], v[102:103]
	v_pk_add_f32 v[102:103], v[10:11], v[70:71]
	v_min_f32_e32 v10, v16, v26
	v_min_f32_e32 v11, v17, v27
	v_pk_add_f32 v[104:105], v[10:11], v[72:73]
	v_min_f32_e32 v11, v17, v98
	v_min_f32_e32 v10, v16, v99
	v_pk_add_f32 v[106:107], v[10:11], v[76:77]
	v_max_f32_e32 v10, v8, v8
	v_max_f32_e32 v11, v9, v9
	v_min_f32_e32 v8, v10, v97
	v_min_f32_e32 v9, v11, v96
	v_pk_add_f32 v[108:109], v[8:9], v[28:29]
	v_min_f32_e32 v8, v10, v22
	v_min_f32_e32 v9, v11, v23
	;; [unrolled: 1-line block ×4, first 2 shown]
	v_pk_add_f32 v[116:117], v[8:9], v[54:55]
	v_min_f32_e32 v8, v10, v26
	v_min_f32_e32 v9, v11, v27
	v_pk_add_f32 v[18:19], v[18:19], v[118:119]
	v_min_f32_e32 v33, v92, v27
	v_min_f32_e32 v32, v93, v26
	;; [unrolled: 3-line block ×3, first 2 shown]
	v_pk_add_f32 v[32:33], v[32:33], v[120:121]
	v_pk_add_f32 v[120:121], v[8:9], v[58:59]
	v_max_f32_e32 v8, v6, v6
	v_max_f32_e32 v9, v7, v7
	v_min_f32_e32 v36, v50, v22
	v_min_f32_e32 v37, v51, v23
	;; [unrolled: 1-line block ×6, first 2 shown]
	v_pk_add_f32 v[36:37], v[36:37], v[122:123]
	v_min_f32_e32 v48, v50, v26
	v_min_f32_e32 v49, v51, v27
	v_pk_add_f32 v[60:61], v[2:3], v[68:69]
	v_max_f32_e32 v52, v34, v34
	v_max_f32_e32 v53, v35, v35
	;; [unrolled: 1-line block ×4, first 2 shown]
	v_pk_add_f32 v[122:123], v[6:7], v[24:25]
	v_min_f32_e32 v6, v8, v22
	v_min_f32_e32 v7, v9, v23
	v_pk_add_f32 v[48:49], v[48:49], v[124:125]
	v_min_f32_e32 v34, v52, v22
	v_min_f32_e32 v35, v53, v23
	;; [unrolled: 1-line block ×4, first 2 shown]
	v_pk_add_f32 v[124:125], v[6:7], v[20:21]
	v_min_f32_e32 v6, v8, v26
	v_min_f32_e32 v7, v9, v27
	v_pk_add_f32 v[34:35], v[34:35], v[126:127]
	v_min_f32_e32 v50, v52, v26
	v_min_f32_e32 v51, v53, v27
	v_pk_add_f32 v[38:39], v[38:39], v[132:133]
	v_min_f32_e32 v62, v68, v22
	v_min_f32_e32 v63, v69, v23
	v_min_f32_e32 v66, v68, v26
	v_min_f32_e32 v67, v69, v27
	v_pk_add_f32 v[126:127], v[6:7], v[14:15]
	v_min_f32_e32 v7, v9, v98
	v_min_f32_e32 v6, v8, v99
	s_waitcnt vmcnt(0)
	ds_write_b32 v145, v153
	ds_write2st64_b32 v144, v151, v152 offset1:4
	s_waitcnt lgkmcnt(0)
	s_barrier
	flat_load_dword v112, v[112:113] offset:48
	s_nop 0
	flat_load_dword v113, v[110:111] offset:48
	flat_load_dword v132, v[114:115] offset:48
	ds_read_b128 v[20:23], v146 offset:896
	ds_read_b128 v[8:11], v143 offset:1536
	ds_read_b128 v[26:29], v143
	v_min_f32_e32 v2, v52, v97
	v_min_f32_e32 v3, v53, v96
	v_pk_add_f32 v[50:51], v[50:51], v[128:129]
	v_min_f32_e32 v53, v53, v98
	s_waitcnt lgkmcnt(0)
	v_max_f32_e32 v110, v27, v27
	v_max_f32_e32 v114, v26, v26
	ds_read_b128 v[24:27], v143 offset:512
	v_min_f32_e32 v52, v52, v99
	v_pk_add_f32 v[128:129], v[6:7], v[4:5]
	v_min_f32_e32 v5, v92, v98
	v_min_f32_e32 v4, v93, v99
	v_max_f32_e32 v111, v21, v21
	v_max_f32_e32 v115, v20, v20
	v_pk_add_f32 v[52:53], v[52:53], v[130:131]
	v_pk_add_f32 v[62:63], v[62:63], v[134:135]
	;; [unrolled: 1-line block ×4, first 2 shown]
	v_min_f32_e32 v1, v111, v110
	v_min_f32_e32 v0, v115, v114
	v_max_f32_e32 v135, v9, v9
	v_max_f32_e32 v136, v8, v8
	ds_read_b128 v[6:9], v146 offset:384
	s_waitcnt lgkmcnt(0)
	v_max_f32_e32 v25, v25, v25
	v_max_f32_e32 v24, v24, v24
	v_min_f32_e32 v69, v69, v98
	v_min_f32_e32 v68, v68, v99
	v_pk_add_f32 v[98:99], v[0:1], v[12:13]
	v_min_f32_e32 v1, v111, v25
	v_min_f32_e32 v0, v115, v24
	v_pk_add_f32 v[70:71], v[0:1], v[18:19]
	ds_read_b128 v[18:21], v143 offset:1024
	v_pk_add_f32 v[2:3], v[2:3], v[94:95]
	v_pk_add_f32 v[68:69], v[68:69], v[138:139]
	v_max_f32_e32 v29, v29, v29
	v_max_f32_e32 v23, v23, v23
	s_waitcnt lgkmcnt(0)
	v_max_f32_e32 v133, v19, v19
	v_max_f32_e32 v134, v18, v18
	ds_read_b128 v[16:19], v146
	v_min_f32_e32 v1, v111, v133
	v_min_f32_e32 v0, v115, v134
	v_pk_add_f32 v[54:55], v[0:1], v[32:33]
	v_max_f32_e32 v28, v28, v28
	s_waitcnt lgkmcnt(0)
	v_max_f32_e32 v4, v16, v16
	v_max_f32_e32 v5, v17, v17
	ds_read_b128 v[14:17], v146 offset:128
	v_min_f32_e32 v0, v4, v114
	v_min_f32_e32 v1, v5, v110
	v_pk_add_f32 v[78:79], v[0:1], v[30:31]
	v_min_f32_e32 v0, v4, v24
	v_min_f32_e32 v1, v5, v25
	v_pk_add_f32 v[82:83], v[0:1], v[36:37]
	;; [unrolled: 3-line block ×3, first 2 shown]
	v_min_f32_e32 v1, v5, v135
	v_min_f32_e32 v0, v4, v136
	s_waitcnt lgkmcnt(0)
	v_max_f32_e32 v4, v14, v14
	v_max_f32_e32 v5, v15, v15
	ds_read_b128 v[12:15], v146 offset:256
	v_pk_add_f32 v[58:59], v[0:1], v[60:61]
	v_min_f32_e32 v0, v4, v114
	v_min_f32_e32 v1, v5, v110
	v_pk_add_f32 v[64:65], v[0:1], v[2:3]
	v_min_f32_e32 v0, v4, v24
	v_min_f32_e32 v1, v5, v25
	;; [unrolled: 3-line block ×4, first 2 shown]
	s_waitcnt lgkmcnt(0)
	v_max_f32_e32 v2, v12, v12
	v_max_f32_e32 v3, v13, v13
	v_pk_add_f32 v[90:91], v[0:1], v[52:53]
	v_min_f32_e32 v0, v2, v114
	v_min_f32_e32 v1, v3, v110
	v_pk_add_f32 v[48:49], v[0:1], v[38:39]
	v_min_f32_e32 v0, v2, v24
	v_min_f32_e32 v1, v3, v25
	;; [unrolled: 3-line block ×4, first 2 shown]
	v_max_f32_e32 v2, v6, v6
	v_max_f32_e32 v3, v7, v7
	ds_read_b128 v[4:7], v146 offset:512
	v_pk_add_f32 v[92:93], v[0:1], v[68:69]
	v_min_f32_e32 v0, v2, v114
	v_min_f32_e32 v1, v3, v110
	v_pk_add_f32 v[52:53], v[0:1], v[74:75]
	v_min_f32_e32 v0, v2, v24
	v_min_f32_e32 v1, v3, v25
	;; [unrolled: 3-line block ×4, first 2 shown]
	s_waitcnt lgkmcnt(0)
	v_max_f32_e32 v2, v4, v4
	v_max_f32_e32 v3, v5, v5
	v_pk_add_f32 v[96:97], v[0:1], v[88:89]
	v_min_f32_e32 v0, v2, v114
	v_min_f32_e32 v1, v3, v110
	v_pk_add_f32 v[56:57], v[0:1], v[100:101]
	v_max_f32_e32 v22, v22, v22
	v_max_f32_e32 v100, v18, v18
	;; [unrolled: 1-line block ×3, first 2 shown]
	v_min_f32_e32 v69, v23, v29
	v_min_f32_e32 v68, v22, v28
	v_max_f32_e32 v27, v27, v27
	v_max_f32_e32 v26, v26, v26
	v_min_f32_e32 v18, v100, v28
	v_min_f32_e32 v19, v101, v29
	v_pk_add_f32 v[86:87], v[68:69], v[98:99]
	v_min_f32_e32 v69, v23, v27
	v_min_f32_e32 v68, v22, v26
	v_max_f32_e32 v21, v21, v21
	v_max_f32_e32 v20, v20, v20
	v_pk_add_f32 v[98:99], v[18:19], v[78:79]
	v_min_f32_e32 v18, v100, v26
	v_min_f32_e32 v19, v101, v27
	v_pk_add_f32 v[70:71], v[68:69], v[70:71]
	v_min_f32_e32 v69, v23, v21
	v_min_f32_e32 v68, v22, v20
	;; [unrolled: 3-line block ×3, first 2 shown]
	v_max_f32_e32 v11, v11, v11
	v_max_f32_e32 v10, v10, v10
	v_pk_add_f32 v[54:55], v[68:69], v[54:55]
	v_pk_add_f32 v[68:69], v[18:19], v[94:95]
	v_min_f32_e32 v19, v101, v11
	v_min_f32_e32 v18, v100, v10
	v_pk_add_f32 v[58:59], v[18:19], v[58:59]
	v_max_f32_e32 v18, v16, v16
	v_max_f32_e32 v19, v17, v17
	v_min_f32_e32 v16, v18, v28
	v_min_f32_e32 v17, v19, v29
	v_pk_add_f32 v[94:95], v[16:17], v[64:65]
	v_min_f32_e32 v16, v18, v26
	v_min_f32_e32 v17, v19, v27
	v_pk_add_f32 v[78:79], v[16:17], v[76:77]
	;; [unrolled: 3-line block ×4, first 2 shown]
	v_max_f32_e32 v16, v14, v14
	v_max_f32_e32 v17, v15, v15
	v_min_f32_e32 v14, v16, v28
	v_min_f32_e32 v15, v17, v29
	;; [unrolled: 1-line block ×4, first 2 shown]
	v_pk_add_f32 v[90:91], v[14:15], v[48:49]
	v_min_f32_e32 v14, v16, v26
	v_min_f32_e32 v15, v17, v27
	v_pk_add_f32 v[72:73], v[0:1], v[102:103]
	v_min_f32_e32 v0, v2, v134
	v_min_f32_e32 v1, v3, v133
	;; [unrolled: 3-line block ×4, first 2 shown]
	ds_read_b128 v[2:5], v146 offset:640
	v_pk_add_f32 v[62:63], v[14:15], v[80:81]
	v_min_f32_e32 v15, v17, v11
	v_min_f32_e32 v14, v16, v10
	v_pk_add_f32 v[48:49], v[14:15], v[92:93]
	v_max_f32_e32 v14, v8, v8
	v_max_f32_e32 v15, v9, v9
	v_min_f32_e32 v8, v14, v28
	v_min_f32_e32 v9, v15, v29
	v_pk_add_f32 v[92:93], v[8:9], v[52:53]
	v_min_f32_e32 v8, v14, v26
	v_min_f32_e32 v9, v15, v27
	v_pk_add_f32 v[80:81], v[8:9], v[66:67]
	v_min_f32_e32 v8, v14, v20
	v_min_f32_e32 v9, v15, v21
	s_waitcnt lgkmcnt(0)
	v_max_f32_e32 v2, v2, v2
	v_max_f32_e32 v3, v3, v3
	v_pk_add_f32 v[66:67], v[8:9], v[84:85]
	v_min_f32_e32 v9, v15, v11
	v_min_f32_e32 v8, v14, v10
	v_pk_add_f32 v[88:89], v[0:1], v[106:107]
	v_min_f32_e32 v0, v2, v114
	v_min_f32_e32 v1, v3, v110
	v_pk_add_f32 v[52:53], v[8:9], v[96:97]
	v_max_f32_e32 v8, v6, v6
	v_max_f32_e32 v9, v7, v7
	v_pk_add_f32 v[34:35], v[0:1], v[108:109]
	v_min_f32_e32 v0, v2, v24
	v_min_f32_e32 v1, v3, v25
	;; [unrolled: 1-line block ×4, first 2 shown]
	v_pk_add_f32 v[36:37], v[0:1], v[116:117]
	v_min_f32_e32 v0, v2, v134
	v_min_f32_e32 v1, v3, v133
	v_pk_add_f32 v[96:97], v[6:7], v[56:57]
	v_min_f32_e32 v6, v8, v26
	v_min_f32_e32 v7, v9, v27
	;; [unrolled: 3-line block ×4, first 2 shown]
	v_pk_add_f32 v[60:61], v[0:1], v[120:121]
	ds_read_b128 v[0:3], v146 offset:768
	v_pk_add_f32 v[72:73], v[6:7], v[74:75]
	v_min_f32_e32 v7, v9, v11
	v_min_f32_e32 v6, v8, v10
	v_pk_add_f32 v[56:57], v[6:7], v[88:89]
	v_max_f32_e32 v6, v4, v4
	v_max_f32_e32 v7, v5, v5
	v_min_f32_e32 v4, v6, v28
	v_min_f32_e32 v5, v7, v29
	v_pk_add_f32 v[100:101], v[4:5], v[34:35]
	v_min_f32_e32 v4, v6, v26
	v_min_f32_e32 v5, v7, v27
	v_pk_add_f32 v[88:89], v[4:5], v[36:37]
	v_min_f32_e32 v4, v6, v20
	v_min_f32_e32 v5, v7, v21
	s_waitcnt lgkmcnt(0)
	v_max_f32_e32 v12, v0, v0
	v_max_f32_e32 v13, v1, v1
	v_pk_add_f32 v[74:75], v[4:5], v[38:39]
	v_min_f32_e32 v5, v7, v11
	v_min_f32_e32 v4, v6, v10
	;; [unrolled: 1-line block ×4, first 2 shown]
	v_pk_add_f32 v[60:61], v[4:5], v[60:61]
	v_max_f32_e32 v4, v2, v2
	v_max_f32_e32 v5, v3, v3
	v_pk_add_f32 v[32:33], v[0:1], v[122:123]
	v_min_f32_e32 v0, v12, v24
	v_min_f32_e32 v1, v13, v25
	v_min_f32_e32 v2, v4, v28
	v_min_f32_e32 v3, v5, v29
	v_pk_add_f32 v[30:31], v[0:1], v[124:125]
	v_min_f32_e32 v0, v12, v134
	v_min_f32_e32 v1, v13, v133
	v_pk_add_f32 v[116:117], v[2:3], v[32:33]
	v_min_f32_e32 v2, v4, v26
	v_min_f32_e32 v3, v5, v27
	;; [unrolled: 3-line block ×6, first 2 shown]
	v_pk_add_f32 v[0:1], v[0:1], v[130:131]
	v_pk_add_f32 v[104:105], v[2:3], v[12:13]
	v_min_f32_e32 v3, v23, v11
	v_min_f32_e32 v2, v22, v10
	s_add_i32 s9, s9, 8
	v_pk_add_f32 v[102:103], v[2:3], v[0:1]
	v_lshl_add_u64 v[44:45], v[44:45], 0, 32
	v_lshl_add_u64 v[46:47], v[46:47], 0, 32
	;; [unrolled: 1-line block ×3, first 2 shown]
	s_cmp_ge_i32 s9, s8
	s_waitcnt vmcnt(0)
	ds_write_b32 v147, v112
	ds_write2st64_b32 v148, v113, v132 offset1:4
	s_waitcnt lgkmcnt(0)
	s_barrier
	s_cbranch_scc0 .LBB85_11
.LBB85_12:
	s_load_dword s14, s[0:1], 0x50
	ds_read_b128 v[40:43], v143 offset:2048
	ds_read_b128 v[44:47], v142 offset:5120
	v_add_u32_e32 v114, s15, v141
	v_cmp_neq_f32_e64 s[8:9], s12, 0
	v_add_u32_e32 v110, s2, v140
	s_waitcnt lgkmcnt(0)
	v_mad_i64_i32 v[0:1], s[16:17], v114, s14, 0
	v_ashrrev_i32_e32 v111, 31, v110
	v_lshl_add_u64 v[112:113], v[0:1], 2, s[6:7]
	s_and_b64 vcc, exec, s[8:9]
	v_mov_b32_e32 v122, 0
	v_mov_b32_e32 v123, 0
	s_cbranch_vccz .LBB85_14
; %bb.13:
	v_lshl_add_u64 v[0:1], v[110:111], 2, v[112:113]
	flat_load_dword v0, v[0:1]
	s_waitcnt vmcnt(0) lgkmcnt(0)
	v_mul_f32_e32 v123, s12, v0
.LBB85_14:
	ds_read_b128 v[12:15], v142 offset:6016
	ds_read_b128 v[0:3], v143 offset:3584
	;; [unrolled: 1-line block ×6, first 2 shown]
	s_load_dword s15, s[0:1], 0x68
	s_load_dwordx2 s[16:17], s[0:1], 0x70
	ds_read_b128 v[28:31], v142 offset:5504
	ds_read_b128 v[24:27], v142 offset:5632
	ds_read_b128 v[20:23], v142 offset:5760
	ds_read_b128 v[16:19], v142 offset:5888
	v_max_f32_e32 v118, v40, v40
	v_max_f32_e32 v44, v44, v44
	v_max_f32_e32 v120, v41, v41
	s_waitcnt lgkmcnt(0)
	s_mul_i32 s0, s3, s17
	s_mul_hi_u32 s1, s3, s16
	s_add_i32 s0, s1, s0
	s_mul_i32 s1, s13, s16
	v_max_f32_e32 v115, v45, v45
	s_add_i32 s1, s0, s1
	s_mul_i32 s0, s3, s16
	v_min_f32_e32 v40, v44, v118
	v_min_f32_e32 v41, v115, v120
	v_max_f32_e32 v119, v42, v42
	v_max_f32_e32 v45, v46, v46
	;; [unrolled: 1-line block ×4, first 2 shown]
	s_lshl_b64 s[0:1], s[0:1], 2
	v_pk_add_f32 v[40:41], v[40:41], v[98:99]
	v_min_f32_e32 v42, v45, v119
	v_min_f32_e32 v43, v46, v121
	s_add_u32 s2, s10, s0
	v_pk_add_f32 v[98:99], v[42:43], v[40:41]
	s_addc_u32 s3, s11, s1
	v_mad_i64_i32 v[42:43], s[0:1], v114, s15, 0
	v_add_f32_e32 v47, v98, v99
	v_add_u32_e32 v40, 8, v110
	v_lshl_add_u64 v[42:43], v[42:43], 2, s[2:3]
	v_add_f32_e32 v47, v47, v123
	v_cndmask_b32_e64 v123, 0, 1, s[8:9]
	v_ashrrev_i32_e32 v41, 31, v40
	v_lshl_add_u64 v[98:99], v[110:111], 2, v[42:43]
	v_cmp_ne_u32_e64 s[0:1], 1, v123
	s_andn2_b64 vcc, exec, s[8:9]
	global_store_dword v[98:99], v47, off
	s_cbranch_vccnz .LBB85_16
; %bb.15:
	v_lshl_add_u64 v[98:99], v[40:41], 2, v[112:113]
	flat_load_dword v47, v[98:99]
	s_waitcnt vmcnt(0) lgkmcnt(0)
	v_mul_f32_e32 v122, s12, v47
.LBB85_16:
	v_max_f32_e32 v47, v36, v36
	v_max_f32_e32 v98, v37, v37
	v_min_f32_e32 v36, v47, v118
	v_min_f32_e32 v37, v98, v120
	v_max_f32_e32 v38, v38, v38
	v_max_f32_e32 v39, v39, v39
	v_pk_add_f32 v[36:37], v[36:37], v[94:95]
	v_min_f32_e32 v94, v38, v119
	v_min_f32_e32 v95, v39, v121
	v_pk_add_f32 v[36:37], v[94:95], v[36:37]
	s_and_b64 vcc, exec, s[0:1]
	v_add_f32_e32 v94, v36, v37
	v_add_u32_e32 v36, 16, v110
	v_add_f32_e32 v99, v94, v122
	v_lshl_add_u64 v[94:95], v[40:41], 2, v[42:43]
	v_ashrrev_i32_e32 v37, 31, v36
	global_store_dword v[94:95], v99, off
	v_mov_b32_e32 v99, 0
	v_mov_b32_e32 v122, 0
	s_cbranch_vccnz .LBB85_18
; %bb.17:
	v_lshl_add_u64 v[94:95], v[36:37], 2, v[112:113]
	flat_load_dword v94, v[94:95]
	s_waitcnt vmcnt(0) lgkmcnt(0)
	v_mul_f32_e32 v122, s12, v94
.LBB85_18:
	v_max_f32_e32 v94, v32, v32
	v_max_f32_e32 v95, v33, v33
	v_min_f32_e32 v32, v94, v118
	v_min_f32_e32 v33, v95, v120
	v_max_f32_e32 v34, v34, v34
	v_max_f32_e32 v35, v35, v35
	v_pk_add_f32 v[32:33], v[32:33], v[90:91]
	v_min_f32_e32 v90, v34, v119
	v_min_f32_e32 v91, v35, v121
	v_pk_add_f32 v[32:33], v[90:91], v[32:33]
	s_and_b64 vcc, exec, s[0:1]
	v_add_f32_e32 v90, v32, v33
	v_add_u32_e32 v32, 24, v110
	v_ashrrev_i32_e32 v33, 31, v32
	v_add_f32_e32 v122, v90, v122
	v_lshl_add_u64 v[90:91], v[36:37], 2, v[42:43]
	global_store_dword v[90:91], v122, off
	s_cbranch_vccnz .LBB85_20
; %bb.19:
	v_lshl_add_u64 v[90:91], v[32:33], 2, v[112:113]
	flat_load_dword v90, v[90:91]
	s_waitcnt vmcnt(0) lgkmcnt(0)
	v_mul_f32_e32 v99, s12, v90
.LBB85_20:
	v_max_f32_e32 v90, v28, v28
	v_max_f32_e32 v91, v29, v29
	v_min_f32_e32 v28, v90, v118
	v_min_f32_e32 v29, v91, v120
	v_max_f32_e32 v30, v30, v30
	v_max_f32_e32 v31, v31, v31
	v_pk_add_f32 v[28:29], v[28:29], v[92:93]
	v_min_f32_e32 v92, v30, v119
	v_min_f32_e32 v93, v31, v121
	v_pk_add_f32 v[28:29], v[92:93], v[28:29]
	s_and_b64 vcc, exec, s[0:1]
	v_add_f32_e32 v92, v28, v29
	v_add_u32_e32 v28, 32, v110
	v_add_f32_e32 v99, v92, v99
	v_lshl_add_u64 v[92:93], v[32:33], 2, v[42:43]
	v_ashrrev_i32_e32 v29, 31, v28
	global_store_dword v[92:93], v99, off
	v_mov_b32_e32 v99, 0
	v_mov_b32_e32 v122, 0
	s_cbranch_vccnz .LBB85_22
; %bb.21:
	v_lshl_add_u64 v[92:93], v[28:29], 2, v[112:113]
	flat_load_dword v92, v[92:93]
	s_waitcnt vmcnt(0) lgkmcnt(0)
	v_mul_f32_e32 v122, s12, v92
.LBB85_22:
	v_max_f32_e32 v92, v24, v24
	v_max_f32_e32 v93, v25, v25
	v_min_f32_e32 v24, v92, v118
	v_min_f32_e32 v25, v93, v120
	v_max_f32_e32 v26, v26, v26
	v_max_f32_e32 v27, v27, v27
	v_pk_add_f32 v[24:25], v[24:25], v[96:97]
	v_min_f32_e32 v96, v26, v119
	v_min_f32_e32 v97, v27, v121
	v_pk_add_f32 v[24:25], v[96:97], v[24:25]
	s_and_b64 vcc, exec, s[0:1]
	v_add_f32_e32 v96, v24, v25
	v_add_u32_e32 v24, 40, v110
	v_ashrrev_i32_e32 v25, 31, v24
	v_add_f32_e32 v122, v96, v122
	v_lshl_add_u64 v[96:97], v[28:29], 2, v[42:43]
	global_store_dword v[96:97], v122, off
	s_cbranch_vccnz .LBB85_24
; %bb.23:
	v_lshl_add_u64 v[96:97], v[24:25], 2, v[112:113]
	flat_load_dword v96, v[96:97]
	s_waitcnt vmcnt(0) lgkmcnt(0)
	v_mul_f32_e32 v99, s12, v96
.LBB85_24:
	v_max_f32_e32 v96, v20, v20
	v_max_f32_e32 v97, v21, v21
	v_min_f32_e32 v20, v96, v118
	v_min_f32_e32 v21, v97, v120
	v_max_f32_e32 v22, v22, v22
	v_max_f32_e32 v23, v23, v23
	v_pk_add_f32 v[20:21], v[20:21], v[100:101]
	v_min_f32_e32 v100, v22, v119
	v_min_f32_e32 v101, v23, v121
	v_pk_add_f32 v[20:21], v[100:101], v[20:21]
	s_and_b64 vcc, exec, s[0:1]
	v_add_f32_e32 v100, v20, v21
	v_add_u32_e32 v20, 48, v110
	v_ashrrev_i32_e32 v21, 31, v20
	v_add_f32_e32 v99, v100, v99
	v_lshl_add_u64 v[100:101], v[24:25], 2, v[42:43]
	v_mov_b32_e32 v122, 0
	v_mov_b32_e32 v123, 0
	global_store_dword v[100:101], v99, off
	s_cbranch_vccnz .LBB85_26
; %bb.25:
	v_lshl_add_u64 v[100:101], v[20:21], 2, v[112:113]
	flat_load_dword v99, v[100:101]
	s_waitcnt vmcnt(0) lgkmcnt(0)
	v_mul_f32_e32 v123, s12, v99
.LBB85_26:
	v_max_f32_e32 v99, v16, v16
	v_max_f32_e32 v101, v17, v17
	v_min_f32_e32 v16, v99, v118
	v_min_f32_e32 v17, v101, v120
	v_pk_add_f32 v[16:17], v[16:17], v[116:117]
	v_max_f32_e32 v100, v18, v18
	v_max_f32_e32 v116, v19, v19
	v_min_f32_e32 v18, v100, v119
	v_min_f32_e32 v19, v116, v121
	v_pk_add_f32 v[16:17], v[18:19], v[16:17]
	s_and_b64 vcc, exec, s[0:1]
	v_add_f32_e32 v18, v16, v17
	v_add_u32_e32 v16, 56, v110
	v_ashrrev_i32_e32 v17, 31, v16
	v_add_f32_e32 v117, v18, v123
	v_lshl_add_u64 v[18:19], v[20:21], 2, v[42:43]
	global_store_dword v[18:19], v117, off
	s_cbranch_vccnz .LBB85_28
; %bb.27:
	v_lshl_add_u64 v[18:19], v[16:17], 2, v[112:113]
	flat_load_dword v18, v[18:19]
	s_waitcnt vmcnt(0) lgkmcnt(0)
	v_mul_f32_e32 v122, s12, v18
.LBB85_28:
	v_max_f32_e32 v18, v13, v13
	v_max_f32_e32 v19, v12, v12
	v_min_f32_e32 v13, v18, v120
	v_min_f32_e32 v12, v19, v118
	v_max_f32_e32 v15, v15, v15
	v_max_f32_e32 v14, v14, v14
	v_pk_add_f32 v[12:13], v[12:13], v[86:87]
	v_min_f32_e32 v87, v15, v121
	v_min_f32_e32 v86, v14, v119
	v_pk_add_f32 v[12:13], v[86:87], v[12:13]
	v_add_u32_e32 v87, 32, v114
	v_add_f32_e32 v12, v12, v13
	v_add_f32_e32 v86, v12, v122
	v_lshl_add_u64 v[12:13], v[16:17], 2, v[42:43]
	global_store_dword v[12:13], v86, off
	v_mad_i64_i32 v[12:13], s[8:9], v87, s14, 0
	v_lshl_add_u64 v[12:13], v[12:13], 2, s[6:7]
	s_and_b64 vcc, exec, s[0:1]
	v_mov_b32_e32 v86, 0
	v_mov_b32_e32 v112, 0
	s_cbranch_vccnz .LBB85_30
; %bb.29:
	v_lshl_add_u64 v[42:43], v[110:111], 2, v[12:13]
	flat_load_dword v42, v[42:43]
	s_waitcnt vmcnt(0) lgkmcnt(0)
	v_mul_f32_e32 v112, s12, v42
.LBB85_30:
	v_max_f32_e32 v42, v8, v8
	v_max_f32_e32 v43, v9, v9
	v_min_f32_e32 v8, v44, v42
	v_min_f32_e32 v9, v115, v43
	v_max_f32_e32 v10, v10, v10
	v_max_f32_e32 v11, v11, v11
	v_pk_add_f32 v[8:9], v[8:9], v[82:83]
	v_min_f32_e32 v82, v45, v10
	v_min_f32_e32 v83, v46, v11
	v_pk_add_f32 v[82:83], v[82:83], v[8:9]
	v_mad_i64_i32 v[8:9], s[8:9], v87, s15, 0
	v_lshl_add_u64 v[8:9], v[8:9], 2, s[2:3]
	v_add_f32_e32 v82, v82, v83
	v_add_f32_e32 v87, v82, v112
	v_lshl_add_u64 v[82:83], v[110:111], 2, v[8:9]
	s_and_b64 vcc, exec, s[0:1]
	global_store_dword v[82:83], v87, off
	s_cbranch_vccnz .LBB85_32
; %bb.31:
	v_lshl_add_u64 v[82:83], v[40:41], 2, v[12:13]
	flat_load_dword v82, v[82:83]
	s_waitcnt vmcnt(0) lgkmcnt(0)
	v_mul_f32_e32 v86, s12, v82
.LBB85_32:
	v_min_f32_e32 v82, v47, v42
	v_min_f32_e32 v83, v98, v43
	v_pk_add_f32 v[78:79], v[82:83], v[78:79]
	v_min_f32_e32 v82, v38, v10
	v_min_f32_e32 v83, v39, v11
	v_pk_add_f32 v[78:79], v[82:83], v[78:79]
	s_and_b64 vcc, exec, s[0:1]
	v_add_f32_e32 v78, v78, v79
	v_add_f32_e32 v82, v78, v86
	v_lshl_add_u64 v[78:79], v[40:41], 2, v[8:9]
	global_store_dword v[78:79], v82, off
	v_mov_b32_e32 v78, 0
	v_mov_b32_e32 v79, 0
	s_cbranch_vccnz .LBB85_34
; %bb.33:
	v_lshl_add_u64 v[82:83], v[36:37], 2, v[12:13]
	flat_load_dword v79, v[82:83]
	s_waitcnt vmcnt(0) lgkmcnt(0)
	v_mul_f32_e32 v79, s12, v79
.LBB85_34:
	v_min_f32_e32 v82, v94, v42
	v_min_f32_e32 v83, v95, v43
	v_pk_add_f32 v[76:77], v[82:83], v[76:77]
	v_min_f32_e32 v82, v34, v10
	v_min_f32_e32 v83, v35, v11
	v_pk_add_f32 v[76:77], v[82:83], v[76:77]
	s_and_b64 vcc, exec, s[0:1]
	v_add_f32_e32 v76, v76, v77
	v_add_f32_e32 v79, v76, v79
	v_lshl_add_u64 v[76:77], v[36:37], 2, v[8:9]
	global_store_dword v[76:77], v79, off
	s_cbranch_vccnz .LBB85_36
; %bb.35:
	v_lshl_add_u64 v[76:77], v[32:33], 2, v[12:13]
	flat_load_dword v76, v[76:77]
	s_waitcnt vmcnt(0) lgkmcnt(0)
	v_mul_f32_e32 v78, s12, v76
.LBB85_36:
	v_min_f32_e32 v76, v90, v42
	v_min_f32_e32 v77, v91, v43
	v_pk_add_f32 v[76:77], v[76:77], v[80:81]
	v_min_f32_e32 v80, v30, v10
	v_min_f32_e32 v81, v31, v11
	v_pk_add_f32 v[76:77], v[80:81], v[76:77]
	s_and_b64 vcc, exec, s[0:1]
	v_add_f32_e32 v76, v76, v77
	v_add_f32_e32 v78, v76, v78
	v_lshl_add_u64 v[76:77], v[32:33], 2, v[8:9]
	global_store_dword v[76:77], v78, off
	v_mov_b32_e32 v76, 0
	v_mov_b32_e32 v77, 0
	s_cbranch_vccnz .LBB85_38
; %bb.37:
	v_lshl_add_u64 v[78:79], v[28:29], 2, v[12:13]
	flat_load_dword v77, v[78:79]
	s_waitcnt vmcnt(0) lgkmcnt(0)
	v_mul_f32_e32 v77, s12, v77
.LBB85_38:
	v_min_f32_e32 v78, v92, v42
	v_min_f32_e32 v79, v93, v43
	v_pk_add_f32 v[78:79], v[78:79], v[84:85]
	v_min_f32_e32 v80, v26, v10
	v_min_f32_e32 v81, v27, v11
	v_pk_add_f32 v[78:79], v[80:81], v[78:79]
	s_and_b64 vcc, exec, s[0:1]
	v_add_f32_e32 v78, v78, v79
	v_add_f32_e32 v77, v78, v77
	v_lshl_add_u64 v[78:79], v[28:29], 2, v[8:9]
	;; [unrolled: 38-line block ×3, first 2 shown]
	global_store_dword v[78:79], v77, off
	s_cbranch_vccnz .LBB85_44
; %bb.43:
	v_lshl_add_u64 v[12:13], v[16:17], 2, v[12:13]
	flat_load_dword v12, v[12:13]
	s_waitcnt vmcnt(0) lgkmcnt(0)
	v_mul_f32_e32 v76, s12, v12
.LBB85_44:
	v_min_f32_e32 v13, v18, v43
	v_min_f32_e32 v12, v19, v42
	v_pk_add_f32 v[12:13], v[12:13], v[70:71]
	v_min_f32_e32 v11, v15, v11
	v_min_f32_e32 v10, v14, v10
	v_pk_add_f32 v[10:11], v[10:11], v[12:13]
	v_lshl_add_u64 v[8:9], v[16:17], 2, v[8:9]
	v_add_f32_e32 v10, v10, v11
	v_add_f32_e32 v10, v10, v76
	v_add_u32_e32 v13, 64, v114
	global_store_dword v[8:9], v10, off
	v_mad_i64_i32 v[8:9], s[8:9], v13, s14, 0
	v_lshl_add_u64 v[8:9], v[8:9], 2, s[6:7]
	s_and_b64 vcc, exec, s[0:1]
	v_mov_b32_e32 v12, 0
	v_mov_b32_e32 v42, 0
	s_cbranch_vccnz .LBB85_46
; %bb.45:
	v_lshl_add_u64 v[10:11], v[110:111], 2, v[8:9]
	flat_load_dword v10, v[10:11]
	s_waitcnt vmcnt(0) lgkmcnt(0)
	v_mul_f32_e32 v42, s12, v10
.LBB85_46:
	v_max_f32_e32 v10, v4, v4
	v_max_f32_e32 v11, v5, v5
	v_min_f32_e32 v4, v44, v10
	v_min_f32_e32 v5, v115, v11
	v_max_f32_e32 v6, v6, v6
	v_max_f32_e32 v7, v7, v7
	v_pk_add_f32 v[4:5], v[4:5], v[68:69]
	v_min_f32_e32 v68, v45, v6
	v_min_f32_e32 v69, v46, v7
	v_pk_add_f32 v[68:69], v[68:69], v[4:5]
	v_mad_i64_i32 v[4:5], s[8:9], v13, s15, 0
	v_lshl_add_u64 v[4:5], v[4:5], 2, s[2:3]
	v_add_f32_e32 v13, v68, v69
	v_add_f32_e32 v13, v13, v42
	v_lshl_add_u64 v[42:43], v[110:111], 2, v[4:5]
	s_and_b64 vcc, exec, s[0:1]
	global_store_dword v[42:43], v13, off
	s_cbranch_vccnz .LBB85_48
; %bb.47:
	v_lshl_add_u64 v[12:13], v[40:41], 2, v[8:9]
	flat_load_dword v12, v[12:13]
	s_waitcnt vmcnt(0) lgkmcnt(0)
	v_mul_f32_e32 v12, s12, v12
.LBB85_48:
	v_min_f32_e32 v42, v47, v10
	v_min_f32_e32 v43, v98, v11
	v_pk_add_f32 v[42:43], v[42:43], v[64:65]
	v_min_f32_e32 v64, v38, v6
	v_min_f32_e32 v65, v39, v7
	v_pk_add_f32 v[42:43], v[64:65], v[42:43]
	s_and_b64 vcc, exec, s[0:1]
	v_add_f32_e32 v13, v42, v43
	v_add_f32_e32 v42, v13, v12
	v_lshl_add_u64 v[12:13], v[40:41], 2, v[4:5]
	global_store_dword v[12:13], v42, off
	v_mov_b32_e32 v12, 0
	v_mov_b32_e32 v13, 0
	s_cbranch_vccnz .LBB85_50
; %bb.49:
	v_lshl_add_u64 v[42:43], v[36:37], 2, v[8:9]
	flat_load_dword v13, v[42:43]
	s_waitcnt vmcnt(0) lgkmcnt(0)
	v_mul_f32_e32 v13, s12, v13
.LBB85_50:
	v_min_f32_e32 v42, v94, v10
	v_min_f32_e32 v43, v95, v11
	v_pk_add_f32 v[42:43], v[42:43], v[62:63]
	v_min_f32_e32 v62, v34, v6
	v_min_f32_e32 v63, v35, v7
	v_pk_add_f32 v[42:43], v[62:63], v[42:43]
	s_and_b64 vcc, exec, s[0:1]
	v_add_f32_e32 v42, v42, v43
	v_add_f32_e32 v13, v42, v13
	v_lshl_add_u64 v[42:43], v[36:37], 2, v[4:5]
	global_store_dword v[42:43], v13, off
	s_cbranch_vccnz .LBB85_52
; %bb.51:
	v_lshl_add_u64 v[12:13], v[32:33], 2, v[8:9]
	flat_load_dword v12, v[12:13]
	s_waitcnt vmcnt(0) lgkmcnt(0)
	v_mul_f32_e32 v12, s12, v12
.LBB85_52:
	v_min_f32_e32 v42, v90, v10
	v_min_f32_e32 v43, v91, v11
	v_pk_add_f32 v[42:43], v[42:43], v[66:67]
	v_min_f32_e32 v62, v30, v6
	v_min_f32_e32 v63, v31, v7
	v_pk_add_f32 v[42:43], v[62:63], v[42:43]
	s_and_b64 vcc, exec, s[0:1]
	v_add_f32_e32 v13, v42, v43
	v_add_f32_e32 v42, v13, v12
	v_lshl_add_u64 v[12:13], v[32:33], 2, v[4:5]
	global_store_dword v[12:13], v42, off
	v_mov_b32_e32 v12, 0
	v_mov_b32_e32 v13, 0
	s_cbranch_vccnz .LBB85_54
; %bb.53:
	v_lshl_add_u64 v[42:43], v[28:29], 2, v[8:9]
	flat_load_dword v13, v[42:43]
	s_waitcnt vmcnt(0) lgkmcnt(0)
	v_mul_f32_e32 v13, s12, v13
.LBB85_54:
	v_min_f32_e32 v42, v92, v10
	v_min_f32_e32 v43, v93, v11
	v_pk_add_f32 v[42:43], v[42:43], v[72:73]
	v_min_f32_e32 v62, v26, v6
	v_min_f32_e32 v63, v27, v7
	v_pk_add_f32 v[42:43], v[62:63], v[42:43]
	s_and_b64 vcc, exec, s[0:1]
	v_add_f32_e32 v42, v42, v43
	v_add_f32_e32 v13, v42, v13
	v_lshl_add_u64 v[42:43], v[28:29], 2, v[4:5]
	;; [unrolled: 38-line block ×3, first 2 shown]
	global_store_dword v[42:43], v13, off
	s_cbranch_vccnz .LBB85_60
; %bb.59:
	v_lshl_add_u64 v[8:9], v[16:17], 2, v[8:9]
	flat_load_dword v8, v[8:9]
	s_waitcnt vmcnt(0) lgkmcnt(0)
	v_mul_f32_e32 v12, s12, v8
.LBB85_60:
	v_min_f32_e32 v9, v18, v11
	v_min_f32_e32 v8, v19, v10
	v_pk_add_f32 v[8:9], v[8:9], v[54:55]
	v_min_f32_e32 v7, v15, v7
	v_min_f32_e32 v6, v14, v6
	v_pk_add_f32 v[6:7], v[6:7], v[8:9]
	v_lshl_add_u64 v[4:5], v[16:17], 2, v[4:5]
	v_add_f32_e32 v6, v6, v7
	v_add_f32_e32 v6, v6, v12
	v_add_u32_e32 v9, 0x60, v114
	global_store_dword v[4:5], v6, off
	v_mad_i64_i32 v[4:5], s[8:9], v9, s14, 0
	v_lshl_add_u64 v[4:5], v[4:5], 2, s[6:7]
	s_and_b64 vcc, exec, s[0:1]
	v_mov_b32_e32 v8, 0
	v_mov_b32_e32 v10, 0
	s_cbranch_vccnz .LBB85_62
; %bb.61:
	v_lshl_add_u64 v[6:7], v[110:111], 2, v[4:5]
	flat_load_dword v6, v[6:7]
	s_waitcnt vmcnt(0) lgkmcnt(0)
	v_mul_f32_e32 v10, s12, v6
.LBB85_62:
	v_max_f32_e32 v6, v1, v1
	v_max_f32_e32 v7, v0, v0
	v_min_f32_e32 v1, v115, v6
	v_min_f32_e32 v0, v44, v7
	v_max_f32_e32 v3, v3, v3
	v_max_f32_e32 v2, v2, v2
	v_pk_add_f32 v[0:1], v[0:1], v[58:59]
	v_min_f32_e32 v13, v46, v3
	v_min_f32_e32 v12, v45, v2
	v_pk_add_f32 v[12:13], v[12:13], v[0:1]
	v_mad_i64_i32 v[0:1], s[6:7], v9, s15, 0
	v_lshl_add_u64 v[0:1], v[0:1], 2, s[2:3]
	v_add_f32_e32 v9, v12, v13
	v_add_f32_e32 v9, v9, v10
	v_lshl_add_u64 v[10:11], v[110:111], 2, v[0:1]
	s_and_b64 vcc, exec, s[0:1]
	global_store_dword v[10:11], v9, off
	s_cbranch_vccnz .LBB85_64
; %bb.63:
	v_lshl_add_u64 v[8:9], v[40:41], 2, v[4:5]
	flat_load_dword v8, v[8:9]
	s_waitcnt vmcnt(0) lgkmcnt(0)
	v_mul_f32_e32 v8, s12, v8
.LBB85_64:
	v_min_f32_e32 v11, v98, v6
	v_min_f32_e32 v10, v47, v7
	v_pk_add_f32 v[10:11], v[10:11], v[50:51]
	v_min_f32_e32 v13, v39, v3
	v_min_f32_e32 v12, v38, v2
	v_pk_add_f32 v[10:11], v[12:13], v[10:11]
	s_and_b64 vcc, exec, s[0:1]
	v_add_f32_e32 v9, v10, v11
	v_add_f32_e32 v10, v9, v8
	v_lshl_add_u64 v[8:9], v[40:41], 2, v[0:1]
	global_store_dword v[8:9], v10, off
	v_mov_b32_e32 v8, 0
	v_mov_b32_e32 v9, 0
	s_cbranch_vccnz .LBB85_66
; %bb.65:
	v_lshl_add_u64 v[10:11], v[36:37], 2, v[4:5]
	flat_load_dword v9, v[10:11]
	s_waitcnt vmcnt(0) lgkmcnt(0)
	v_mul_f32_e32 v9, s12, v9
.LBB85_66:
	v_min_f32_e32 v11, v95, v6
	v_min_f32_e32 v10, v94, v7
	v_pk_add_f32 v[10:11], v[10:11], v[48:49]
	v_min_f32_e32 v13, v35, v3
	v_min_f32_e32 v12, v34, v2
	v_pk_add_f32 v[10:11], v[12:13], v[10:11]
	s_and_b64 vcc, exec, s[0:1]
	v_add_f32_e32 v10, v10, v11
	v_add_f32_e32 v9, v10, v9
	v_lshl_add_u64 v[10:11], v[36:37], 2, v[0:1]
	global_store_dword v[10:11], v9, off
	s_cbranch_vccnz .LBB85_68
; %bb.67:
	v_lshl_add_u64 v[8:9], v[32:33], 2, v[4:5]
	flat_load_dword v8, v[8:9]
	s_waitcnt vmcnt(0) lgkmcnt(0)
	v_mul_f32_e32 v8, s12, v8
.LBB85_68:
	v_min_f32_e32 v11, v91, v6
	v_min_f32_e32 v10, v90, v7
	v_pk_add_f32 v[10:11], v[10:11], v[52:53]
	v_min_f32_e32 v13, v31, v3
	v_min_f32_e32 v12, v30, v2
	v_pk_add_f32 v[10:11], v[12:13], v[10:11]
	s_and_b64 vcc, exec, s[0:1]
	v_add_f32_e32 v9, v10, v11
	v_add_f32_e32 v10, v9, v8
	v_lshl_add_u64 v[8:9], v[32:33], 2, v[0:1]
	global_store_dword v[8:9], v10, off
	v_mov_b32_e32 v8, 0
	v_mov_b32_e32 v9, 0
	s_cbranch_vccnz .LBB85_70
; %bb.69:
	v_lshl_add_u64 v[10:11], v[28:29], 2, v[4:5]
	flat_load_dword v9, v[10:11]
	s_waitcnt vmcnt(0) lgkmcnt(0)
	v_mul_f32_e32 v9, s12, v9
.LBB85_70:
	v_min_f32_e32 v11, v93, v6
	v_min_f32_e32 v10, v92, v7
	v_pk_add_f32 v[10:11], v[10:11], v[56:57]
	v_min_f32_e32 v13, v27, v3
	v_min_f32_e32 v12, v26, v2
	v_pk_add_f32 v[10:11], v[12:13], v[10:11]
	s_and_b64 vcc, exec, s[0:1]
	v_add_f32_e32 v10, v10, v11
	v_add_f32_e32 v9, v10, v9
	v_lshl_add_u64 v[10:11], v[28:29], 2, v[0:1]
	global_store_dword v[10:11], v9, off
	s_cbranch_vccnz .LBB85_72
; %bb.71:
	v_lshl_add_u64 v[8:9], v[24:25], 2, v[4:5]
	flat_load_dword v8, v[8:9]
	s_waitcnt vmcnt(0) lgkmcnt(0)
	v_mul_f32_e32 v8, s12, v8
.LBB85_72:
	v_min_f32_e32 v11, v97, v6
	v_min_f32_e32 v10, v96, v7
	v_pk_add_f32 v[10:11], v[10:11], v[60:61]
	v_min_f32_e32 v13, v23, v3
	v_min_f32_e32 v12, v22, v2
	v_pk_add_f32 v[10:11], v[12:13], v[10:11]
	v_min_f32_e32 v13, v116, v3
	v_add_f32_e32 v9, v10, v11
	v_min_f32_e32 v11, v101, v6
	v_min_f32_e32 v10, v99, v7
	v_pk_add_f32 v[10:11], v[10:11], v[104:105]
	v_min_f32_e32 v12, v100, v2
	v_pk_add_f32 v[10:11], v[12:13], v[10:11]
	v_add_f32_e32 v12, v9, v8
	v_lshl_add_u64 v[8:9], v[24:25], 2, v[0:1]
	global_store_dword v[8:9], v12, off
	v_add_f32_e32 v8, v10, v11
	s_mov_b64 vcc, s[4:5]
	s_cbranch_vccz .LBB85_75
; %bb.73:
	v_add_f32_e32 v9, 0, v8
	v_lshl_add_u64 v[10:11], v[20:21], 2, v[0:1]
	s_mov_b32 s2, 0
	global_store_dword v[10:11], v9, off
	s_cbranch_execz .LBB85_76
; %bb.74:
	v_mov_b32_e32 v4, s2
	s_branch .LBB85_77
.LBB85_75:
                                        ; implicit-def: $sgpr2
.LBB85_76:
	v_lshlrev_b64 v[10:11], 2, v[20:21]
	v_lshl_add_u64 v[12:13], v[4:5], 0, v[10:11]
	flat_load_dword v9, v[12:13]
	v_lshl_add_u64 v[10:11], v[0:1], 0, v[10:11]
	v_lshl_add_u64 v[4:5], v[16:17], 2, v[4:5]
	s_waitcnt vmcnt(0) lgkmcnt(0)
	v_fmac_f32_e32 v8, s12, v9
	global_store_dword v[10:11], v8, off
	flat_load_dword v4, v[4:5]
	s_waitcnt vmcnt(0) lgkmcnt(0)
	v_mul_f32_e32 v4, s12, v4
.LBB85_77:
	v_min_f32_e32 v9, v18, v6
	v_min_f32_e32 v8, v19, v7
	v_min_f32_e32 v3, v15, v3
	v_min_f32_e32 v2, v14, v2
	v_pk_add_f32 v[6:7], v[8:9], v[102:103]
	v_lshl_add_u64 v[0:1], v[16:17], 2, v[0:1]
	v_pk_add_f32 v[2:3], v[2:3], v[6:7]
	s_nop 0
	v_add_f32_e32 v2, v2, v3
	v_add_f32_e32 v2, v2, v4
	global_store_dword v[0:1], v2, off
	s_endpgm
	.section	.rodata,"a",@progbits
	.p2align	6, 0x0
	.amdhsa_kernel _ZN12_GLOBAL__N_120geam_min_plus_kernelIf15HIP_vector_typeIfLj2EES2_Li8ELi32ELi64ELi128ELi4ELi4ELi64ELi4ELi64ELc84ELc78ELb1ELb0ELb0EfKffEEviiiT16_PT17_ilS6_ilS4_S6_ilPT18_ili26rocblas_geam_ex_operation_
		.amdhsa_group_segment_fixed_size 6144
		.amdhsa_private_segment_fixed_size 0
		.amdhsa_kernarg_size 128
		.amdhsa_user_sgpr_count 2
		.amdhsa_user_sgpr_dispatch_ptr 0
		.amdhsa_user_sgpr_queue_ptr 0
		.amdhsa_user_sgpr_kernarg_segment_ptr 1
		.amdhsa_user_sgpr_dispatch_id 0
		.amdhsa_user_sgpr_kernarg_preload_length 0
		.amdhsa_user_sgpr_kernarg_preload_offset 0
		.amdhsa_user_sgpr_private_segment_size 0
		.amdhsa_uses_dynamic_stack 0
		.amdhsa_enable_private_segment 0
		.amdhsa_system_sgpr_workgroup_id_x 1
		.amdhsa_system_sgpr_workgroup_id_y 0
		.amdhsa_system_sgpr_workgroup_id_z 1
		.amdhsa_system_sgpr_workgroup_info 0
		.amdhsa_system_vgpr_workitem_id 1
		.amdhsa_next_free_vgpr 162
		.amdhsa_next_free_sgpr 24
		.amdhsa_accum_offset 164
		.amdhsa_reserve_vcc 1
		.amdhsa_float_round_mode_32 0
		.amdhsa_float_round_mode_16_64 0
		.amdhsa_float_denorm_mode_32 3
		.amdhsa_float_denorm_mode_16_64 3
		.amdhsa_dx10_clamp 1
		.amdhsa_ieee_mode 1
		.amdhsa_fp16_overflow 0
		.amdhsa_tg_split 0
		.amdhsa_exception_fp_ieee_invalid_op 0
		.amdhsa_exception_fp_denorm_src 0
		.amdhsa_exception_fp_ieee_div_zero 0
		.amdhsa_exception_fp_ieee_overflow 0
		.amdhsa_exception_fp_ieee_underflow 0
		.amdhsa_exception_fp_ieee_inexact 0
		.amdhsa_exception_int_div_zero 0
	.end_amdhsa_kernel
	.section	.text._ZN12_GLOBAL__N_120geam_min_plus_kernelIf15HIP_vector_typeIfLj2EES2_Li8ELi32ELi64ELi128ELi4ELi4ELi64ELi4ELi64ELc84ELc78ELb1ELb0ELb0EfKffEEviiiT16_PT17_ilS6_ilS4_S6_ilPT18_ili26rocblas_geam_ex_operation_,"axG",@progbits,_ZN12_GLOBAL__N_120geam_min_plus_kernelIf15HIP_vector_typeIfLj2EES2_Li8ELi32ELi64ELi128ELi4ELi4ELi64ELi4ELi64ELc84ELc78ELb1ELb0ELb0EfKffEEviiiT16_PT17_ilS6_ilS4_S6_ilPT18_ili26rocblas_geam_ex_operation_,comdat
.Lfunc_end85:
	.size	_ZN12_GLOBAL__N_120geam_min_plus_kernelIf15HIP_vector_typeIfLj2EES2_Li8ELi32ELi64ELi128ELi4ELi4ELi64ELi4ELi64ELc84ELc78ELb1ELb0ELb0EfKffEEviiiT16_PT17_ilS6_ilS4_S6_ilPT18_ili26rocblas_geam_ex_operation_, .Lfunc_end85-_ZN12_GLOBAL__N_120geam_min_plus_kernelIf15HIP_vector_typeIfLj2EES2_Li8ELi32ELi64ELi128ELi4ELi4ELi64ELi4ELi64ELc84ELc78ELb1ELb0ELb0EfKffEEviiiT16_PT17_ilS6_ilS4_S6_ilPT18_ili26rocblas_geam_ex_operation_
                                        ; -- End function
	.section	.AMDGPU.csdata,"",@progbits
; Kernel info:
; codeLenInByte = 8500
; NumSgprs: 30
; NumVgprs: 162
; NumAgprs: 0
; TotalNumVgprs: 162
; ScratchSize: 0
; MemoryBound: 0
; FloatMode: 240
; IeeeMode: 1
; LDSByteSize: 6144 bytes/workgroup (compile time only)
; SGPRBlocks: 3
; VGPRBlocks: 20
; NumSGPRsForWavesPerEU: 30
; NumVGPRsForWavesPerEU: 162
; AccumOffset: 164
; Occupancy: 3
; WaveLimiterHint : 0
; COMPUTE_PGM_RSRC2:SCRATCH_EN: 0
; COMPUTE_PGM_RSRC2:USER_SGPR: 2
; COMPUTE_PGM_RSRC2:TRAP_HANDLER: 0
; COMPUTE_PGM_RSRC2:TGID_X_EN: 1
; COMPUTE_PGM_RSRC2:TGID_Y_EN: 0
; COMPUTE_PGM_RSRC2:TGID_Z_EN: 1
; COMPUTE_PGM_RSRC2:TIDIG_COMP_CNT: 1
; COMPUTE_PGM_RSRC3_GFX90A:ACCUM_OFFSET: 40
; COMPUTE_PGM_RSRC3_GFX90A:TG_SPLIT: 0
	.section	.text._ZN12_GLOBAL__N_120geam_min_plus_kernelIf15HIP_vector_typeIfLj2EES2_Li8ELi32ELi64ELi128ELi4ELi4ELi64ELi4ELi64ELc84ELc78ELb0ELb0ELb0EfKffEEviiiT16_PT17_ilS6_ilS4_S6_ilPT18_ili26rocblas_geam_ex_operation_,"axG",@progbits,_ZN12_GLOBAL__N_120geam_min_plus_kernelIf15HIP_vector_typeIfLj2EES2_Li8ELi32ELi64ELi128ELi4ELi4ELi64ELi4ELi64ELc84ELc78ELb0ELb0ELb0EfKffEEviiiT16_PT17_ilS6_ilS4_S6_ilPT18_ili26rocblas_geam_ex_operation_,comdat
	.globl	_ZN12_GLOBAL__N_120geam_min_plus_kernelIf15HIP_vector_typeIfLj2EES2_Li8ELi32ELi64ELi128ELi4ELi4ELi64ELi4ELi64ELc84ELc78ELb0ELb0ELb0EfKffEEviiiT16_PT17_ilS6_ilS4_S6_ilPT18_ili26rocblas_geam_ex_operation_ ; -- Begin function _ZN12_GLOBAL__N_120geam_min_plus_kernelIf15HIP_vector_typeIfLj2EES2_Li8ELi32ELi64ELi128ELi4ELi4ELi64ELi4ELi64ELc84ELc78ELb0ELb0ELb0EfKffEEviiiT16_PT17_ilS6_ilS4_S6_ilPT18_ili26rocblas_geam_ex_operation_
	.p2align	8
	.type	_ZN12_GLOBAL__N_120geam_min_plus_kernelIf15HIP_vector_typeIfLj2EES2_Li8ELi32ELi64ELi128ELi4ELi4ELi64ELi4ELi64ELc84ELc78ELb0ELb0ELb0EfKffEEviiiT16_PT17_ilS6_ilS4_S6_ilPT18_ili26rocblas_geam_ex_operation_,@function
_ZN12_GLOBAL__N_120geam_min_plus_kernelIf15HIP_vector_typeIfLj2EES2_Li8ELi32ELi64ELi128ELi4ELi4ELi64ELi4ELi64ELc84ELc78ELb0ELb0ELb0EfKffEEviiiT16_PT17_ilS6_ilS4_S6_ilPT18_ili26rocblas_geam_ex_operation_: ; @_ZN12_GLOBAL__N_120geam_min_plus_kernelIf15HIP_vector_typeIfLj2EES2_Li8ELi32ELi64ELi128ELi4ELi4ELi64ELi4ELi64ELc84ELc78ELb0ELb0ELb0EfKffEEviiiT16_PT17_ilS6_ilS4_S6_ilPT18_ili26rocblas_geam_ex_operation_
; %bb.0:
	s_load_dwordx2 s[14:15], s[0:1], 0x8
	s_load_dwordx4 s[4:7], s[0:1], 0x20
	s_waitcnt lgkmcnt(0)
	v_cmp_eq_f32_e64 s[8:9], s15, 0
	s_and_b64 vcc, exec, s[8:9]
	s_cbranch_vccnz .LBB86_3
; %bb.1:
	s_load_dwordx2 s[10:11], s[0:1], 0x10
	s_mul_i32 s5, s3, s5
	s_mul_hi_u32 s12, s3, s4
	s_add_i32 s5, s12, s5
	s_mul_i32 s4, s3, s4
	s_lshl_b64 s[4:5], s[4:5], 2
	s_waitcnt lgkmcnt(0)
	s_add_u32 s16, s10, s4
	s_addc_u32 s17, s11, s5
	s_andn2_b64 vcc, exec, s[8:9]
	s_cbranch_vccnz .LBB86_4
.LBB86_2:
	s_mov_b32 s13, 0
	s_mov_b64 s[18:19], 0
	s_cbranch_execz .LBB86_5
	s_branch .LBB86_6
.LBB86_3:
	s_mov_b64 s[16:17], 0
	s_andn2_b64 vcc, exec, s[8:9]
	s_cbranch_vccz .LBB86_2
.LBB86_4:
                                        ; implicit-def: $sgpr18_sgpr19
                                        ; implicit-def: $sgpr12_sgpr13
.LBB86_5:
	s_load_dwordx2 s[4:5], s[0:1], 0x38
	s_mov_b32 s13, 0
	s_waitcnt lgkmcnt(0)
	s_mul_i32 s5, s3, s5
	s_mul_hi_u32 s8, s3, s4
	s_add_i32 s5, s8, s5
	s_mul_i32 s4, s3, s4
	s_lshl_b64 s[4:5], s[4:5], 2
	s_add_u32 s18, s6, s4
	s_addc_u32 s19, s7, s5
.LBB86_6:
	s_load_dword s12, s[0:1], 0x40
	s_load_dwordx4 s[8:11], s[0:1], 0x58
	v_cmp_neq_f32_e64 s[20:21], s15, 0
	s_waitcnt lgkmcnt(0)
	v_cmp_eq_f32_e64 s[4:5], s12, 0
	s_and_b64 s[6:7], exec, s[4:5]
	s_mov_b64 vcc, s[6:7]
	s_cbranch_vccnz .LBB86_8
; %bb.7:
	s_load_dwordx2 s[4:5], s[0:1], 0x48
	s_mul_i32 s9, s3, s9
	s_mul_hi_u32 s22, s3, s8
	s_add_i32 s9, s22, s9
	s_mul_i32 s22, s13, s8
	s_add_i32 s9, s9, s22
	s_mul_i32 s8, s3, s8
	s_lshl_b64 s[8:9], s[8:9], 2
	s_waitcnt lgkmcnt(0)
	s_add_u32 s8, s4, s8
	s_addc_u32 s9, s5, s9
	s_branch .LBB86_9
.LBB86_8:
	s_mov_b64 s[8:9], 0
.LBB86_9:
	s_load_dword s4, s[0:1], 0x0
	s_load_dword s22, s[0:1], 0x18
	v_and_b32_e32 v206, 0x3ff, v0
	v_bfe_u32 v207, v0, 10, 10
	v_lshl_add_u32 v2, v207, 3, v206
	s_waitcnt lgkmcnt(0)
	s_add_i32 s4, s4, -1
	s_ashr_i32 s5, s4, 31
	s_lshr_b32 s5, s5, 26
	s_add_i32 s4, s4, s5
	s_ashr_i32 s23, s4, 6
	s_add_i32 s25, s23, 1
	v_cvt_f32_u32_e32 v1, s25
	s_not_b32 s23, s23
	v_and_b32_e32 v3, 3, v206
	v_lshrrev_b32_e32 v8, 2, v2
	v_rcp_iflag_f32_e32 v0, v1
	v_cndmask_b32_e64 v1, 0, 1, s[20:21]
	v_cmp_ne_u32_e64 s[4:5], 1, v1
	v_lshlrev_b32_e32 v48, 2, v3
	v_mul_f32_e32 v0, 0x4f7ffffe, v0
	v_cvt_u32_f32_e32 v0, v0
	s_nop 0
	v_readfirstlane_b32 s24, v0
	s_mul_i32 s23, s23, s24
	s_mul_hi_u32 s23, s24, s23
	s_add_i32 s24, s24, s23
	s_mul_hi_u32 s23, s2, s24
	s_mul_i32 s24, s23, s25
	s_sub_i32 s24, s2, s24
	s_add_i32 s26, s23, 1
	s_sub_i32 s27, s24, s25
	s_cmp_ge_u32 s24, s25
	s_cselect_b32 s23, s26, s23
	s_cselect_b32 s24, s27, s24
	s_add_i32 s26, s23, 1
	s_cmp_ge_u32 s24, s25
	s_cselect_b32 s24, s26, s23
	s_andn2_b64 vcc, exec, s[20:21]
	s_mul_i32 s20, s24, s25
	s_sub_i32 s2, s2, s20
	s_lshl_b32 s2, s2, 6
	v_add_u32_e32 v4, s2, v8
	s_cbranch_vccnz .LBB86_11
; %bb.10:
	v_mad_i64_i32 v[0:1], s[20:21], v4, s22, 0
	v_lshl_add_u64 v[0:1], v[0:1], 2, s[16:17]
	v_mov_b32_e32 v49, 0
	v_lshl_add_u64 v[0:1], v[0:1], 0, v[48:49]
	flat_load_dword v0, v[0:1]
	s_waitcnt vmcnt(0) lgkmcnt(0)
	v_mul_f32_e32 v9, s15, v0
	s_branch .LBB86_12
.LBB86_11:
	v_mov_b32_e32 v9, 0
.LBB86_12:
	s_load_dword s23, s[0:1], 0x30
	s_lshl_b32 s20, s24, 7
	v_add_u32_e32 v5, s20, v8
	s_and_b64 vcc, exec, s[4:5]
	v_add_u32_e32 v6, 64, v5
	s_cbranch_vccnz .LBB86_16
; %bb.13:
	v_mov_b32_e32 v49, 0
	v_lshl_add_u64 v[0:1], s[18:19], 0, v[48:49]
	s_waitcnt lgkmcnt(0)
	v_mad_i64_i32 v[2:3], s[24:25], v5, s23, 0
	v_lshl_add_u64 v[2:3], v[2:3], 2, v[0:1]
	v_mad_i64_i32 v[10:11], s[24:25], v6, s23, 0
	v_lshl_add_u64 v[0:1], v[10:11], 2, v[0:1]
	flat_load_dword v10, v[2:3]
	flat_load_dword v11, v[0:1]
	s_mov_b32 s24, s15
	s_waitcnt vmcnt(0) lgkmcnt(0)
	v_pk_mul_f32 v[2:3], v[10:11], s[24:25] op_sel_hi:[1,0]
	s_and_b64 vcc, exec, s[4:5]
	s_cbranch_vccnz .LBB86_17
.LBB86_14:
	v_mad_i64_i32 v[0:1], s[24:25], v4, s22, 0
	v_lshl_add_u64 v[0:1], v[0:1], 2, s[16:17]
	v_mov_b32_e32 v49, 0
	v_lshl_add_u64 v[0:1], v[0:1], 0, v[48:49]
	flat_load_dword v0, v[0:1] offset:16
	s_waitcnt vmcnt(0) lgkmcnt(0)
	v_mul_f32_e32 v7, s15, v0
	s_and_b64 vcc, exec, s[4:5]
	s_cbranch_vccnz .LBB86_18
.LBB86_15:
	v_mov_b32_e32 v49, 0
	v_lshl_add_u64 v[0:1], s[18:19], 0, v[48:49]
	s_waitcnt lgkmcnt(0)
	v_mad_i64_i32 v[10:11], s[24:25], v5, s23, 0
	v_lshl_add_u64 v[10:11], v[10:11], 2, v[0:1]
	v_mad_i64_i32 v[12:13], s[24:25], v6, s23, 0
	v_lshl_add_u64 v[0:1], v[12:13], 2, v[0:1]
	flat_load_dword v12, v[10:11] offset:16
	flat_load_dword v13, v[0:1] offset:16
	s_mov_b32 s24, s15
	s_waitcnt vmcnt(0) lgkmcnt(0)
	v_pk_mul_f32 v[0:1], v[12:13], s[24:25] op_sel_hi:[1,0]
	s_branch .LBB86_19
.LBB86_16:
	v_mov_b32_e32 v2, 0
	v_mov_b32_e32 v3, 0
	s_and_b64 vcc, exec, s[4:5]
	s_cbranch_vccz .LBB86_14
.LBB86_17:
	v_mov_b32_e32 v7, 0
	s_and_b64 vcc, exec, s[4:5]
	s_cbranch_vccz .LBB86_15
.LBB86_18:
	v_mov_b32_e32 v0, 0
	v_mov_b32_e32 v1, 0
.LBB86_19:
	v_lshl_or_b32 v210, v8, 4, v48
	v_lshlrev_b32_e32 v209, 4, v207
	ds_write_b32 v210, v9 offset:4096
	ds_write2st64_b32 v210, v2, v3 offset1:4
	s_waitcnt lgkmcnt(0)
	s_barrier
	ds_read_b128 v[8:11], v209
	v_lshlrev_b32_e32 v208, 4, v206
	ds_read_b128 v[12:15], v208 offset:4992
	ds_read_b128 v[16:19], v209 offset:512
	;; [unrolled: 1-line block ×5, first 2 shown]
	s_waitcnt lgkmcnt(5)
	v_max_f32_e32 v49, v9, v9
	v_max_f32_e32 v54, v8, v8
	ds_read_b128 v[32:35], v208 offset:4096
	ds_read_b128 v[36:39], v208 offset:4224
	v_max_f32_e32 v106, v11, v11
	v_max_f32_e32 v107, v10, v10
	ds_read_b128 v[8:11], v208 offset:4352
	s_waitcnt lgkmcnt(7)
	v_max_f32_e32 v58, v13, v13
	v_max_f32_e32 v59, v12, v12
	s_waitcnt lgkmcnt(6)
	v_max_f32_e32 v56, v17, v17
	v_max_f32_e32 v57, v16, v16
	s_waitcnt lgkmcnt(3)
	v_max_f32_e32 v61, v28, v28
	s_waitcnt lgkmcnt(2)
	v_max_f32_e32 v28, v32, v32
	v_max_f32_e32 v120, v15, v15
	v_max_f32_e32 v121, v14, v14
	ds_read_b128 v[12:15], v208 offset:4480
	v_max_f32_e32 v122, v19, v19
	v_max_f32_e32 v123, v18, v18
	s_waitcnt lgkmcnt(1)
	v_max_f32_e32 v32, v8, v8
	v_max_f32_e32 v125, v30, v30
	;; [unrolled: 1-line block ×4, first 2 shown]
	ds_read_b128 v[16:19], v208 offset:4608
	v_max_f32_e32 v75, v11, v11
	ds_read_b128 v[8:11], v208 offset:4736
	v_max_f32_e32 v60, v29, v29
	v_max_f32_e32 v62, v25, v25
	;; [unrolled: 1-line block ×4, first 2 shown]
	s_waitcnt lgkmcnt(0)
	v_max_f32_e32 v52, v8, v8
	v_max_f32_e32 v53, v9, v9
	v_max_f32_e32 v24, v36, v36
	v_max_f32_e32 v25, v37, v37
	v_max_f32_e32 v36, v12, v12
	v_max_f32_e32 v37, v13, v13
	v_max_f32_e32 v44, v16, v16
	v_max_f32_e32 v45, v17, v17
	v_max_f32_e32 v72, v20, v20
	v_max_f32_e32 v73, v21, v21
	v_min_f32_e32 v46, v52, v54
	v_min_f32_e32 v47, v53, v49
	;; [unrolled: 1-line block ×10, first 2 shown]
	v_max_f32_e32 v126, v27, v27
	v_max_f32_e32 v127, v26, v26
	;; [unrolled: 1-line block ×11, first 2 shown]
	v_min_f32_e32 v2, v28, v54
	v_min_f32_e32 v3, v29, v49
	;; [unrolled: 1-line block ×39, first 2 shown]
	v_pk_add_f32 v[52:53], v[52:53], 0 op_sel_hi:[1,0]
	v_min_f32_e32 v59, v120, v106
	v_min_f32_e32 v58, v121, v107
	v_max_f32_e32 v124, v31, v31
	v_pk_add_f32 v[90:91], v[58:59], v[52:53]
	v_pk_add_f32 v[52:53], v[54:55], 0 op_sel_hi:[1,0]
	v_min_f32_e32 v55, v120, v122
	v_min_f32_e32 v54, v121, v123
	v_max_f32_e32 v68, v34, v34
	v_max_f32_e32 v69, v35, v35
	v_pk_add_f32 v[76:77], v[54:55], v[52:53]
	v_pk_add_f32 v[52:53], v[56:57], 0 op_sel_hi:[1,0]
	v_min_f32_e32 v55, v120, v124
	v_min_f32_e32 v54, v121, v125
	v_max_f32_e32 v71, v39, v39
	v_min_f32_e32 v31, v37, v49
	v_min_f32_e32 v34, v36, v61
	;; [unrolled: 1-line block ×12, first 2 shown]
	v_pk_add_f32 v[62:63], v[54:55], v[52:53]
	v_pk_add_f32 v[2:3], v[2:3], 0 op_sel_hi:[1,0]
	v_min_f32_e32 v52, v68, v107
	v_min_f32_e32 v53, v69, v106
	v_pk_add_f32 v[118:119], v[52:53], v[2:3]
	v_pk_add_f32 v[2:3], v[8:9], 0 op_sel_hi:[1,0]
	v_min_f32_e32 v8, v68, v123
	v_min_f32_e32 v9, v69, v122
	;; [unrolled: 4-line block ×3, first 2 shown]
	v_min_f32_e32 v83, v73, v49
	v_min_f32_e32 v100, v72, v61
	;; [unrolled: 1-line block ×3, first 2 shown]
	v_pk_add_f32 v[72:73], v[8:9], v[2:3]
	v_min_f32_e32 v3, v69, v126
	v_min_f32_e32 v2, v68, v127
	v_pk_add_f32 v[8:9], v[12:13], 0 op_sel_hi:[1,0]
	s_cmp_lt_i32 s14, 9
	v_pk_add_f32 v[58:59], v[2:3], v[8:9]
	v_pk_add_f32 v[2:3], v[14:15], 0 op_sel_hi:[1,0]
	v_min_f32_e32 v8, v70, v107
	v_min_f32_e32 v9, v71, v106
	v_pk_add_f32 v[116:117], v[8:9], v[2:3]
	v_pk_add_f32 v[2:3], v[16:17], 0 op_sel_hi:[1,0]
	v_min_f32_e32 v8, v70, v123
	v_min_f32_e32 v9, v71, v122
	;; [unrolled: 4-line block ×3, first 2 shown]
	v_pk_add_f32 v[68:69], v[8:9], v[2:3]
	v_min_f32_e32 v3, v71, v126
	v_min_f32_e32 v2, v70, v127
	v_pk_add_f32 v[8:9], v[20:21], 0 op_sel_hi:[1,0]
	ds_write2st64_b32 v210, v0, v1 offset0:8 offset1:12
	ds_write_b32 v210, v7 offset:5120
	v_pk_add_f32 v[52:53], v[2:3], v[8:9]
	v_pk_add_f32 v[2:3], v[22:23], 0 op_sel_hi:[1,0]
	v_min_f32_e32 v8, v74, v107
	v_min_f32_e32 v9, v75, v106
	v_pk_add_f32 v[114:115], v[8:9], v[2:3]
	v_pk_add_f32 v[2:3], v[24:25], 0 op_sel_hi:[1,0]
	v_min_f32_e32 v8, v74, v123
	v_min_f32_e32 v9, v75, v122
	;; [unrolled: 4-line block ×3, first 2 shown]
	v_pk_add_f32 v[70:71], v[8:9], v[2:3]
	v_min_f32_e32 v3, v75, v126
	v_min_f32_e32 v2, v74, v127
	v_pk_add_f32 v[8:9], v[28:29], 0 op_sel_hi:[1,0]
	s_waitcnt lgkmcnt(0)
	v_pk_add_f32 v[54:55], v[2:3], v[8:9]
	v_pk_add_f32 v[2:3], v[30:31], 0 op_sel_hi:[1,0]
	v_min_f32_e32 v8, v78, v107
	v_min_f32_e32 v9, v79, v106
	v_pk_add_f32 v[112:113], v[8:9], v[2:3]
	v_pk_add_f32 v[2:3], v[32:33], 0 op_sel_hi:[1,0]
	v_min_f32_e32 v8, v78, v123
	v_min_f32_e32 v9, v79, v122
	;; [unrolled: 4-line block ×3, first 2 shown]
	v_pk_add_f32 v[74:75], v[8:9], v[2:3]
	v_min_f32_e32 v3, v79, v126
	v_min_f32_e32 v2, v78, v127
	v_pk_add_f32 v[8:9], v[36:37], 0 op_sel_hi:[1,0]
	s_barrier
	v_pk_add_f32 v[56:57], v[2:3], v[8:9]
	v_pk_add_f32 v[2:3], v[38:39], 0 op_sel_hi:[1,0]
	v_min_f32_e32 v8, v80, v107
	v_min_f32_e32 v9, v81, v106
	v_pk_add_f32 v[110:111], v[8:9], v[2:3]
	v_pk_add_f32 v[2:3], v[40:41], 0 op_sel_hi:[1,0]
	v_min_f32_e32 v8, v80, v123
	v_min_f32_e32 v9, v81, v122
	;; [unrolled: 4-line block ×3, first 2 shown]
	v_pk_add_f32 v[78:79], v[8:9], v[2:3]
	v_min_f32_e32 v3, v81, v126
	v_min_f32_e32 v2, v80, v127
	v_pk_add_f32 v[8:9], v[44:45], 0 op_sel_hi:[1,0]
	s_nop 0
	v_pk_add_f32 v[60:61], v[2:3], v[8:9]
	v_pk_add_f32 v[2:3], v[46:47], 0 op_sel_hi:[1,0]
	v_min_f32_e32 v8, v128, v107
	v_min_f32_e32 v9, v129, v106
	v_pk_add_f32 v[108:109], v[8:9], v[2:3]
	v_pk_add_f32 v[2:3], v[50:51], 0 op_sel_hi:[1,0]
	v_min_f32_e32 v8, v128, v123
	v_min_f32_e32 v9, v129, v122
	;; [unrolled: 4-line block ×3, first 2 shown]
	v_pk_add_f32 v[80:81], v[8:9], v[2:3]
	v_min_f32_e32 v3, v129, v126
	v_min_f32_e32 v2, v128, v127
	v_pk_add_f32 v[8:9], v[66:67], 0 op_sel_hi:[1,0]
	s_nop 0
	v_pk_add_f32 v[64:65], v[2:3], v[8:9]
	v_min_f32_e32 v2, v130, v107
	v_min_f32_e32 v3, v131, v106
	v_pk_add_f32 v[8:9], v[82:83], 0 op_sel_hi:[1,0]
	s_nop 0
	;; [unrolled: 5-line block ×6, first 2 shown]
	v_pk_add_f32 v[50:51], v[2:3], v[8:9]
	s_cbranch_scc1 .LBB86_33
; %bb.20:
	v_mad_i64_i32 v[0:1], s[24:25], v4, s22, 0
	v_lshl_add_u64 v[100:101], v[0:1], 2, s[16:17]
	v_mov_b32_e32 v0, 0x1400
	v_lshl_add_u32 v215, v206, 4, v0
	v_mov_b32_e32 v0, 0x800
	v_lshl_add_u32 v216, v207, 4, v0
	v_mad_i64_i32 v[0:1], s[16:17], s23, v6, 0
	v_lshl_add_u64 v[102:103], v[0:1], 2, s[18:19]
	v_mad_i64_i32 v[0:1], s[16:17], s23, v5, 0
	v_add_u32_e32 v211, 0x1000, v210
	v_add_u32_e32 v212, 0x1000, v208
	;; [unrolled: 1-line block ×4, first 2 shown]
	s_add_i32 s21, s14, -8
	s_mov_b32 s14, s15
	v_mov_b32_e32 v49, 0
	v_lshl_add_u64 v[104:105], v[0:1], 2, s[18:19]
	s_mov_b32 s16, 0
	s_branch .LBB86_23
.LBB86_21:                              ;   in Loop: Header=BB86_23 Depth=1
	flat_load_dword v16, v[120:121] offset:48
	flat_load_dword v17, v[122:123] offset:48
	s_waitcnt vmcnt(0) lgkmcnt(0)
	v_pk_mul_f32 v[16:17], v[16:17], s[14:15]
.LBB86_22:                              ;   in Loop: Header=BB86_23 Depth=1
	v_pk_add_f32 v[40:41], v[40:41], v[90:91]
	v_pk_add_f32 v[32:33], v[32:33], v[62:63]
	;; [unrolled: 1-line block ×32, first 2 shown]
	ds_read_b128 v[0:3], v209
	ds_read_b128 v[8:11], v209 offset:512
	v_pk_add_f32 v[22:23], v[6:7], v[82:83]
	ds_read_b128 v[4:7], v212 offset:896
	ds_read_b128 v[12:15], v212 offset:768
	;; [unrolled: 1-line block ×4, first 2 shown]
	v_pk_add_f32 v[90:91], v[132:133], v[70:71]
	v_pk_add_f32 v[92:93], v[140:141], v[92:93]
	;; [unrolled: 1-line block ×6, first 2 shown]
	ds_read_b128 v[90:93], v212
	v_pk_add_f32 v[36:37], v[36:37], v[76:77]
	v_pk_add_f32 v[112:113], v[142:143], v[112:113]
	;; [unrolled: 1-line block ×9, first 2 shown]
	s_waitcnt lgkmcnt(4)
	v_max_f32_e32 v113, v5, v5
	v_max_f32_e32 v115, v4, v4
	v_max_f32_e32 v116, v9, v9
	v_max_f32_e32 v117, v8, v8
	s_waitcnt lgkmcnt(1)
	v_max_f32_e32 v118, v87, v87
	v_max_f32_e32 v119, v86, v86
	v_min_f32_e32 v5, v113, v116
	v_min_f32_e32 v4, v115, v117
	;; [unrolled: 1-line block ×4, first 2 shown]
	v_max_f32_e32 v112, v1, v1
	v_max_f32_e32 v114, v0, v0
	v_pk_add_f32 v[4:5], v[4:5], v[80:81]
	v_pk_add_f32 v[8:9], v[8:9], v[78:79]
	ds_read_b128 v[78:81], v212 offset:128
	s_waitcnt lgkmcnt(1)
	v_max_f32_e32 v90, v90, v90
	v_max_f32_e32 v91, v91, v91
	v_min_f32_e32 v86, v90, v114
	v_min_f32_e32 v87, v91, v112
	v_pk_add_f32 v[94:95], v[146:147], v[94:95]
	v_pk_add_f32 v[86:87], v[86:87], v[72:73]
	v_min_f32_e32 v72, v90, v117
	v_min_f32_e32 v73, v91, v116
	v_pk_add_f32 v[96:97], v[152:153], v[96:97]
	v_pk_add_f32 v[40:41], v[186:187], v[94:95]
	;; [unrolled: 1-line block ×3, first 2 shown]
	v_min_f32_e32 v72, v90, v119
	v_min_f32_e32 v73, v91, v118
	v_pk_add_f32 v[32:33], v[196:197], v[96:97]
	v_pk_add_f32 v[96:97], v[72:73], v[76:77]
	v_max_f32_e32 v76, v83, v83
	v_max_f32_e32 v77, v82, v82
	v_pk_add_f32 v[70:71], v[26:27], v[24:25]
	v_min_f32_e32 v73, v91, v76
	v_min_f32_e32 v72, v90, v77
	s_waitcnt lgkmcnt(0)
	v_max_f32_e32 v74, v78, v78
	v_max_f32_e32 v75, v79, v79
	v_pk_add_f32 v[70:71], v[72:73], v[70:71]
	v_min_f32_e32 v72, v74, v114
	v_min_f32_e32 v73, v75, v112
	v_pk_add_f32 v[78:79], v[72:73], v[64:65]
	v_min_f32_e32 v64, v74, v117
	v_min_f32_e32 v65, v75, v116
	;; [unrolled: 3-line block ×3, first 2 shown]
	v_pk_add_f32 v[68:69], v[64:65], v[68:69]
	ds_read_b128 v[64:67], v212 offset:256
	v_pk_add_f32 v[98:99], v[158:159], v[98:99]
	v_min_f32_e32 v73, v75, v76
	v_min_f32_e32 v72, v74, v77
	v_pk_add_f32 v[24:25], v[202:203], v[98:99]
	v_pk_add_f32 v[98:99], v[72:73], v[62:63]
	ds_read_b128 v[72:75], v212 offset:384
	s_waitcnt lgkmcnt(1)
	v_max_f32_e32 v90, v64, v64
	v_max_f32_e32 v91, v65, v65
	v_min_f32_e32 v62, v90, v114
	v_min_f32_e32 v63, v91, v112
	v_pk_add_f32 v[56:57], v[62:63], v[56:57]
	v_min_f32_e32 v62, v90, v117
	v_min_f32_e32 v63, v91, v116
	v_pk_add_f32 v[54:55], v[138:139], v[54:55]
	v_pk_add_f32 v[106:107], v[160:161], v[106:107]
	;; [unrolled: 1-line block ×3, first 2 shown]
	v_min_f32_e32 v58, v90, v119
	v_min_f32_e32 v59, v91, v118
	v_pk_add_f32 v[54:55], v[178:179], v[54:55]
	v_pk_add_f32 v[26:27], v[204:205], v[106:107]
	;; [unrolled: 1-line block ×3, first 2 shown]
	v_min_f32_e32 v59, v91, v76
	v_min_f32_e32 v58, v90, v77
	s_waitcnt lgkmcnt(0)
	v_max_f32_e32 v62, v72, v72
	v_max_f32_e32 v63, v73, v73
	v_pk_add_f32 v[108:109], v[154:155], v[108:109]
	v_pk_add_f32 v[54:55], v[58:59], v[54:55]
	v_min_f32_e32 v58, v62, v114
	v_min_f32_e32 v59, v63, v112
	v_pk_add_f32 v[30:31], v[198:199], v[108:109]
	v_pk_add_f32 v[108:109], v[58:59], v[46:47]
	ds_read_b128 v[58:61], v212 offset:512
	v_min_f32_e32 v46, v62, v117
	v_min_f32_e32 v47, v63, v116
	v_pk_add_f32 v[110:111], v[148:149], v[110:111]
	v_pk_add_f32 v[50:51], v[46:47], v[50:51]
	v_min_f32_e32 v46, v62, v119
	v_min_f32_e32 v47, v63, v118
	v_pk_add_f32 v[38:39], v[188:189], v[110:111]
	v_pk_add_f32 v[110:111], v[46:47], v[52:53]
	v_min_f32_e32 v47, v63, v76
	v_min_f32_e32 v46, v62, v77
	v_pk_add_f32 v[18:19], v[194:195], v[120:121]
	v_pk_add_f32 v[120:121], v[46:47], v[44:45]
	ds_read_b128 v[44:47], v212 offset:640
	s_waitcnt lgkmcnt(1)
	v_max_f32_e32 v58, v58, v58
	v_max_f32_e32 v59, v59, v59
	v_min_f32_e32 v52, v58, v114
	v_min_f32_e32 v53, v59, v112
	v_pk_add_f32 v[38:39], v[52:53], v[38:39]
	v_min_f32_e32 v52, v58, v117
	v_min_f32_e32 v53, v59, v116
	v_pk_add_f32 v[40:41], v[52:53], v[40:41]
	;; [unrolled: 3-line block ×4, first 2 shown]
	s_waitcnt lgkmcnt(0)
	v_max_f32_e32 v52, v44, v44
	v_max_f32_e32 v53, v45, v45
	v_min_f32_e32 v44, v52, v114
	v_min_f32_e32 v45, v53, v112
	v_pk_add_f32 v[30:31], v[44:45], v[30:31]
	v_min_f32_e32 v44, v52, v117
	v_min_f32_e32 v45, v53, v116
	v_pk_add_f32 v[32:33], v[44:45], v[32:33]
	;; [unrolled: 3-line block ×4, first 2 shown]
	v_max_f32_e32 v44, v12, v12
	v_max_f32_e32 v45, v13, v13
	v_min_f32_e32 v12, v44, v114
	v_min_f32_e32 v13, v45, v112
	v_pk_add_f32 v[12:13], v[12:13], v[26:27]
	v_min_f32_e32 v26, v44, v117
	v_min_f32_e32 v27, v45, v116
	v_pk_add_f32 v[24:25], v[26:27], v[24:25]
	v_min_f32_e32 v26, v44, v119
	v_min_f32_e32 v27, v45, v118
	v_pk_add_f32 v[20:21], v[26:27], v[20:21]
	v_min_f32_e32 v27, v45, v76
	v_min_f32_e32 v26, v44, v77
	v_pk_add_f32 v[22:23], v[26:27], v[22:23]
	v_min_f32_e32 v27, v113, v76
	v_min_f32_e32 v26, v115, v77
	;; [unrolled: 1-line block ×4, first 2 shown]
	v_pk_add_f32 v[18:19], v[26:27], v[18:19]
	v_max_f32_e32 v26, v3, v3
	v_max_f32_e32 v7, v7, v7
	;; [unrolled: 1-line block ×4, first 2 shown]
	v_pk_add_f32 v[0:1], v[0:1], v[122:123]
	v_min_f32_e32 v3, v7, v26
	v_min_f32_e32 v2, v6, v27
	v_pk_add_f32 v[90:91], v[2:3], v[0:1]
	v_max_f32_e32 v2, v11, v11
	v_max_f32_e32 v3, v10, v10
	v_min_f32_e32 v1, v7, v2
	v_min_f32_e32 v0, v6, v3
	v_pk_add_f32 v[76:77], v[0:1], v[4:5]
	v_max_f32_e32 v4, v89, v89
	v_max_f32_e32 v5, v88, v88
	;; [unrolled: 5-line block ×3, first 2 shown]
	v_min_f32_e32 v0, v8, v27
	v_min_f32_e32 v1, v9, v26
	v_pk_add_f32 v[118:119], v[0:1], v[86:87]
	v_min_f32_e32 v0, v8, v3
	v_min_f32_e32 v1, v9, v2
	v_pk_add_f32 v[88:89], v[0:1], v[94:95]
	v_min_f32_e32 v0, v8, v5
	v_min_f32_e32 v1, v9, v4
	v_max_f32_e32 v10, v85, v85
	v_pk_add_f32 v[72:73], v[0:1], v[96:97]
	v_min_f32_e32 v1, v9, v10
	v_max_f32_e32 v9, v84, v84
	v_min_f32_e32 v0, v8, v9
	v_max_f32_e32 v8, v80, v80
	v_max_f32_e32 v11, v81, v81
	v_pk_add_f32 v[58:59], v[0:1], v[70:71]
	v_min_f32_e32 v0, v8, v27
	v_min_f32_e32 v1, v11, v26
	v_pk_add_f32 v[116:117], v[0:1], v[78:79]
	v_min_f32_e32 v0, v8, v3
	v_min_f32_e32 v1, v11, v2
	v_pk_add_f32 v[84:85], v[0:1], v[82:83]
	v_min_f32_e32 v0, v8, v5
	v_min_f32_e32 v1, v11, v4
	v_pk_add_f32 v[68:69], v[0:1], v[68:69]
	v_min_f32_e32 v1, v11, v10
	v_min_f32_e32 v0, v8, v9
	v_max_f32_e32 v8, v66, v66
	v_max_f32_e32 v11, v67, v67
	v_pk_add_f32 v[52:53], v[0:1], v[98:99]
	v_min_f32_e32 v0, v8, v27
	v_min_f32_e32 v1, v11, v26
	v_pk_add_f32 v[114:115], v[0:1], v[56:57]
	v_min_f32_e32 v0, v8, v3
	v_min_f32_e32 v1, v11, v2
	v_pk_add_f32 v[86:87], v[0:1], v[64:65]
	v_min_f32_e32 v0, v8, v5
	v_min_f32_e32 v1, v11, v4
	v_pk_add_f32 v[70:71], v[0:1], v[106:107]
	v_min_f32_e32 v1, v11, v10
	;; [unrolled: 14-line block ×6, first 2 shown]
	v_min_f32_e32 v0, v8, v9
	v_pk_add_f32 v[66:67], v[0:1], v[22:23]
	v_min_f32_e32 v1, v7, v10
	v_min_f32_e32 v0, v6, v9
	s_add_i32 s16, s16, 8
	v_pk_add_f32 v[50:51], v[0:1], v[18:19]
	v_lshl_add_u64 v[102:103], v[102:103], 0, 32
	v_lshl_add_u64 v[104:105], v[104:105], 0, 32
	s_cmp_ge_i32 s16, s21
	v_lshl_add_u64 v[100:101], v[100:101], 0, 32
	ds_write_b32 v213, v217
	ds_write2st64_b32 v214, v16, v17 offset1:4
	s_waitcnt lgkmcnt(0)
	s_barrier
	s_cbranch_scc1 .LBB86_33
.LBB86_23:                              ; =>This Inner Loop Header: Depth=1
	s_and_b64 vcc, exec, s[4:5]
	v_lshl_add_u64 v[124:125], v[100:101], 0, v[48:49]
	v_mov_b32_e32 v128, 0
	s_cbranch_vccnz .LBB86_25
; %bb.24:                               ;   in Loop: Header=BB86_23 Depth=1
	flat_load_dword v0, v[124:125] offset:32
	s_waitcnt vmcnt(0) lgkmcnt(0)
	v_mul_f32_e32 v128, s15, v0
.LBB86_25:                              ;   in Loop: Header=BB86_23 Depth=1
	s_and_b64 vcc, exec, s[4:5]
	v_lshl_add_u64 v[120:121], v[104:105], 0, v[48:49]
	v_lshl_add_u64 v[122:123], v[102:103], 0, v[48:49]
	s_cbranch_vccnz .LBB86_27
; %bb.26:                               ;   in Loop: Header=BB86_23 Depth=1
	flat_load_dword v0, v[120:121] offset:32
	flat_load_dword v1, v[122:123] offset:32
	s_waitcnt vmcnt(0) lgkmcnt(0)
	v_pk_mul_f32 v[126:127], v[0:1], s[14:15]
	s_branch .LBB86_28
.LBB86_27:                              ;   in Loop: Header=BB86_23 Depth=1
	v_mov_b32_e32 v126, 0
	v_mov_b32_e32 v127, 0
.LBB86_28:                              ;   in Loop: Header=BB86_23 Depth=1
	ds_read_b128 v[40:43], v216
	ds_read_b128 v[36:39], v216 offset:512
	ds_read_b128 v[24:27], v216 offset:1536
	;; [unrolled: 1-line block ×3, first 2 shown]
	ds_read_b128 v[28:31], v215
	ds_read_b128 v[20:23], v215 offset:128
	ds_read_b128 v[16:19], v215 offset:256
	;; [unrolled: 1-line block ×7, first 2 shown]
	s_and_b64 vcc, exec, s[4:5]
	ds_write_b32 v211, v128
	ds_write2st64_b32 v210, v126, v127 offset1:4
	s_waitcnt lgkmcnt(0)
	s_barrier
	s_cbranch_vccnz .LBB86_30
; %bb.29:                               ;   in Loop: Header=BB86_23 Depth=1
	flat_load_dword v124, v[124:125] offset:48
	s_waitcnt vmcnt(0) lgkmcnt(0)
	v_mul_f32_e32 v217, s15, v124
	s_branch .LBB86_31
.LBB86_30:                              ;   in Loop: Header=BB86_23 Depth=1
	v_mov_b32_e32 v217, 0
.LBB86_31:                              ;   in Loop: Header=BB86_23 Depth=1
	v_max_f32_e32 v158, v41, v41
	v_max_f32_e32 v159, v40, v40
	;; [unrolled: 1-line block ×10, first 2 shown]
	v_min_f32_e32 v136, v16, v159
	v_min_f32_e32 v137, v17, v158
	v_min_f32_e32 v134, v16, v163
	v_min_f32_e32 v135, v17, v162
	v_min_f32_e32 v132, v16, v167
	v_min_f32_e32 v133, v17, v165
	v_min_f32_e32 v139, v17, v168
	v_min_f32_e32 v138, v16, v169
	v_max_f32_e32 v16, v12, v12
	v_max_f32_e32 v17, v13, v13
	v_min_f32_e32 v142, v16, v159
	v_min_f32_e32 v143, v17, v158
	v_min_f32_e32 v140, v16, v163
	v_min_f32_e32 v141, v17, v162
	v_min_f32_e32 v12, v16, v167
	v_min_f32_e32 v13, v17, v165
	v_min_f32_e32 v145, v17, v168
	v_min_f32_e32 v144, v16, v169
	v_max_f32_e32 v16, v8, v8
	v_max_f32_e32 v17, v9, v9
	;; [unrolled: 10-line block ×3, first 2 shown]
	v_max_f32_e32 v164, v45, v45
	v_max_f32_e32 v166, v44, v44
	;; [unrolled: 1-line block ×6, first 2 shown]
	v_min_f32_e32 v154, v16, v159
	v_min_f32_e32 v155, v17, v158
	;; [unrolled: 1-line block ×8, first 2 shown]
	v_max_f32_e32 v16, v0, v0
	v_max_f32_e32 v17, v1, v1
	v_min_f32_e32 v41, v164, v158
	v_min_f32_e32 v40, v166, v159
	v_min_f32_e32 v37, v164, v162
	v_min_f32_e32 v124, v126, v159
	v_min_f32_e32 v125, v127, v158
	v_min_f32_e32 v45, v127, v162
	v_min_f32_e32 v29, v127, v165
	v_min_f32_e32 v25, v127, v168
	v_min_f32_e32 v128, v130, v159
	v_min_f32_e32 v129, v131, v158
	v_min_f32_e32 v127, v131, v162
	v_min_f32_e32 v160, v16, v159
	v_min_f32_e32 v161, v17, v158
	v_min_f32_e32 v158, v16, v163
	v_min_f32_e32 v159, v17, v162
	v_min_f32_e32 v0, v16, v167
	v_min_f32_e32 v162, v16, v169
	v_max_f32_e32 v16, v43, v43
	v_max_f32_e32 v194, v42, v42
	;; [unrolled: 1-line block ×10, first 2 shown]
	v_min_f32_e32 v36, v166, v163
	v_min_f32_e32 v33, v164, v165
	;; [unrolled: 1-line block ×14, first 2 shown]
	v_max_f32_e32 v17, v47, v47
	v_max_f32_e32 v218, v46, v46
	;; [unrolled: 1-line block ×12, first 2 shown]
	v_min_f32_e32 v198, v6, v194
	v_min_f32_e32 v199, v7, v16
	;; [unrolled: 1-line block ×8, first 2 shown]
	v_max_f32_e32 v6, v2, v2
	v_max_f32_e32 v7, v3, v3
	v_min_f32_e32 v32, v166, v167
	v_min_f32_e32 v43, v17, v16
	;; [unrolled: 1-line block ×56, first 2 shown]
	s_and_b64 vcc, exec, s[4:5]
	v_min_f32_e32 v194, v218, v222
	s_cbranch_vccz .LBB86_21
; %bb.32:                               ;   in Loop: Header=BB86_23 Depth=1
	v_mov_b32_e32 v16, 0
	v_mov_b32_e32 v17, 0
	s_branch .LBB86_22
.LBB86_33:
	s_load_dword s14, s[0:1], 0x50
	ds_read_b128 v[40:43], v209 offset:2048
	ds_read_b128 v[44:47], v208 offset:5120
	v_add_u32_e32 v102, s20, v207
	v_cmp_neq_f32_e64 s[4:5], s12, 0
	v_add_u32_e32 v48, s2, v206
	s_waitcnt lgkmcnt(0)
	v_mad_i64_i32 v[0:1], s[16:17], v102, s14, 0
	v_ashrrev_i32_e32 v49, 31, v48
	v_lshl_add_u64 v[100:101], v[0:1], 2, s[8:9]
	s_and_b64 vcc, exec, s[4:5]
	v_mov_b32_e32 v105, 0
	v_mov_b32_e32 v104, 0
	s_cbranch_vccz .LBB86_35
; %bb.34:
	v_lshl_add_u64 v[0:1], v[48:49], 2, v[100:101]
	flat_load_dword v0, v[0:1]
	s_waitcnt vmcnt(0) lgkmcnt(0)
	v_mul_f32_e32 v104, s12, v0
.LBB86_35:
	ds_read_b128 v[12:15], v208 offset:6016
	ds_read_b128 v[0:3], v209 offset:3584
	;; [unrolled: 1-line block ×6, first 2 shown]
	s_load_dword s15, s[0:1], 0x68
	s_load_dwordx2 s[16:17], s[0:1], 0x70
	v_max_f32_e32 v120, v40, v40
	v_max_f32_e32 v44, v44, v44
	;; [unrolled: 1-line block ×4, first 2 shown]
	s_waitcnt lgkmcnt(0)
	s_mul_i32 s0, s3, s17
	s_mul_hi_u32 s1, s3, s16
	ds_read_b128 v[28:31], v208 offset:5504
	ds_read_b128 v[24:27], v208 offset:5632
	;; [unrolled: 1-line block ×4, first 2 shown]
	s_add_i32 s0, s1, s0
	s_mul_i32 s1, s13, s16
	v_min_f32_e32 v40, v44, v120
	v_min_f32_e32 v41, v103, v121
	s_add_i32 s1, s0, s1
	s_mul_i32 s0, s3, s16
	v_pk_add_f32 v[40:41], v[40:41], v[118:119]
	v_max_f32_e32 v118, v42, v42
	v_max_f32_e32 v45, v46, v46
	;; [unrolled: 1-line block ×4, first 2 shown]
	s_lshl_b64 s[0:1], s[0:1], 2
	v_min_f32_e32 v42, v45, v118
	v_min_f32_e32 v43, v46, v119
	s_add_u32 s2, s10, s0
	v_pk_add_f32 v[122:123], v[42:43], v[40:41]
	s_addc_u32 s3, s11, s1
	v_mad_i64_i32 v[42:43], s[0:1], v102, s15, 0
	v_add_f32_e32 v47, v122, v123
	v_add_u32_e32 v40, 8, v48
	v_lshl_add_u64 v[42:43], v[42:43], 2, s[2:3]
	v_add_f32_e32 v47, v47, v104
	v_cndmask_b32_e64 v104, 0, 1, s[4:5]
	v_ashrrev_i32_e32 v41, 31, v40
	v_lshl_add_u64 v[122:123], v[48:49], 2, v[42:43]
	v_cmp_ne_u32_e64 s[0:1], 1, v104
	s_andn2_b64 vcc, exec, s[4:5]
	global_store_dword v[122:123], v47, off
	s_cbranch_vccnz .LBB86_37
; %bb.36:
	v_lshl_add_u64 v[104:105], v[40:41], 2, v[100:101]
	flat_load_dword v47, v[104:105]
	s_waitcnt vmcnt(0) lgkmcnt(0)
	v_mul_f32_e32 v105, s12, v47
.LBB86_37:
	v_max_f32_e32 v47, v36, v36
	v_max_f32_e32 v104, v37, v37
	v_min_f32_e32 v36, v47, v120
	v_min_f32_e32 v37, v104, v121
	v_max_f32_e32 v38, v38, v38
	v_max_f32_e32 v39, v39, v39
	v_pk_add_f32 v[36:37], v[36:37], v[116:117]
	v_min_f32_e32 v116, v38, v118
	v_min_f32_e32 v117, v39, v119
	v_pk_add_f32 v[36:37], v[116:117], v[36:37]
	s_and_b64 vcc, exec, s[0:1]
	v_add_f32_e32 v116, v36, v37
	v_add_u32_e32 v36, 16, v48
	v_add_f32_e32 v105, v116, v105
	v_lshl_add_u64 v[116:117], v[40:41], 2, v[42:43]
	v_ashrrev_i32_e32 v37, 31, v36
	global_store_dword v[116:117], v105, off
	v_mov_b32_e32 v117, 0
	v_mov_b32_e32 v122, 0
	s_cbranch_vccnz .LBB86_39
; %bb.38:
	v_lshl_add_u64 v[122:123], v[36:37], 2, v[100:101]
	flat_load_dword v105, v[122:123]
	s_waitcnt vmcnt(0) lgkmcnt(0)
	v_mul_f32_e32 v122, s12, v105
.LBB86_39:
	v_max_f32_e32 v105, v32, v32
	v_max_f32_e32 v116, v33, v33
	v_min_f32_e32 v32, v105, v120
	v_min_f32_e32 v33, v116, v121
	v_max_f32_e32 v34, v34, v34
	v_max_f32_e32 v35, v35, v35
	v_pk_add_f32 v[32:33], v[32:33], v[114:115]
	v_min_f32_e32 v114, v34, v118
	v_min_f32_e32 v115, v35, v119
	v_pk_add_f32 v[32:33], v[114:115], v[32:33]
	s_and_b64 vcc, exec, s[0:1]
	v_add_f32_e32 v114, v32, v33
	v_add_u32_e32 v32, 24, v48
	v_ashrrev_i32_e32 v33, 31, v32
	v_add_f32_e32 v122, v114, v122
	v_lshl_add_u64 v[114:115], v[36:37], 2, v[42:43]
	global_store_dword v[114:115], v122, off
	s_cbranch_vccnz .LBB86_41
; %bb.40:
	v_lshl_add_u64 v[114:115], v[32:33], 2, v[100:101]
	flat_load_dword v114, v[114:115]
	s_waitcnt vmcnt(0) lgkmcnt(0)
	v_mul_f32_e32 v117, s12, v114
.LBB86_41:
	s_waitcnt lgkmcnt(3)
	v_max_f32_e32 v114, v28, v28
	v_max_f32_e32 v115, v29, v29
	v_min_f32_e32 v28, v114, v120
	v_min_f32_e32 v29, v115, v121
	v_max_f32_e32 v30, v30, v30
	v_max_f32_e32 v31, v31, v31
	v_pk_add_f32 v[28:29], v[28:29], v[112:113]
	v_min_f32_e32 v112, v30, v118
	v_min_f32_e32 v113, v31, v119
	v_pk_add_f32 v[28:29], v[112:113], v[28:29]
	s_and_b64 vcc, exec, s[0:1]
	v_add_f32_e32 v112, v28, v29
	v_add_u32_e32 v28, 32, v48
	v_add_f32_e32 v117, v112, v117
	v_lshl_add_u64 v[112:113], v[32:33], 2, v[42:43]
	v_ashrrev_i32_e32 v29, 31, v28
	global_store_dword v[112:113], v117, off
	v_mov_b32_e32 v117, 0
	v_mov_b32_e32 v122, 0
	s_cbranch_vccnz .LBB86_43
; %bb.42:
	v_lshl_add_u64 v[112:113], v[28:29], 2, v[100:101]
	flat_load_dword v112, v[112:113]
	s_waitcnt vmcnt(0) lgkmcnt(0)
	v_mul_f32_e32 v122, s12, v112
.LBB86_43:
	s_waitcnt lgkmcnt(2)
	v_max_f32_e32 v112, v24, v24
	v_max_f32_e32 v113, v25, v25
	v_min_f32_e32 v24, v112, v120
	v_min_f32_e32 v25, v113, v121
	v_max_f32_e32 v26, v26, v26
	v_max_f32_e32 v27, v27, v27
	v_pk_add_f32 v[24:25], v[24:25], v[110:111]
	v_min_f32_e32 v110, v26, v118
	v_min_f32_e32 v111, v27, v119
	v_pk_add_f32 v[24:25], v[110:111], v[24:25]
	s_and_b64 vcc, exec, s[0:1]
	v_add_f32_e32 v110, v24, v25
	v_add_u32_e32 v24, 40, v48
	v_ashrrev_i32_e32 v25, 31, v24
	v_add_f32_e32 v122, v110, v122
	v_lshl_add_u64 v[110:111], v[28:29], 2, v[42:43]
	global_store_dword v[110:111], v122, off
	s_cbranch_vccnz .LBB86_45
; %bb.44:
	v_lshl_add_u64 v[110:111], v[24:25], 2, v[100:101]
	flat_load_dword v110, v[110:111]
	s_waitcnt vmcnt(0) lgkmcnt(0)
	v_mul_f32_e32 v117, s12, v110
.LBB86_45:
	s_waitcnt lgkmcnt(1)
	v_max_f32_e32 v110, v20, v20
	v_max_f32_e32 v111, v21, v21
	v_min_f32_e32 v20, v110, v120
	v_min_f32_e32 v21, v111, v121
	v_max_f32_e32 v22, v22, v22
	v_max_f32_e32 v23, v23, v23
	v_pk_add_f32 v[20:21], v[20:21], v[108:109]
	v_min_f32_e32 v108, v22, v118
	v_min_f32_e32 v109, v23, v119
	v_pk_add_f32 v[20:21], v[108:109], v[20:21]
	s_and_b64 vcc, exec, s[0:1]
	v_add_f32_e32 v108, v20, v21
	v_add_u32_e32 v20, 48, v48
	v_add_f32_e32 v117, v108, v117
	v_lshl_add_u64 v[108:109], v[24:25], 2, v[42:43]
	v_ashrrev_i32_e32 v21, 31, v20
	global_store_dword v[108:109], v117, off
	v_mov_b32_e32 v117, 0
	v_mov_b32_e32 v122, 0
	s_cbranch_vccnz .LBB86_47
; %bb.46:
	v_lshl_add_u64 v[108:109], v[20:21], 2, v[100:101]
	flat_load_dword v108, v[108:109]
	s_waitcnt vmcnt(0) lgkmcnt(0)
	v_mul_f32_e32 v122, s12, v108
.LBB86_47:
	s_waitcnt lgkmcnt(0)
	v_max_f32_e32 v108, v16, v16
	v_max_f32_e32 v109, v17, v17
	v_min_f32_e32 v16, v108, v120
	v_min_f32_e32 v17, v109, v121
	v_pk_add_f32 v[16:17], v[16:17], v[106:107]
	v_max_f32_e32 v106, v18, v18
	v_max_f32_e32 v107, v19, v19
	v_min_f32_e32 v18, v106, v118
	v_min_f32_e32 v19, v107, v119
	v_pk_add_f32 v[16:17], v[18:19], v[16:17]
	s_and_b64 vcc, exec, s[0:1]
	v_add_f32_e32 v18, v16, v17
	v_add_u32_e32 v16, 56, v48
	v_ashrrev_i32_e32 v17, 31, v16
	v_add_f32_e32 v122, v18, v122
	v_lshl_add_u64 v[18:19], v[20:21], 2, v[42:43]
	global_store_dword v[18:19], v122, off
	s_cbranch_vccnz .LBB86_49
; %bb.48:
	v_lshl_add_u64 v[18:19], v[16:17], 2, v[100:101]
	flat_load_dword v18, v[18:19]
	s_waitcnt vmcnt(0) lgkmcnt(0)
	v_mul_f32_e32 v117, s12, v18
.LBB86_49:
	v_max_f32_e32 v18, v13, v13
	v_max_f32_e32 v19, v12, v12
	v_min_f32_e32 v13, v18, v121
	v_min_f32_e32 v12, v19, v120
	v_max_f32_e32 v15, v15, v15
	v_max_f32_e32 v14, v14, v14
	v_pk_add_f32 v[12:13], v[12:13], v[90:91]
	v_min_f32_e32 v91, v15, v119
	v_min_f32_e32 v90, v14, v118
	v_pk_add_f32 v[12:13], v[90:91], v[12:13]
	v_add_u32_e32 v91, 32, v102
	v_add_f32_e32 v12, v12, v13
	v_add_f32_e32 v90, v12, v117
	v_lshl_add_u64 v[12:13], v[16:17], 2, v[42:43]
	global_store_dword v[12:13], v90, off
	v_mad_i64_i32 v[12:13], s[4:5], v91, s14, 0
	v_lshl_add_u64 v[12:13], v[12:13], 2, s[8:9]
	s_and_b64 vcc, exec, s[0:1]
	v_mov_b32_e32 v90, 0
	v_mov_b32_e32 v100, 0
	s_cbranch_vccnz .LBB86_51
; %bb.50:
	v_lshl_add_u64 v[42:43], v[48:49], 2, v[12:13]
	flat_load_dword v42, v[42:43]
	s_waitcnt vmcnt(0) lgkmcnt(0)
	v_mul_f32_e32 v100, s12, v42
.LBB86_51:
	v_max_f32_e32 v42, v8, v8
	v_max_f32_e32 v43, v9, v9
	v_min_f32_e32 v8, v44, v42
	v_min_f32_e32 v9, v103, v43
	v_max_f32_e32 v10, v10, v10
	v_max_f32_e32 v11, v11, v11
	v_pk_add_f32 v[8:9], v[8:9], v[88:89]
	v_min_f32_e32 v88, v45, v10
	v_min_f32_e32 v89, v46, v11
	v_pk_add_f32 v[88:89], v[88:89], v[8:9]
	v_mad_i64_i32 v[8:9], s[4:5], v91, s15, 0
	v_lshl_add_u64 v[8:9], v[8:9], 2, s[2:3]
	v_add_f32_e32 v88, v88, v89
	v_add_f32_e32 v91, v88, v100
	v_lshl_add_u64 v[88:89], v[48:49], 2, v[8:9]
	s_and_b64 vcc, exec, s[0:1]
	global_store_dword v[88:89], v91, off
	s_cbranch_vccnz .LBB86_53
; %bb.52:
	v_lshl_add_u64 v[88:89], v[40:41], 2, v[12:13]
	flat_load_dword v88, v[88:89]
	s_waitcnt vmcnt(0) lgkmcnt(0)
	v_mul_f32_e32 v90, s12, v88
.LBB86_53:
	v_min_f32_e32 v88, v47, v42
	v_min_f32_e32 v89, v104, v43
	v_pk_add_f32 v[84:85], v[88:89], v[84:85]
	v_min_f32_e32 v88, v38, v10
	v_min_f32_e32 v89, v39, v11
	v_pk_add_f32 v[84:85], v[88:89], v[84:85]
	s_and_b64 vcc, exec, s[0:1]
	v_add_f32_e32 v84, v84, v85
	v_add_f32_e32 v88, v84, v90
	v_lshl_add_u64 v[84:85], v[40:41], 2, v[8:9]
	global_store_dword v[84:85], v88, off
	v_mov_b32_e32 v84, 0
	v_mov_b32_e32 v85, 0
	s_cbranch_vccnz .LBB86_55
; %bb.54:
	v_lshl_add_u64 v[88:89], v[36:37], 2, v[12:13]
	flat_load_dword v85, v[88:89]
	s_waitcnt vmcnt(0) lgkmcnt(0)
	v_mul_f32_e32 v85, s12, v85
.LBB86_55:
	v_min_f32_e32 v88, v105, v42
	v_min_f32_e32 v89, v116, v43
	v_pk_add_f32 v[86:87], v[88:89], v[86:87]
	v_min_f32_e32 v88, v34, v10
	v_min_f32_e32 v89, v35, v11
	v_pk_add_f32 v[86:87], v[88:89], v[86:87]
	s_and_b64 vcc, exec, s[0:1]
	v_add_f32_e32 v86, v86, v87
	v_add_f32_e32 v85, v86, v85
	v_lshl_add_u64 v[86:87], v[36:37], 2, v[8:9]
	global_store_dword v[86:87], v85, off
	s_cbranch_vccnz .LBB86_57
; %bb.56:
	v_lshl_add_u64 v[84:85], v[32:33], 2, v[12:13]
	flat_load_dword v84, v[84:85]
	s_waitcnt vmcnt(0) lgkmcnt(0)
	v_mul_f32_e32 v84, s12, v84
.LBB86_57:
	v_min_f32_e32 v86, v114, v42
	v_min_f32_e32 v87, v115, v43
	v_pk_add_f32 v[86:87], v[86:87], v[92:93]
	v_min_f32_e32 v88, v30, v10
	v_min_f32_e32 v89, v31, v11
	v_pk_add_f32 v[86:87], v[88:89], v[86:87]
	s_and_b64 vcc, exec, s[0:1]
	v_add_f32_e32 v85, v86, v87
	v_add_f32_e32 v86, v85, v84
	v_lshl_add_u64 v[84:85], v[32:33], 2, v[8:9]
	global_store_dword v[84:85], v86, off
	v_mov_b32_e32 v84, 0
	v_mov_b32_e32 v85, 0
	s_cbranch_vccnz .LBB86_59
; %bb.58:
	v_lshl_add_u64 v[86:87], v[28:29], 2, v[12:13]
	flat_load_dword v85, v[86:87]
	s_waitcnt vmcnt(0) lgkmcnt(0)
	v_mul_f32_e32 v85, s12, v85
.LBB86_59:
	v_min_f32_e32 v86, v112, v42
	v_min_f32_e32 v87, v113, v43
	v_pk_add_f32 v[86:87], v[86:87], v[94:95]
	v_min_f32_e32 v88, v26, v10
	v_min_f32_e32 v89, v27, v11
	v_pk_add_f32 v[86:87], v[88:89], v[86:87]
	s_and_b64 vcc, exec, s[0:1]
	v_add_f32_e32 v86, v86, v87
	v_add_f32_e32 v85, v86, v85
	v_lshl_add_u64 v[86:87], v[28:29], 2, v[8:9]
	;; [unrolled: 38-line block ×3, first 2 shown]
	global_store_dword v[86:87], v85, off
	s_cbranch_vccnz .LBB86_65
; %bb.64:
	v_lshl_add_u64 v[12:13], v[16:17], 2, v[12:13]
	flat_load_dword v12, v[12:13]
	s_waitcnt vmcnt(0) lgkmcnt(0)
	v_mul_f32_e32 v84, s12, v12
.LBB86_65:
	v_min_f32_e32 v13, v18, v43
	v_min_f32_e32 v12, v19, v42
	v_pk_add_f32 v[12:13], v[12:13], v[76:77]
	v_min_f32_e32 v11, v15, v11
	v_min_f32_e32 v10, v14, v10
	v_pk_add_f32 v[10:11], v[10:11], v[12:13]
	v_lshl_add_u64 v[8:9], v[16:17], 2, v[8:9]
	v_add_f32_e32 v10, v10, v11
	v_add_f32_e32 v10, v10, v84
	v_add_u32_e32 v13, 64, v102
	global_store_dword v[8:9], v10, off
	v_mad_i64_i32 v[8:9], s[4:5], v13, s14, 0
	v_lshl_add_u64 v[8:9], v[8:9], 2, s[8:9]
	s_and_b64 vcc, exec, s[0:1]
	v_mov_b32_e32 v12, 0
	v_mov_b32_e32 v42, 0
	s_cbranch_vccnz .LBB86_67
; %bb.66:
	v_lshl_add_u64 v[10:11], v[48:49], 2, v[8:9]
	flat_load_dword v10, v[10:11]
	s_waitcnt vmcnt(0) lgkmcnt(0)
	v_mul_f32_e32 v42, s12, v10
.LBB86_67:
	v_max_f32_e32 v10, v4, v4
	v_max_f32_e32 v11, v5, v5
	v_min_f32_e32 v4, v44, v10
	v_min_f32_e32 v5, v103, v11
	v_max_f32_e32 v6, v6, v6
	v_max_f32_e32 v7, v7, v7
	v_pk_add_f32 v[4:5], v[4:5], v[72:73]
	v_min_f32_e32 v72, v45, v6
	v_min_f32_e32 v73, v46, v7
	v_pk_add_f32 v[72:73], v[72:73], v[4:5]
	v_mad_i64_i32 v[4:5], s[4:5], v13, s15, 0
	v_lshl_add_u64 v[4:5], v[4:5], 2, s[2:3]
	v_add_f32_e32 v13, v72, v73
	v_add_f32_e32 v13, v13, v42
	v_lshl_add_u64 v[42:43], v[48:49], 2, v[4:5]
	s_and_b64 vcc, exec, s[0:1]
	global_store_dword v[42:43], v13, off
	s_cbranch_vccnz .LBB86_69
; %bb.68:
	v_lshl_add_u64 v[12:13], v[40:41], 2, v[8:9]
	flat_load_dword v12, v[12:13]
	s_waitcnt vmcnt(0) lgkmcnt(0)
	v_mul_f32_e32 v12, s12, v12
.LBB86_69:
	v_min_f32_e32 v42, v47, v10
	v_min_f32_e32 v43, v104, v11
	v_pk_add_f32 v[42:43], v[42:43], v[68:69]
	v_min_f32_e32 v68, v38, v6
	v_min_f32_e32 v69, v39, v7
	v_pk_add_f32 v[42:43], v[68:69], v[42:43]
	s_and_b64 vcc, exec, s[0:1]
	v_add_f32_e32 v13, v42, v43
	v_add_f32_e32 v42, v13, v12
	v_lshl_add_u64 v[12:13], v[40:41], 2, v[4:5]
	global_store_dword v[12:13], v42, off
	v_mov_b32_e32 v12, 0
	v_mov_b32_e32 v13, 0
	s_cbranch_vccnz .LBB86_71
; %bb.70:
	v_lshl_add_u64 v[42:43], v[36:37], 2, v[8:9]
	flat_load_dword v13, v[42:43]
	s_waitcnt vmcnt(0) lgkmcnt(0)
	v_mul_f32_e32 v13, s12, v13
.LBB86_71:
	v_min_f32_e32 v42, v105, v10
	v_min_f32_e32 v43, v116, v11
	v_pk_add_f32 v[42:43], v[42:43], v[70:71]
	v_min_f32_e32 v68, v34, v6
	v_min_f32_e32 v69, v35, v7
	v_pk_add_f32 v[42:43], v[68:69], v[42:43]
	s_and_b64 vcc, exec, s[0:1]
	v_add_f32_e32 v42, v42, v43
	v_add_f32_e32 v13, v42, v13
	v_lshl_add_u64 v[42:43], v[36:37], 2, v[4:5]
	global_store_dword v[42:43], v13, off
	s_cbranch_vccnz .LBB86_73
; %bb.72:
	v_lshl_add_u64 v[12:13], v[32:33], 2, v[8:9]
	flat_load_dword v12, v[12:13]
	s_waitcnt vmcnt(0) lgkmcnt(0)
	v_mul_f32_e32 v12, s12, v12
.LBB86_73:
	v_min_f32_e32 v42, v114, v10
	v_min_f32_e32 v43, v115, v11
	v_pk_add_f32 v[42:43], v[42:43], v[74:75]
	v_min_f32_e32 v68, v30, v6
	v_min_f32_e32 v69, v31, v7
	v_pk_add_f32 v[42:43], v[68:69], v[42:43]
	s_and_b64 vcc, exec, s[0:1]
	v_add_f32_e32 v13, v42, v43
	v_add_f32_e32 v42, v13, v12
	v_lshl_add_u64 v[12:13], v[32:33], 2, v[4:5]
	global_store_dword v[12:13], v42, off
	v_mov_b32_e32 v12, 0
	v_mov_b32_e32 v13, 0
	s_cbranch_vccnz .LBB86_75
; %bb.74:
	v_lshl_add_u64 v[42:43], v[28:29], 2, v[8:9]
	flat_load_dword v13, v[42:43]
	s_waitcnt vmcnt(0) lgkmcnt(0)
	v_mul_f32_e32 v13, s12, v13
.LBB86_75:
	v_min_f32_e32 v42, v112, v10
	v_min_f32_e32 v43, v113, v11
	v_pk_add_f32 v[42:43], v[42:43], v[78:79]
	v_min_f32_e32 v68, v26, v6
	v_min_f32_e32 v69, v27, v7
	v_pk_add_f32 v[42:43], v[68:69], v[42:43]
	s_and_b64 vcc, exec, s[0:1]
	v_add_f32_e32 v42, v42, v43
	v_add_f32_e32 v13, v42, v13
	v_lshl_add_u64 v[42:43], v[28:29], 2, v[4:5]
	;; [unrolled: 38-line block ×3, first 2 shown]
	global_store_dword v[42:43], v13, off
	s_cbranch_vccnz .LBB86_81
; %bb.80:
	v_lshl_add_u64 v[8:9], v[16:17], 2, v[8:9]
	flat_load_dword v8, v[8:9]
	s_waitcnt vmcnt(0) lgkmcnt(0)
	v_mul_f32_e32 v12, s12, v8
.LBB86_81:
	v_min_f32_e32 v9, v18, v11
	v_min_f32_e32 v8, v19, v10
	v_pk_add_f32 v[8:9], v[8:9], v[62:63]
	v_min_f32_e32 v7, v15, v7
	v_min_f32_e32 v6, v14, v6
	v_pk_add_f32 v[6:7], v[6:7], v[8:9]
	v_lshl_add_u64 v[4:5], v[16:17], 2, v[4:5]
	v_add_f32_e32 v6, v6, v7
	v_add_f32_e32 v6, v6, v12
	v_add_u32_e32 v9, 0x60, v102
	global_store_dword v[4:5], v6, off
	v_mad_i64_i32 v[4:5], s[4:5], v9, s14, 0
	v_lshl_add_u64 v[4:5], v[4:5], 2, s[8:9]
	s_and_b64 vcc, exec, s[0:1]
	v_mov_b32_e32 v8, 0
	v_mov_b32_e32 v10, 0
	s_cbranch_vccnz .LBB86_83
; %bb.82:
	v_lshl_add_u64 v[6:7], v[48:49], 2, v[4:5]
	flat_load_dword v6, v[6:7]
	s_waitcnt vmcnt(0) lgkmcnt(0)
	v_mul_f32_e32 v10, s12, v6
.LBB86_83:
	v_max_f32_e32 v6, v1, v1
	v_max_f32_e32 v7, v0, v0
	v_min_f32_e32 v1, v103, v6
	v_min_f32_e32 v0, v44, v7
	v_max_f32_e32 v3, v3, v3
	v_max_f32_e32 v2, v2, v2
	v_pk_add_f32 v[0:1], v[0:1], v[58:59]
	v_min_f32_e32 v13, v46, v3
	v_min_f32_e32 v12, v45, v2
	v_pk_add_f32 v[12:13], v[12:13], v[0:1]
	v_mad_i64_i32 v[0:1], s[4:5], v9, s15, 0
	v_lshl_add_u64 v[0:1], v[0:1], 2, s[2:3]
	v_add_f32_e32 v9, v12, v13
	v_add_f32_e32 v9, v9, v10
	v_lshl_add_u64 v[10:11], v[48:49], 2, v[0:1]
	s_and_b64 vcc, exec, s[0:1]
	global_store_dword v[10:11], v9, off
	s_cbranch_vccnz .LBB86_85
; %bb.84:
	v_lshl_add_u64 v[8:9], v[40:41], 2, v[4:5]
	flat_load_dword v8, v[8:9]
	s_waitcnt vmcnt(0) lgkmcnt(0)
	v_mul_f32_e32 v8, s12, v8
.LBB86_85:
	v_min_f32_e32 v11, v104, v6
	v_min_f32_e32 v10, v47, v7
	v_pk_add_f32 v[10:11], v[10:11], v[52:53]
	v_min_f32_e32 v13, v39, v3
	v_min_f32_e32 v12, v38, v2
	v_pk_add_f32 v[10:11], v[12:13], v[10:11]
	s_and_b64 vcc, exec, s[0:1]
	v_add_f32_e32 v9, v10, v11
	v_add_f32_e32 v10, v9, v8
	v_lshl_add_u64 v[8:9], v[40:41], 2, v[0:1]
	global_store_dword v[8:9], v10, off
	v_mov_b32_e32 v8, 0
	v_mov_b32_e32 v9, 0
	s_cbranch_vccnz .LBB86_87
; %bb.86:
	v_lshl_add_u64 v[10:11], v[36:37], 2, v[4:5]
	flat_load_dword v9, v[10:11]
	s_waitcnt vmcnt(0) lgkmcnt(0)
	v_mul_f32_e32 v9, s12, v9
.LBB86_87:
	v_min_f32_e32 v11, v116, v6
	v_min_f32_e32 v10, v105, v7
	v_pk_add_f32 v[10:11], v[10:11], v[54:55]
	v_min_f32_e32 v13, v35, v3
	v_min_f32_e32 v12, v34, v2
	v_pk_add_f32 v[10:11], v[12:13], v[10:11]
	s_and_b64 vcc, exec, s[0:1]
	v_add_f32_e32 v10, v10, v11
	v_add_f32_e32 v9, v10, v9
	v_lshl_add_u64 v[10:11], v[36:37], 2, v[0:1]
	global_store_dword v[10:11], v9, off
	s_cbranch_vccnz .LBB86_89
; %bb.88:
	v_lshl_add_u64 v[8:9], v[32:33], 2, v[4:5]
	flat_load_dword v8, v[8:9]
	s_waitcnt vmcnt(0) lgkmcnt(0)
	v_mul_f32_e32 v8, s12, v8
.LBB86_89:
	v_min_f32_e32 v11, v115, v6
	v_min_f32_e32 v10, v114, v7
	v_pk_add_f32 v[10:11], v[10:11], v[56:57]
	v_min_f32_e32 v13, v31, v3
	v_min_f32_e32 v12, v30, v2
	v_pk_add_f32 v[10:11], v[12:13], v[10:11]
	s_and_b64 vcc, exec, s[0:1]
	v_add_f32_e32 v9, v10, v11
	v_add_f32_e32 v10, v9, v8
	v_lshl_add_u64 v[8:9], v[32:33], 2, v[0:1]
	global_store_dword v[8:9], v10, off
	v_mov_b32_e32 v8, 0
	v_mov_b32_e32 v9, 0
	s_cbranch_vccnz .LBB86_91
; %bb.90:
	v_lshl_add_u64 v[10:11], v[28:29], 2, v[4:5]
	flat_load_dword v9, v[10:11]
	s_waitcnt vmcnt(0) lgkmcnt(0)
	v_mul_f32_e32 v9, s12, v9
.LBB86_91:
	v_min_f32_e32 v11, v113, v6
	v_min_f32_e32 v10, v112, v7
	v_pk_add_f32 v[10:11], v[10:11], v[60:61]
	v_min_f32_e32 v13, v27, v3
	v_min_f32_e32 v12, v26, v2
	v_pk_add_f32 v[10:11], v[12:13], v[10:11]
	s_and_b64 vcc, exec, s[0:1]
	v_add_f32_e32 v10, v10, v11
	v_add_f32_e32 v9, v10, v9
	v_lshl_add_u64 v[10:11], v[28:29], 2, v[0:1]
	global_store_dword v[10:11], v9, off
	s_cbranch_vccnz .LBB86_93
; %bb.92:
	v_lshl_add_u64 v[8:9], v[24:25], 2, v[4:5]
	flat_load_dword v8, v[8:9]
	s_waitcnt vmcnt(0) lgkmcnt(0)
	v_mul_f32_e32 v8, s12, v8
.LBB86_93:
	v_min_f32_e32 v11, v111, v6
	v_min_f32_e32 v10, v110, v7
	v_pk_add_f32 v[10:11], v[10:11], v[64:65]
	v_min_f32_e32 v13, v23, v3
	v_min_f32_e32 v12, v22, v2
	v_pk_add_f32 v[10:11], v[12:13], v[10:11]
	v_min_f32_e32 v13, v107, v3
	v_add_f32_e32 v9, v10, v11
	v_min_f32_e32 v11, v109, v6
	v_min_f32_e32 v10, v108, v7
	v_pk_add_f32 v[10:11], v[10:11], v[66:67]
	v_min_f32_e32 v12, v106, v2
	v_pk_add_f32 v[10:11], v[12:13], v[10:11]
	v_add_f32_e32 v12, v9, v8
	v_lshl_add_u64 v[8:9], v[24:25], 2, v[0:1]
	global_store_dword v[8:9], v12, off
	v_add_f32_e32 v8, v10, v11
	s_mov_b64 vcc, s[6:7]
	s_cbranch_vccz .LBB86_96
; %bb.94:
	v_add_f32_e32 v9, 0, v8
	v_lshl_add_u64 v[10:11], v[20:21], 2, v[0:1]
	s_mov_b32 s2, 0
	global_store_dword v[10:11], v9, off
	s_cbranch_execz .LBB86_97
; %bb.95:
	v_mov_b32_e32 v4, s2
	s_branch .LBB86_98
.LBB86_96:
                                        ; implicit-def: $sgpr2
.LBB86_97:
	v_lshlrev_b64 v[10:11], 2, v[20:21]
	v_lshl_add_u64 v[12:13], v[4:5], 0, v[10:11]
	flat_load_dword v9, v[12:13]
	v_lshl_add_u64 v[10:11], v[0:1], 0, v[10:11]
	v_lshl_add_u64 v[4:5], v[16:17], 2, v[4:5]
	s_waitcnt vmcnt(0) lgkmcnt(0)
	v_fmac_f32_e32 v8, s12, v9
	global_store_dword v[10:11], v8, off
	flat_load_dword v4, v[4:5]
	s_waitcnt vmcnt(0) lgkmcnt(0)
	v_mul_f32_e32 v4, s12, v4
.LBB86_98:
	v_min_f32_e32 v9, v18, v6
	v_min_f32_e32 v8, v19, v7
	;; [unrolled: 1-line block ×4, first 2 shown]
	v_pk_add_f32 v[6:7], v[8:9], v[50:51]
	v_lshl_add_u64 v[0:1], v[16:17], 2, v[0:1]
	v_pk_add_f32 v[2:3], v[2:3], v[6:7]
	s_nop 0
	v_add_f32_e32 v2, v2, v3
	v_add_f32_e32 v2, v2, v4
	global_store_dword v[0:1], v2, off
	s_endpgm
	.section	.rodata,"a",@progbits
	.p2align	6, 0x0
	.amdhsa_kernel _ZN12_GLOBAL__N_120geam_min_plus_kernelIf15HIP_vector_typeIfLj2EES2_Li8ELi32ELi64ELi128ELi4ELi4ELi64ELi4ELi64ELc84ELc78ELb0ELb0ELb0EfKffEEviiiT16_PT17_ilS6_ilS4_S6_ilPT18_ili26rocblas_geam_ex_operation_
		.amdhsa_group_segment_fixed_size 6144
		.amdhsa_private_segment_fixed_size 0
		.amdhsa_kernarg_size 128
		.amdhsa_user_sgpr_count 2
		.amdhsa_user_sgpr_dispatch_ptr 0
		.amdhsa_user_sgpr_queue_ptr 0
		.amdhsa_user_sgpr_kernarg_segment_ptr 1
		.amdhsa_user_sgpr_dispatch_id 0
		.amdhsa_user_sgpr_kernarg_preload_length 0
		.amdhsa_user_sgpr_kernarg_preload_offset 0
		.amdhsa_user_sgpr_private_segment_size 0
		.amdhsa_uses_dynamic_stack 0
		.amdhsa_enable_private_segment 0
		.amdhsa_system_sgpr_workgroup_id_x 1
		.amdhsa_system_sgpr_workgroup_id_y 0
		.amdhsa_system_sgpr_workgroup_id_z 1
		.amdhsa_system_sgpr_workgroup_info 0
		.amdhsa_system_vgpr_workitem_id 1
		.amdhsa_next_free_vgpr 223
		.amdhsa_next_free_sgpr 28
		.amdhsa_accum_offset 224
		.amdhsa_reserve_vcc 1
		.amdhsa_float_round_mode_32 0
		.amdhsa_float_round_mode_16_64 0
		.amdhsa_float_denorm_mode_32 3
		.amdhsa_float_denorm_mode_16_64 3
		.amdhsa_dx10_clamp 1
		.amdhsa_ieee_mode 1
		.amdhsa_fp16_overflow 0
		.amdhsa_tg_split 0
		.amdhsa_exception_fp_ieee_invalid_op 0
		.amdhsa_exception_fp_denorm_src 0
		.amdhsa_exception_fp_ieee_div_zero 0
		.amdhsa_exception_fp_ieee_overflow 0
		.amdhsa_exception_fp_ieee_underflow 0
		.amdhsa_exception_fp_ieee_inexact 0
		.amdhsa_exception_int_div_zero 0
	.end_amdhsa_kernel
	.section	.text._ZN12_GLOBAL__N_120geam_min_plus_kernelIf15HIP_vector_typeIfLj2EES2_Li8ELi32ELi64ELi128ELi4ELi4ELi64ELi4ELi64ELc84ELc78ELb0ELb0ELb0EfKffEEviiiT16_PT17_ilS6_ilS4_S6_ilPT18_ili26rocblas_geam_ex_operation_,"axG",@progbits,_ZN12_GLOBAL__N_120geam_min_plus_kernelIf15HIP_vector_typeIfLj2EES2_Li8ELi32ELi64ELi128ELi4ELi4ELi64ELi4ELi64ELc84ELc78ELb0ELb0ELb0EfKffEEviiiT16_PT17_ilS6_ilS4_S6_ilPT18_ili26rocblas_geam_ex_operation_,comdat
.Lfunc_end86:
	.size	_ZN12_GLOBAL__N_120geam_min_plus_kernelIf15HIP_vector_typeIfLj2EES2_Li8ELi32ELi64ELi128ELi4ELi4ELi64ELi4ELi64ELc84ELc78ELb0ELb0ELb0EfKffEEviiiT16_PT17_ilS6_ilS4_S6_ilPT18_ili26rocblas_geam_ex_operation_, .Lfunc_end86-_ZN12_GLOBAL__N_120geam_min_plus_kernelIf15HIP_vector_typeIfLj2EES2_Li8ELi32ELi64ELi128ELi4ELi4ELi64ELi4ELi64ELc84ELc78ELb0ELb0ELb0EfKffEEviiiT16_PT17_ilS6_ilS4_S6_ilPT18_ili26rocblas_geam_ex_operation_
                                        ; -- End function
	.section	.AMDGPU.csdata,"",@progbits
; Kernel info:
; codeLenInByte = 8884
; NumSgprs: 34
; NumVgprs: 223
; NumAgprs: 0
; TotalNumVgprs: 223
; ScratchSize: 0
; MemoryBound: 0
; FloatMode: 240
; IeeeMode: 1
; LDSByteSize: 6144 bytes/workgroup (compile time only)
; SGPRBlocks: 4
; VGPRBlocks: 27
; NumSGPRsForWavesPerEU: 34
; NumVGPRsForWavesPerEU: 223
; AccumOffset: 224
; Occupancy: 2
; WaveLimiterHint : 0
; COMPUTE_PGM_RSRC2:SCRATCH_EN: 0
; COMPUTE_PGM_RSRC2:USER_SGPR: 2
; COMPUTE_PGM_RSRC2:TRAP_HANDLER: 0
; COMPUTE_PGM_RSRC2:TGID_X_EN: 1
; COMPUTE_PGM_RSRC2:TGID_Y_EN: 0
; COMPUTE_PGM_RSRC2:TGID_Z_EN: 1
; COMPUTE_PGM_RSRC2:TIDIG_COMP_CNT: 1
; COMPUTE_PGM_RSRC3_GFX90A:ACCUM_OFFSET: 55
; COMPUTE_PGM_RSRC3_GFX90A:TG_SPLIT: 0
	.section	.text._ZN12_GLOBAL__N_120geam_min_plus_kernelIf15HIP_vector_typeIfLj2EES2_Li8ELi32ELi64ELi128ELi4ELi4ELi64ELi4ELi64ELc84ELc78ELb0ELb1ELb0EPKfS3_fEEviiiT16_PT17_ilS7_ilS5_S7_ilPT18_ili26rocblas_geam_ex_operation_,"axG",@progbits,_ZN12_GLOBAL__N_120geam_min_plus_kernelIf15HIP_vector_typeIfLj2EES2_Li8ELi32ELi64ELi128ELi4ELi4ELi64ELi4ELi64ELc84ELc78ELb0ELb1ELb0EPKfS3_fEEviiiT16_PT17_ilS7_ilS5_S7_ilPT18_ili26rocblas_geam_ex_operation_,comdat
	.globl	_ZN12_GLOBAL__N_120geam_min_plus_kernelIf15HIP_vector_typeIfLj2EES2_Li8ELi32ELi64ELi128ELi4ELi4ELi64ELi4ELi64ELc84ELc78ELb0ELb1ELb0EPKfS3_fEEviiiT16_PT17_ilS7_ilS5_S7_ilPT18_ili26rocblas_geam_ex_operation_ ; -- Begin function _ZN12_GLOBAL__N_120geam_min_plus_kernelIf15HIP_vector_typeIfLj2EES2_Li8ELi32ELi64ELi128ELi4ELi4ELi64ELi4ELi64ELc84ELc78ELb0ELb1ELb0EPKfS3_fEEviiiT16_PT17_ilS7_ilS5_S7_ilPT18_ili26rocblas_geam_ex_operation_
	.p2align	8
	.type	_ZN12_GLOBAL__N_120geam_min_plus_kernelIf15HIP_vector_typeIfLj2EES2_Li8ELi32ELi64ELi128ELi4ELi4ELi64ELi4ELi64ELc84ELc78ELb0ELb1ELb0EPKfS3_fEEviiiT16_PT17_ilS7_ilS5_S7_ilPT18_ili26rocblas_geam_ex_operation_,@function
_ZN12_GLOBAL__N_120geam_min_plus_kernelIf15HIP_vector_typeIfLj2EES2_Li8ELi32ELi64ELi128ELi4ELi4ELi64ELi4ELi64ELc84ELc78ELb0ELb1ELb0EPKfS3_fEEviiiT16_PT17_ilS7_ilS5_S7_ilPT18_ili26rocblas_geam_ex_operation_: ; @_ZN12_GLOBAL__N_120geam_min_plus_kernelIf15HIP_vector_typeIfLj2EES2_Li8ELi32ELi64ELi128ELi4ELi4ELi64ELi4ELi64ELc84ELc78ELb0ELb1ELb0EPKfS3_fEEviiiT16_PT17_ilS7_ilS5_S7_ilPT18_ili26rocblas_geam_ex_operation_
; %bb.0:
	s_load_dwordx4 s[12:15], s[0:1], 0x10
	s_load_dwordx4 s[4:7], s[0:1], 0x28
	s_mov_b32 s16, s3
	s_mov_b32 s17, 0
	s_lshl_b64 s[18:19], s[16:17], 2
	s_waitcnt lgkmcnt(0)
	s_add_u32 s12, s12, s18
	s_load_dwordx4 s[8:11], s[0:1], 0x40
	s_addc_u32 s13, s13, s19
	s_load_dword s17, s[12:13], 0x0
	s_load_dwordx2 s[20:21], s[0:1], 0x50
	s_mov_b64 s[26:27], 0
	s_mov_b64 s[28:29], 0
	s_waitcnt lgkmcnt(0)
	s_add_u32 s10, s10, s18
	v_cmp_eq_f32_e64 s[12:13], s17, 0
	s_addc_u32 s11, s11, s19
	v_cmp_neq_f32_e64 s[18:19], s17, 0
	s_and_b64 vcc, exec, s[12:13]
	s_cbranch_vccnz .LBB87_2
; %bb.1:
	s_mul_i32 s3, s16, s5
	s_mul_hi_u32 s5, s16, s4
	s_add_i32 s5, s5, s3
	s_mul_i32 s4, s16, s4
	s_lshl_b64 s[4:5], s[4:5], 2
	s_add_u32 s28, s14, s4
	s_addc_u32 s29, s15, s5
.LBB87_2:
	s_load_dword s30, s[10:11], 0x0
	s_andn2_b64 vcc, exec, s[18:19]
	s_cbranch_vccnz .LBB87_4
; %bb.3:
	s_mul_i32 s3, s16, s9
	s_mul_hi_u32 s4, s16, s8
	s_add_i32 s5, s4, s3
	s_mul_i32 s4, s16, s8
	s_lshl_b64 s[4:5], s[4:5], 2
	s_add_u32 s26, s6, s4
	s_addc_u32 s27, s7, s5
.LBB87_4:
	s_load_dwordx4 s[8:11], s[0:1], 0x60
	s_waitcnt lgkmcnt(0)
	v_cmp_eq_f32_e64 s[4:5], s30, 0
	v_cmp_neq_f32_e64 s[12:13], s30, 0
	s_and_b64 vcc, exec, s[4:5]
	s_cbranch_vccnz .LBB87_6
; %bb.5:
	s_mul_i32 s3, s16, s9
	s_mul_hi_u32 s4, s16, s8
	s_add_i32 s5, s4, s3
	s_mul_i32 s4, s16, s8
	s_lshl_b64 s[4:5], s[4:5], 2
	s_add_u32 s24, s20, s4
	s_addc_u32 s25, s21, s5
	s_branch .LBB87_7
.LBB87_6:
	s_mov_b64 s[24:25], 0
.LBB87_7:
	s_load_dwordx4 s[20:23], s[0:1], 0x0
	s_load_dword s3, s[0:1], 0x20
	v_and_b32_e32 v200, 0x3ff, v0
	v_bfe_u32 v201, v0, 10, 10
	v_and_b32_e32 v202, 3, v200
	s_waitcnt lgkmcnt(0)
	s_add_i32 s4, s20, -1
	s_ashr_i32 s5, s4, 31
	s_lshr_b32 s5, s5, 26
	s_add_i32 s4, s4, s5
	s_ashr_i32 s6, s4, 6
	s_add_i32 s7, s6, 1
	v_cvt_f32_u32_e32 v1, s7
	s_not_b32 s6, s6
	v_cmp_gt_i32_e64 s[4:5], s22, v202
	v_mov_b32_e32 v9, 0
	v_rcp_iflag_f32_e32 v0, v1
	v_lshl_add_u32 v1, v201, 3, v200
	v_lshrrev_b32_e32 v4, 2, v1
	v_mov_b32_e32 v10, 0
	v_mul_f32_e32 v0, 0x4f7ffffe, v0
	v_cvt_u32_f32_e32 v1, v0
	v_lshlrev_b32_e32 v0, 2, v202
	v_readfirstlane_b32 s8, v1
	s_mul_i32 s6, s6, s8
	s_mul_hi_u32 s6, s8, s6
	s_add_i32 s8, s8, s6
	s_mul_hi_u32 s6, s2, s8
	s_mul_i32 s8, s6, s7
	s_sub_i32 s8, s2, s8
	s_add_i32 s9, s6, 1
	s_sub_i32 s14, s8, s7
	s_cmp_ge_u32 s8, s7
	s_cselect_b32 s6, s9, s6
	s_cselect_b32 s8, s14, s8
	s_add_i32 s9, s6, 1
	s_cmp_ge_u32 s8, s7
	s_cselect_b32 s6, s9, s6
	s_mul_i32 s34, s6, s7
	s_sub_i32 s7, s2, s34
	s_lshl_b32 s31, s7, 6
	v_add_u32_e32 v7, s31, v4
	v_cmp_gt_i32_e32 vcc, s20, v7
	s_and_b64 s[4:5], s[4:5], vcc
	s_and_b64 s[8:9], s[18:19], s[4:5]
	s_and_saveexec_b64 s[4:5], s[8:9]
	s_cbranch_execz .LBB87_9
; %bb.8:
	v_mad_i64_i32 v[2:3], s[8:9], v7, s3, 0
	v_lshl_add_u64 v[2:3], v[2:3], 2, s[28:29]
	v_mov_b32_e32 v1, 0
	v_lshl_add_u64 v[2:3], v[2:3], 0, v[0:1]
	flat_load_dword v1, v[2:3]
	s_waitcnt vmcnt(0) lgkmcnt(0)
	v_mul_f32_e32 v10, s17, v1
.LBB87_9:
	s_or_b64 exec, exec, s[4:5]
	s_lshl_b32 s33, s6, 7
	s_load_dword s35, s[0:1], 0x38
	v_add_u32_e32 v5, s33, v4
	s_add_i32 s23, s22, -1
	v_cmp_le_i32_e64 s[6:7], s21, v5
	s_xor_b64 s[14:15], s[18:19], -1
	v_cmp_le_i32_e64 s[4:5], s22, v202
	v_min_i32_e32 v2, s23, v202
	s_or_b64 s[8:9], s[6:7], s[14:15]
	v_ashrrev_i32_e32 v3, 31, v2
	s_or_b64 s[6:7], s[4:5], s[8:9]
	v_lshl_add_u64 v[2:3], v[2:3], 2, s[26:27]
	s_xor_b64 s[36:37], s[6:7], -1
	s_and_saveexec_b64 s[6:7], s[36:37]
	s_cbranch_execz .LBB87_11
; %bb.10:
	s_waitcnt lgkmcnt(0)
	v_mad_i64_i32 v[8:9], s[36:37], v5, s35, 0
	v_lshl_add_u64 v[8:9], v[8:9], 2, v[2:3]
	flat_load_dword v1, v[8:9]
	s_waitcnt vmcnt(0) lgkmcnt(0)
	v_mul_f32_e32 v9, s17, v1
.LBB87_11:
	s_or_b64 exec, exec, s[6:7]
	v_add_u32_e32 v6, 64, v5
	v_cmp_le_i32_e64 s[6:7], s21, v6
	s_or_b64 s[6:7], s[6:7], s[14:15]
	s_or_b64 s[4:5], s[4:5], s[6:7]
	s_xor_b64 s[14:15], s[4:5], -1
	v_mov_b32_e32 v1, 0
	v_mov_b32_e32 v11, 0
	s_and_saveexec_b64 s[4:5], s[14:15]
	s_cbranch_execz .LBB87_13
; %bb.12:
	s_waitcnt lgkmcnt(0)
	v_mad_i64_i32 v[12:13], s[14:15], v6, s35, 0
	v_lshl_add_u64 v[2:3], v[12:13], 2, v[2:3]
	flat_load_dword v2, v[2:3]
	s_waitcnt vmcnt(0) lgkmcnt(0)
	v_mul_f32_e32 v11, s17, v2
.LBB87_13:
	s_or_b64 exec, exec, s[4:5]
	v_or_b32_e32 v2, 4, v202
	v_cmp_gt_i32_e64 s[4:5], s22, v2
	s_and_b64 s[4:5], s[4:5], vcc
	s_and_b64 s[14:15], s[18:19], s[4:5]
	s_and_saveexec_b64 s[4:5], s[14:15]
	s_cbranch_execz .LBB87_15
; %bb.14:
	v_mad_i64_i32 v[12:13], s[14:15], v7, s3, 0
	v_lshl_add_u64 v[12:13], v[12:13], 2, s[28:29]
	v_mov_b32_e32 v1, 0
	v_lshl_add_u64 v[12:13], v[12:13], 0, v[0:1]
	flat_load_dword v1, v[12:13] offset:16
	s_waitcnt vmcnt(0) lgkmcnt(0)
	v_mul_f32_e32 v1, s17, v1
.LBB87_15:
	s_or_b64 exec, exec, s[4:5]
	v_cmp_le_i32_e64 s[4:5], s22, v2
	v_min_i32_e32 v2, s23, v2
	v_ashrrev_i32_e32 v3, 31, v2
	s_or_b64 s[14:15], s[4:5], s[8:9]
	v_lshl_add_u64 v[2:3], v[2:3], 2, s[26:27]
	s_xor_b64 s[36:37], s[14:15], -1
	v_mov_b32_e32 v7, 0
	v_mov_b32_e32 v8, 0
	s_and_saveexec_b64 s[14:15], s[36:37]
	s_cbranch_execz .LBB87_17
; %bb.16:
	s_waitcnt lgkmcnt(0)
	v_mad_i64_i32 v[12:13], s[36:37], v5, s35, 0
	v_lshl_add_u64 v[12:13], v[12:13], 2, v[2:3]
	flat_load_dword v8, v[12:13]
	s_waitcnt vmcnt(0) lgkmcnt(0)
	v_mul_f32_e32 v8, s17, v8
.LBB87_17:
	s_or_b64 exec, exec, s[14:15]
	s_or_b64 s[4:5], s[4:5], s[6:7]
	s_xor_b64 s[14:15], s[4:5], -1
	s_and_saveexec_b64 s[4:5], s[14:15]
	s_cbranch_execz .LBB87_19
; %bb.18:
	s_waitcnt lgkmcnt(0)
	v_mad_i64_i32 v[12:13], s[14:15], v6, s35, 0
	v_lshl_add_u64 v[2:3], v[12:13], 2, v[2:3]
	flat_load_dword v2, v[2:3]
	s_waitcnt vmcnt(0) lgkmcnt(0)
	v_mul_f32_e32 v7, s17, v2
.LBB87_19:
	s_or_b64 exec, exec, s[4:5]
	v_lshl_or_b32 v205, v4, 4, v0
	v_lshlrev_b32_e32 v204, 4, v201
	ds_write_b32 v205, v10 offset:4096
	ds_write2st64_b32 v205, v9, v11 offset1:4
	s_waitcnt lgkmcnt(0)
	s_barrier
	ds_read_b128 v[10:13], v204
	v_lshlrev_b32_e32 v203, 4, v200
	ds_read_b128 v[14:17], v203 offset:4992
	ds_read_b128 v[18:21], v204 offset:512
	ds_read_b128 v[22:25], v203 offset:4864
	ds_read_b128 v[26:29], v204 offset:1536
	ds_read_b128 v[30:33], v204 offset:1024
	s_waitcnt lgkmcnt(5)
	v_max_f32_e32 v9, v11, v11
	v_max_f32_e32 v56, v10, v10
	;; [unrolled: 1-line block ×4, first 2 shown]
	ds_read_b128 v[10:13], v203 offset:4352
	s_waitcnt lgkmcnt(5)
	v_max_f32_e32 v60, v15, v15
	v_max_f32_e32 v61, v14, v14
	s_waitcnt lgkmcnt(4)
	v_max_f32_e32 v58, v19, v19
	v_max_f32_e32 v59, v18, v18
	v_max_f32_e32 v120, v17, v17
	v_max_f32_e32 v121, v16, v16
	ds_read_b128 v[14:17], v203 offset:4480
	v_max_f32_e32 v122, v21, v21
	v_max_f32_e32 v123, v20, v20
	s_waitcnt lgkmcnt(2)
	v_max_f32_e32 v124, v33, v33
	v_max_f32_e32 v125, v32, v32
	s_waitcnt lgkmcnt(1)
	v_max_f32_e32 v32, v10, v10
	v_max_f32_e32 v33, v11, v11
	;; [unrolled: 1-line block ×3, first 2 shown]
	ds_read_b128 v[18:21], v203 offset:4608
	v_max_f32_e32 v73, v13, v13
	ds_read_b128 v[10:13], v203 offset:4736
	ds_read_b128 v[34:37], v203 offset:4096
	;; [unrolled: 1-line block ×3, first 2 shown]
	v_max_f32_e32 v62, v31, v31
	v_max_f32_e32 v63, v30, v30
	v_max_f32_e32 v64, v27, v27
	v_max_f32_e32 v65, v26, v26
	s_waitcnt lgkmcnt(2)
	v_max_f32_e32 v54, v10, v10
	v_max_f32_e32 v55, v11, v11
	s_waitcnt lgkmcnt(1)
	v_max_f32_e32 v30, v34, v34
	v_max_f32_e32 v31, v35, v35
	s_waitcnt lgkmcnt(0)
	v_max_f32_e32 v26, v38, v38
	v_max_f32_e32 v27, v39, v39
	v_max_f32_e32 v38, v14, v14
	v_max_f32_e32 v39, v15, v15
	;; [unrolled: 1-line block ×6, first 2 shown]
	v_min_f32_e32 v48, v54, v56
	v_min_f32_e32 v49, v55, v9
	;; [unrolled: 1-line block ×10, first 2 shown]
	v_max_f32_e32 v127, v28, v28
	v_max_f32_e32 v70, v40, v40
	;; [unrolled: 1-line block ×8, first 2 shown]
	v_min_f32_e32 v2, v30, v56
	v_min_f32_e32 v10, v30, v59
	;; [unrolled: 1-line block ×33, first 2 shown]
	v_pk_add_f32 v[54:55], v[54:55], 0 op_sel_hi:[1,0]
	v_min_f32_e32 v61, v120, v112
	v_min_f32_e32 v60, v121, v113
	v_pk_add_f32 v[96:97], v[54:55], v[60:61]
	v_pk_add_f32 v[54:55], v[56:57], 0 op_sel_hi:[1,0]
	v_min_f32_e32 v57, v120, v122
	v_min_f32_e32 v56, v121, v123
	v_max_f32_e32 v68, v36, v36
	v_max_f32_e32 v69, v37, v37
	v_min_f32_e32 v3, v31, v9
	v_pk_add_f32 v[80:81], v[54:55], v[56:57]
	v_pk_add_f32 v[54:55], v[58:59], 0 op_sel_hi:[1,0]
	v_min_f32_e32 v57, v120, v124
	v_min_f32_e32 v56, v121, v125
	v_max_f32_e32 v126, v29, v29
	v_max_f32_e32 v71, v41, v41
	;; [unrolled: 1-line block ×4, first 2 shown]
	v_min_f32_e32 v13, v31, v62
	v_min_f32_e32 v15, v31, v64
	;; [unrolled: 1-line block ×17, first 2 shown]
	v_pk_add_f32 v[64:65], v[54:55], v[56:57]
	v_pk_add_f32 v[2:3], v[2:3], 0 op_sel_hi:[1,0]
	v_min_f32_e32 v54, v68, v113
	v_min_f32_e32 v55, v69, v112
	v_pk_add_f32 v[116:117], v[2:3], v[54:55]
	v_pk_add_f32 v[2:3], v[10:11], 0 op_sel_hi:[1,0]
	v_min_f32_e32 v10, v68, v123
	v_min_f32_e32 v11, v69, v122
	;; [unrolled: 4-line block ×3, first 2 shown]
	v_pk_add_f32 v[78:79], v[2:3], v[10:11]
	v_min_f32_e32 v3, v69, v126
	v_min_f32_e32 v2, v68, v127
	v_pk_add_f32 v[10:11], v[14:15], 0 op_sel_hi:[1,0]
	v_min_f32_e32 v100, v74, v63
	v_min_f32_e32 v101, v75, v62
	v_pk_add_f32 v[62:63], v[10:11], v[2:3]
	v_pk_add_f32 v[2:3], v[16:17], 0 op_sel_hi:[1,0]
	v_min_f32_e32 v10, v70, v113
	v_min_f32_e32 v11, v71, v112
	v_pk_add_f32 v[114:115], v[2:3], v[10:11]
	;; [unrolled: 4-line block ×4, first 2 shown]
	v_min_f32_e32 v3, v71, v126
	v_min_f32_e32 v2, v70, v127
	v_pk_add_f32 v[10:11], v[22:23], 0 op_sel_hi:[1,0]
	v_min_f32_e32 v83, v75, v9
	v_pk_add_f32 v[60:61], v[10:11], v[2:3]
	v_pk_add_f32 v[2:3], v[24:25], 0 op_sel_hi:[1,0]
	v_min_f32_e32 v10, v72, v113
	v_min_f32_e32 v11, v73, v112
	v_pk_add_f32 v[104:105], v[2:3], v[10:11]
	v_pk_add_f32 v[2:3], v[26:27], 0 op_sel_hi:[1,0]
	v_min_f32_e32 v10, v72, v123
	;; [unrolled: 4-line block ×3, first 2 shown]
	v_min_f32_e32 v11, v73, v124
	v_pk_add_f32 v[74:75], v[2:3], v[10:11]
	v_min_f32_e32 v3, v73, v126
	v_min_f32_e32 v2, v72, v127
	v_pk_add_f32 v[10:11], v[30:31], 0 op_sel_hi:[1,0]
	s_cmp_lt_i32 s22, 9
	v_pk_add_f32 v[58:59], v[10:11], v[2:3]
	v_pk_add_f32 v[2:3], v[32:33], 0 op_sel_hi:[1,0]
	v_min_f32_e32 v10, v84, v113
	v_min_f32_e32 v11, v85, v112
	v_pk_add_f32 v[106:107], v[2:3], v[10:11]
	v_pk_add_f32 v[2:3], v[34:35], 0 op_sel_hi:[1,0]
	v_min_f32_e32 v10, v84, v123
	v_min_f32_e32 v11, v85, v122
	;; [unrolled: 4-line block ×3, first 2 shown]
	v_pk_add_f32 v[72:73], v[2:3], v[10:11]
	v_min_f32_e32 v3, v85, v126
	v_min_f32_e32 v2, v84, v127
	v_pk_add_f32 v[10:11], v[38:39], 0 op_sel_hi:[1,0]
	ds_write2st64_b32 v205, v8, v7 offset0:8 offset1:12
	ds_write_b32 v205, v1 offset:5120
	v_pk_add_f32 v[56:57], v[10:11], v[2:3]
	v_pk_add_f32 v[2:3], v[40:41], 0 op_sel_hi:[1,0]
	v_min_f32_e32 v10, v110, v113
	v_min_f32_e32 v11, v111, v112
	v_pk_add_f32 v[108:109], v[2:3], v[10:11]
	v_pk_add_f32 v[2:3], v[42:43], 0 op_sel_hi:[1,0]
	v_min_f32_e32 v10, v110, v123
	v_min_f32_e32 v11, v111, v122
	;; [unrolled: 4-line block ×3, first 2 shown]
	v_pk_add_f32 v[70:71], v[2:3], v[10:11]
	v_min_f32_e32 v3, v111, v126
	v_min_f32_e32 v2, v110, v127
	v_pk_add_f32 v[10:11], v[46:47], 0 op_sel_hi:[1,0]
	s_waitcnt lgkmcnt(0)
	v_pk_add_f32 v[54:55], v[10:11], v[2:3]
	v_pk_add_f32 v[2:3], v[48:49], 0 op_sel_hi:[1,0]
	v_min_f32_e32 v10, v128, v113
	v_min_f32_e32 v11, v129, v112
	v_pk_add_f32 v[110:111], v[2:3], v[10:11]
	v_pk_add_f32 v[2:3], v[50:51], 0 op_sel_hi:[1,0]
	v_min_f32_e32 v10, v128, v123
	v_min_f32_e32 v11, v129, v122
	;; [unrolled: 4-line block ×3, first 2 shown]
	v_pk_add_f32 v[68:69], v[2:3], v[10:11]
	v_min_f32_e32 v3, v129, v126
	v_min_f32_e32 v2, v128, v127
	v_pk_add_f32 v[10:11], v[66:67], 0 op_sel_hi:[1,0]
	s_barrier
	v_pk_add_f32 v[52:53], v[10:11], v[2:3]
	v_min_f32_e32 v2, v130, v113
	v_min_f32_e32 v3, v131, v112
	v_pk_add_f32 v[10:11], v[82:83], 0 op_sel_hi:[1,0]
	s_nop 0
	v_pk_add_f32 v[112:113], v[10:11], v[2:3]
	v_min_f32_e32 v2, v130, v123
	v_min_f32_e32 v3, v131, v122
	v_pk_add_f32 v[10:11], v[98:99], 0 op_sel_hi:[1,0]
	s_nop 0
	;; [unrolled: 5-line block ×5, first 2 shown]
	v_pk_add_f32 v[48:49], v[10:11], v[2:3]
	s_cbranch_scc1 .LBB87_34
; %bb.20:
	v_mov_b32_e32 v1, 0x1400
	v_lshl_add_u32 v210, v200, 4, v1
	v_mov_b32_e32 v1, 0x800
	v_lshl_add_u32 v211, v201, 4, v1
	v_lshl_add_u32 v1, s2, 6, v4
	s_lshl_b32 s2, s34, 6
	v_subrev_u32_e32 v1, s2, v1
	v_mad_i64_i32 v[2:3], s[2:3], s3, v1, 0
	v_mov_b32_e32 v1, 0
	v_lshl_add_u64 v[0:1], v[2:3], 2, v[0:1]
	v_lshl_add_u64 v[0:1], v[0:1], 0, s[28:29]
	v_add_u32_e32 v206, 0x1000, v205
	v_add_u32_e32 v207, 0x1000, v203
	;; [unrolled: 1-line block ×4, first 2 shown]
	s_add_i32 s14, s22, -8
	v_mad_i64_i32 v[98:99], s[4:5], v5, s35, 0
	v_mad_i64_i32 v[100:101], s[4:5], v6, s35, 0
	v_lshl_add_u64 v[102:103], v[0:1], 0, 48
	s_mov_b32 s15, 0
	s_branch .LBB87_22
.LBB87_21:                              ;   in Loop: Header=BB87_22 Depth=1
	s_or_b64 exec, exec, s[2:3]
	v_pk_add_f32 v[40:41], v[96:97], v[40:41]
	v_pk_add_f32 v[32:33], v[64:65], v[32:33]
	;; [unrolled: 1-line block ×21, first 2 shown]
	ds_read_b128 v[0:3], v204
	ds_read_b128 v[8:11], v204 offset:512
	v_pk_add_f32 v[20:21], v[116:117], v[6:7]
	ds_read_b128 v[4:7], v207 offset:896
	v_pk_add_f32 v[44:45], v[94:95], v[44:45]
	v_pk_add_f32 v[94:95], v[58:59], v[132:133]
	;; [unrolled: 1-line block ×18, first 2 shown]
	ds_read_b128 v[12:15], v207 offset:768
	s_waitcnt lgkmcnt(1)
	v_max_f32_e32 v93, v5, v5
	v_max_f32_e32 v95, v4, v4
	;; [unrolled: 1-line block ×4, first 2 shown]
	v_pk_add_f32 v[76:77], v[36:37], v[38:39]
	v_pk_add_f32 v[72:73], v[28:29], v[30:31]
	;; [unrolled: 1-line block ×6, first 2 shown]
	ds_read_b128 v[80:83], v204 offset:1536
	ds_read_b128 v[84:87], v204 offset:1024
	v_min_f32_e32 v5, v93, v96
	v_min_f32_e32 v4, v95, v97
	v_pk_add_f32 v[60:61], v[62:63], v[164:165]
	v_pk_add_f32 v[62:63], v[78:79], v[162:163]
	;; [unrolled: 1-line block ×3, first 2 shown]
	ds_read_b128 v[76:79], v207
	v_pk_add_f32 v[112:113], v[112:113], v[154:155]
	v_pk_add_f32 v[90:91], v[90:91], v[128:129]
	;; [unrolled: 1-line block ×5, first 2 shown]
	s_waitcnt lgkmcnt(1)
	v_max_f32_e32 v112, v85, v85
	v_max_f32_e32 v113, v84, v84
	v_pk_add_f32 v[106:107], v[108:109], v[142:143]
	v_pk_add_f32 v[108:109], v[54:55], v[144:145]
	;; [unrolled: 1-line block ×4, first 2 shown]
	ds_read_b128 v[88:91], v207 offset:128
	v_max_f32_e32 v92, v1, v1
	v_max_f32_e32 v94, v0, v0
	v_min_f32_e32 v9, v93, v112
	v_min_f32_e32 v8, v95, v113
	s_waitcnt lgkmcnt(1)
	v_max_f32_e32 v84, v76, v76
	v_max_f32_e32 v85, v77, v77
	v_pk_add_f32 v[8:9], v[74:75], v[8:9]
	v_min_f32_e32 v74, v84, v94
	v_min_f32_e32 v75, v85, v92
	v_pk_add_f32 v[74:75], v[68:69], v[74:75]
	v_min_f32_e32 v68, v84, v97
	v_min_f32_e32 v69, v85, v96
	v_pk_add_f32 v[76:77], v[70:71], v[68:69]
	v_min_f32_e32 v68, v84, v113
	v_min_f32_e32 v69, v85, v112
	v_max_f32_e32 v81, v81, v81
	v_max_f32_e32 v80, v80, v80
	v_pk_add_f32 v[72:73], v[72:73], v[68:69]
	v_min_f32_e32 v69, v85, v81
	v_min_f32_e32 v68, v84, v80
	v_pk_add_f32 v[84:85], v[66:67], v[68:69]
	s_waitcnt lgkmcnt(0)
	v_max_f32_e32 v68, v88, v88
	v_max_f32_e32 v69, v89, v89
	v_min_f32_e32 v66, v68, v94
	v_min_f32_e32 v67, v69, v92
	v_pk_add_f32 v[60:61], v[60:61], v[66:67]
	v_min_f32_e32 v66, v68, v97
	v_min_f32_e32 v67, v69, v96
	v_pk_add_f32 v[88:89], v[62:63], v[66:67]
	;; [unrolled: 3-line block ×3, first 2 shown]
	v_pk_add_f32 v[104:105], v[64:65], v[62:63]
	ds_read_b128 v[64:67], v207 offset:256
	v_min_f32_e32 v63, v69, v81
	v_min_f32_e32 v62, v68, v80
	ds_read_b128 v[68:71], v207 offset:384
	v_pk_add_f32 v[58:59], v[58:59], v[62:63]
	s_waitcnt lgkmcnt(1)
	v_max_f32_e32 v64, v64, v64
	v_max_f32_e32 v65, v65, v65
	v_min_f32_e32 v62, v64, v94
	v_min_f32_e32 v63, v65, v92
	v_pk_add_f32 v[52:53], v[52:53], v[62:63]
	v_min_f32_e32 v62, v64, v97
	v_min_f32_e32 v63, v65, v96
	v_pk_add_f32 v[54:55], v[54:55], v[62:63]
	;; [unrolled: 3-line block ×4, first 2 shown]
	v_pk_add_f32 v[106:107], v[50:51], v[62:63]
	s_waitcnt lgkmcnt(0)
	v_max_f32_e32 v62, v68, v68
	v_max_f32_e32 v63, v69, v69
	v_min_f32_e32 v50, v62, v94
	v_min_f32_e32 v51, v63, v92
	v_pk_add_f32 v[68:69], v[44:45], v[50:51]
	v_min_f32_e32 v44, v62, v97
	v_min_f32_e32 v45, v63, v96
	v_pk_add_f32 v[110:111], v[110:111], v[148:149]
	v_pk_add_f32 v[34:35], v[108:109], v[184:185]
	;; [unrolled: 1-line block ×3, first 2 shown]
	v_min_f32_e32 v44, v62, v113
	v_min_f32_e32 v45, v63, v112
	v_pk_add_f32 v[28:29], v[110:111], v[192:193]
	v_pk_add_f32 v[110:111], v[48:49], v[44:45]
	ds_read_b128 v[44:47], v207 offset:512
	v_min_f32_e32 v49, v63, v81
	v_min_f32_e32 v48, v62, v80
	v_pk_add_f32 v[42:43], v[42:43], v[48:49]
	ds_read_b128 v[48:51], v207 offset:640
	s_waitcnt lgkmcnt(1)
	v_max_f32_e32 v62, v44, v44
	v_max_f32_e32 v63, v45, v45
	v_min_f32_e32 v44, v62, v94
	v_min_f32_e32 v45, v63, v92
	v_pk_add_f32 v[36:37], v[36:37], v[44:45]
	v_min_f32_e32 v44, v62, v97
	v_min_f32_e32 v45, v63, v96
	v_pk_add_f32 v[38:39], v[38:39], v[44:45]
	;; [unrolled: 3-line block ×3, first 2 shown]
	v_min_f32_e32 v45, v63, v81
	v_min_f32_e32 v44, v62, v80
	s_waitcnt lgkmcnt(0)
	v_max_f32_e32 v48, v48, v48
	v_max_f32_e32 v49, v49, v49
	v_pk_add_f32 v[34:35], v[34:35], v[44:45]
	v_min_f32_e32 v44, v48, v94
	v_min_f32_e32 v45, v49, v92
	v_pk_add_f32 v[28:29], v[28:29], v[44:45]
	v_min_f32_e32 v44, v48, v97
	v_min_f32_e32 v45, v49, v96
	;; [unrolled: 3-line block ×3, first 2 shown]
	v_pk_add_f32 v[26:27], v[114:115], v[194:195]
	v_pk_add_f32 v[32:33], v[32:33], v[44:45]
	v_min_f32_e32 v45, v49, v81
	v_min_f32_e32 v44, v48, v80
	v_pk_add_f32 v[26:27], v[26:27], v[44:45]
	v_max_f32_e32 v44, v12, v12
	v_max_f32_e32 v45, v13, v13
	v_min_f32_e32 v12, v44, v94
	v_min_f32_e32 v13, v45, v92
	v_pk_add_f32 v[12:13], v[24:25], v[12:13]
	v_min_f32_e32 v24, v44, v97
	v_min_f32_e32 v25, v45, v96
	v_pk_add_f32 v[22:23], v[22:23], v[24:25]
	;; [unrolled: 3-line block ×4, first 2 shown]
	v_pk_add_f32 v[20:21], v[20:21], v[24:25]
	v_min_f32_e32 v25, v93, v81
	v_min_f32_e32 v24, v95, v80
	;; [unrolled: 1-line block ×4, first 2 shown]
	v_pk_add_f32 v[16:17], v[16:17], v[24:25]
	v_max_f32_e32 v24, v3, v3
	v_max_f32_e32 v7, v7, v7
	;; [unrolled: 1-line block ×4, first 2 shown]
	v_pk_add_f32 v[0:1], v[120:121], v[0:1]
	v_min_f32_e32 v3, v7, v24
	v_min_f32_e32 v2, v6, v25
	v_pk_add_f32 v[96:97], v[0:1], v[2:3]
	v_max_f32_e32 v2, v11, v11
	v_max_f32_e32 v3, v10, v10
	v_min_f32_e32 v1, v7, v2
	v_min_f32_e32 v0, v6, v3
	v_pk_add_f32 v[80:81], v[4:5], v[0:1]
	v_max_f32_e32 v4, v87, v87
	v_max_f32_e32 v5, v86, v86
	;; [unrolled: 5-line block ×3, first 2 shown]
	v_min_f32_e32 v0, v8, v25
	v_min_f32_e32 v1, v9, v24
	v_pk_add_f32 v[116:117], v[74:75], v[0:1]
	v_min_f32_e32 v0, v8, v3
	v_min_f32_e32 v1, v9, v2
	v_pk_add_f32 v[94:95], v[76:77], v[0:1]
	v_min_f32_e32 v0, v8, v5
	v_min_f32_e32 v1, v9, v4
	v_max_f32_e32 v10, v83, v83
	v_pk_add_f32 v[78:79], v[72:73], v[0:1]
	v_min_f32_e32 v1, v9, v10
	v_max_f32_e32 v9, v82, v82
	v_min_f32_e32 v0, v8, v9
	v_max_f32_e32 v8, v90, v90
	v_max_f32_e32 v11, v91, v91
	v_pk_add_f32 v[62:63], v[84:85], v[0:1]
	v_min_f32_e32 v0, v8, v25
	v_min_f32_e32 v1, v11, v24
	v_pk_add_f32 v[114:115], v[60:61], v[0:1]
	v_min_f32_e32 v0, v8, v3
	v_min_f32_e32 v1, v11, v2
	v_pk_add_f32 v[92:93], v[88:89], v[0:1]
	v_min_f32_e32 v0, v8, v5
	v_min_f32_e32 v1, v11, v4
	v_pk_add_f32 v[76:77], v[104:105], v[0:1]
	v_min_f32_e32 v1, v11, v10
	v_min_f32_e32 v0, v8, v9
	v_max_f32_e32 v8, v66, v66
	v_max_f32_e32 v11, v67, v67
	v_pk_add_f32 v[60:61], v[58:59], v[0:1]
	v_min_f32_e32 v0, v8, v25
	v_min_f32_e32 v1, v11, v24
	v_pk_add_f32 v[104:105], v[52:53], v[0:1]
	v_min_f32_e32 v0, v8, v3
	v_min_f32_e32 v1, v11, v2
	v_pk_add_f32 v[90:91], v[54:55], v[0:1]
	v_min_f32_e32 v0, v8, v5
	v_min_f32_e32 v1, v11, v4
	v_pk_add_f32 v[74:75], v[56:57], v[0:1]
	v_min_f32_e32 v1, v11, v10
	;; [unrolled: 14-line block ×6, first 2 shown]
	v_min_f32_e32 v0, v8, v9
	v_pk_add_f32 v[50:51], v[20:21], v[0:1]
	v_min_f32_e32 v1, v7, v10
	v_min_f32_e32 v0, v6, v9
	s_add_i32 s15, s15, 8
	v_pk_add_f32 v[48:49], v[16:17], v[0:1]
	s_cmp_ge_i32 s15, s14
	v_lshl_add_u64 v[102:103], v[102:103], 0, 32
	ds_write_b32 v208, v213
	ds_write2st64_b32 v209, v212, v214 offset1:4
	s_waitcnt lgkmcnt(0)
	s_barrier
	s_cbranch_scc1 .LBB87_34
.LBB87_22:                              ; =>This Inner Loop Header: Depth=1
	v_add_u32_e32 v118, s15, v202
	v_add_u32_e32 v0, 8, v118
	v_cmp_gt_i32_e64 s[2:3], s22, v0
	s_and_b64 s[2:3], s[2:3], vcc
	s_and_b64 s[2:3], s[18:19], s[2:3]
	v_mov_b32_e32 v119, 0
	s_and_saveexec_b64 s[4:5], s[2:3]
	s_cbranch_execz .LBB87_24
; %bb.23:                               ;   in Loop: Header=BB87_22 Depth=1
	v_add_co_u32_e64 v2, s[2:3], -16, v102
	s_nop 1
	v_addc_co_u32_e64 v3, s[2:3], -1, v103, s[2:3]
	flat_load_dword v1, v[2:3]
	s_waitcnt vmcnt(0) lgkmcnt(0)
	v_mul_f32_e32 v119, s17, v1
.LBB87_24:                              ;   in Loop: Header=BB87_22 Depth=1
	s_or_b64 exec, exec, s[4:5]
	v_cmp_le_i32_e64 s[2:3], s22, v0
	v_min_i32_e32 v0, s23, v0
	v_ashrrev_i32_e32 v1, 31, v0
	s_or_b64 s[4:5], s[8:9], s[2:3]
	v_lshl_add_u64 v[0:1], v[0:1], 2, s[26:27]
	s_xor_b64 s[28:29], s[4:5], -1
	v_mov_b32_e32 v120, 0
	v_mov_b32_e32 v121, 0
	s_and_saveexec_b64 s[4:5], s[28:29]
	s_cbranch_execz .LBB87_26
; %bb.25:                               ;   in Loop: Header=BB87_22 Depth=1
	v_lshl_add_u64 v[2:3], v[98:99], 2, v[0:1]
	flat_load_dword v2, v[2:3]
	s_waitcnt vmcnt(0) lgkmcnt(0)
	v_mul_f32_e32 v121, s17, v2
.LBB87_26:                              ;   in Loop: Header=BB87_22 Depth=1
	s_or_b64 exec, exec, s[4:5]
	s_or_b64 s[2:3], s[6:7], s[2:3]
	s_xor_b64 s[4:5], s[2:3], -1
	s_and_saveexec_b64 s[2:3], s[4:5]
	s_cbranch_execz .LBB87_28
; %bb.27:                               ;   in Loop: Header=BB87_22 Depth=1
	v_lshl_add_u64 v[0:1], v[100:101], 2, v[0:1]
	flat_load_dword v0, v[0:1]
	s_waitcnt vmcnt(0) lgkmcnt(0)
	v_mul_f32_e32 v120, s17, v0
.LBB87_28:                              ;   in Loop: Header=BB87_22 Depth=1
	s_or_b64 exec, exec, s[2:3]
	ds_read_b128 v[40:43], v211
	ds_read_b128 v[36:39], v211 offset:512
	ds_read_b128 v[24:27], v211 offset:1536
	;; [unrolled: 1-line block ×3, first 2 shown]
	ds_read_b128 v[28:31], v210
	ds_read_b128 v[20:23], v210 offset:128
	ds_read_b128 v[16:19], v210 offset:256
	;; [unrolled: 1-line block ×7, first 2 shown]
	v_add_u32_e32 v118, 12, v118
	v_cmp_gt_i32_e64 s[2:3], s22, v118
	s_and_b64 s[2:3], s[2:3], vcc
	s_and_b64 s[4:5], s[18:19], s[2:3]
	v_mov_b32_e32 v212, 0
	v_mov_b32_e32 v213, 0
	ds_write_b32 v206, v119
	ds_write2st64_b32 v205, v121, v120 offset1:4
	s_waitcnt lgkmcnt(0)
	s_barrier
	s_and_saveexec_b64 s[2:3], s[4:5]
	s_cbranch_execz .LBB87_30
; %bb.29:                               ;   in Loop: Header=BB87_22 Depth=1
	flat_load_dword v119, v[102:103]
	s_waitcnt vmcnt(0) lgkmcnt(0)
	v_mul_f32_e32 v213, s17, v119
.LBB87_30:                              ;   in Loop: Header=BB87_22 Depth=1
	s_or_b64 exec, exec, s[2:3]
	v_cmp_le_i32_e64 s[2:3], s22, v118
	v_min_i32_e32 v118, s23, v118
	v_ashrrev_i32_e32 v119, 31, v118
	s_or_b64 s[4:5], s[8:9], s[2:3]
	v_lshl_add_u64 v[118:119], v[118:119], 2, s[26:27]
	s_xor_b64 s[28:29], s[4:5], -1
	s_and_saveexec_b64 s[4:5], s[28:29]
	s_cbranch_execz .LBB87_32
; %bb.31:                               ;   in Loop: Header=BB87_22 Depth=1
	v_lshl_add_u64 v[120:121], v[98:99], 2, v[118:119]
	flat_load_dword v120, v[120:121]
	s_waitcnt vmcnt(0) lgkmcnt(0)
	v_mul_f32_e32 v212, s17, v120
.LBB87_32:                              ;   in Loop: Header=BB87_22 Depth=1
	s_or_b64 exec, exec, s[4:5]
	v_max_f32_e32 v152, v41, v41
	v_max_f32_e32 v158, v45, v45
	;; [unrolled: 1-line block ×34, first 2 shown]
	v_min_f32_e32 v41, v158, v152
	v_min_f32_e32 v40, v160, v153
	;; [unrolled: 1-line block ×62, first 2 shown]
	v_max_f32_e32 v189, v47, v47
	v_max_f32_e32 v214, v46, v46
	;; [unrolled: 1-line block ×12, first 2 shown]
	v_min_f32_e32 v192, v6, v196
	v_min_f32_e32 v193, v7, v188
	;; [unrolled: 1-line block ×8, first 2 shown]
	v_max_f32_e32 v6, v2, v2
	v_max_f32_e32 v7, v3, v3
	s_or_b64 s[2:3], s[6:7], s[2:3]
	v_min_f32_e32 v32, v160, v161
	v_min_f32_e32 v0, v164, v161
	;; [unrolled: 1-line block ×58, first 2 shown]
	s_xor_b64 s[4:5], s[2:3], -1
	v_mov_b32_e32 v214, 0
	s_and_saveexec_b64 s[2:3], s[4:5]
	s_cbranch_execz .LBB87_21
; %bb.33:                               ;   in Loop: Header=BB87_22 Depth=1
	v_lshl_add_u64 v[118:119], v[100:101], 2, v[118:119]
	flat_load_dword v118, v[118:119]
	s_waitcnt vmcnt(0) lgkmcnt(0)
	v_mul_f32_e32 v214, s17, v118
	s_branch .LBB87_21
.LBB87_34:
	s_load_dwordx2 s[2:3], s[0:1], 0x78
	s_load_dword s29, s[0:1], 0x58
	s_load_dword s28, s[0:1], 0x70
	ds_read_b128 v[44:47], v204 offset:2048
	ds_read_b128 v[40:43], v204 offset:2560
	;; [unrolled: 1-line block ×12, first 2 shown]
	v_add_u32_e32 v122, s33, v201
	s_waitcnt lgkmcnt(0)
	s_mul_i32 s1, s16, s3
	s_mul_hi_u32 s3, s16, s2
	s_mul_i32 s0, s16, s2
	s_add_i32 s1, s3, s1
	s_lshl_b64 s[0:1], s[0:1], 2
	s_add_u32 s22, s10, s0
	s_addc_u32 s23, s11, s1
	v_mad_i64_i32 v[100:101], s[0:1], v122, s29, 0
	v_add_u32_e32 v98, s31, v200
	v_lshl_add_u64 v[120:121], v[100:101], 2, s[24:25]
	v_mad_i64_i32 v[100:101], s[0:1], v122, s28, 0
	v_cmp_gt_i32_e64 s[18:19], s21, v122
	v_lshl_add_u64 v[118:119], v[100:101], 2, s[22:23]
	v_cmp_gt_i32_e64 s[2:3], s20, v98
	v_cndmask_b32_e64 v100, 0, 1, s[12:13]
	s_and_b64 s[6:7], s[2:3], s[18:19]
	v_ashrrev_i32_e32 v99, 31, v98
	v_cmp_ne_u32_e64 s[0:1], 1, v100
	s_and_saveexec_b64 s[4:5], s[6:7]
	s_cbranch_execz .LBB87_39
; %bb.35:
	s_and_b64 vcc, exec, s[0:1]
	s_cbranch_vccnz .LBB87_37
; %bb.36:
	v_lshl_add_u64 v[100:101], v[98:99], 2, v[120:121]
	flat_load_dword v100, v[100:101]
	s_waitcnt vmcnt(0) lgkmcnt(0)
	v_mul_f32_e32 v100, s30, v100
	s_branch .LBB87_38
.LBB87_37:
	v_mov_b32_e32 v100, 0
.LBB87_38:
	v_max_f32_e32 v101, v44, v44
	v_max_f32_e32 v102, v32, v32
	v_min_f32_e32 v102, v102, v101
	v_max_f32_e32 v101, v45, v45
	v_max_f32_e32 v103, v33, v33
	v_min_f32_e32 v103, v103, v101
	v_pk_add_f32 v[102:103], v[116:117], v[102:103]
	v_max_f32_e32 v101, v46, v46
	v_max_f32_e32 v116, v34, v34
	v_min_f32_e32 v116, v116, v101
	v_max_f32_e32 v101, v47, v47
	v_max_f32_e32 v117, v35, v35
	v_min_f32_e32 v117, v117, v101
	v_pk_add_f32 v[102:103], v[102:103], v[116:117]
	s_nop 0
	v_add_f32_e32 v101, v102, v103
	v_add_f32_e32 v102, v101, v100
	v_lshl_add_u64 v[100:101], v[98:99], 2, v[118:119]
	global_store_dword v[100:101], v102, off
.LBB87_39:
	s_or_b64 exec, exec, s[4:5]
	v_add_u32_e32 v100, 8, v98
	v_cmp_gt_i32_e64 s[4:5], s20, v100
	s_and_b64 s[8:9], s[4:5], s[18:19]
	v_ashrrev_i32_e32 v101, 31, v100
	s_and_saveexec_b64 s[6:7], s[8:9]
	s_cbranch_execz .LBB87_44
; %bb.40:
	s_and_b64 vcc, exec, s[0:1]
	s_cbranch_vccnz .LBB87_42
; %bb.41:
	v_lshl_add_u64 v[102:103], v[100:101], 2, v[120:121]
	flat_load_dword v102, v[102:103]
	s_waitcnt vmcnt(0) lgkmcnt(0)
	v_mul_f32_e32 v102, s30, v102
	s_branch .LBB87_43
.LBB87_42:
	v_mov_b32_e32 v102, 0
.LBB87_43:
	v_max_f32_e32 v103, v44, v44
	v_max_f32_e32 v116, v28, v28
	v_min_f32_e32 v116, v116, v103
	v_max_f32_e32 v103, v45, v45
	v_max_f32_e32 v117, v29, v29
	v_min_f32_e32 v117, v117, v103
	v_pk_add_f32 v[114:115], v[114:115], v[116:117]
	v_max_f32_e32 v103, v46, v46
	v_max_f32_e32 v116, v30, v30
	v_min_f32_e32 v116, v116, v103
	v_max_f32_e32 v103, v47, v47
	v_max_f32_e32 v117, v31, v31
	v_min_f32_e32 v117, v117, v103
	v_pk_add_f32 v[114:115], v[114:115], v[116:117]
	s_nop 0
	v_add_f32_e32 v103, v114, v115
	v_add_f32_e32 v114, v103, v102
	v_lshl_add_u64 v[102:103], v[100:101], 2, v[118:119]
	global_store_dword v[102:103], v114, off
.LBB87_44:
	s_or_b64 exec, exec, s[6:7]
	v_add_u32_e32 v102, 16, v98
	v_cmp_gt_i32_e64 s[6:7], s20, v102
	s_and_b64 s[10:11], s[6:7], s[18:19]
	v_ashrrev_i32_e32 v103, 31, v102
	;; [unrolled: 39-line block ×7, first 2 shown]
	s_and_saveexec_b64 s[18:19], s[26:27]
	s_cbranch_execz .LBB87_74
; %bb.70:
	s_and_b64 vcc, exec, s[0:1]
	s_cbranch_vccnz .LBB87_72
; %bb.71:
	v_lshl_add_u64 v[114:115], v[112:113], 2, v[120:121]
	flat_load_dword v114, v[114:115]
	s_waitcnt vmcnt(0) lgkmcnt(0)
	v_mul_f32_e32 v114, s30, v114
	s_branch .LBB87_73
.LBB87_72:
	v_mov_b32_e32 v114, 0
.LBB87_73:
	v_max_f32_e32 v45, v45, v45
	v_max_f32_e32 v115, v5, v5
	v_min_f32_e32 v45, v115, v45
	v_max_f32_e32 v44, v44, v44
	v_max_f32_e32 v115, v4, v4
	v_min_f32_e32 v44, v115, v44
	v_pk_add_f32 v[44:45], v[96:97], v[44:45]
	v_max_f32_e32 v47, v47, v47
	v_max_f32_e32 v96, v7, v7
	v_min_f32_e32 v47, v96, v47
	v_max_f32_e32 v46, v46, v46
	v_max_f32_e32 v96, v6, v6
	v_min_f32_e32 v46, v96, v46
	v_pk_add_f32 v[44:45], v[44:45], v[46:47]
	s_nop 0
	v_add_f32_e32 v44, v44, v45
	v_add_f32_e32 v46, v44, v114
	v_lshl_add_u64 v[44:45], v[112:113], 2, v[118:119]
	global_store_dword v[44:45], v46, off
.LBB87_74:
	s_or_b64 exec, exec, s[18:19]
	v_add_u32_e32 v96, 32, v122
	v_mad_i64_i32 v[44:45], s[26:27], v96, s29, 0
	v_cmp_gt_i32_e64 s[18:19], s21, v96
	v_lshl_add_u64 v[46:47], v[44:45], 2, s[24:25]
	v_mad_i64_i32 v[44:45], s[26:27], v96, s28, 0
	v_lshl_add_u64 v[44:45], v[44:45], 2, s[22:23]
	s_and_b64 s[34:35], s[2:3], s[18:19]
	s_and_saveexec_b64 s[26:27], s[34:35]
	s_cbranch_execnz .LBB87_82
; %bb.75:
	s_or_b64 exec, exec, s[26:27]
	s_and_b64 s[34:35], s[4:5], s[18:19]
	s_and_saveexec_b64 s[26:27], s[34:35]
	s_cbranch_execnz .LBB87_86
.LBB87_76:
	s_or_b64 exec, exec, s[26:27]
	s_and_b64 s[34:35], s[6:7], s[18:19]
	s_and_saveexec_b64 s[26:27], s[34:35]
	s_cbranch_execnz .LBB87_90
.LBB87_77:
	s_or_b64 exec, exec, s[26:27]
	s_and_b64 s[34:35], s[8:9], s[18:19]
	s_and_saveexec_b64 s[26:27], s[34:35]
	s_cbranch_execnz .LBB87_94
.LBB87_78:
	s_or_b64 exec, exec, s[26:27]
	s_and_b64 s[34:35], s[10:11], s[18:19]
	s_and_saveexec_b64 s[26:27], s[34:35]
	s_cbranch_execnz .LBB87_98
.LBB87_79:
	s_or_b64 exec, exec, s[26:27]
	s_and_b64 s[34:35], s[12:13], s[18:19]
	s_and_saveexec_b64 s[26:27], s[34:35]
	s_cbranch_execnz .LBB87_102
.LBB87_80:
	s_or_b64 exec, exec, s[26:27]
	s_and_b64 s[34:35], s[14:15], s[18:19]
	s_and_saveexec_b64 s[26:27], s[34:35]
	s_cbranch_execnz .LBB87_106
.LBB87_81:
	s_or_b64 exec, exec, s[26:27]
	s_and_b64 s[26:27], s[16:17], s[18:19]
	s_and_saveexec_b64 s[18:19], s[26:27]
	s_cbranch_execnz .LBB87_110
	s_branch .LBB87_114
.LBB87_82:
	s_and_b64 vcc, exec, s[0:1]
	s_cbranch_vccnz .LBB87_84
; %bb.83:
	v_lshl_add_u64 v[96:97], v[98:99], 2, v[46:47]
	flat_load_dword v96, v[96:97]
	s_waitcnt vmcnt(0) lgkmcnt(0)
	v_mul_f32_e32 v96, s30, v96
	s_branch .LBB87_85
.LBB87_84:
	v_mov_b32_e32 v96, 0
.LBB87_85:
	v_max_f32_e32 v97, v40, v40
	v_max_f32_e32 v114, v32, v32
	v_min_f32_e32 v114, v114, v97
	v_max_f32_e32 v97, v41, v41
	v_max_f32_e32 v115, v33, v33
	v_min_f32_e32 v115, v115, v97
	v_pk_add_f32 v[94:95], v[94:95], v[114:115]
	v_max_f32_e32 v97, v42, v42
	v_max_f32_e32 v114, v34, v34
	v_min_f32_e32 v114, v114, v97
	v_max_f32_e32 v97, v43, v43
	v_max_f32_e32 v115, v35, v35
	v_min_f32_e32 v115, v115, v97
	v_pk_add_f32 v[94:95], v[94:95], v[114:115]
	s_nop 0
	v_add_f32_e32 v94, v94, v95
	v_add_f32_e32 v96, v94, v96
	v_lshl_add_u64 v[94:95], v[98:99], 2, v[44:45]
	global_store_dword v[94:95], v96, off
	s_or_b64 exec, exec, s[26:27]
	s_and_b64 s[34:35], s[4:5], s[18:19]
	s_and_saveexec_b64 s[26:27], s[34:35]
	s_cbranch_execz .LBB87_76
.LBB87_86:
	s_and_b64 vcc, exec, s[0:1]
	s_cbranch_vccnz .LBB87_88
; %bb.87:
	v_lshl_add_u64 v[94:95], v[100:101], 2, v[46:47]
	flat_load_dword v94, v[94:95]
	s_waitcnt vmcnt(0) lgkmcnt(0)
	v_mul_f32_e32 v94, s30, v94
	s_branch .LBB87_89
.LBB87_88:
	v_mov_b32_e32 v94, 0
.LBB87_89:
	v_max_f32_e32 v95, v40, v40
	v_max_f32_e32 v96, v28, v28
	v_min_f32_e32 v96, v96, v95
	v_max_f32_e32 v95, v41, v41
	v_max_f32_e32 v97, v29, v29
	v_min_f32_e32 v97, v97, v95
	v_pk_add_f32 v[92:93], v[92:93], v[96:97]
	v_max_f32_e32 v95, v42, v42
	v_max_f32_e32 v96, v30, v30
	v_min_f32_e32 v96, v96, v95
	v_max_f32_e32 v95, v43, v43
	v_max_f32_e32 v97, v31, v31
	v_min_f32_e32 v97, v97, v95
	v_pk_add_f32 v[92:93], v[92:93], v[96:97]
	s_nop 0
	v_add_f32_e32 v92, v92, v93
	v_add_f32_e32 v94, v92, v94
	v_lshl_add_u64 v[92:93], v[100:101], 2, v[44:45]
	global_store_dword v[92:93], v94, off
	s_or_b64 exec, exec, s[26:27]
	s_and_b64 s[34:35], s[6:7], s[18:19]
	s_and_saveexec_b64 s[26:27], s[34:35]
	s_cbranch_execz .LBB87_77
.LBB87_90:
	s_and_b64 vcc, exec, s[0:1]
	s_cbranch_vccnz .LBB87_92
; %bb.91:
	v_lshl_add_u64 v[92:93], v[102:103], 2, v[46:47]
	flat_load_dword v92, v[92:93]
	s_waitcnt vmcnt(0) lgkmcnt(0)
	v_mul_f32_e32 v92, s30, v92
	s_branch .LBB87_93
.LBB87_92:
	v_mov_b32_e32 v92, 0
.LBB87_93:
	v_max_f32_e32 v93, v40, v40
	v_max_f32_e32 v94, v24, v24
	v_min_f32_e32 v94, v94, v93
	v_max_f32_e32 v93, v41, v41
	v_max_f32_e32 v95, v25, v25
	v_min_f32_e32 v95, v95, v93
	v_pk_add_f32 v[90:91], v[90:91], v[94:95]
	v_max_f32_e32 v93, v42, v42
	v_max_f32_e32 v94, v26, v26
	v_min_f32_e32 v94, v94, v93
	v_max_f32_e32 v93, v43, v43
	v_max_f32_e32 v95, v27, v27
	v_min_f32_e32 v95, v95, v93
	v_pk_add_f32 v[90:91], v[90:91], v[94:95]
	s_nop 0
	v_add_f32_e32 v90, v90, v91
	v_add_f32_e32 v92, v90, v92
	v_lshl_add_u64 v[90:91], v[102:103], 2, v[44:45]
	global_store_dword v[90:91], v92, off
	s_or_b64 exec, exec, s[26:27]
	s_and_b64 s[34:35], s[8:9], s[18:19]
	s_and_saveexec_b64 s[26:27], s[34:35]
	s_cbranch_execz .LBB87_78
.LBB87_94:
	s_and_b64 vcc, exec, s[0:1]
	s_cbranch_vccnz .LBB87_96
; %bb.95:
	v_lshl_add_u64 v[90:91], v[104:105], 2, v[46:47]
	flat_load_dword v90, v[90:91]
	s_waitcnt vmcnt(0) lgkmcnt(0)
	v_mul_f32_e32 v90, s30, v90
	s_branch .LBB87_97
.LBB87_96:
	v_mov_b32_e32 v90, 0
.LBB87_97:
	v_max_f32_e32 v91, v40, v40
	v_max_f32_e32 v92, v20, v20
	v_min_f32_e32 v92, v92, v91
	v_max_f32_e32 v91, v41, v41
	v_max_f32_e32 v93, v21, v21
	v_min_f32_e32 v93, v93, v91
	v_pk_add_f32 v[88:89], v[88:89], v[92:93]
	v_max_f32_e32 v91, v42, v42
	v_max_f32_e32 v92, v22, v22
	v_min_f32_e32 v92, v92, v91
	v_max_f32_e32 v91, v43, v43
	v_max_f32_e32 v93, v23, v23
	v_min_f32_e32 v93, v93, v91
	v_pk_add_f32 v[88:89], v[88:89], v[92:93]
	s_nop 0
	v_add_f32_e32 v88, v88, v89
	v_add_f32_e32 v90, v88, v90
	v_lshl_add_u64 v[88:89], v[104:105], 2, v[44:45]
	global_store_dword v[88:89], v90, off
	s_or_b64 exec, exec, s[26:27]
	s_and_b64 s[34:35], s[10:11], s[18:19]
	s_and_saveexec_b64 s[26:27], s[34:35]
	s_cbranch_execz .LBB87_79
.LBB87_98:
	s_and_b64 vcc, exec, s[0:1]
	s_cbranch_vccnz .LBB87_100
; %bb.99:
	v_lshl_add_u64 v[88:89], v[106:107], 2, v[46:47]
	flat_load_dword v88, v[88:89]
	s_waitcnt vmcnt(0) lgkmcnt(0)
	v_mul_f32_e32 v88, s30, v88
	s_branch .LBB87_101
.LBB87_100:
	v_mov_b32_e32 v88, 0
.LBB87_101:
	v_max_f32_e32 v89, v40, v40
	v_max_f32_e32 v90, v16, v16
	v_min_f32_e32 v90, v90, v89
	v_max_f32_e32 v89, v41, v41
	v_max_f32_e32 v91, v17, v17
	v_min_f32_e32 v91, v91, v89
	v_pk_add_f32 v[86:87], v[86:87], v[90:91]
	v_max_f32_e32 v89, v42, v42
	v_max_f32_e32 v90, v18, v18
	v_min_f32_e32 v90, v90, v89
	v_max_f32_e32 v89, v43, v43
	v_max_f32_e32 v91, v19, v19
	v_min_f32_e32 v91, v91, v89
	v_pk_add_f32 v[86:87], v[86:87], v[90:91]
	s_nop 0
	v_add_f32_e32 v86, v86, v87
	v_add_f32_e32 v88, v86, v88
	v_lshl_add_u64 v[86:87], v[106:107], 2, v[44:45]
	global_store_dword v[86:87], v88, off
	s_or_b64 exec, exec, s[26:27]
	s_and_b64 s[34:35], s[12:13], s[18:19]
	s_and_saveexec_b64 s[26:27], s[34:35]
	s_cbranch_execz .LBB87_80
.LBB87_102:
	s_and_b64 vcc, exec, s[0:1]
	s_cbranch_vccnz .LBB87_104
; %bb.103:
	v_lshl_add_u64 v[86:87], v[108:109], 2, v[46:47]
	flat_load_dword v86, v[86:87]
	s_waitcnt vmcnt(0) lgkmcnt(0)
	v_mul_f32_e32 v86, s30, v86
	s_branch .LBB87_105
.LBB87_104:
	v_mov_b32_e32 v86, 0
.LBB87_105:
	v_max_f32_e32 v87, v40, v40
	v_max_f32_e32 v88, v12, v12
	v_min_f32_e32 v88, v88, v87
	v_max_f32_e32 v87, v41, v41
	v_max_f32_e32 v89, v13, v13
	v_min_f32_e32 v89, v89, v87
	v_pk_add_f32 v[84:85], v[84:85], v[88:89]
	v_max_f32_e32 v87, v42, v42
	v_max_f32_e32 v88, v14, v14
	v_min_f32_e32 v88, v88, v87
	v_max_f32_e32 v87, v43, v43
	v_max_f32_e32 v89, v15, v15
	v_min_f32_e32 v89, v89, v87
	v_pk_add_f32 v[84:85], v[84:85], v[88:89]
	s_nop 0
	v_add_f32_e32 v84, v84, v85
	v_add_f32_e32 v86, v84, v86
	v_lshl_add_u64 v[84:85], v[108:109], 2, v[44:45]
	global_store_dword v[84:85], v86, off
	s_or_b64 exec, exec, s[26:27]
	s_and_b64 s[34:35], s[14:15], s[18:19]
	s_and_saveexec_b64 s[26:27], s[34:35]
	s_cbranch_execz .LBB87_81
.LBB87_106:
	s_and_b64 vcc, exec, s[0:1]
	s_cbranch_vccnz .LBB87_108
; %bb.107:
	v_lshl_add_u64 v[84:85], v[110:111], 2, v[46:47]
	flat_load_dword v84, v[84:85]
	s_waitcnt vmcnt(0) lgkmcnt(0)
	v_mul_f32_e32 v84, s30, v84
	s_branch .LBB87_109
.LBB87_108:
	v_mov_b32_e32 v84, 0
.LBB87_109:
	v_max_f32_e32 v85, v40, v40
	v_max_f32_e32 v86, v8, v8
	v_min_f32_e32 v86, v86, v85
	v_max_f32_e32 v85, v41, v41
	v_max_f32_e32 v87, v9, v9
	v_min_f32_e32 v87, v87, v85
	v_pk_add_f32 v[82:83], v[82:83], v[86:87]
	v_max_f32_e32 v85, v42, v42
	v_max_f32_e32 v86, v10, v10
	v_min_f32_e32 v86, v86, v85
	v_max_f32_e32 v85, v43, v43
	v_max_f32_e32 v87, v11, v11
	v_min_f32_e32 v87, v87, v85
	v_pk_add_f32 v[82:83], v[82:83], v[86:87]
	s_nop 0
	v_add_f32_e32 v82, v82, v83
	v_add_f32_e32 v84, v82, v84
	v_lshl_add_u64 v[82:83], v[110:111], 2, v[44:45]
	global_store_dword v[82:83], v84, off
	s_or_b64 exec, exec, s[26:27]
	s_and_b64 s[26:27], s[16:17], s[18:19]
	s_and_saveexec_b64 s[18:19], s[26:27]
	s_cbranch_execz .LBB87_114
.LBB87_110:
	s_and_b64 vcc, exec, s[0:1]
	s_cbranch_vccnz .LBB87_112
; %bb.111:
	v_lshl_add_u64 v[46:47], v[112:113], 2, v[46:47]
	flat_load_dword v46, v[46:47]
	s_waitcnt vmcnt(0) lgkmcnt(0)
	v_mul_f32_e32 v46, s30, v46
	s_branch .LBB87_113
.LBB87_112:
	v_mov_b32_e32 v46, 0
.LBB87_113:
	v_max_f32_e32 v41, v41, v41
	v_max_f32_e32 v47, v5, v5
	v_min_f32_e32 v41, v47, v41
	v_max_f32_e32 v40, v40, v40
	v_max_f32_e32 v47, v4, v4
	v_min_f32_e32 v40, v47, v40
	;; [unrolled: 3-line block ×3, first 2 shown]
	v_max_f32_e32 v42, v42, v42
	v_max_f32_e32 v47, v6, v6
	v_pk_add_f32 v[40:41], v[80:81], v[40:41]
	v_min_f32_e32 v42, v47, v42
	v_pk_add_f32 v[40:41], v[40:41], v[42:43]
	s_nop 0
	v_add_f32_e32 v40, v40, v41
	v_add_f32_e32 v42, v40, v46
	v_lshl_add_u64 v[40:41], v[112:113], 2, v[44:45]
	global_store_dword v[40:41], v42, off
.LBB87_114:
	s_or_b64 exec, exec, s[18:19]
	v_add_u32_e32 v44, 64, v122
	v_mad_i64_i32 v[40:41], s[26:27], v44, s29, 0
	v_cmp_gt_i32_e64 s[18:19], s21, v44
	v_lshl_add_u64 v[42:43], v[40:41], 2, s[24:25]
	v_mad_i64_i32 v[40:41], s[26:27], v44, s28, 0
	v_lshl_add_u64 v[40:41], v[40:41], 2, s[22:23]
	s_and_b64 s[34:35], s[2:3], s[18:19]
	s_and_saveexec_b64 s[26:27], s[34:35]
	s_cbranch_execnz .LBB87_122
; %bb.115:
	s_or_b64 exec, exec, s[26:27]
	s_and_b64 s[34:35], s[4:5], s[18:19]
	s_and_saveexec_b64 s[26:27], s[34:35]
	s_cbranch_execnz .LBB87_126
.LBB87_116:
	s_or_b64 exec, exec, s[26:27]
	s_and_b64 s[34:35], s[6:7], s[18:19]
	s_and_saveexec_b64 s[26:27], s[34:35]
	s_cbranch_execnz .LBB87_130
.LBB87_117:
	s_or_b64 exec, exec, s[26:27]
	s_and_b64 s[34:35], s[8:9], s[18:19]
	s_and_saveexec_b64 s[26:27], s[34:35]
	s_cbranch_execnz .LBB87_134
.LBB87_118:
	s_or_b64 exec, exec, s[26:27]
	s_and_b64 s[34:35], s[10:11], s[18:19]
	s_and_saveexec_b64 s[26:27], s[34:35]
	s_cbranch_execnz .LBB87_138
.LBB87_119:
	s_or_b64 exec, exec, s[26:27]
	s_and_b64 s[34:35], s[12:13], s[18:19]
	s_and_saveexec_b64 s[26:27], s[34:35]
	s_cbranch_execnz .LBB87_142
.LBB87_120:
	s_or_b64 exec, exec, s[26:27]
	s_and_b64 s[34:35], s[14:15], s[18:19]
	s_and_saveexec_b64 s[26:27], s[34:35]
	s_cbranch_execnz .LBB87_146
.LBB87_121:
	s_or_b64 exec, exec, s[26:27]
	s_and_b64 s[26:27], s[16:17], s[18:19]
	s_and_saveexec_b64 s[18:19], s[26:27]
	s_cbranch_execnz .LBB87_150
	s_branch .LBB87_154
.LBB87_122:
	s_and_b64 vcc, exec, s[0:1]
	s_cbranch_vccnz .LBB87_124
; %bb.123:
	v_lshl_add_u64 v[44:45], v[98:99], 2, v[42:43]
	flat_load_dword v44, v[44:45]
	s_waitcnt vmcnt(0) lgkmcnt(0)
	v_mul_f32_e32 v44, s30, v44
	s_branch .LBB87_125
.LBB87_124:
	v_mov_b32_e32 v44, 0
.LBB87_125:
	v_max_f32_e32 v45, v36, v36
	v_max_f32_e32 v46, v32, v32
	v_min_f32_e32 v46, v46, v45
	v_max_f32_e32 v45, v37, v37
	v_max_f32_e32 v47, v33, v33
	v_min_f32_e32 v47, v47, v45
	v_pk_add_f32 v[46:47], v[78:79], v[46:47]
	v_max_f32_e32 v45, v38, v38
	v_max_f32_e32 v78, v34, v34
	v_min_f32_e32 v78, v78, v45
	v_max_f32_e32 v45, v39, v39
	v_max_f32_e32 v79, v35, v35
	v_min_f32_e32 v79, v79, v45
	v_pk_add_f32 v[46:47], v[46:47], v[78:79]
	s_nop 0
	v_add_f32_e32 v45, v46, v47
	v_add_f32_e32 v46, v45, v44
	v_lshl_add_u64 v[44:45], v[98:99], 2, v[40:41]
	global_store_dword v[44:45], v46, off
	s_or_b64 exec, exec, s[26:27]
	s_and_b64 s[34:35], s[4:5], s[18:19]
	s_and_saveexec_b64 s[26:27], s[34:35]
	s_cbranch_execz .LBB87_116
.LBB87_126:
	s_and_b64 vcc, exec, s[0:1]
	s_cbranch_vccnz .LBB87_128
; %bb.127:
	v_lshl_add_u64 v[44:45], v[100:101], 2, v[42:43]
	flat_load_dword v44, v[44:45]
	s_waitcnt vmcnt(0) lgkmcnt(0)
	v_mul_f32_e32 v44, s30, v44
	s_branch .LBB87_129
.LBB87_128:
	v_mov_b32_e32 v44, 0
.LBB87_129:
	v_max_f32_e32 v45, v36, v36
	v_max_f32_e32 v46, v28, v28
	v_min_f32_e32 v46, v46, v45
	v_max_f32_e32 v45, v37, v37
	v_max_f32_e32 v47, v29, v29
	v_min_f32_e32 v47, v47, v45
	v_pk_add_f32 v[46:47], v[76:77], v[46:47]
	v_max_f32_e32 v45, v38, v38
	v_max_f32_e32 v76, v30, v30
	v_min_f32_e32 v76, v76, v45
	v_max_f32_e32 v45, v39, v39
	v_max_f32_e32 v77, v31, v31
	v_min_f32_e32 v77, v77, v45
	v_pk_add_f32 v[46:47], v[46:47], v[76:77]
	s_nop 0
	v_add_f32_e32 v45, v46, v47
	v_add_f32_e32 v46, v45, v44
	v_lshl_add_u64 v[44:45], v[100:101], 2, v[40:41]
	global_store_dword v[44:45], v46, off
	s_or_b64 exec, exec, s[26:27]
	s_and_b64 s[34:35], s[6:7], s[18:19]
	s_and_saveexec_b64 s[26:27], s[34:35]
	s_cbranch_execz .LBB87_117
.LBB87_130:
	s_and_b64 vcc, exec, s[0:1]
	s_cbranch_vccnz .LBB87_132
; %bb.131:
	v_lshl_add_u64 v[44:45], v[102:103], 2, v[42:43]
	flat_load_dword v44, v[44:45]
	s_waitcnt vmcnt(0) lgkmcnt(0)
	v_mul_f32_e32 v44, s30, v44
	s_branch .LBB87_133
.LBB87_132:
	v_mov_b32_e32 v44, 0
.LBB87_133:
	v_max_f32_e32 v45, v36, v36
	v_max_f32_e32 v46, v24, v24
	v_min_f32_e32 v46, v46, v45
	v_max_f32_e32 v45, v37, v37
	v_max_f32_e32 v47, v25, v25
	v_min_f32_e32 v47, v47, v45
	v_pk_add_f32 v[46:47], v[74:75], v[46:47]
	v_max_f32_e32 v45, v38, v38
	v_max_f32_e32 v74, v26, v26
	v_min_f32_e32 v74, v74, v45
	v_max_f32_e32 v45, v39, v39
	v_max_f32_e32 v75, v27, v27
	v_min_f32_e32 v75, v75, v45
	v_pk_add_f32 v[46:47], v[46:47], v[74:75]
	s_nop 0
	v_add_f32_e32 v45, v46, v47
	v_add_f32_e32 v46, v45, v44
	v_lshl_add_u64 v[44:45], v[102:103], 2, v[40:41]
	global_store_dword v[44:45], v46, off
	s_or_b64 exec, exec, s[26:27]
	s_and_b64 s[34:35], s[8:9], s[18:19]
	s_and_saveexec_b64 s[26:27], s[34:35]
	s_cbranch_execz .LBB87_118
.LBB87_134:
	s_and_b64 vcc, exec, s[0:1]
	s_cbranch_vccnz .LBB87_136
; %bb.135:
	v_lshl_add_u64 v[44:45], v[104:105], 2, v[42:43]
	flat_load_dword v44, v[44:45]
	s_waitcnt vmcnt(0) lgkmcnt(0)
	v_mul_f32_e32 v44, s30, v44
	s_branch .LBB87_137
.LBB87_136:
	v_mov_b32_e32 v44, 0
.LBB87_137:
	v_max_f32_e32 v45, v36, v36
	v_max_f32_e32 v46, v20, v20
	v_min_f32_e32 v46, v46, v45
	v_max_f32_e32 v45, v37, v37
	v_max_f32_e32 v47, v21, v21
	v_min_f32_e32 v47, v47, v45
	v_pk_add_f32 v[46:47], v[72:73], v[46:47]
	v_max_f32_e32 v45, v38, v38
	v_max_f32_e32 v72, v22, v22
	v_min_f32_e32 v72, v72, v45
	v_max_f32_e32 v45, v39, v39
	v_max_f32_e32 v73, v23, v23
	v_min_f32_e32 v73, v73, v45
	v_pk_add_f32 v[46:47], v[46:47], v[72:73]
	s_nop 0
	v_add_f32_e32 v45, v46, v47
	v_add_f32_e32 v46, v45, v44
	v_lshl_add_u64 v[44:45], v[104:105], 2, v[40:41]
	global_store_dword v[44:45], v46, off
	s_or_b64 exec, exec, s[26:27]
	s_and_b64 s[34:35], s[10:11], s[18:19]
	s_and_saveexec_b64 s[26:27], s[34:35]
	s_cbranch_execz .LBB87_119
.LBB87_138:
	s_and_b64 vcc, exec, s[0:1]
	s_cbranch_vccnz .LBB87_140
; %bb.139:
	v_lshl_add_u64 v[44:45], v[106:107], 2, v[42:43]
	flat_load_dword v44, v[44:45]
	s_waitcnt vmcnt(0) lgkmcnt(0)
	v_mul_f32_e32 v44, s30, v44
	s_branch .LBB87_141
.LBB87_140:
	v_mov_b32_e32 v44, 0
.LBB87_141:
	v_max_f32_e32 v45, v36, v36
	v_max_f32_e32 v46, v16, v16
	v_min_f32_e32 v46, v46, v45
	v_max_f32_e32 v45, v37, v37
	v_max_f32_e32 v47, v17, v17
	v_min_f32_e32 v47, v47, v45
	v_pk_add_f32 v[46:47], v[70:71], v[46:47]
	v_max_f32_e32 v45, v38, v38
	v_max_f32_e32 v70, v18, v18
	v_min_f32_e32 v70, v70, v45
	v_max_f32_e32 v45, v39, v39
	v_max_f32_e32 v71, v19, v19
	v_min_f32_e32 v71, v71, v45
	v_pk_add_f32 v[46:47], v[46:47], v[70:71]
	s_nop 0
	v_add_f32_e32 v45, v46, v47
	v_add_f32_e32 v46, v45, v44
	v_lshl_add_u64 v[44:45], v[106:107], 2, v[40:41]
	global_store_dword v[44:45], v46, off
	s_or_b64 exec, exec, s[26:27]
	s_and_b64 s[34:35], s[12:13], s[18:19]
	s_and_saveexec_b64 s[26:27], s[34:35]
	s_cbranch_execz .LBB87_120
.LBB87_142:
	s_and_b64 vcc, exec, s[0:1]
	s_cbranch_vccnz .LBB87_144
; %bb.143:
	v_lshl_add_u64 v[44:45], v[108:109], 2, v[42:43]
	flat_load_dword v44, v[44:45]
	s_waitcnt vmcnt(0) lgkmcnt(0)
	v_mul_f32_e32 v44, s30, v44
	s_branch .LBB87_145
.LBB87_144:
	v_mov_b32_e32 v44, 0
.LBB87_145:
	v_max_f32_e32 v45, v36, v36
	v_max_f32_e32 v46, v12, v12
	v_min_f32_e32 v46, v46, v45
	v_max_f32_e32 v45, v37, v37
	v_max_f32_e32 v47, v13, v13
	v_min_f32_e32 v47, v47, v45
	v_pk_add_f32 v[46:47], v[68:69], v[46:47]
	v_max_f32_e32 v45, v38, v38
	v_max_f32_e32 v68, v14, v14
	v_min_f32_e32 v68, v68, v45
	v_max_f32_e32 v45, v39, v39
	v_max_f32_e32 v69, v15, v15
	v_min_f32_e32 v69, v69, v45
	v_pk_add_f32 v[46:47], v[46:47], v[68:69]
	s_nop 0
	v_add_f32_e32 v45, v46, v47
	v_add_f32_e32 v46, v45, v44
	v_lshl_add_u64 v[44:45], v[108:109], 2, v[40:41]
	global_store_dword v[44:45], v46, off
	s_or_b64 exec, exec, s[26:27]
	s_and_b64 s[34:35], s[14:15], s[18:19]
	s_and_saveexec_b64 s[26:27], s[34:35]
	s_cbranch_execz .LBB87_121
.LBB87_146:
	s_and_b64 vcc, exec, s[0:1]
	s_cbranch_vccnz .LBB87_148
; %bb.147:
	v_lshl_add_u64 v[44:45], v[110:111], 2, v[42:43]
	flat_load_dword v44, v[44:45]
	s_waitcnt vmcnt(0) lgkmcnt(0)
	v_mul_f32_e32 v44, s30, v44
	s_branch .LBB87_149
.LBB87_148:
	v_mov_b32_e32 v44, 0
.LBB87_149:
	v_max_f32_e32 v45, v36, v36
	v_max_f32_e32 v46, v8, v8
	v_min_f32_e32 v46, v46, v45
	v_max_f32_e32 v45, v37, v37
	v_max_f32_e32 v47, v9, v9
	v_min_f32_e32 v47, v47, v45
	v_pk_add_f32 v[46:47], v[66:67], v[46:47]
	v_max_f32_e32 v45, v38, v38
	v_max_f32_e32 v66, v10, v10
	v_min_f32_e32 v66, v66, v45
	v_max_f32_e32 v45, v39, v39
	v_max_f32_e32 v67, v11, v11
	v_min_f32_e32 v67, v67, v45
	v_pk_add_f32 v[46:47], v[46:47], v[66:67]
	s_nop 0
	v_add_f32_e32 v45, v46, v47
	v_add_f32_e32 v46, v45, v44
	v_lshl_add_u64 v[44:45], v[110:111], 2, v[40:41]
	global_store_dword v[44:45], v46, off
	s_or_b64 exec, exec, s[26:27]
	s_and_b64 s[26:27], s[16:17], s[18:19]
	s_and_saveexec_b64 s[18:19], s[26:27]
	s_cbranch_execz .LBB87_154
.LBB87_150:
	s_and_b64 vcc, exec, s[0:1]
	s_cbranch_vccnz .LBB87_152
; %bb.151:
	v_lshl_add_u64 v[42:43], v[112:113], 2, v[42:43]
	flat_load_dword v42, v[42:43]
	s_waitcnt vmcnt(0) lgkmcnt(0)
	v_mul_f32_e32 v42, s30, v42
	s_branch .LBB87_153
.LBB87_152:
	v_mov_b32_e32 v42, 0
.LBB87_153:
	v_max_f32_e32 v37, v37, v37
	v_max_f32_e32 v43, v5, v5
	v_min_f32_e32 v37, v43, v37
	v_max_f32_e32 v36, v36, v36
	v_max_f32_e32 v43, v4, v4
	v_min_f32_e32 v36, v43, v36
	;; [unrolled: 3-line block ×3, first 2 shown]
	v_max_f32_e32 v38, v38, v38
	v_max_f32_e32 v43, v6, v6
	v_pk_add_f32 v[36:37], v[64:65], v[36:37]
	v_min_f32_e32 v38, v43, v38
	v_pk_add_f32 v[36:37], v[36:37], v[38:39]
	s_nop 0
	v_add_f32_e32 v36, v36, v37
	v_add_f32_e32 v38, v36, v42
	v_lshl_add_u64 v[36:37], v[112:113], 2, v[40:41]
	global_store_dword v[36:37], v38, off
.LBB87_154:
	s_or_b64 exec, exec, s[18:19]
	v_add_u32_e32 v40, 0x60, v122
	v_cmp_gt_i32_e64 s[18:19], s21, v40
	v_mad_i64_i32 v[36:37], s[20:21], v40, s29, 0
	v_lshl_add_u64 v[38:39], v[36:37], 2, s[24:25]
	v_mad_i64_i32 v[36:37], s[20:21], v40, s28, 0
	v_lshl_add_u64 v[36:37], v[36:37], 2, s[22:23]
	s_and_b64 s[20:21], s[2:3], s[18:19]
	s_and_saveexec_b64 s[2:3], s[20:21]
	s_cbranch_execnz .LBB87_163
; %bb.155:
	s_or_b64 exec, exec, s[2:3]
	s_and_b64 s[4:5], s[4:5], s[18:19]
	s_and_saveexec_b64 s[2:3], s[4:5]
	s_cbranch_execnz .LBB87_167
.LBB87_156:
	s_or_b64 exec, exec, s[2:3]
	s_and_b64 s[4:5], s[6:7], s[18:19]
	s_and_saveexec_b64 s[2:3], s[4:5]
	s_cbranch_execnz .LBB87_171
.LBB87_157:
	s_or_b64 exec, exec, s[2:3]
	s_and_b64 s[4:5], s[8:9], s[18:19]
	s_and_saveexec_b64 s[2:3], s[4:5]
	s_cbranch_execnz .LBB87_175
.LBB87_158:
	s_or_b64 exec, exec, s[2:3]
	s_and_b64 s[4:5], s[10:11], s[18:19]
	s_and_saveexec_b64 s[2:3], s[4:5]
	s_cbranch_execnz .LBB87_179
.LBB87_159:
	s_or_b64 exec, exec, s[2:3]
	s_and_b64 s[4:5], s[12:13], s[18:19]
	s_and_saveexec_b64 s[2:3], s[4:5]
	s_cbranch_execnz .LBB87_183
.LBB87_160:
	s_or_b64 exec, exec, s[2:3]
	s_and_b64 s[4:5], s[14:15], s[18:19]
	s_and_saveexec_b64 s[2:3], s[4:5]
	s_cbranch_execnz .LBB87_187
.LBB87_161:
	s_or_b64 exec, exec, s[2:3]
	s_and_b64 s[2:3], s[16:17], s[18:19]
	s_and_saveexec_b64 s[4:5], s[2:3]
	s_cbranch_execnz .LBB87_191
.LBB87_162:
	s_endpgm
.LBB87_163:
	s_and_b64 vcc, exec, s[0:1]
	s_cbranch_vccnz .LBB87_165
; %bb.164:
	v_lshl_add_u64 v[40:41], v[98:99], 2, v[38:39]
	flat_load_dword v40, v[40:41]
	s_waitcnt vmcnt(0) lgkmcnt(0)
	v_mul_f32_e32 v40, s30, v40
	s_branch .LBB87_166
.LBB87_165:
	v_mov_b32_e32 v40, 0
.LBB87_166:
	v_max_f32_e32 v41, v1, v1
	v_max_f32_e32 v33, v33, v33
	v_min_f32_e32 v33, v33, v41
	v_max_f32_e32 v41, v0, v0
	v_max_f32_e32 v32, v32, v32
	v_min_f32_e32 v32, v32, v41
	;; [unrolled: 3-line block ×3, first 2 shown]
	v_max_f32_e32 v41, v2, v2
	v_max_f32_e32 v34, v34, v34
	v_pk_add_f32 v[32:33], v[62:63], v[32:33]
	v_min_f32_e32 v34, v34, v41
	v_pk_add_f32 v[32:33], v[32:33], v[34:35]
	s_nop 0
	v_add_f32_e32 v32, v32, v33
	v_add_f32_e32 v34, v32, v40
	v_lshl_add_u64 v[32:33], v[98:99], 2, v[36:37]
	global_store_dword v[32:33], v34, off
	s_or_b64 exec, exec, s[2:3]
	s_and_b64 s[4:5], s[4:5], s[18:19]
	s_and_saveexec_b64 s[2:3], s[4:5]
	s_cbranch_execz .LBB87_156
.LBB87_167:
	s_and_b64 vcc, exec, s[0:1]
	s_cbranch_vccnz .LBB87_169
; %bb.168:
	v_lshl_add_u64 v[32:33], v[100:101], 2, v[38:39]
	flat_load_dword v32, v[32:33]
	s_waitcnt vmcnt(0) lgkmcnt(0)
	v_mul_f32_e32 v32, s30, v32
	s_branch .LBB87_170
.LBB87_169:
	v_mov_b32_e32 v32, 0
.LBB87_170:
	v_max_f32_e32 v33, v1, v1
	v_max_f32_e32 v29, v29, v29
	v_min_f32_e32 v29, v29, v33
	v_max_f32_e32 v33, v0, v0
	v_max_f32_e32 v28, v28, v28
	v_min_f32_e32 v28, v28, v33
	v_max_f32_e32 v33, v3, v3
	v_max_f32_e32 v31, v31, v31
	v_min_f32_e32 v31, v31, v33
	v_max_f32_e32 v33, v2, v2
	v_max_f32_e32 v30, v30, v30
	v_pk_add_f32 v[28:29], v[60:61], v[28:29]
	v_min_f32_e32 v30, v30, v33
	v_pk_add_f32 v[28:29], v[28:29], v[30:31]
	s_nop 0
	v_add_f32_e32 v28, v28, v29
	v_add_f32_e32 v30, v28, v32
	v_lshl_add_u64 v[28:29], v[100:101], 2, v[36:37]
	global_store_dword v[28:29], v30, off
	s_or_b64 exec, exec, s[2:3]
	s_and_b64 s[4:5], s[6:7], s[18:19]
	s_and_saveexec_b64 s[2:3], s[4:5]
	s_cbranch_execz .LBB87_157
.LBB87_171:
	s_and_b64 vcc, exec, s[0:1]
	s_cbranch_vccnz .LBB87_173
; %bb.172:
	v_lshl_add_u64 v[28:29], v[102:103], 2, v[38:39]
	flat_load_dword v28, v[28:29]
	s_waitcnt vmcnt(0) lgkmcnt(0)
	v_mul_f32_e32 v28, s30, v28
	s_branch .LBB87_174
.LBB87_173:
	v_mov_b32_e32 v28, 0
.LBB87_174:
	v_max_f32_e32 v29, v1, v1
	v_max_f32_e32 v25, v25, v25
	v_min_f32_e32 v25, v25, v29
	v_max_f32_e32 v29, v0, v0
	v_max_f32_e32 v24, v24, v24
	v_min_f32_e32 v24, v24, v29
	;; [unrolled: 3-line block ×3, first 2 shown]
	v_max_f32_e32 v29, v2, v2
	v_max_f32_e32 v26, v26, v26
	v_pk_add_f32 v[24:25], v[58:59], v[24:25]
	v_min_f32_e32 v26, v26, v29
	v_pk_add_f32 v[24:25], v[24:25], v[26:27]
	s_nop 0
	v_add_f32_e32 v24, v24, v25
	v_add_f32_e32 v26, v24, v28
	v_lshl_add_u64 v[24:25], v[102:103], 2, v[36:37]
	global_store_dword v[24:25], v26, off
	s_or_b64 exec, exec, s[2:3]
	s_and_b64 s[4:5], s[8:9], s[18:19]
	s_and_saveexec_b64 s[2:3], s[4:5]
	s_cbranch_execz .LBB87_158
.LBB87_175:
	s_and_b64 vcc, exec, s[0:1]
	s_cbranch_vccnz .LBB87_177
; %bb.176:
	v_lshl_add_u64 v[24:25], v[104:105], 2, v[38:39]
	flat_load_dword v24, v[24:25]
	s_waitcnt vmcnt(0) lgkmcnt(0)
	v_mul_f32_e32 v24, s30, v24
	s_branch .LBB87_178
.LBB87_177:
	v_mov_b32_e32 v24, 0
.LBB87_178:
	v_max_f32_e32 v25, v1, v1
	v_max_f32_e32 v21, v21, v21
	v_min_f32_e32 v21, v21, v25
	v_max_f32_e32 v25, v0, v0
	v_max_f32_e32 v20, v20, v20
	v_min_f32_e32 v20, v20, v25
	;; [unrolled: 3-line block ×3, first 2 shown]
	v_max_f32_e32 v25, v2, v2
	v_max_f32_e32 v22, v22, v22
	v_pk_add_f32 v[20:21], v[56:57], v[20:21]
	v_min_f32_e32 v22, v22, v25
	v_pk_add_f32 v[20:21], v[20:21], v[22:23]
	s_nop 0
	v_add_f32_e32 v20, v20, v21
	v_add_f32_e32 v22, v20, v24
	v_lshl_add_u64 v[20:21], v[104:105], 2, v[36:37]
	global_store_dword v[20:21], v22, off
	s_or_b64 exec, exec, s[2:3]
	s_and_b64 s[4:5], s[10:11], s[18:19]
	s_and_saveexec_b64 s[2:3], s[4:5]
	s_cbranch_execz .LBB87_159
.LBB87_179:
	s_and_b64 vcc, exec, s[0:1]
	s_cbranch_vccnz .LBB87_181
; %bb.180:
	v_lshl_add_u64 v[20:21], v[106:107], 2, v[38:39]
	flat_load_dword v20, v[20:21]
	s_waitcnt vmcnt(0) lgkmcnt(0)
	v_mul_f32_e32 v20, s30, v20
	s_branch .LBB87_182
.LBB87_181:
	v_mov_b32_e32 v20, 0
.LBB87_182:
	v_max_f32_e32 v21, v1, v1
	v_max_f32_e32 v17, v17, v17
	v_min_f32_e32 v17, v17, v21
	v_max_f32_e32 v21, v0, v0
	v_max_f32_e32 v16, v16, v16
	v_min_f32_e32 v16, v16, v21
	;; [unrolled: 3-line block ×3, first 2 shown]
	v_max_f32_e32 v21, v2, v2
	v_max_f32_e32 v18, v18, v18
	v_pk_add_f32 v[16:17], v[54:55], v[16:17]
	v_min_f32_e32 v18, v18, v21
	v_pk_add_f32 v[16:17], v[16:17], v[18:19]
	s_nop 0
	v_add_f32_e32 v16, v16, v17
	v_add_f32_e32 v18, v16, v20
	v_lshl_add_u64 v[16:17], v[106:107], 2, v[36:37]
	global_store_dword v[16:17], v18, off
	s_or_b64 exec, exec, s[2:3]
	s_and_b64 s[4:5], s[12:13], s[18:19]
	s_and_saveexec_b64 s[2:3], s[4:5]
	s_cbranch_execz .LBB87_160
.LBB87_183:
	s_and_b64 vcc, exec, s[0:1]
	s_cbranch_vccnz .LBB87_185
; %bb.184:
	v_lshl_add_u64 v[16:17], v[108:109], 2, v[38:39]
	flat_load_dword v16, v[16:17]
	s_waitcnt vmcnt(0) lgkmcnt(0)
	v_mul_f32_e32 v16, s30, v16
	s_branch .LBB87_186
.LBB87_185:
	v_mov_b32_e32 v16, 0
.LBB87_186:
	v_max_f32_e32 v17, v1, v1
	v_max_f32_e32 v13, v13, v13
	v_min_f32_e32 v13, v13, v17
	v_max_f32_e32 v17, v0, v0
	v_max_f32_e32 v12, v12, v12
	v_min_f32_e32 v12, v12, v17
	;; [unrolled: 3-line block ×3, first 2 shown]
	v_max_f32_e32 v17, v2, v2
	v_max_f32_e32 v14, v14, v14
	v_pk_add_f32 v[12:13], v[52:53], v[12:13]
	v_min_f32_e32 v14, v14, v17
	v_pk_add_f32 v[12:13], v[12:13], v[14:15]
	s_nop 0
	v_add_f32_e32 v12, v12, v13
	v_add_f32_e32 v14, v12, v16
	v_lshl_add_u64 v[12:13], v[108:109], 2, v[36:37]
	global_store_dword v[12:13], v14, off
	s_or_b64 exec, exec, s[2:3]
	s_and_b64 s[4:5], s[14:15], s[18:19]
	s_and_saveexec_b64 s[2:3], s[4:5]
	s_cbranch_execz .LBB87_161
.LBB87_187:
	s_and_b64 vcc, exec, s[0:1]
	s_cbranch_vccnz .LBB87_189
; %bb.188:
	v_lshl_add_u64 v[12:13], v[110:111], 2, v[38:39]
	flat_load_dword v12, v[12:13]
	s_waitcnt vmcnt(0) lgkmcnt(0)
	v_mul_f32_e32 v12, s30, v12
	s_branch .LBB87_190
.LBB87_189:
	v_mov_b32_e32 v12, 0
.LBB87_190:
	v_max_f32_e32 v13, v1, v1
	v_max_f32_e32 v9, v9, v9
	v_min_f32_e32 v9, v9, v13
	v_max_f32_e32 v13, v0, v0
	v_max_f32_e32 v8, v8, v8
	v_min_f32_e32 v8, v8, v13
	;; [unrolled: 3-line block ×3, first 2 shown]
	v_max_f32_e32 v13, v2, v2
	v_max_f32_e32 v10, v10, v10
	v_pk_add_f32 v[8:9], v[50:51], v[8:9]
	v_min_f32_e32 v10, v10, v13
	v_pk_add_f32 v[8:9], v[8:9], v[10:11]
	s_nop 0
	v_add_f32_e32 v8, v8, v9
	v_add_f32_e32 v10, v8, v12
	v_lshl_add_u64 v[8:9], v[110:111], 2, v[36:37]
	global_store_dword v[8:9], v10, off
	s_or_b64 exec, exec, s[2:3]
	s_and_b64 s[2:3], s[16:17], s[18:19]
	s_and_saveexec_b64 s[4:5], s[2:3]
	s_cbranch_execz .LBB87_162
.LBB87_191:
	s_and_b64 vcc, exec, s[0:1]
	s_cbranch_vccnz .LBB87_193
; %bb.192:
	v_lshl_add_u64 v[8:9], v[112:113], 2, v[38:39]
	flat_load_dword v8, v[8:9]
	s_waitcnt vmcnt(0) lgkmcnt(0)
	v_mul_f32_e32 v8, s30, v8
	s_branch .LBB87_194
.LBB87_193:
	v_mov_b32_e32 v8, 0
.LBB87_194:
	v_max_f32_e32 v0, v0, v0
	v_max_f32_e32 v4, v4, v4
	;; [unrolled: 1-line block ×4, first 2 shown]
	v_min_f32_e32 v0, v4, v0
	v_max_f32_e32 v3, v3, v3
	v_max_f32_e32 v4, v7, v7
	v_min_f32_e32 v1, v5, v1
	v_min_f32_e32 v3, v4, v3
	v_max_f32_e32 v2, v2, v2
	v_max_f32_e32 v4, v6, v6
	v_pk_add_f32 v[0:1], v[48:49], v[0:1]
	v_min_f32_e32 v2, v4, v2
	v_pk_add_f32 v[0:1], v[0:1], v[2:3]
	s_nop 0
	v_add_f32_e32 v0, v0, v1
	v_add_f32_e32 v2, v0, v8
	v_lshl_add_u64 v[0:1], v[112:113], 2, v[36:37]
	global_store_dword v[0:1], v2, off
	s_endpgm
	.section	.rodata,"a",@progbits
	.p2align	6, 0x0
	.amdhsa_kernel _ZN12_GLOBAL__N_120geam_min_plus_kernelIf15HIP_vector_typeIfLj2EES2_Li8ELi32ELi64ELi128ELi4ELi4ELi64ELi4ELi64ELc84ELc78ELb0ELb1ELb0EPKfS3_fEEviiiT16_PT17_ilS7_ilS5_S7_ilPT18_ili26rocblas_geam_ex_operation_
		.amdhsa_group_segment_fixed_size 6144
		.amdhsa_private_segment_fixed_size 0
		.amdhsa_kernarg_size 136
		.amdhsa_user_sgpr_count 2
		.amdhsa_user_sgpr_dispatch_ptr 0
		.amdhsa_user_sgpr_queue_ptr 0
		.amdhsa_user_sgpr_kernarg_segment_ptr 1
		.amdhsa_user_sgpr_dispatch_id 0
		.amdhsa_user_sgpr_kernarg_preload_length 0
		.amdhsa_user_sgpr_kernarg_preload_offset 0
		.amdhsa_user_sgpr_private_segment_size 0
		.amdhsa_uses_dynamic_stack 0
		.amdhsa_enable_private_segment 0
		.amdhsa_system_sgpr_workgroup_id_x 1
		.amdhsa_system_sgpr_workgroup_id_y 0
		.amdhsa_system_sgpr_workgroup_id_z 1
		.amdhsa_system_sgpr_workgroup_info 0
		.amdhsa_system_vgpr_workitem_id 1
		.amdhsa_next_free_vgpr 220
		.amdhsa_next_free_sgpr 38
		.amdhsa_accum_offset 220
		.amdhsa_reserve_vcc 1
		.amdhsa_float_round_mode_32 0
		.amdhsa_float_round_mode_16_64 0
		.amdhsa_float_denorm_mode_32 3
		.amdhsa_float_denorm_mode_16_64 3
		.amdhsa_dx10_clamp 1
		.amdhsa_ieee_mode 1
		.amdhsa_fp16_overflow 0
		.amdhsa_tg_split 0
		.amdhsa_exception_fp_ieee_invalid_op 0
		.amdhsa_exception_fp_denorm_src 0
		.amdhsa_exception_fp_ieee_div_zero 0
		.amdhsa_exception_fp_ieee_overflow 0
		.amdhsa_exception_fp_ieee_underflow 0
		.amdhsa_exception_fp_ieee_inexact 0
		.amdhsa_exception_int_div_zero 0
	.end_amdhsa_kernel
	.section	.text._ZN12_GLOBAL__N_120geam_min_plus_kernelIf15HIP_vector_typeIfLj2EES2_Li8ELi32ELi64ELi128ELi4ELi4ELi64ELi4ELi64ELc84ELc78ELb0ELb1ELb0EPKfS3_fEEviiiT16_PT17_ilS7_ilS5_S7_ilPT18_ili26rocblas_geam_ex_operation_,"axG",@progbits,_ZN12_GLOBAL__N_120geam_min_plus_kernelIf15HIP_vector_typeIfLj2EES2_Li8ELi32ELi64ELi128ELi4ELi4ELi64ELi4ELi64ELc84ELc78ELb0ELb1ELb0EPKfS3_fEEviiiT16_PT17_ilS7_ilS5_S7_ilPT18_ili26rocblas_geam_ex_operation_,comdat
.Lfunc_end87:
	.size	_ZN12_GLOBAL__N_120geam_min_plus_kernelIf15HIP_vector_typeIfLj2EES2_Li8ELi32ELi64ELi128ELi4ELi4ELi64ELi4ELi64ELc84ELc78ELb0ELb1ELb0EPKfS3_fEEviiiT16_PT17_ilS7_ilS5_S7_ilPT18_ili26rocblas_geam_ex_operation_, .Lfunc_end87-_ZN12_GLOBAL__N_120geam_min_plus_kernelIf15HIP_vector_typeIfLj2EES2_Li8ELi32ELi64ELi128ELi4ELi4ELi64ELi4ELi64ELc84ELc78ELb0ELb1ELb0EPKfS3_fEEviiiT16_PT17_ilS7_ilS5_S7_ilPT18_ili26rocblas_geam_ex_operation_
                                        ; -- End function
	.section	.AMDGPU.csdata,"",@progbits
; Kernel info:
; codeLenInByte = 11168
; NumSgprs: 44
; NumVgprs: 220
; NumAgprs: 0
; TotalNumVgprs: 220
; ScratchSize: 0
; MemoryBound: 0
; FloatMode: 240
; IeeeMode: 1
; LDSByteSize: 6144 bytes/workgroup (compile time only)
; SGPRBlocks: 5
; VGPRBlocks: 27
; NumSGPRsForWavesPerEU: 44
; NumVGPRsForWavesPerEU: 220
; AccumOffset: 220
; Occupancy: 2
; WaveLimiterHint : 0
; COMPUTE_PGM_RSRC2:SCRATCH_EN: 0
; COMPUTE_PGM_RSRC2:USER_SGPR: 2
; COMPUTE_PGM_RSRC2:TRAP_HANDLER: 0
; COMPUTE_PGM_RSRC2:TGID_X_EN: 1
; COMPUTE_PGM_RSRC2:TGID_Y_EN: 0
; COMPUTE_PGM_RSRC2:TGID_Z_EN: 1
; COMPUTE_PGM_RSRC2:TIDIG_COMP_CNT: 1
; COMPUTE_PGM_RSRC3_GFX90A:ACCUM_OFFSET: 54
; COMPUTE_PGM_RSRC3_GFX90A:TG_SPLIT: 0
	.section	.text._ZN12_GLOBAL__N_120geam_min_plus_kernelIf15HIP_vector_typeIfLj2EES2_Li8ELi32ELi64ELi128ELi4ELi4ELi64ELi4ELi64ELc84ELc78ELb1ELb1ELb0EfKffEEviiiT16_PT17_ilS6_ilS4_S6_ilPT18_ili26rocblas_geam_ex_operation_,"axG",@progbits,_ZN12_GLOBAL__N_120geam_min_plus_kernelIf15HIP_vector_typeIfLj2EES2_Li8ELi32ELi64ELi128ELi4ELi4ELi64ELi4ELi64ELc84ELc78ELb1ELb1ELb0EfKffEEviiiT16_PT17_ilS6_ilS4_S6_ilPT18_ili26rocblas_geam_ex_operation_,comdat
	.globl	_ZN12_GLOBAL__N_120geam_min_plus_kernelIf15HIP_vector_typeIfLj2EES2_Li8ELi32ELi64ELi128ELi4ELi4ELi64ELi4ELi64ELc84ELc78ELb1ELb1ELb0EfKffEEviiiT16_PT17_ilS6_ilS4_S6_ilPT18_ili26rocblas_geam_ex_operation_ ; -- Begin function _ZN12_GLOBAL__N_120geam_min_plus_kernelIf15HIP_vector_typeIfLj2EES2_Li8ELi32ELi64ELi128ELi4ELi4ELi64ELi4ELi64ELc84ELc78ELb1ELb1ELb0EfKffEEviiiT16_PT17_ilS6_ilS4_S6_ilPT18_ili26rocblas_geam_ex_operation_
	.p2align	8
	.type	_ZN12_GLOBAL__N_120geam_min_plus_kernelIf15HIP_vector_typeIfLj2EES2_Li8ELi32ELi64ELi128ELi4ELi4ELi64ELi4ELi64ELc84ELc78ELb1ELb1ELb0EfKffEEviiiT16_PT17_ilS6_ilS4_S6_ilPT18_ili26rocblas_geam_ex_operation_,@function
_ZN12_GLOBAL__N_120geam_min_plus_kernelIf15HIP_vector_typeIfLj2EES2_Li8ELi32ELi64ELi128ELi4ELi4ELi64ELi4ELi64ELc84ELc78ELb1ELb1ELb0EfKffEEviiiT16_PT17_ilS6_ilS4_S6_ilPT18_ili26rocblas_geam_ex_operation_: ; @_ZN12_GLOBAL__N_120geam_min_plus_kernelIf15HIP_vector_typeIfLj2EES2_Li8ELi32ELi64ELi128ELi4ELi4ELi64ELi4ELi64ELc84ELc78ELb1ELb1ELb0EfKffEEviiiT16_PT17_ilS6_ilS4_S6_ilPT18_ili26rocblas_geam_ex_operation_
; %bb.0:
	s_load_dwordx4 s[20:23], s[0:1], 0x0
	s_load_dwordx4 s[4:7], s[0:1], 0x20
	s_waitcnt lgkmcnt(0)
	v_cmp_eq_f32_e64 s[8:9], s23, 0
	s_and_b64 vcc, exec, s[8:9]
	s_cbranch_vccnz .LBB88_3
; %bb.1:
	s_load_dwordx2 s[10:11], s[0:1], 0x10
	s_mul_i32 s5, s3, s5
	s_mul_hi_u32 s12, s3, s4
	s_add_i32 s5, s12, s5
	s_mul_i32 s4, s3, s4
	s_lshl_b64 s[4:5], s[4:5], 2
	s_waitcnt lgkmcnt(0)
	s_add_u32 s16, s10, s4
	s_addc_u32 s17, s11, s5
	s_andn2_b64 vcc, exec, s[8:9]
	s_cbranch_vccnz .LBB88_4
.LBB88_2:
	s_mov_b32 s13, 0
	s_mov_b64 s[18:19], 0
	s_cbranch_execz .LBB88_5
	s_branch .LBB88_6
.LBB88_3:
	s_mov_b64 s[16:17], 0
	s_andn2_b64 vcc, exec, s[8:9]
	s_cbranch_vccz .LBB88_2
.LBB88_4:
                                        ; implicit-def: $sgpr18_sgpr19
                                        ; implicit-def: $sgpr12_sgpr13
.LBB88_5:
	s_load_dwordx2 s[4:5], s[0:1], 0x38
	s_mov_b32 s13, 0
	s_waitcnt lgkmcnt(0)
	s_mul_i32 s5, s3, s5
	s_mul_hi_u32 s8, s3, s4
	s_add_i32 s5, s8, s5
	s_mul_i32 s4, s3, s4
	s_lshl_b64 s[4:5], s[4:5], 2
	s_add_u32 s18, s6, s4
	s_addc_u32 s19, s7, s5
.LBB88_6:
	s_load_dword s28, s[0:1], 0x40
	s_load_dwordx4 s[8:11], s[0:1], 0x58
	s_waitcnt lgkmcnt(0)
	v_cmp_eq_f32_e64 s[4:5], s28, 0
	v_cmp_neq_f32_e64 s[14:15], s28, 0
	s_and_b64 vcc, exec, s[4:5]
	s_cbranch_vccnz .LBB88_8
; %bb.7:
	s_load_dwordx2 s[4:5], s[0:1], 0x48
	s_mul_i32 s6, s3, s9
	s_mul_hi_u32 s7, s3, s8
	s_add_i32 s6, s7, s6
	s_mul_i32 s7, s13, s8
	s_add_i32 s7, s6, s7
	s_mul_i32 s6, s3, s8
	s_lshl_b64 s[6:7], s[6:7], 2
	s_waitcnt lgkmcnt(0)
	s_add_u32 s24, s4, s6
	s_addc_u32 s25, s5, s7
	s_branch .LBB88_9
.LBB88_8:
	s_mov_b64 s[24:25], 0
.LBB88_9:
	s_add_i32 s4, s20, -1
	s_ashr_i32 s5, s4, 31
	s_lshr_b32 s5, s5, 26
	s_add_i32 s4, s4, s5
	s_ashr_i32 s4, s4, 6
	s_add_i32 s5, s4, 1
	v_cvt_f32_u32_e32 v1, s5
	s_not_b32 s4, s4
	v_and_b32_e32 v204, 0x3ff, v0
	v_bfe_u32 v205, v0, 10, 10
	v_rcp_iflag_f32_e32 v1, v1
	v_lshl_add_u32 v0, v205, 3, v204
	s_load_dword s30, s[0:1], 0x18
	v_lshrrev_b32_e32 v2, 2, v0
	v_mul_f32_e32 v1, 0x4f7ffffe, v1
	v_cvt_u32_f32_e32 v1, v1
	v_and_b32_e32 v66, 3, v204
	v_lshlrev_b32_e32 v68, 2, v66
	v_readfirstlane_b32 s6, v1
	s_mul_i32 s4, s4, s6
	s_mul_hi_u32 s4, s6, s4
	s_add_i32 s6, s6, s4
	s_mul_hi_u32 s4, s2, s6
	s_mul_i32 s6, s4, s5
	s_sub_i32 s6, s2, s6
	s_add_i32 s7, s4, 1
	s_sub_i32 s8, s6, s5
	s_cmp_ge_u32 s6, s5
	s_cselect_b32 s4, s7, s4
	s_cselect_b32 s6, s8, s6
	s_add_i32 s7, s4, 1
	s_cmp_ge_u32 s6, s5
	s_cselect_b32 s8, s7, s4
	s_mul_i32 s31, s8, s5
	s_sub_i32 s4, s2, s31
	s_lshl_b32 s12, s4, 6
	v_add_u32_e32 v6, s12, v2
	v_cmp_le_i32_e64 s[6:7], s22, v66
	v_cmp_le_i32_e32 vcc, s20, v6
	s_or_b64 s[4:5], s[6:7], vcc
	s_xor_b64 s[4:5], s[4:5], -1
                                        ; implicit-def: $vgpr0_vgpr1
	s_and_saveexec_b64 s[26:27], s[4:5]
	s_xor_b64 s[4:5], exec, s[26:27]
	s_cbranch_execz .LBB88_11
; %bb.10:
	s_waitcnt lgkmcnt(0)
	v_mad_i64_i32 v[4:5], s[26:27], v6, s30, 0
	v_mov_b32_e32 v67, 0
	v_lshl_add_u64 v[4:5], v[4:5], 2, s[16:17]
	v_mov_b32_e32 v69, v67
	v_lshl_add_u64 v[4:5], v[4:5], 0, v[68:69]
	v_mov_b64_e32 v[0:1], v[66:67]
	flat_load_dword v67, v[4:5]
.LBB88_11:
	s_andn2_saveexec_b64 s[4:5], s[4:5]
	s_cbranch_execz .LBB88_13
; %bb.12:
	s_waitcnt vmcnt(0) lgkmcnt(0)
	v_mov_b32_e32 v67, 0
	v_mov_b64_e32 v[0:1], v[66:67]
.LBB88_13:
	s_or_b64 exec, exec, s[4:5]
	s_load_dword s33, s[0:1], 0x30
	s_lshl_b32 s29, s8, 7
	v_add_u32_e32 v3, s29, v2
	v_cmp_le_i32_e64 s[8:9], s21, v3
	s_or_b64 s[4:5], s[6:7], s[8:9]
	v_lshl_add_u64 v[0:1], v[0:1], 2, s[18:19]
	s_xor_b64 s[26:27], s[4:5], -1
	v_mov_b32_e32 v8, 0
	v_mov_b32_e32 v9, 0
	s_and_saveexec_b64 s[4:5], s[26:27]
	s_cbranch_execz .LBB88_15
; %bb.14:
	s_waitcnt lgkmcnt(0)
	v_mad_i64_i32 v[4:5], s[26:27], v3, s33, 0
	v_lshl_add_u64 v[4:5], v[4:5], 2, v[0:1]
	flat_load_dword v9, v[4:5]
.LBB88_15:
	s_or_b64 exec, exec, s[4:5]
	v_add_u32_e32 v4, 64, v3
	v_cmp_le_i32_e64 s[4:5], s21, v4
	s_or_b64 s[6:7], s[6:7], s[4:5]
	s_xor_b64 s[26:27], s[6:7], -1
	s_and_saveexec_b64 s[6:7], s[26:27]
	s_cbranch_execz .LBB88_17
; %bb.16:
	s_waitcnt lgkmcnt(0)
	v_mad_i64_i32 v[10:11], s[26:27], v4, s33, 0
	v_lshl_add_u64 v[0:1], v[10:11], 2, v[0:1]
	flat_load_dword v8, v[0:1]
.LBB88_17:
	s_or_b64 exec, exec, s[6:7]
	v_or_b32_e32 v0, 4, v66
	v_cmp_le_i32_e64 s[6:7], s22, v0
	s_or_b64 s[26:27], s[6:7], vcc
	s_xor_b64 s[26:27], s[26:27], -1
                                        ; implicit-def: $vgpr5
	s_and_saveexec_b64 s[34:35], s[26:27]
	s_xor_b64 s[26:27], exec, s[34:35]
	s_cbranch_execz .LBB88_19
; %bb.18:
	s_waitcnt lgkmcnt(0)
	v_mad_i64_i32 v[6:7], s[34:35], v6, s30, 0
	v_mov_b32_e32 v1, 0
	v_lshl_add_u64 v[6:7], v[6:7], 2, s[16:17]
	v_mov_b32_e32 v69, v1
	v_lshl_add_u64 v[6:7], v[6:7], 0, v[68:69]
	flat_load_dword v5, v[6:7] offset:16
.LBB88_19:
	s_andn2_saveexec_b64 s[26:27], s[26:27]
	s_cbranch_execz .LBB88_21
; %bb.20:
	v_mov_b32_e32 v1, 0
	s_waitcnt vmcnt(0) lgkmcnt(0)
	v_mov_b32_e32 v5, v1
.LBB88_21:
	s_or_b64 exec, exec, s[26:27]
	s_or_b64 s[26:27], s[6:7], s[8:9]
	v_lshl_add_u64 v[0:1], v[0:1], 2, s[18:19]
	s_xor_b64 s[34:35], s[26:27], -1
	v_mov_b32_e32 v6, 0
	v_mov_b32_e32 v7, 0
	s_and_saveexec_b64 s[26:27], s[34:35]
	s_cbranch_execz .LBB88_23
; %bb.22:
	s_waitcnt lgkmcnt(0)
	v_mad_i64_i32 v[10:11], s[34:35], v3, s33, 0
	v_lshl_add_u64 v[10:11], v[10:11], 2, v[0:1]
	flat_load_dword v7, v[10:11]
.LBB88_23:
	s_or_b64 exec, exec, s[26:27]
	s_or_b64 s[6:7], s[6:7], s[4:5]
	s_xor_b64 s[26:27], s[6:7], -1
	s_and_saveexec_b64 s[6:7], s[26:27]
	s_cbranch_execz .LBB88_25
; %bb.24:
	s_waitcnt lgkmcnt(0)
	v_mad_i64_i32 v[10:11], s[26:27], v4, s33, 0
	v_lshl_add_u64 v[0:1], v[10:11], 2, v[0:1]
	flat_load_dword v6, v[0:1]
.LBB88_25:
	s_or_b64 exec, exec, s[6:7]
	v_lshl_or_b32 v207, v2, 4, v68
	v_lshlrev_b32_e32 v206, 4, v205
	s_waitcnt vmcnt(0) lgkmcnt(0)
	ds_write_b32 v207, v67 offset:4096
	ds_write2st64_b32 v207, v9, v8 offset1:4
	s_waitcnt lgkmcnt(0)
	s_barrier
	ds_read_b128 v[8:11], v206
	v_lshlrev_b32_e32 v67, 4, v204
	ds_read_b128 v[12:15], v67 offset:4992
	ds_read_b128 v[16:19], v206 offset:512
	;; [unrolled: 1-line block ×5, first 2 shown]
	s_waitcnt lgkmcnt(5)
	v_max_f32_e32 v56, v9, v9
	s_waitcnt lgkmcnt(4)
	v_max_f32_e32 v60, v13, v13
	v_max_f32_e32 v57, v8, v8
	;; [unrolled: 1-line block ×3, first 2 shown]
	ds_read_b128 v[32:35], v67 offset:4096
	ds_read_b128 v[36:39], v67 offset:4224
	v_max_f32_e32 v69, v11, v11
	v_max_f32_e32 v122, v15, v15
	v_max_f32_e32 v112, v10, v10
	v_max_f32_e32 v123, v14, v14
	ds_read_b128 v[8:11], v67 offset:4352
	ds_read_b128 v[12:15], v67 offset:4480
	s_waitcnt lgkmcnt(4)
	v_max_f32_e32 v62, v29, v29
	v_max_f32_e32 v63, v28, v28
	;; [unrolled: 1-line block ×4, first 2 shown]
	s_waitcnt lgkmcnt(2)
	v_max_f32_e32 v24, v36, v36
	v_max_f32_e32 v25, v37, v37
	s_waitcnt lgkmcnt(1)
	v_max_f32_e32 v28, v8, v8
	v_max_f32_e32 v29, v9, v9
	;; [unrolled: 3-line block ×3, first 2 shown]
	v_max_f32_e32 v77, v11, v11
	ds_read_b128 v[8:11], v67 offset:4608
	v_max_f32_e32 v37, v13, v13
	v_max_f32_e32 v88, v14, v14
	;; [unrolled: 1-line block ×3, first 2 shown]
	ds_read_b128 v[12:15], v67 offset:4736
	v_max_f32_e32 v58, v17, v17
	v_max_f32_e32 v59, v16, v16
	;; [unrolled: 1-line block ×4, first 2 shown]
	s_waitcnt lgkmcnt(1)
	v_max_f32_e32 v44, v8, v8
	v_max_f32_e32 v45, v9, v9
	s_waitcnt lgkmcnt(0)
	v_max_f32_e32 v52, v12, v12
	v_max_f32_e32 v53, v13, v13
	;; [unrolled: 1-line block ×4, first 2 shown]
	v_min_f32_e32 v55, v60, v56
	v_min_f32_e32 v54, v61, v57
	v_max_f32_e32 v124, v19, v19
	v_max_f32_e32 v125, v18, v18
	;; [unrolled: 1-line block ×12, first 2 shown]
	v_min_f32_e32 v0, v16, v57
	v_min_f32_e32 v1, v17, v56
	;; [unrolled: 1-line block ×42, first 2 shown]
	v_pk_add_f32 v[54:55], v[54:55], 0 op_sel_hi:[1,0]
	v_min_f32_e32 v61, v122, v69
	v_min_f32_e32 v60, v123, v112
	v_pk_add_f32 v[100:101], v[54:55], v[60:61]
	v_pk_add_f32 v[54:55], v[56:57], 0 op_sel_hi:[1,0]
	v_min_f32_e32 v57, v122, v124
	v_min_f32_e32 v56, v123, v125
	v_max_f32_e32 v72, v34, v34
	v_max_f32_e32 v73, v35, v35
	v_pk_add_f32 v[84:85], v[54:55], v[56:57]
	v_pk_add_f32 v[54:55], v[58:59], 0 op_sel_hi:[1,0]
	v_min_f32_e32 v57, v122, v126
	v_min_f32_e32 v56, v123, v127
	v_max_f32_e32 v128, v27, v27
	v_max_f32_e32 v129, v26, v26
	v_min_f32_e32 v26, v28, v63
	v_min_f32_e32 v27, v29, v62
	;; [unrolled: 1-line block ×18, first 2 shown]
	v_pk_add_f32 v[64:65], v[54:55], v[56:57]
	v_pk_add_f32 v[0:1], v[0:1], 0 op_sel_hi:[1,0]
	v_min_f32_e32 v54, v72, v112
	v_min_f32_e32 v55, v73, v69
	v_pk_add_f32 v[120:121], v[0:1], v[54:55]
	v_pk_add_f32 v[0:1], v[8:9], 0 op_sel_hi:[1,0]
	v_min_f32_e32 v8, v72, v125
	v_min_f32_e32 v9, v73, v124
	;; [unrolled: 4-line block ×3, first 2 shown]
	v_pk_add_f32 v[82:83], v[0:1], v[8:9]
	v_min_f32_e32 v1, v73, v128
	v_min_f32_e32 v0, v72, v129
	v_pk_add_f32 v[8:9], v[12:13], 0 op_sel_hi:[1,0]
	v_min_f32_e32 v102, v78, v63
	v_min_f32_e32 v103, v79, v62
	v_pk_add_f32 v[62:63], v[8:9], v[0:1]
	v_pk_add_f32 v[0:1], v[14:15], 0 op_sel_hi:[1,0]
	v_min_f32_e32 v8, v74, v112
	v_min_f32_e32 v9, v75, v69
	v_pk_add_f32 v[118:119], v[0:1], v[8:9]
	;; [unrolled: 4-line block ×4, first 2 shown]
	v_min_f32_e32 v1, v75, v128
	v_min_f32_e32 v0, v74, v129
	v_pk_add_f32 v[8:9], v[20:21], 0 op_sel_hi:[1,0]
	s_cmp_lt_i32 s22, 9
	v_pk_add_f32 v[60:61], v[8:9], v[0:1]
	v_pk_add_f32 v[0:1], v[22:23], 0 op_sel_hi:[1,0]
	v_min_f32_e32 v8, v76, v112
	v_min_f32_e32 v9, v77, v69
	v_pk_add_f32 v[116:117], v[0:1], v[8:9]
	v_pk_add_f32 v[0:1], v[24:25], 0 op_sel_hi:[1,0]
	v_min_f32_e32 v8, v76, v125
	v_min_f32_e32 v9, v77, v124
	;; [unrolled: 4-line block ×3, first 2 shown]
	v_pk_add_f32 v[78:79], v[0:1], v[8:9]
	v_min_f32_e32 v1, v77, v128
	v_min_f32_e32 v0, v76, v129
	v_pk_add_f32 v[8:9], v[28:29], 0 op_sel_hi:[1,0]
	ds_write2st64_b32 v207, v7, v6 offset0:8 offset1:12
	ds_write_b32 v207, v5 offset:5120
	v_pk_add_f32 v[58:59], v[8:9], v[0:1]
	v_pk_add_f32 v[0:1], v[30:31], 0 op_sel_hi:[1,0]
	v_min_f32_e32 v8, v88, v112
	v_min_f32_e32 v9, v89, v69
	v_pk_add_f32 v[114:115], v[0:1], v[8:9]
	v_pk_add_f32 v[0:1], v[32:33], 0 op_sel_hi:[1,0]
	v_min_f32_e32 v8, v88, v125
	v_min_f32_e32 v9, v89, v124
	;; [unrolled: 4-line block ×3, first 2 shown]
	v_pk_add_f32 v[76:77], v[0:1], v[8:9]
	v_min_f32_e32 v1, v89, v128
	v_min_f32_e32 v0, v88, v129
	v_pk_add_f32 v[8:9], v[36:37], 0 op_sel_hi:[1,0]
	s_waitcnt lgkmcnt(0)
	v_pk_add_f32 v[56:57], v[8:9], v[0:1]
	v_pk_add_f32 v[0:1], v[38:39], 0 op_sel_hi:[1,0]
	v_min_f32_e32 v8, v110, v112
	v_min_f32_e32 v9, v111, v69
	v_pk_add_f32 v[108:109], v[0:1], v[8:9]
	v_pk_add_f32 v[0:1], v[40:41], 0 op_sel_hi:[1,0]
	v_min_f32_e32 v8, v110, v125
	v_min_f32_e32 v9, v111, v124
	;; [unrolled: 4-line block ×3, first 2 shown]
	v_pk_add_f32 v[74:75], v[0:1], v[8:9]
	v_min_f32_e32 v1, v111, v128
	v_min_f32_e32 v0, v110, v129
	v_pk_add_f32 v[8:9], v[44:45], 0 op_sel_hi:[1,0]
	s_barrier
	v_pk_add_f32 v[54:55], v[8:9], v[0:1]
	v_pk_add_f32 v[0:1], v[46:47], 0 op_sel_hi:[1,0]
	v_min_f32_e32 v8, v113, v112
	v_min_f32_e32 v9, v130, v69
	v_pk_add_f32 v[110:111], v[0:1], v[8:9]
	v_pk_add_f32 v[0:1], v[48:49], 0 op_sel_hi:[1,0]
	v_min_f32_e32 v8, v113, v125
	v_min_f32_e32 v9, v130, v124
	;; [unrolled: 4-line block ×3, first 2 shown]
	v_pk_add_f32 v[72:73], v[0:1], v[8:9]
	v_min_f32_e32 v1, v130, v128
	v_min_f32_e32 v0, v113, v129
	v_pk_add_f32 v[8:9], v[52:53], 0 op_sel_hi:[1,0]
	s_nop 0
	v_pk_add_f32 v[52:53], v[8:9], v[0:1]
	v_min_f32_e32 v0, v131, v112
	v_min_f32_e32 v1, v132, v69
	v_pk_add_f32 v[8:9], v[70:71], 0 op_sel_hi:[1,0]
	s_nop 0
	;; [unrolled: 5-line block ×6, first 2 shown]
	v_pk_add_f32 v[48:49], v[8:9], v[0:1]
	s_cbranch_scc1 .LBB88_40
; %bb.26:
	v_mov_b32_e32 v0, 0x1400
	v_lshl_add_u32 v212, v204, 4, v0
	v_mov_b32_e32 v0, 0x800
	v_lshl_add_u32 v213, v205, 4, v0
	v_lshl_add_u32 v0, s2, 6, v2
	s_lshl_b32 s2, s31, 6
	v_subrev_u32_e32 v0, s2, v0
	v_mad_i64_i32 v[0:1], s[6:7], s30, v0, 0
	v_lshl_add_u64 v[102:103], v[0:1], 2, s[16:17]
	v_mad_i64_i32 v[0:1], s[6:7], s33, v3, 0
	v_lshl_add_u64 v[104:105], v[0:1], 2, s[18:19]
	v_mad_i64_i32 v[0:1], s[6:7], s33, v4, 0
	v_add_u32_e32 v208, 0x1000, v207
	v_add_u32_e32 v209, 0x1000, v67
	;; [unrolled: 1-line block ×4, first 2 shown]
	s_add_i32 s23, s22, -8
	v_mov_b32_e32 v69, 0
	v_lshl_add_u64 v[106:107], v[0:1], 2, s[18:19]
	s_mov_b32 s2, 0
	s_branch .LBB88_28
.LBB88_27:                              ;   in Loop: Header=BB88_28 Depth=1
	s_or_b64 exec, exec, s[6:7]
	v_pk_add_f32 v[40:41], v[100:101], v[40:41]
	v_pk_add_f32 v[32:33], v[64:65], v[32:33]
	;; [unrolled: 1-line block ×19, first 2 shown]
	ds_read_b128 v[0:3], v206
	ds_read_b128 v[8:11], v206 offset:512
	v_pk_add_f32 v[20:21], v[120:121], v[6:7]
	ds_read_b128 v[4:7], v209 offset:896
	v_pk_add_f32 v[44:45], v[98:99], v[44:45]
	v_pk_add_f32 v[98:99], v[58:59], v[136:137]
	;; [unrolled: 1-line block ×14, first 2 shown]
	ds_read_b128 v[12:15], v209 offset:768
	v_pk_add_f32 v[42:43], v[114:115], v[182:183]
	s_waitcnt lgkmcnt(0)
	v_max_f32_e32 v99, v5, v5
	v_max_f32_e32 v101, v4, v4
	;; [unrolled: 1-line block ×4, first 2 shown]
	v_pk_add_f32 v[24:25], v[62:63], v[24:25]
	v_pk_add_f32 v[62:63], v[118:119], v[128:129]
	;; [unrolled: 1-line block ×9, first 2 shown]
	ds_read_b128 v[84:87], v206 offset:1536
	ds_read_b128 v[88:91], v206 offset:1024
	v_min_f32_e32 v5, v99, v114
	v_min_f32_e32 v4, v101, v115
	v_pk_add_f32 v[60:61], v[62:63], v[168:169]
	v_pk_add_f32 v[62:63], v[82:83], v[166:167]
	;; [unrolled: 1-line block ×3, first 2 shown]
	ds_read_b128 v[80:83], v209
	v_pk_add_f32 v[96:97], v[116:117], v[134:135]
	v_pk_add_f32 v[94:95], v[94:95], v[132:133]
	;; [unrolled: 1-line block ×6, first 2 shown]
	ds_read_b128 v[92:95], v209 offset:128
	v_pk_add_f32 v[34:35], v[116:117], v[188:189]
	s_waitcnt lgkmcnt(0)
	v_max_f32_e32 v116, v89, v89
	v_max_f32_e32 v117, v88, v88
	v_pk_add_f32 v[118:119], v[52:53], v[154:155]
	v_pk_add_f32 v[52:53], v[96:97], v[174:175]
	v_max_f32_e32 v98, v1, v1
	v_max_f32_e32 v100, v0, v0
	v_min_f32_e32 v9, v99, v116
	v_min_f32_e32 v8, v101, v117
	v_max_f32_e32 v96, v80, v80
	v_max_f32_e32 v97, v81, v81
	v_pk_add_f32 v[8:9], v[78:79], v[8:9]
	v_min_f32_e32 v78, v96, v100
	v_min_f32_e32 v79, v97, v98
	v_pk_add_f32 v[78:79], v[72:73], v[78:79]
	v_min_f32_e32 v72, v96, v115
	v_min_f32_e32 v73, v97, v114
	;; [unrolled: 3-line block ×3, first 2 shown]
	v_max_f32_e32 v85, v85, v85
	v_max_f32_e32 v84, v84, v84
	v_pk_add_f32 v[70:71], v[24:25], v[26:27]
	v_pk_add_f32 v[88:89], v[76:77], v[72:73]
	v_min_f32_e32 v73, v97, v85
	v_min_f32_e32 v72, v96, v84
	v_max_f32_e32 v74, v92, v92
	v_max_f32_e32 v75, v93, v93
	v_pk_add_f32 v[96:97], v[70:71], v[72:73]
	v_min_f32_e32 v70, v74, v100
	v_min_f32_e32 v71, v75, v98
	v_pk_add_f32 v[60:61], v[60:61], v[70:71]
	v_min_f32_e32 v70, v74, v115
	v_min_f32_e32 v71, v75, v114
	v_pk_add_f32 v[92:93], v[62:63], v[70:71]
	ds_read_b128 v[70:73], v209 offset:256
	v_pk_add_f32 v[108:109], v[108:109], v[146:147]
	v_min_f32_e32 v62, v74, v117
	v_min_f32_e32 v63, v75, v116
	v_pk_add_f32 v[36:37], v[108:109], v[186:187]
	v_pk_add_f32 v[108:109], v[64:65], v[62:63]
	v_min_f32_e32 v63, v75, v85
	v_min_f32_e32 v62, v74, v84
	ds_read_b128 v[74:77], v209 offset:384
	s_waitcnt lgkmcnt(0)
	v_max_f32_e32 v64, v70, v70
	v_max_f32_e32 v65, v71, v71
	v_pk_add_f32 v[58:59], v[58:59], v[62:63]
	v_min_f32_e32 v62, v64, v100
	v_min_f32_e32 v63, v65, v98
	v_pk_add_f32 v[52:53], v[52:53], v[62:63]
	v_min_f32_e32 v62, v64, v115
	v_min_f32_e32 v63, v65, v114
	;; [unrolled: 3-line block ×4, first 2 shown]
	v_pk_add_f32 v[70:71], v[50:51], v[62:63]
	v_max_f32_e32 v62, v74, v74
	v_max_f32_e32 v63, v75, v75
	v_min_f32_e32 v50, v62, v100
	v_min_f32_e32 v51, v63, v98
	v_pk_add_f32 v[110:111], v[110:111], v[152:153]
	v_pk_add_f32 v[74:75], v[44:45], v[50:51]
	v_min_f32_e32 v44, v62, v115
	v_min_f32_e32 v45, v63, v114
	v_pk_add_f32 v[112:113], v[112:113], v[158:159]
	v_pk_add_f32 v[28:29], v[110:111], v[196:197]
	;; [unrolled: 1-line block ×3, first 2 shown]
	v_min_f32_e32 v44, v62, v117
	v_min_f32_e32 v45, v63, v116
	v_pk_add_f32 v[24:25], v[112:113], v[202:203]
	v_pk_add_f32 v[112:113], v[48:49], v[44:45]
	ds_read_b128 v[44:47], v209 offset:512
	v_min_f32_e32 v49, v63, v85
	v_min_f32_e32 v48, v62, v84
	v_pk_add_f32 v[42:43], v[42:43], v[48:49]
	ds_read_b128 v[48:51], v209 offset:640
	s_waitcnt lgkmcnt(0)
	v_max_f32_e32 v62, v44, v44
	v_max_f32_e32 v63, v45, v45
	v_min_f32_e32 v44, v62, v100
	v_min_f32_e32 v45, v63, v98
	v_pk_add_f32 v[36:37], v[36:37], v[44:45]
	v_min_f32_e32 v44, v62, v115
	v_min_f32_e32 v45, v63, v114
	v_pk_add_f32 v[38:39], v[38:39], v[44:45]
	;; [unrolled: 3-line block ×3, first 2 shown]
	v_min_f32_e32 v45, v63, v85
	v_min_f32_e32 v44, v62, v84
	v_max_f32_e32 v48, v48, v48
	v_max_f32_e32 v49, v49, v49
	v_pk_add_f32 v[34:35], v[34:35], v[44:45]
	v_min_f32_e32 v44, v48, v100
	v_min_f32_e32 v45, v49, v98
	v_pk_add_f32 v[28:29], v[28:29], v[44:45]
	v_min_f32_e32 v44, v48, v115
	v_min_f32_e32 v45, v49, v114
	;; [unrolled: 3-line block ×3, first 2 shown]
	v_pk_add_f32 v[26:27], v[118:119], v[198:199]
	v_pk_add_f32 v[32:33], v[32:33], v[44:45]
	v_min_f32_e32 v45, v49, v85
	v_min_f32_e32 v44, v48, v84
	v_pk_add_f32 v[26:27], v[26:27], v[44:45]
	v_max_f32_e32 v44, v12, v12
	v_max_f32_e32 v45, v13, v13
	v_min_f32_e32 v12, v44, v100
	v_min_f32_e32 v13, v45, v98
	v_pk_add_f32 v[12:13], v[24:25], v[12:13]
	v_min_f32_e32 v24, v44, v115
	v_min_f32_e32 v25, v45, v114
	v_pk_add_f32 v[22:23], v[22:23], v[24:25]
	;; [unrolled: 3-line block ×4, first 2 shown]
	v_pk_add_f32 v[20:21], v[20:21], v[24:25]
	v_min_f32_e32 v25, v99, v85
	v_min_f32_e32 v24, v101, v84
	;; [unrolled: 1-line block ×4, first 2 shown]
	v_pk_add_f32 v[16:17], v[16:17], v[24:25]
	v_max_f32_e32 v24, v3, v3
	v_max_f32_e32 v7, v7, v7
	;; [unrolled: 1-line block ×4, first 2 shown]
	v_pk_add_f32 v[0:1], v[124:125], v[0:1]
	v_min_f32_e32 v3, v7, v24
	v_min_f32_e32 v2, v6, v25
	v_pk_add_f32 v[100:101], v[0:1], v[2:3]
	v_max_f32_e32 v2, v11, v11
	v_max_f32_e32 v3, v10, v10
	v_min_f32_e32 v1, v7, v2
	v_min_f32_e32 v0, v6, v3
	v_pk_add_f32 v[84:85], v[4:5], v[0:1]
	v_max_f32_e32 v4, v91, v91
	v_max_f32_e32 v5, v90, v90
	;; [unrolled: 5-line block ×3, first 2 shown]
	v_min_f32_e32 v0, v8, v25
	v_min_f32_e32 v1, v9, v24
	v_pk_add_f32 v[120:121], v[78:79], v[0:1]
	v_min_f32_e32 v0, v8, v3
	v_min_f32_e32 v1, v9, v2
	v_pk_add_f32 v[98:99], v[80:81], v[0:1]
	v_min_f32_e32 v0, v8, v5
	v_min_f32_e32 v1, v9, v4
	v_max_f32_e32 v10, v87, v87
	v_pk_add_f32 v[82:83], v[88:89], v[0:1]
	v_min_f32_e32 v1, v9, v10
	v_max_f32_e32 v9, v86, v86
	v_min_f32_e32 v0, v8, v9
	v_max_f32_e32 v8, v94, v94
	v_max_f32_e32 v11, v95, v95
	v_pk_add_f32 v[62:63], v[96:97], v[0:1]
	v_min_f32_e32 v0, v8, v25
	v_min_f32_e32 v1, v11, v24
	v_pk_add_f32 v[118:119], v[60:61], v[0:1]
	v_min_f32_e32 v0, v8, v3
	v_min_f32_e32 v1, v11, v2
	v_pk_add_f32 v[96:97], v[92:93], v[0:1]
	v_min_f32_e32 v0, v8, v5
	v_min_f32_e32 v1, v11, v4
	v_pk_add_f32 v[80:81], v[108:109], v[0:1]
	v_min_f32_e32 v1, v11, v10
	v_min_f32_e32 v0, v8, v9
	v_max_f32_e32 v8, v72, v72
	v_max_f32_e32 v11, v73, v73
	v_pk_add_f32 v[60:61], v[58:59], v[0:1]
	v_min_f32_e32 v0, v8, v25
	v_min_f32_e32 v1, v11, v24
	v_pk_add_f32 v[116:117], v[52:53], v[0:1]
	v_min_f32_e32 v0, v8, v3
	v_min_f32_e32 v1, v11, v2
	v_pk_add_f32 v[94:95], v[54:55], v[0:1]
	v_min_f32_e32 v0, v8, v5
	v_min_f32_e32 v1, v11, v4
	v_pk_add_f32 v[78:79], v[56:57], v[0:1]
	v_min_f32_e32 v1, v11, v10
	;; [unrolled: 14-line block ×6, first 2 shown]
	v_min_f32_e32 v0, v8, v9
	v_pk_add_f32 v[50:51], v[20:21], v[0:1]
	v_min_f32_e32 v1, v7, v10
	v_min_f32_e32 v0, v6, v9
	s_add_i32 s2, s2, 8
	v_pk_add_f32 v[48:49], v[16:17], v[0:1]
	v_lshl_add_u64 v[102:103], v[102:103], 0, 32
	v_lshl_add_u64 v[104:105], v[104:105], 0, 32
	s_cmp_ge_i32 s2, s23
	v_lshl_add_u64 v[106:107], v[106:107], 0, 32
	s_waitcnt vmcnt(0)
	ds_write_b32 v210, v215
	ds_write2st64_b32 v211, v214, v216 offset1:4
	s_waitcnt lgkmcnt(0)
	s_barrier
	s_cbranch_scc1 .LBB88_40
.LBB88_28:                              ; =>This Inner Loop Header: Depth=1
	v_add_u32_e32 v128, s2, v66
	v_add_u32_e32 v0, 8, v128
	v_cmp_le_i32_e64 s[6:7], s22, v0
	s_or_b64 s[16:17], s[6:7], vcc
	s_xor_b64 s[18:19], s[16:17], -1
	v_lshl_add_u64 v[124:125], v[102:103], 0, v[68:69]
	v_mov_b32_e32 v129, 0
	s_and_saveexec_b64 s[16:17], s[18:19]
	s_cbranch_execz .LBB88_30
; %bb.29:                               ;   in Loop: Header=BB88_28 Depth=1
	flat_load_dword v129, v[124:125] offset:32
.LBB88_30:                              ;   in Loop: Header=BB88_28 Depth=1
	s_or_b64 exec, exec, s[16:17]
	s_or_b64 s[16:17], s[8:9], s[6:7]
	s_xor_b64 s[18:19], s[16:17], -1
	v_mov_b32_e32 v130, 0
	v_lshl_add_u64 v[126:127], v[104:105], 0, v[68:69]
	v_mov_b32_e32 v131, 0
	s_and_saveexec_b64 s[16:17], s[18:19]
	s_cbranch_execz .LBB88_32
; %bb.31:                               ;   in Loop: Header=BB88_28 Depth=1
	flat_load_dword v131, v[126:127] offset:32
.LBB88_32:                              ;   in Loop: Header=BB88_28 Depth=1
	s_or_b64 exec, exec, s[16:17]
	s_or_b64 s[6:7], s[4:5], s[6:7]
	s_xor_b64 s[16:17], s[6:7], -1
	v_lshl_add_u64 v[122:123], v[106:107], 0, v[68:69]
	s_and_saveexec_b64 s[6:7], s[16:17]
	s_cbranch_execz .LBB88_34
; %bb.33:                               ;   in Loop: Header=BB88_28 Depth=1
	flat_load_dword v130, v[122:123] offset:32
.LBB88_34:                              ;   in Loop: Header=BB88_28 Depth=1
	s_or_b64 exec, exec, s[6:7]
	ds_read_b128 v[40:43], v213
	ds_read_b128 v[36:39], v213 offset:512
	ds_read_b128 v[24:27], v213 offset:1536
	;; [unrolled: 1-line block ×3, first 2 shown]
	ds_read_b128 v[28:31], v212
	ds_read_b128 v[20:23], v212 offset:128
	ds_read_b128 v[16:19], v212 offset:256
	;; [unrolled: 1-line block ×7, first 2 shown]
	v_add_u32_e32 v128, 12, v128
	v_cmp_le_i32_e64 s[6:7], s22, v128
	s_or_b64 s[16:17], s[6:7], vcc
	s_xor_b64 s[18:19], s[16:17], -1
	v_mov_b32_e32 v214, 0
	v_mov_b32_e32 v215, 0
	s_waitcnt vmcnt(0) lgkmcnt(0)
	ds_write_b32 v208, v129
	ds_write2st64_b32 v207, v131, v130 offset1:4
	s_waitcnt lgkmcnt(0)
	s_barrier
	s_and_saveexec_b64 s[16:17], s[18:19]
	s_cbranch_execz .LBB88_36
; %bb.35:                               ;   in Loop: Header=BB88_28 Depth=1
	flat_load_dword v215, v[124:125] offset:48
.LBB88_36:                              ;   in Loop: Header=BB88_28 Depth=1
	s_or_b64 exec, exec, s[16:17]
	s_or_b64 s[16:17], s[8:9], s[6:7]
	s_xor_b64 s[18:19], s[16:17], -1
	s_and_saveexec_b64 s[16:17], s[18:19]
	s_cbranch_execz .LBB88_38
; %bb.37:                               ;   in Loop: Header=BB88_28 Depth=1
	flat_load_dword v214, v[126:127] offset:48
.LBB88_38:                              ;   in Loop: Header=BB88_28 Depth=1
	s_or_b64 exec, exec, s[16:17]
	v_max_f32_e32 v156, v41, v41
	v_max_f32_e32 v162, v45, v45
	;; [unrolled: 1-line block ×34, first 2 shown]
	v_min_f32_e32 v41, v162, v156
	v_min_f32_e32 v40, v164, v157
	;; [unrolled: 1-line block ×62, first 2 shown]
	v_max_f32_e32 v193, v47, v47
	v_max_f32_e32 v216, v46, v46
	;; [unrolled: 1-line block ×12, first 2 shown]
	v_min_f32_e32 v196, v6, v200
	v_min_f32_e32 v197, v7, v192
	;; [unrolled: 1-line block ×8, first 2 shown]
	v_max_f32_e32 v6, v2, v2
	v_max_f32_e32 v7, v3, v3
	s_or_b64 s[6:7], s[4:5], s[6:7]
	v_min_f32_e32 v32, v164, v165
	v_min_f32_e32 v0, v168, v165
	;; [unrolled: 1-line block ×58, first 2 shown]
	s_xor_b64 s[16:17], s[6:7], -1
	v_mov_b32_e32 v216, 0
	s_and_saveexec_b64 s[6:7], s[16:17]
	s_cbranch_execz .LBB88_27
; %bb.39:                               ;   in Loop: Header=BB88_28 Depth=1
	flat_load_dword v216, v[122:123] offset:48
	s_branch .LBB88_27
.LBB88_40:
	s_load_dwordx2 s[4:5], s[0:1], 0x70
	s_load_dword s31, s[0:1], 0x50
	s_load_dword s30, s[0:1], 0x68
	ds_read_b128 v[44:47], v206 offset:2048
	ds_read_b128 v[40:43], v206 offset:2560
	;; [unrolled: 1-line block ×12, first 2 shown]
	v_add_u32_e32 v126, s29, v205
	s_waitcnt lgkmcnt(0)
	s_mul_i32 s0, s3, s5
	s_mul_hi_u32 s1, s3, s4
	s_mul_i32 s2, s13, s4
	s_add_i32 s0, s1, s0
	s_add_i32 s1, s0, s2
	s_mul_i32 s0, s3, s4
	s_lshl_b64 s[0:1], s[0:1], 2
	s_add_u32 s22, s10, s0
	s_addc_u32 s23, s11, s1
	v_mad_i64_i32 v[68:69], s[0:1], v126, s31, 0
	v_add_u32_e32 v66, s12, v204
	v_lshl_add_u64 v[124:125], v[68:69], 2, s[24:25]
	v_mad_i64_i32 v[68:69], s[0:1], v126, s30, 0
	v_cmp_gt_i32_e64 s[18:19], s21, v126
	v_lshl_add_u64 v[122:123], v[68:69], 2, s[22:23]
	v_cmp_gt_i32_e64 s[2:3], s20, v66
	v_cndmask_b32_e64 v68, 0, 1, s[14:15]
	s_and_b64 s[6:7], s[2:3], s[18:19]
	v_ashrrev_i32_e32 v67, 31, v66
	v_cmp_ne_u32_e64 s[0:1], 1, v68
	s_and_saveexec_b64 s[4:5], s[6:7]
	s_cbranch_execz .LBB88_45
; %bb.41:
	s_and_b64 vcc, exec, s[0:1]
	s_cbranch_vccnz .LBB88_43
; %bb.42:
	v_lshl_add_u64 v[68:69], v[66:67], 2, v[124:125]
	flat_load_dword v68, v[68:69]
	s_waitcnt vmcnt(0) lgkmcnt(0)
	v_mul_f32_e32 v68, s28, v68
	s_branch .LBB88_44
.LBB88_43:
	v_mov_b32_e32 v68, 0
.LBB88_44:
	v_max_f32_e32 v69, v44, v44
	v_max_f32_e32 v102, v32, v32
	v_min_f32_e32 v102, v102, v69
	v_max_f32_e32 v69, v45, v45
	v_max_f32_e32 v103, v33, v33
	v_min_f32_e32 v103, v103, v69
	;; [unrolled: 3-line block ×3, first 2 shown]
	v_max_f32_e32 v69, v47, v47
	v_max_f32_e32 v105, v35, v35
	v_pk_add_f32 v[102:103], v[120:121], v[102:103]
	v_min_f32_e32 v105, v105, v69
	v_pk_add_f32 v[102:103], v[102:103], v[104:105]
	s_nop 0
	v_add_f32_e32 v69, v102, v103
	v_add_f32_e32 v102, v69, v68
	v_lshl_add_u64 v[68:69], v[66:67], 2, v[122:123]
	global_store_dword v[68:69], v102, off
.LBB88_45:
	s_or_b64 exec, exec, s[4:5]
	v_add_u32_e32 v68, 8, v66
	v_cmp_gt_i32_e64 s[4:5], s20, v68
	s_and_b64 s[8:9], s[4:5], s[18:19]
	v_ashrrev_i32_e32 v69, 31, v68
	s_and_saveexec_b64 s[6:7], s[8:9]
	s_cbranch_execz .LBB88_50
; %bb.46:
	s_and_b64 vcc, exec, s[0:1]
	s_cbranch_vccnz .LBB88_48
; %bb.47:
	v_lshl_add_u64 v[102:103], v[68:69], 2, v[124:125]
	flat_load_dword v102, v[102:103]
	s_waitcnt vmcnt(0) lgkmcnt(0)
	v_mul_f32_e32 v102, s28, v102
	s_branch .LBB88_49
.LBB88_48:
	v_mov_b32_e32 v102, 0
.LBB88_49:
	v_max_f32_e32 v103, v44, v44
	v_max_f32_e32 v104, v28, v28
	v_min_f32_e32 v104, v104, v103
	v_max_f32_e32 v103, v45, v45
	v_max_f32_e32 v105, v29, v29
	v_min_f32_e32 v105, v105, v103
	;; [unrolled: 3-line block ×3, first 2 shown]
	v_max_f32_e32 v103, v47, v47
	v_max_f32_e32 v107, v31, v31
	v_pk_add_f32 v[104:105], v[118:119], v[104:105]
	v_min_f32_e32 v107, v107, v103
	v_pk_add_f32 v[104:105], v[104:105], v[106:107]
	s_nop 0
	v_add_f32_e32 v103, v104, v105
	v_add_f32_e32 v104, v103, v102
	v_lshl_add_u64 v[102:103], v[68:69], 2, v[122:123]
	global_store_dword v[102:103], v104, off
.LBB88_50:
	s_or_b64 exec, exec, s[6:7]
	v_add_u32_e32 v102, 16, v66
	v_cmp_gt_i32_e64 s[6:7], s20, v102
	s_and_b64 s[10:11], s[6:7], s[18:19]
	v_ashrrev_i32_e32 v103, 31, v102
	s_and_saveexec_b64 s[8:9], s[10:11]
	s_cbranch_execz .LBB88_55
; %bb.51:
	s_and_b64 vcc, exec, s[0:1]
	s_cbranch_vccnz .LBB88_53
; %bb.52:
	v_lshl_add_u64 v[104:105], v[102:103], 2, v[124:125]
	flat_load_dword v104, v[104:105]
	s_waitcnt vmcnt(0) lgkmcnt(0)
	v_mul_f32_e32 v104, s28, v104
	s_branch .LBB88_54
.LBB88_53:
	v_mov_b32_e32 v104, 0
.LBB88_54:
	v_max_f32_e32 v105, v44, v44
	v_max_f32_e32 v106, v24, v24
	v_min_f32_e32 v106, v106, v105
	v_max_f32_e32 v105, v45, v45
	v_max_f32_e32 v107, v25, v25
	v_min_f32_e32 v107, v107, v105
	v_pk_add_f32 v[106:107], v[116:117], v[106:107]
	v_max_f32_e32 v105, v46, v46
	v_max_f32_e32 v116, v26, v26
	v_min_f32_e32 v116, v116, v105
	v_max_f32_e32 v105, v47, v47
	v_max_f32_e32 v117, v27, v27
	v_min_f32_e32 v117, v117, v105
	v_pk_add_f32 v[106:107], v[106:107], v[116:117]
	s_nop 0
	v_add_f32_e32 v105, v106, v107
	v_add_f32_e32 v106, v105, v104
	v_lshl_add_u64 v[104:105], v[102:103], 2, v[122:123]
	global_store_dword v[104:105], v106, off
.LBB88_55:
	s_or_b64 exec, exec, s[8:9]
	v_add_u32_e32 v104, 24, v66
	v_cmp_gt_i32_e64 s[8:9], s20, v104
	s_and_b64 s[12:13], s[8:9], s[18:19]
	v_ashrrev_i32_e32 v105, 31, v104
	s_and_saveexec_b64 s[10:11], s[12:13]
	s_cbranch_execz .LBB88_60
; %bb.56:
	s_and_b64 vcc, exec, s[0:1]
	s_cbranch_vccnz .LBB88_58
; %bb.57:
	v_lshl_add_u64 v[106:107], v[104:105], 2, v[124:125]
	flat_load_dword v106, v[106:107]
	s_waitcnt vmcnt(0) lgkmcnt(0)
	v_mul_f32_e32 v106, s28, v106
	s_branch .LBB88_59
.LBB88_58:
	v_mov_b32_e32 v106, 0
.LBB88_59:
	v_max_f32_e32 v107, v44, v44
	v_max_f32_e32 v116, v20, v20
	v_min_f32_e32 v116, v116, v107
	v_max_f32_e32 v107, v45, v45
	v_max_f32_e32 v117, v21, v21
	v_min_f32_e32 v117, v117, v107
	v_pk_add_f32 v[114:115], v[114:115], v[116:117]
	v_max_f32_e32 v107, v46, v46
	v_max_f32_e32 v116, v22, v22
	v_min_f32_e32 v116, v116, v107
	v_max_f32_e32 v107, v47, v47
	v_max_f32_e32 v117, v23, v23
	v_min_f32_e32 v117, v117, v107
	v_pk_add_f32 v[114:115], v[114:115], v[116:117]
	s_nop 0
	v_add_f32_e32 v107, v114, v115
	v_add_f32_e32 v114, v107, v106
	v_lshl_add_u64 v[106:107], v[104:105], 2, v[122:123]
	global_store_dword v[106:107], v114, off
.LBB88_60:
	;; [unrolled: 39-line block ×6, first 2 shown]
	s_or_b64 exec, exec, s[18:19]
	v_add_u32_e32 v100, 32, v126
	v_mad_i64_i32 v[44:45], s[26:27], v100, s31, 0
	v_cmp_gt_i32_e64 s[18:19], s21, v100
	v_lshl_add_u64 v[46:47], v[44:45], 2, s[24:25]
	v_mad_i64_i32 v[44:45], s[26:27], v100, s30, 0
	v_lshl_add_u64 v[44:45], v[44:45], 2, s[22:23]
	s_and_b64 s[34:35], s[2:3], s[18:19]
	s_and_saveexec_b64 s[26:27], s[34:35]
	s_cbranch_execnz .LBB88_88
; %bb.81:
	s_or_b64 exec, exec, s[26:27]
	s_and_b64 s[34:35], s[4:5], s[18:19]
	s_and_saveexec_b64 s[26:27], s[34:35]
	s_cbranch_execnz .LBB88_92
.LBB88_82:
	s_or_b64 exec, exec, s[26:27]
	s_and_b64 s[34:35], s[6:7], s[18:19]
	s_and_saveexec_b64 s[26:27], s[34:35]
	s_cbranch_execnz .LBB88_96
.LBB88_83:
	s_or_b64 exec, exec, s[26:27]
	s_and_b64 s[34:35], s[8:9], s[18:19]
	s_and_saveexec_b64 s[26:27], s[34:35]
	s_cbranch_execnz .LBB88_100
.LBB88_84:
	s_or_b64 exec, exec, s[26:27]
	s_and_b64 s[34:35], s[10:11], s[18:19]
	s_and_saveexec_b64 s[26:27], s[34:35]
	s_cbranch_execnz .LBB88_104
.LBB88_85:
	s_or_b64 exec, exec, s[26:27]
	s_and_b64 s[34:35], s[12:13], s[18:19]
	s_and_saveexec_b64 s[26:27], s[34:35]
	s_cbranch_execnz .LBB88_108
.LBB88_86:
	s_or_b64 exec, exec, s[26:27]
	s_and_b64 s[34:35], s[14:15], s[18:19]
	s_and_saveexec_b64 s[26:27], s[34:35]
	s_cbranch_execnz .LBB88_112
.LBB88_87:
	s_or_b64 exec, exec, s[26:27]
	s_and_b64 s[26:27], s[16:17], s[18:19]
	s_and_saveexec_b64 s[18:19], s[26:27]
	s_cbranch_execnz .LBB88_116
	s_branch .LBB88_120
.LBB88_88:
	s_and_b64 vcc, exec, s[0:1]
	s_cbranch_vccnz .LBB88_90
; %bb.89:
	v_lshl_add_u64 v[100:101], v[66:67], 2, v[46:47]
	flat_load_dword v100, v[100:101]
	s_waitcnt vmcnt(0) lgkmcnt(0)
	v_mul_f32_e32 v100, s28, v100
	s_branch .LBB88_91
.LBB88_90:
	v_mov_b32_e32 v100, 0
.LBB88_91:
	v_max_f32_e32 v101, v40, v40
	v_max_f32_e32 v114, v32, v32
	v_min_f32_e32 v114, v114, v101
	v_max_f32_e32 v101, v41, v41
	v_max_f32_e32 v115, v33, v33
	v_min_f32_e32 v115, v115, v101
	v_pk_add_f32 v[98:99], v[98:99], v[114:115]
	v_max_f32_e32 v101, v42, v42
	v_max_f32_e32 v114, v34, v34
	v_min_f32_e32 v114, v114, v101
	v_max_f32_e32 v101, v43, v43
	v_max_f32_e32 v115, v35, v35
	v_min_f32_e32 v115, v115, v101
	v_pk_add_f32 v[98:99], v[98:99], v[114:115]
	s_nop 0
	v_add_f32_e32 v98, v98, v99
	v_add_f32_e32 v100, v98, v100
	v_lshl_add_u64 v[98:99], v[66:67], 2, v[44:45]
	global_store_dword v[98:99], v100, off
	s_or_b64 exec, exec, s[26:27]
	s_and_b64 s[34:35], s[4:5], s[18:19]
	s_and_saveexec_b64 s[26:27], s[34:35]
	s_cbranch_execz .LBB88_82
.LBB88_92:
	s_and_b64 vcc, exec, s[0:1]
	s_cbranch_vccnz .LBB88_94
; %bb.93:
	v_lshl_add_u64 v[98:99], v[68:69], 2, v[46:47]
	flat_load_dword v98, v[98:99]
	s_waitcnt vmcnt(0) lgkmcnt(0)
	v_mul_f32_e32 v98, s28, v98
	s_branch .LBB88_95
.LBB88_94:
	v_mov_b32_e32 v98, 0
.LBB88_95:
	v_max_f32_e32 v99, v40, v40
	v_max_f32_e32 v100, v28, v28
	v_min_f32_e32 v100, v100, v99
	v_max_f32_e32 v99, v41, v41
	v_max_f32_e32 v101, v29, v29
	v_min_f32_e32 v101, v101, v99
	v_pk_add_f32 v[96:97], v[96:97], v[100:101]
	v_max_f32_e32 v99, v42, v42
	v_max_f32_e32 v100, v30, v30
	v_min_f32_e32 v100, v100, v99
	v_max_f32_e32 v99, v43, v43
	v_max_f32_e32 v101, v31, v31
	v_min_f32_e32 v101, v101, v99
	v_pk_add_f32 v[96:97], v[96:97], v[100:101]
	s_nop 0
	v_add_f32_e32 v96, v96, v97
	v_add_f32_e32 v98, v96, v98
	v_lshl_add_u64 v[96:97], v[68:69], 2, v[44:45]
	global_store_dword v[96:97], v98, off
	s_or_b64 exec, exec, s[26:27]
	s_and_b64 s[34:35], s[6:7], s[18:19]
	s_and_saveexec_b64 s[26:27], s[34:35]
	s_cbranch_execz .LBB88_83
.LBB88_96:
	s_and_b64 vcc, exec, s[0:1]
	s_cbranch_vccnz .LBB88_98
; %bb.97:
	v_lshl_add_u64 v[96:97], v[102:103], 2, v[46:47]
	flat_load_dword v96, v[96:97]
	s_waitcnt vmcnt(0) lgkmcnt(0)
	v_mul_f32_e32 v96, s28, v96
	s_branch .LBB88_99
.LBB88_98:
	v_mov_b32_e32 v96, 0
.LBB88_99:
	v_max_f32_e32 v97, v40, v40
	v_max_f32_e32 v98, v24, v24
	v_min_f32_e32 v98, v98, v97
	v_max_f32_e32 v97, v41, v41
	v_max_f32_e32 v99, v25, v25
	v_min_f32_e32 v99, v99, v97
	v_pk_add_f32 v[94:95], v[94:95], v[98:99]
	v_max_f32_e32 v97, v42, v42
	v_max_f32_e32 v98, v26, v26
	v_min_f32_e32 v98, v98, v97
	v_max_f32_e32 v97, v43, v43
	v_max_f32_e32 v99, v27, v27
	v_min_f32_e32 v99, v99, v97
	v_pk_add_f32 v[94:95], v[94:95], v[98:99]
	s_nop 0
	v_add_f32_e32 v94, v94, v95
	v_add_f32_e32 v96, v94, v96
	v_lshl_add_u64 v[94:95], v[102:103], 2, v[44:45]
	global_store_dword v[94:95], v96, off
	s_or_b64 exec, exec, s[26:27]
	s_and_b64 s[34:35], s[8:9], s[18:19]
	s_and_saveexec_b64 s[26:27], s[34:35]
	s_cbranch_execz .LBB88_84
.LBB88_100:
	s_and_b64 vcc, exec, s[0:1]
	s_cbranch_vccnz .LBB88_102
; %bb.101:
	v_lshl_add_u64 v[94:95], v[104:105], 2, v[46:47]
	flat_load_dword v94, v[94:95]
	s_waitcnt vmcnt(0) lgkmcnt(0)
	v_mul_f32_e32 v94, s28, v94
	s_branch .LBB88_103
.LBB88_102:
	v_mov_b32_e32 v94, 0
.LBB88_103:
	v_max_f32_e32 v95, v40, v40
	v_max_f32_e32 v96, v20, v20
	v_min_f32_e32 v96, v96, v95
	v_max_f32_e32 v95, v41, v41
	v_max_f32_e32 v97, v21, v21
	v_min_f32_e32 v97, v97, v95
	v_pk_add_f32 v[92:93], v[92:93], v[96:97]
	v_max_f32_e32 v95, v42, v42
	v_max_f32_e32 v96, v22, v22
	v_min_f32_e32 v96, v96, v95
	v_max_f32_e32 v95, v43, v43
	v_max_f32_e32 v97, v23, v23
	v_min_f32_e32 v97, v97, v95
	v_pk_add_f32 v[92:93], v[92:93], v[96:97]
	s_nop 0
	v_add_f32_e32 v92, v92, v93
	v_add_f32_e32 v94, v92, v94
	v_lshl_add_u64 v[92:93], v[104:105], 2, v[44:45]
	global_store_dword v[92:93], v94, off
	s_or_b64 exec, exec, s[26:27]
	s_and_b64 s[34:35], s[10:11], s[18:19]
	s_and_saveexec_b64 s[26:27], s[34:35]
	s_cbranch_execz .LBB88_85
.LBB88_104:
	s_and_b64 vcc, exec, s[0:1]
	s_cbranch_vccnz .LBB88_106
; %bb.105:
	v_lshl_add_u64 v[92:93], v[106:107], 2, v[46:47]
	flat_load_dword v92, v[92:93]
	s_waitcnt vmcnt(0) lgkmcnt(0)
	v_mul_f32_e32 v92, s28, v92
	s_branch .LBB88_107
.LBB88_106:
	v_mov_b32_e32 v92, 0
.LBB88_107:
	v_max_f32_e32 v93, v40, v40
	v_max_f32_e32 v94, v16, v16
	v_min_f32_e32 v94, v94, v93
	v_max_f32_e32 v93, v41, v41
	v_max_f32_e32 v95, v17, v17
	v_min_f32_e32 v95, v95, v93
	v_pk_add_f32 v[90:91], v[90:91], v[94:95]
	v_max_f32_e32 v93, v42, v42
	v_max_f32_e32 v94, v18, v18
	v_min_f32_e32 v94, v94, v93
	v_max_f32_e32 v93, v43, v43
	v_max_f32_e32 v95, v19, v19
	v_min_f32_e32 v95, v95, v93
	v_pk_add_f32 v[90:91], v[90:91], v[94:95]
	s_nop 0
	v_add_f32_e32 v90, v90, v91
	v_add_f32_e32 v92, v90, v92
	v_lshl_add_u64 v[90:91], v[106:107], 2, v[44:45]
	global_store_dword v[90:91], v92, off
	s_or_b64 exec, exec, s[26:27]
	s_and_b64 s[34:35], s[12:13], s[18:19]
	s_and_saveexec_b64 s[26:27], s[34:35]
	s_cbranch_execz .LBB88_86
.LBB88_108:
	s_and_b64 vcc, exec, s[0:1]
	s_cbranch_vccnz .LBB88_110
; %bb.109:
	v_lshl_add_u64 v[90:91], v[108:109], 2, v[46:47]
	flat_load_dword v90, v[90:91]
	s_waitcnt vmcnt(0) lgkmcnt(0)
	v_mul_f32_e32 v90, s28, v90
	s_branch .LBB88_111
.LBB88_110:
	v_mov_b32_e32 v90, 0
.LBB88_111:
	v_max_f32_e32 v91, v40, v40
	v_max_f32_e32 v92, v12, v12
	v_min_f32_e32 v92, v92, v91
	v_max_f32_e32 v91, v41, v41
	v_max_f32_e32 v93, v13, v13
	v_min_f32_e32 v93, v93, v91
	v_pk_add_f32 v[88:89], v[88:89], v[92:93]
	v_max_f32_e32 v91, v42, v42
	v_max_f32_e32 v92, v14, v14
	v_min_f32_e32 v92, v92, v91
	v_max_f32_e32 v91, v43, v43
	v_max_f32_e32 v93, v15, v15
	v_min_f32_e32 v93, v93, v91
	v_pk_add_f32 v[88:89], v[88:89], v[92:93]
	s_nop 0
	v_add_f32_e32 v88, v88, v89
	v_add_f32_e32 v90, v88, v90
	v_lshl_add_u64 v[88:89], v[108:109], 2, v[44:45]
	global_store_dword v[88:89], v90, off
	s_or_b64 exec, exec, s[26:27]
	s_and_b64 s[34:35], s[14:15], s[18:19]
	s_and_saveexec_b64 s[26:27], s[34:35]
	s_cbranch_execz .LBB88_87
.LBB88_112:
	s_and_b64 vcc, exec, s[0:1]
	s_cbranch_vccnz .LBB88_114
; %bb.113:
	v_lshl_add_u64 v[88:89], v[110:111], 2, v[46:47]
	flat_load_dword v88, v[88:89]
	s_waitcnt vmcnt(0) lgkmcnt(0)
	v_mul_f32_e32 v88, s28, v88
	s_branch .LBB88_115
.LBB88_114:
	v_mov_b32_e32 v88, 0
.LBB88_115:
	v_max_f32_e32 v89, v40, v40
	v_max_f32_e32 v90, v8, v8
	v_min_f32_e32 v90, v90, v89
	v_max_f32_e32 v89, v41, v41
	v_max_f32_e32 v91, v9, v9
	v_min_f32_e32 v91, v91, v89
	v_pk_add_f32 v[86:87], v[86:87], v[90:91]
	v_max_f32_e32 v89, v42, v42
	v_max_f32_e32 v90, v10, v10
	v_min_f32_e32 v90, v90, v89
	v_max_f32_e32 v89, v43, v43
	v_max_f32_e32 v91, v11, v11
	v_min_f32_e32 v91, v91, v89
	v_pk_add_f32 v[86:87], v[86:87], v[90:91]
	s_nop 0
	v_add_f32_e32 v86, v86, v87
	v_add_f32_e32 v88, v86, v88
	v_lshl_add_u64 v[86:87], v[110:111], 2, v[44:45]
	global_store_dword v[86:87], v88, off
	s_or_b64 exec, exec, s[26:27]
	s_and_b64 s[26:27], s[16:17], s[18:19]
	s_and_saveexec_b64 s[18:19], s[26:27]
	s_cbranch_execz .LBB88_120
.LBB88_116:
	s_and_b64 vcc, exec, s[0:1]
	s_cbranch_vccnz .LBB88_118
; %bb.117:
	v_lshl_add_u64 v[46:47], v[112:113], 2, v[46:47]
	flat_load_dword v46, v[46:47]
	s_waitcnt vmcnt(0) lgkmcnt(0)
	v_mul_f32_e32 v46, s28, v46
	s_branch .LBB88_119
.LBB88_118:
	v_mov_b32_e32 v46, 0
.LBB88_119:
	v_max_f32_e32 v41, v41, v41
	v_max_f32_e32 v47, v5, v5
	v_min_f32_e32 v41, v47, v41
	v_max_f32_e32 v40, v40, v40
	v_max_f32_e32 v47, v4, v4
	v_min_f32_e32 v40, v47, v40
	;; [unrolled: 3-line block ×3, first 2 shown]
	v_max_f32_e32 v42, v42, v42
	v_max_f32_e32 v47, v6, v6
	v_pk_add_f32 v[40:41], v[84:85], v[40:41]
	v_min_f32_e32 v42, v47, v42
	v_pk_add_f32 v[40:41], v[40:41], v[42:43]
	s_nop 0
	v_add_f32_e32 v40, v40, v41
	v_add_f32_e32 v42, v40, v46
	v_lshl_add_u64 v[40:41], v[112:113], 2, v[44:45]
	global_store_dword v[40:41], v42, off
.LBB88_120:
	s_or_b64 exec, exec, s[18:19]
	v_add_u32_e32 v44, 64, v126
	v_mad_i64_i32 v[40:41], s[26:27], v44, s31, 0
	v_cmp_gt_i32_e64 s[18:19], s21, v44
	v_lshl_add_u64 v[42:43], v[40:41], 2, s[24:25]
	v_mad_i64_i32 v[40:41], s[26:27], v44, s30, 0
	v_lshl_add_u64 v[40:41], v[40:41], 2, s[22:23]
	s_and_b64 s[34:35], s[2:3], s[18:19]
	s_and_saveexec_b64 s[26:27], s[34:35]
	s_cbranch_execnz .LBB88_128
; %bb.121:
	s_or_b64 exec, exec, s[26:27]
	s_and_b64 s[34:35], s[4:5], s[18:19]
	s_and_saveexec_b64 s[26:27], s[34:35]
	s_cbranch_execnz .LBB88_132
.LBB88_122:
	s_or_b64 exec, exec, s[26:27]
	s_and_b64 s[34:35], s[6:7], s[18:19]
	s_and_saveexec_b64 s[26:27], s[34:35]
	s_cbranch_execnz .LBB88_136
.LBB88_123:
	s_or_b64 exec, exec, s[26:27]
	s_and_b64 s[34:35], s[8:9], s[18:19]
	s_and_saveexec_b64 s[26:27], s[34:35]
	s_cbranch_execnz .LBB88_140
.LBB88_124:
	s_or_b64 exec, exec, s[26:27]
	s_and_b64 s[34:35], s[10:11], s[18:19]
	s_and_saveexec_b64 s[26:27], s[34:35]
	s_cbranch_execnz .LBB88_144
.LBB88_125:
	s_or_b64 exec, exec, s[26:27]
	s_and_b64 s[34:35], s[12:13], s[18:19]
	s_and_saveexec_b64 s[26:27], s[34:35]
	s_cbranch_execnz .LBB88_148
.LBB88_126:
	s_or_b64 exec, exec, s[26:27]
	s_and_b64 s[34:35], s[14:15], s[18:19]
	s_and_saveexec_b64 s[26:27], s[34:35]
	s_cbranch_execnz .LBB88_152
.LBB88_127:
	s_or_b64 exec, exec, s[26:27]
	s_and_b64 s[26:27], s[16:17], s[18:19]
	s_and_saveexec_b64 s[18:19], s[26:27]
	s_cbranch_execnz .LBB88_156
	s_branch .LBB88_160
.LBB88_128:
	s_and_b64 vcc, exec, s[0:1]
	s_cbranch_vccnz .LBB88_130
; %bb.129:
	v_lshl_add_u64 v[44:45], v[66:67], 2, v[42:43]
	flat_load_dword v44, v[44:45]
	s_waitcnt vmcnt(0) lgkmcnt(0)
	v_mul_f32_e32 v44, s28, v44
	s_branch .LBB88_131
.LBB88_130:
	v_mov_b32_e32 v44, 0
.LBB88_131:
	v_max_f32_e32 v45, v36, v36
	v_max_f32_e32 v46, v32, v32
	v_min_f32_e32 v46, v46, v45
	v_max_f32_e32 v45, v37, v37
	v_max_f32_e32 v47, v33, v33
	v_min_f32_e32 v47, v47, v45
	v_pk_add_f32 v[46:47], v[82:83], v[46:47]
	v_max_f32_e32 v45, v38, v38
	v_max_f32_e32 v82, v34, v34
	v_min_f32_e32 v82, v82, v45
	v_max_f32_e32 v45, v39, v39
	v_max_f32_e32 v83, v35, v35
	v_min_f32_e32 v83, v83, v45
	v_pk_add_f32 v[46:47], v[46:47], v[82:83]
	s_nop 0
	v_add_f32_e32 v45, v46, v47
	v_add_f32_e32 v46, v45, v44
	v_lshl_add_u64 v[44:45], v[66:67], 2, v[40:41]
	global_store_dword v[44:45], v46, off
	s_or_b64 exec, exec, s[26:27]
	s_and_b64 s[34:35], s[4:5], s[18:19]
	s_and_saveexec_b64 s[26:27], s[34:35]
	s_cbranch_execz .LBB88_122
.LBB88_132:
	s_and_b64 vcc, exec, s[0:1]
	s_cbranch_vccnz .LBB88_134
; %bb.133:
	v_lshl_add_u64 v[44:45], v[68:69], 2, v[42:43]
	flat_load_dword v44, v[44:45]
	s_waitcnt vmcnt(0) lgkmcnt(0)
	v_mul_f32_e32 v44, s28, v44
	s_branch .LBB88_135
.LBB88_134:
	v_mov_b32_e32 v44, 0
.LBB88_135:
	v_max_f32_e32 v45, v36, v36
	v_max_f32_e32 v46, v28, v28
	v_min_f32_e32 v46, v46, v45
	v_max_f32_e32 v45, v37, v37
	v_max_f32_e32 v47, v29, v29
	v_min_f32_e32 v47, v47, v45
	v_pk_add_f32 v[46:47], v[80:81], v[46:47]
	v_max_f32_e32 v45, v38, v38
	v_max_f32_e32 v80, v30, v30
	v_min_f32_e32 v80, v80, v45
	v_max_f32_e32 v45, v39, v39
	v_max_f32_e32 v81, v31, v31
	v_min_f32_e32 v81, v81, v45
	v_pk_add_f32 v[46:47], v[46:47], v[80:81]
	s_nop 0
	v_add_f32_e32 v45, v46, v47
	v_add_f32_e32 v46, v45, v44
	v_lshl_add_u64 v[44:45], v[68:69], 2, v[40:41]
	global_store_dword v[44:45], v46, off
	s_or_b64 exec, exec, s[26:27]
	s_and_b64 s[34:35], s[6:7], s[18:19]
	s_and_saveexec_b64 s[26:27], s[34:35]
	s_cbranch_execz .LBB88_123
.LBB88_136:
	s_and_b64 vcc, exec, s[0:1]
	s_cbranch_vccnz .LBB88_138
; %bb.137:
	v_lshl_add_u64 v[44:45], v[102:103], 2, v[42:43]
	flat_load_dword v44, v[44:45]
	s_waitcnt vmcnt(0) lgkmcnt(0)
	v_mul_f32_e32 v44, s28, v44
	s_branch .LBB88_139
.LBB88_138:
	v_mov_b32_e32 v44, 0
.LBB88_139:
	v_max_f32_e32 v45, v36, v36
	v_max_f32_e32 v46, v24, v24
	v_min_f32_e32 v46, v46, v45
	v_max_f32_e32 v45, v37, v37
	v_max_f32_e32 v47, v25, v25
	v_min_f32_e32 v47, v47, v45
	v_pk_add_f32 v[46:47], v[78:79], v[46:47]
	v_max_f32_e32 v45, v38, v38
	v_max_f32_e32 v78, v26, v26
	v_min_f32_e32 v78, v78, v45
	v_max_f32_e32 v45, v39, v39
	v_max_f32_e32 v79, v27, v27
	v_min_f32_e32 v79, v79, v45
	v_pk_add_f32 v[46:47], v[46:47], v[78:79]
	s_nop 0
	v_add_f32_e32 v45, v46, v47
	v_add_f32_e32 v46, v45, v44
	v_lshl_add_u64 v[44:45], v[102:103], 2, v[40:41]
	global_store_dword v[44:45], v46, off
	s_or_b64 exec, exec, s[26:27]
	s_and_b64 s[34:35], s[8:9], s[18:19]
	s_and_saveexec_b64 s[26:27], s[34:35]
	s_cbranch_execz .LBB88_124
.LBB88_140:
	s_and_b64 vcc, exec, s[0:1]
	s_cbranch_vccnz .LBB88_142
; %bb.141:
	v_lshl_add_u64 v[44:45], v[104:105], 2, v[42:43]
	flat_load_dword v44, v[44:45]
	s_waitcnt vmcnt(0) lgkmcnt(0)
	v_mul_f32_e32 v44, s28, v44
	s_branch .LBB88_143
.LBB88_142:
	v_mov_b32_e32 v44, 0
.LBB88_143:
	v_max_f32_e32 v45, v36, v36
	v_max_f32_e32 v46, v20, v20
	v_min_f32_e32 v46, v46, v45
	v_max_f32_e32 v45, v37, v37
	v_max_f32_e32 v47, v21, v21
	v_min_f32_e32 v47, v47, v45
	v_pk_add_f32 v[46:47], v[76:77], v[46:47]
	v_max_f32_e32 v45, v38, v38
	v_max_f32_e32 v76, v22, v22
	v_min_f32_e32 v76, v76, v45
	v_max_f32_e32 v45, v39, v39
	v_max_f32_e32 v77, v23, v23
	v_min_f32_e32 v77, v77, v45
	v_pk_add_f32 v[46:47], v[46:47], v[76:77]
	s_nop 0
	v_add_f32_e32 v45, v46, v47
	v_add_f32_e32 v46, v45, v44
	v_lshl_add_u64 v[44:45], v[104:105], 2, v[40:41]
	global_store_dword v[44:45], v46, off
	s_or_b64 exec, exec, s[26:27]
	s_and_b64 s[34:35], s[10:11], s[18:19]
	s_and_saveexec_b64 s[26:27], s[34:35]
	s_cbranch_execz .LBB88_125
.LBB88_144:
	s_and_b64 vcc, exec, s[0:1]
	s_cbranch_vccnz .LBB88_146
; %bb.145:
	v_lshl_add_u64 v[44:45], v[106:107], 2, v[42:43]
	flat_load_dword v44, v[44:45]
	s_waitcnt vmcnt(0) lgkmcnt(0)
	v_mul_f32_e32 v44, s28, v44
	s_branch .LBB88_147
.LBB88_146:
	v_mov_b32_e32 v44, 0
.LBB88_147:
	v_max_f32_e32 v45, v36, v36
	v_max_f32_e32 v46, v16, v16
	v_min_f32_e32 v46, v46, v45
	v_max_f32_e32 v45, v37, v37
	v_max_f32_e32 v47, v17, v17
	v_min_f32_e32 v47, v47, v45
	v_pk_add_f32 v[46:47], v[74:75], v[46:47]
	v_max_f32_e32 v45, v38, v38
	v_max_f32_e32 v74, v18, v18
	v_min_f32_e32 v74, v74, v45
	v_max_f32_e32 v45, v39, v39
	v_max_f32_e32 v75, v19, v19
	v_min_f32_e32 v75, v75, v45
	v_pk_add_f32 v[46:47], v[46:47], v[74:75]
	s_nop 0
	v_add_f32_e32 v45, v46, v47
	v_add_f32_e32 v46, v45, v44
	v_lshl_add_u64 v[44:45], v[106:107], 2, v[40:41]
	global_store_dword v[44:45], v46, off
	s_or_b64 exec, exec, s[26:27]
	s_and_b64 s[34:35], s[12:13], s[18:19]
	s_and_saveexec_b64 s[26:27], s[34:35]
	s_cbranch_execz .LBB88_126
.LBB88_148:
	s_and_b64 vcc, exec, s[0:1]
	s_cbranch_vccnz .LBB88_150
; %bb.149:
	v_lshl_add_u64 v[44:45], v[108:109], 2, v[42:43]
	flat_load_dword v44, v[44:45]
	s_waitcnt vmcnt(0) lgkmcnt(0)
	v_mul_f32_e32 v44, s28, v44
	s_branch .LBB88_151
.LBB88_150:
	v_mov_b32_e32 v44, 0
.LBB88_151:
	v_max_f32_e32 v45, v36, v36
	v_max_f32_e32 v46, v12, v12
	v_min_f32_e32 v46, v46, v45
	v_max_f32_e32 v45, v37, v37
	v_max_f32_e32 v47, v13, v13
	v_min_f32_e32 v47, v47, v45
	v_pk_add_f32 v[46:47], v[72:73], v[46:47]
	v_max_f32_e32 v45, v38, v38
	v_max_f32_e32 v72, v14, v14
	v_min_f32_e32 v72, v72, v45
	v_max_f32_e32 v45, v39, v39
	v_max_f32_e32 v73, v15, v15
	v_min_f32_e32 v73, v73, v45
	v_pk_add_f32 v[46:47], v[46:47], v[72:73]
	s_nop 0
	v_add_f32_e32 v45, v46, v47
	v_add_f32_e32 v46, v45, v44
	v_lshl_add_u64 v[44:45], v[108:109], 2, v[40:41]
	global_store_dword v[44:45], v46, off
	s_or_b64 exec, exec, s[26:27]
	s_and_b64 s[34:35], s[14:15], s[18:19]
	s_and_saveexec_b64 s[26:27], s[34:35]
	s_cbranch_execz .LBB88_127
.LBB88_152:
	s_and_b64 vcc, exec, s[0:1]
	s_cbranch_vccnz .LBB88_154
; %bb.153:
	v_lshl_add_u64 v[44:45], v[110:111], 2, v[42:43]
	flat_load_dword v44, v[44:45]
	s_waitcnt vmcnt(0) lgkmcnt(0)
	v_mul_f32_e32 v44, s28, v44
	s_branch .LBB88_155
.LBB88_154:
	v_mov_b32_e32 v44, 0
.LBB88_155:
	v_max_f32_e32 v45, v36, v36
	v_max_f32_e32 v46, v8, v8
	v_min_f32_e32 v46, v46, v45
	v_max_f32_e32 v45, v37, v37
	v_max_f32_e32 v47, v9, v9
	v_min_f32_e32 v47, v47, v45
	v_pk_add_f32 v[46:47], v[70:71], v[46:47]
	v_max_f32_e32 v45, v38, v38
	v_max_f32_e32 v70, v10, v10
	v_min_f32_e32 v70, v70, v45
	v_max_f32_e32 v45, v39, v39
	v_max_f32_e32 v71, v11, v11
	v_min_f32_e32 v71, v71, v45
	v_pk_add_f32 v[46:47], v[46:47], v[70:71]
	s_nop 0
	v_add_f32_e32 v45, v46, v47
	v_add_f32_e32 v46, v45, v44
	v_lshl_add_u64 v[44:45], v[110:111], 2, v[40:41]
	global_store_dword v[44:45], v46, off
	s_or_b64 exec, exec, s[26:27]
	s_and_b64 s[26:27], s[16:17], s[18:19]
	s_and_saveexec_b64 s[18:19], s[26:27]
	s_cbranch_execz .LBB88_160
.LBB88_156:
	s_and_b64 vcc, exec, s[0:1]
	s_cbranch_vccnz .LBB88_158
; %bb.157:
	v_lshl_add_u64 v[42:43], v[112:113], 2, v[42:43]
	flat_load_dword v42, v[42:43]
	s_waitcnt vmcnt(0) lgkmcnt(0)
	v_mul_f32_e32 v42, s28, v42
	s_branch .LBB88_159
.LBB88_158:
	v_mov_b32_e32 v42, 0
.LBB88_159:
	v_max_f32_e32 v37, v37, v37
	v_max_f32_e32 v43, v5, v5
	v_min_f32_e32 v37, v43, v37
	v_max_f32_e32 v36, v36, v36
	v_max_f32_e32 v43, v4, v4
	v_min_f32_e32 v36, v43, v36
	;; [unrolled: 3-line block ×3, first 2 shown]
	v_max_f32_e32 v38, v38, v38
	v_max_f32_e32 v43, v6, v6
	v_pk_add_f32 v[36:37], v[64:65], v[36:37]
	v_min_f32_e32 v38, v43, v38
	v_pk_add_f32 v[36:37], v[36:37], v[38:39]
	s_nop 0
	v_add_f32_e32 v36, v36, v37
	v_add_f32_e32 v38, v36, v42
	v_lshl_add_u64 v[36:37], v[112:113], 2, v[40:41]
	global_store_dword v[36:37], v38, off
.LBB88_160:
	s_or_b64 exec, exec, s[18:19]
	v_add_u32_e32 v40, 0x60, v126
	v_cmp_gt_i32_e64 s[18:19], s21, v40
	v_mad_i64_i32 v[36:37], s[20:21], v40, s31, 0
	v_lshl_add_u64 v[38:39], v[36:37], 2, s[24:25]
	v_mad_i64_i32 v[36:37], s[20:21], v40, s30, 0
	v_lshl_add_u64 v[36:37], v[36:37], 2, s[22:23]
	s_and_b64 s[20:21], s[2:3], s[18:19]
	s_and_saveexec_b64 s[2:3], s[20:21]
	s_cbranch_execnz .LBB88_169
; %bb.161:
	s_or_b64 exec, exec, s[2:3]
	s_and_b64 s[4:5], s[4:5], s[18:19]
	s_and_saveexec_b64 s[2:3], s[4:5]
	s_cbranch_execnz .LBB88_173
.LBB88_162:
	s_or_b64 exec, exec, s[2:3]
	s_and_b64 s[4:5], s[6:7], s[18:19]
	s_and_saveexec_b64 s[2:3], s[4:5]
	s_cbranch_execnz .LBB88_177
.LBB88_163:
	s_or_b64 exec, exec, s[2:3]
	s_and_b64 s[4:5], s[8:9], s[18:19]
	s_and_saveexec_b64 s[2:3], s[4:5]
	s_cbranch_execnz .LBB88_181
.LBB88_164:
	s_or_b64 exec, exec, s[2:3]
	s_and_b64 s[4:5], s[10:11], s[18:19]
	s_and_saveexec_b64 s[2:3], s[4:5]
	s_cbranch_execnz .LBB88_185
.LBB88_165:
	s_or_b64 exec, exec, s[2:3]
	s_and_b64 s[4:5], s[12:13], s[18:19]
	s_and_saveexec_b64 s[2:3], s[4:5]
	s_cbranch_execnz .LBB88_189
.LBB88_166:
	s_or_b64 exec, exec, s[2:3]
	s_and_b64 s[4:5], s[14:15], s[18:19]
	s_and_saveexec_b64 s[2:3], s[4:5]
	s_cbranch_execnz .LBB88_193
.LBB88_167:
	s_or_b64 exec, exec, s[2:3]
	s_and_b64 s[2:3], s[16:17], s[18:19]
	s_and_saveexec_b64 s[4:5], s[2:3]
	s_cbranch_execnz .LBB88_197
.LBB88_168:
	s_endpgm
.LBB88_169:
	s_and_b64 vcc, exec, s[0:1]
	s_cbranch_vccnz .LBB88_171
; %bb.170:
	v_lshl_add_u64 v[40:41], v[66:67], 2, v[38:39]
	flat_load_dword v40, v[40:41]
	s_waitcnt vmcnt(0) lgkmcnt(0)
	v_mul_f32_e32 v40, s28, v40
	s_branch .LBB88_172
.LBB88_171:
	v_mov_b32_e32 v40, 0
.LBB88_172:
	v_max_f32_e32 v41, v1, v1
	v_max_f32_e32 v33, v33, v33
	v_min_f32_e32 v33, v33, v41
	v_max_f32_e32 v41, v0, v0
	v_max_f32_e32 v32, v32, v32
	v_min_f32_e32 v32, v32, v41
	;; [unrolled: 3-line block ×3, first 2 shown]
	v_max_f32_e32 v41, v2, v2
	v_max_f32_e32 v34, v34, v34
	v_pk_add_f32 v[32:33], v[62:63], v[32:33]
	v_min_f32_e32 v34, v34, v41
	v_pk_add_f32 v[32:33], v[32:33], v[34:35]
	s_nop 0
	v_add_f32_e32 v32, v32, v33
	v_add_f32_e32 v34, v32, v40
	v_lshl_add_u64 v[32:33], v[66:67], 2, v[36:37]
	global_store_dword v[32:33], v34, off
	s_or_b64 exec, exec, s[2:3]
	s_and_b64 s[4:5], s[4:5], s[18:19]
	s_and_saveexec_b64 s[2:3], s[4:5]
	s_cbranch_execz .LBB88_162
.LBB88_173:
	s_and_b64 vcc, exec, s[0:1]
	s_cbranch_vccnz .LBB88_175
; %bb.174:
	v_lshl_add_u64 v[32:33], v[68:69], 2, v[38:39]
	flat_load_dword v32, v[32:33]
	s_waitcnt vmcnt(0) lgkmcnt(0)
	v_mul_f32_e32 v32, s28, v32
	s_branch .LBB88_176
.LBB88_175:
	v_mov_b32_e32 v32, 0
.LBB88_176:
	v_max_f32_e32 v33, v1, v1
	v_max_f32_e32 v29, v29, v29
	v_min_f32_e32 v29, v29, v33
	v_max_f32_e32 v33, v0, v0
	v_max_f32_e32 v28, v28, v28
	v_min_f32_e32 v28, v28, v33
	;; [unrolled: 3-line block ×3, first 2 shown]
	v_max_f32_e32 v33, v2, v2
	v_max_f32_e32 v30, v30, v30
	v_pk_add_f32 v[28:29], v[60:61], v[28:29]
	v_min_f32_e32 v30, v30, v33
	v_pk_add_f32 v[28:29], v[28:29], v[30:31]
	s_nop 0
	v_add_f32_e32 v28, v28, v29
	v_add_f32_e32 v30, v28, v32
	v_lshl_add_u64 v[28:29], v[68:69], 2, v[36:37]
	global_store_dword v[28:29], v30, off
	s_or_b64 exec, exec, s[2:3]
	s_and_b64 s[4:5], s[6:7], s[18:19]
	s_and_saveexec_b64 s[2:3], s[4:5]
	s_cbranch_execz .LBB88_163
.LBB88_177:
	s_and_b64 vcc, exec, s[0:1]
	s_cbranch_vccnz .LBB88_179
; %bb.178:
	v_lshl_add_u64 v[28:29], v[102:103], 2, v[38:39]
	flat_load_dword v28, v[28:29]
	s_waitcnt vmcnt(0) lgkmcnt(0)
	v_mul_f32_e32 v28, s28, v28
	s_branch .LBB88_180
.LBB88_179:
	v_mov_b32_e32 v28, 0
.LBB88_180:
	v_max_f32_e32 v29, v1, v1
	v_max_f32_e32 v25, v25, v25
	v_min_f32_e32 v25, v25, v29
	v_max_f32_e32 v29, v0, v0
	v_max_f32_e32 v24, v24, v24
	v_min_f32_e32 v24, v24, v29
	;; [unrolled: 3-line block ×3, first 2 shown]
	v_max_f32_e32 v29, v2, v2
	v_max_f32_e32 v26, v26, v26
	v_pk_add_f32 v[24:25], v[58:59], v[24:25]
	v_min_f32_e32 v26, v26, v29
	v_pk_add_f32 v[24:25], v[24:25], v[26:27]
	s_nop 0
	v_add_f32_e32 v24, v24, v25
	v_add_f32_e32 v26, v24, v28
	v_lshl_add_u64 v[24:25], v[102:103], 2, v[36:37]
	global_store_dword v[24:25], v26, off
	s_or_b64 exec, exec, s[2:3]
	s_and_b64 s[4:5], s[8:9], s[18:19]
	s_and_saveexec_b64 s[2:3], s[4:5]
	s_cbranch_execz .LBB88_164
.LBB88_181:
	s_and_b64 vcc, exec, s[0:1]
	s_cbranch_vccnz .LBB88_183
; %bb.182:
	v_lshl_add_u64 v[24:25], v[104:105], 2, v[38:39]
	flat_load_dword v24, v[24:25]
	s_waitcnt vmcnt(0) lgkmcnt(0)
	v_mul_f32_e32 v24, s28, v24
	s_branch .LBB88_184
.LBB88_183:
	v_mov_b32_e32 v24, 0
.LBB88_184:
	v_max_f32_e32 v25, v1, v1
	v_max_f32_e32 v21, v21, v21
	v_min_f32_e32 v21, v21, v25
	v_max_f32_e32 v25, v0, v0
	v_max_f32_e32 v20, v20, v20
	v_min_f32_e32 v20, v20, v25
	v_max_f32_e32 v25, v3, v3
	v_max_f32_e32 v23, v23, v23
	v_min_f32_e32 v23, v23, v25
	v_max_f32_e32 v25, v2, v2
	v_max_f32_e32 v22, v22, v22
	v_pk_add_f32 v[20:21], v[56:57], v[20:21]
	v_min_f32_e32 v22, v22, v25
	v_pk_add_f32 v[20:21], v[20:21], v[22:23]
	s_nop 0
	v_add_f32_e32 v20, v20, v21
	v_add_f32_e32 v22, v20, v24
	v_lshl_add_u64 v[20:21], v[104:105], 2, v[36:37]
	global_store_dword v[20:21], v22, off
	s_or_b64 exec, exec, s[2:3]
	s_and_b64 s[4:5], s[10:11], s[18:19]
	s_and_saveexec_b64 s[2:3], s[4:5]
	s_cbranch_execz .LBB88_165
.LBB88_185:
	s_and_b64 vcc, exec, s[0:1]
	s_cbranch_vccnz .LBB88_187
; %bb.186:
	v_lshl_add_u64 v[20:21], v[106:107], 2, v[38:39]
	flat_load_dword v20, v[20:21]
	s_waitcnt vmcnt(0) lgkmcnt(0)
	v_mul_f32_e32 v20, s28, v20
	s_branch .LBB88_188
.LBB88_187:
	v_mov_b32_e32 v20, 0
.LBB88_188:
	v_max_f32_e32 v21, v1, v1
	v_max_f32_e32 v17, v17, v17
	v_min_f32_e32 v17, v17, v21
	v_max_f32_e32 v21, v0, v0
	v_max_f32_e32 v16, v16, v16
	v_min_f32_e32 v16, v16, v21
	;; [unrolled: 3-line block ×3, first 2 shown]
	v_max_f32_e32 v21, v2, v2
	v_max_f32_e32 v18, v18, v18
	v_pk_add_f32 v[16:17], v[54:55], v[16:17]
	v_min_f32_e32 v18, v18, v21
	v_pk_add_f32 v[16:17], v[16:17], v[18:19]
	s_nop 0
	v_add_f32_e32 v16, v16, v17
	v_add_f32_e32 v18, v16, v20
	v_lshl_add_u64 v[16:17], v[106:107], 2, v[36:37]
	global_store_dword v[16:17], v18, off
	s_or_b64 exec, exec, s[2:3]
	s_and_b64 s[4:5], s[12:13], s[18:19]
	s_and_saveexec_b64 s[2:3], s[4:5]
	s_cbranch_execz .LBB88_166
.LBB88_189:
	s_and_b64 vcc, exec, s[0:1]
	s_cbranch_vccnz .LBB88_191
; %bb.190:
	v_lshl_add_u64 v[16:17], v[108:109], 2, v[38:39]
	flat_load_dword v16, v[16:17]
	s_waitcnt vmcnt(0) lgkmcnt(0)
	v_mul_f32_e32 v16, s28, v16
	s_branch .LBB88_192
.LBB88_191:
	v_mov_b32_e32 v16, 0
.LBB88_192:
	v_max_f32_e32 v17, v1, v1
	v_max_f32_e32 v13, v13, v13
	v_min_f32_e32 v13, v13, v17
	v_max_f32_e32 v17, v0, v0
	v_max_f32_e32 v12, v12, v12
	v_min_f32_e32 v12, v12, v17
	v_max_f32_e32 v17, v3, v3
	v_max_f32_e32 v15, v15, v15
	v_min_f32_e32 v15, v15, v17
	v_max_f32_e32 v17, v2, v2
	v_max_f32_e32 v14, v14, v14
	v_pk_add_f32 v[12:13], v[52:53], v[12:13]
	v_min_f32_e32 v14, v14, v17
	v_pk_add_f32 v[12:13], v[12:13], v[14:15]
	s_nop 0
	v_add_f32_e32 v12, v12, v13
	v_add_f32_e32 v14, v12, v16
	v_lshl_add_u64 v[12:13], v[108:109], 2, v[36:37]
	global_store_dword v[12:13], v14, off
	s_or_b64 exec, exec, s[2:3]
	s_and_b64 s[4:5], s[14:15], s[18:19]
	s_and_saveexec_b64 s[2:3], s[4:5]
	s_cbranch_execz .LBB88_167
.LBB88_193:
	s_and_b64 vcc, exec, s[0:1]
	s_cbranch_vccnz .LBB88_195
; %bb.194:
	v_lshl_add_u64 v[12:13], v[110:111], 2, v[38:39]
	flat_load_dword v12, v[12:13]
	s_waitcnt vmcnt(0) lgkmcnt(0)
	v_mul_f32_e32 v12, s28, v12
	s_branch .LBB88_196
.LBB88_195:
	v_mov_b32_e32 v12, 0
.LBB88_196:
	v_max_f32_e32 v13, v1, v1
	v_max_f32_e32 v9, v9, v9
	v_min_f32_e32 v9, v9, v13
	v_max_f32_e32 v13, v0, v0
	v_max_f32_e32 v8, v8, v8
	v_min_f32_e32 v8, v8, v13
	;; [unrolled: 3-line block ×3, first 2 shown]
	v_max_f32_e32 v13, v2, v2
	v_max_f32_e32 v10, v10, v10
	v_pk_add_f32 v[8:9], v[50:51], v[8:9]
	v_min_f32_e32 v10, v10, v13
	v_pk_add_f32 v[8:9], v[8:9], v[10:11]
	s_nop 0
	v_add_f32_e32 v8, v8, v9
	v_add_f32_e32 v10, v8, v12
	v_lshl_add_u64 v[8:9], v[110:111], 2, v[36:37]
	global_store_dword v[8:9], v10, off
	s_or_b64 exec, exec, s[2:3]
	s_and_b64 s[2:3], s[16:17], s[18:19]
	s_and_saveexec_b64 s[4:5], s[2:3]
	s_cbranch_execz .LBB88_168
.LBB88_197:
	s_and_b64 vcc, exec, s[0:1]
	s_cbranch_vccnz .LBB88_199
; %bb.198:
	v_lshl_add_u64 v[8:9], v[112:113], 2, v[38:39]
	flat_load_dword v8, v[8:9]
	s_waitcnt vmcnt(0) lgkmcnt(0)
	v_mul_f32_e32 v8, s28, v8
	s_branch .LBB88_200
.LBB88_199:
	v_mov_b32_e32 v8, 0
.LBB88_200:
	v_max_f32_e32 v0, v0, v0
	v_max_f32_e32 v4, v4, v4
	;; [unrolled: 1-line block ×4, first 2 shown]
	v_min_f32_e32 v0, v4, v0
	v_max_f32_e32 v3, v3, v3
	v_max_f32_e32 v4, v7, v7
	v_min_f32_e32 v1, v5, v1
	v_min_f32_e32 v3, v4, v3
	v_max_f32_e32 v2, v2, v2
	v_max_f32_e32 v4, v6, v6
	v_pk_add_f32 v[0:1], v[48:49], v[0:1]
	v_min_f32_e32 v2, v4, v2
	v_pk_add_f32 v[0:1], v[0:1], v[2:3]
	s_nop 0
	v_add_f32_e32 v0, v0, v1
	v_add_f32_e32 v2, v0, v8
	v_lshl_add_u64 v[0:1], v[112:113], 2, v[36:37]
	global_store_dword v[0:1], v2, off
	s_endpgm
	.section	.rodata,"a",@progbits
	.p2align	6, 0x0
	.amdhsa_kernel _ZN12_GLOBAL__N_120geam_min_plus_kernelIf15HIP_vector_typeIfLj2EES2_Li8ELi32ELi64ELi128ELi4ELi4ELi64ELi4ELi64ELc84ELc78ELb1ELb1ELb0EfKffEEviiiT16_PT17_ilS6_ilS4_S6_ilPT18_ili26rocblas_geam_ex_operation_
		.amdhsa_group_segment_fixed_size 6144
		.amdhsa_private_segment_fixed_size 0
		.amdhsa_kernarg_size 128
		.amdhsa_user_sgpr_count 2
		.amdhsa_user_sgpr_dispatch_ptr 0
		.amdhsa_user_sgpr_queue_ptr 0
		.amdhsa_user_sgpr_kernarg_segment_ptr 1
		.amdhsa_user_sgpr_dispatch_id 0
		.amdhsa_user_sgpr_kernarg_preload_length 0
		.amdhsa_user_sgpr_kernarg_preload_offset 0
		.amdhsa_user_sgpr_private_segment_size 0
		.amdhsa_uses_dynamic_stack 0
		.amdhsa_enable_private_segment 0
		.amdhsa_system_sgpr_workgroup_id_x 1
		.amdhsa_system_sgpr_workgroup_id_y 0
		.amdhsa_system_sgpr_workgroup_id_z 1
		.amdhsa_system_sgpr_workgroup_info 0
		.amdhsa_system_vgpr_workitem_id 1
		.amdhsa_next_free_vgpr 222
		.amdhsa_next_free_sgpr 36
		.amdhsa_accum_offset 224
		.amdhsa_reserve_vcc 1
		.amdhsa_float_round_mode_32 0
		.amdhsa_float_round_mode_16_64 0
		.amdhsa_float_denorm_mode_32 3
		.amdhsa_float_denorm_mode_16_64 3
		.amdhsa_dx10_clamp 1
		.amdhsa_ieee_mode 1
		.amdhsa_fp16_overflow 0
		.amdhsa_tg_split 0
		.amdhsa_exception_fp_ieee_invalid_op 0
		.amdhsa_exception_fp_denorm_src 0
		.amdhsa_exception_fp_ieee_div_zero 0
		.amdhsa_exception_fp_ieee_overflow 0
		.amdhsa_exception_fp_ieee_underflow 0
		.amdhsa_exception_fp_ieee_inexact 0
		.amdhsa_exception_int_div_zero 0
	.end_amdhsa_kernel
	.section	.text._ZN12_GLOBAL__N_120geam_min_plus_kernelIf15HIP_vector_typeIfLj2EES2_Li8ELi32ELi64ELi128ELi4ELi4ELi64ELi4ELi64ELc84ELc78ELb1ELb1ELb0EfKffEEviiiT16_PT17_ilS6_ilS4_S6_ilPT18_ili26rocblas_geam_ex_operation_,"axG",@progbits,_ZN12_GLOBAL__N_120geam_min_plus_kernelIf15HIP_vector_typeIfLj2EES2_Li8ELi32ELi64ELi128ELi4ELi4ELi64ELi4ELi64ELc84ELc78ELb1ELb1ELb0EfKffEEviiiT16_PT17_ilS6_ilS4_S6_ilPT18_ili26rocblas_geam_ex_operation_,comdat
.Lfunc_end88:
	.size	_ZN12_GLOBAL__N_120geam_min_plus_kernelIf15HIP_vector_typeIfLj2EES2_Li8ELi32ELi64ELi128ELi4ELi4ELi64ELi4ELi64ELc84ELc78ELb1ELb1ELb0EfKffEEviiiT16_PT17_ilS6_ilS4_S6_ilPT18_ili26rocblas_geam_ex_operation_, .Lfunc_end88-_ZN12_GLOBAL__N_120geam_min_plus_kernelIf15HIP_vector_typeIfLj2EES2_Li8ELi32ELi64ELi128ELi4ELi4ELi64ELi4ELi64ELc84ELc78ELb1ELb1ELb0EfKffEEviiiT16_PT17_ilS6_ilS4_S6_ilPT18_ili26rocblas_geam_ex_operation_
                                        ; -- End function
	.section	.AMDGPU.csdata,"",@progbits
; Kernel info:
; codeLenInByte = 11024
; NumSgprs: 42
; NumVgprs: 222
; NumAgprs: 0
; TotalNumVgprs: 222
; ScratchSize: 0
; MemoryBound: 0
; FloatMode: 240
; IeeeMode: 1
; LDSByteSize: 6144 bytes/workgroup (compile time only)
; SGPRBlocks: 5
; VGPRBlocks: 27
; NumSGPRsForWavesPerEU: 42
; NumVGPRsForWavesPerEU: 222
; AccumOffset: 224
; Occupancy: 2
; WaveLimiterHint : 0
; COMPUTE_PGM_RSRC2:SCRATCH_EN: 0
; COMPUTE_PGM_RSRC2:USER_SGPR: 2
; COMPUTE_PGM_RSRC2:TRAP_HANDLER: 0
; COMPUTE_PGM_RSRC2:TGID_X_EN: 1
; COMPUTE_PGM_RSRC2:TGID_Y_EN: 0
; COMPUTE_PGM_RSRC2:TGID_Z_EN: 1
; COMPUTE_PGM_RSRC2:TIDIG_COMP_CNT: 1
; COMPUTE_PGM_RSRC3_GFX90A:ACCUM_OFFSET: 55
; COMPUTE_PGM_RSRC3_GFX90A:TG_SPLIT: 0
	.section	.text._ZN12_GLOBAL__N_120geam_min_plus_kernelIf15HIP_vector_typeIfLj2EES2_Li8ELi32ELi64ELi128ELi4ELi4ELi64ELi4ELi64ELc84ELc78ELb0ELb1ELb0EfKffEEviiiT16_PT17_ilS6_ilS4_S6_ilPT18_ili26rocblas_geam_ex_operation_,"axG",@progbits,_ZN12_GLOBAL__N_120geam_min_plus_kernelIf15HIP_vector_typeIfLj2EES2_Li8ELi32ELi64ELi128ELi4ELi4ELi64ELi4ELi64ELc84ELc78ELb0ELb1ELb0EfKffEEviiiT16_PT17_ilS6_ilS4_S6_ilPT18_ili26rocblas_geam_ex_operation_,comdat
	.globl	_ZN12_GLOBAL__N_120geam_min_plus_kernelIf15HIP_vector_typeIfLj2EES2_Li8ELi32ELi64ELi128ELi4ELi4ELi64ELi4ELi64ELc84ELc78ELb0ELb1ELb0EfKffEEviiiT16_PT17_ilS6_ilS4_S6_ilPT18_ili26rocblas_geam_ex_operation_ ; -- Begin function _ZN12_GLOBAL__N_120geam_min_plus_kernelIf15HIP_vector_typeIfLj2EES2_Li8ELi32ELi64ELi128ELi4ELi4ELi64ELi4ELi64ELc84ELc78ELb0ELb1ELb0EfKffEEviiiT16_PT17_ilS6_ilS4_S6_ilPT18_ili26rocblas_geam_ex_operation_
	.p2align	8
	.type	_ZN12_GLOBAL__N_120geam_min_plus_kernelIf15HIP_vector_typeIfLj2EES2_Li8ELi32ELi64ELi128ELi4ELi4ELi64ELi4ELi64ELc84ELc78ELb0ELb1ELb0EfKffEEviiiT16_PT17_ilS6_ilS4_S6_ilPT18_ili26rocblas_geam_ex_operation_,@function
_ZN12_GLOBAL__N_120geam_min_plus_kernelIf15HIP_vector_typeIfLj2EES2_Li8ELi32ELi64ELi128ELi4ELi4ELi64ELi4ELi64ELc84ELc78ELb0ELb1ELb0EfKffEEviiiT16_PT17_ilS6_ilS4_S6_ilPT18_ili26rocblas_geam_ex_operation_: ; @_ZN12_GLOBAL__N_120geam_min_plus_kernelIf15HIP_vector_typeIfLj2EES2_Li8ELi32ELi64ELi128ELi4ELi4ELi64ELi4ELi64ELc84ELc78ELb0ELb1ELb0EfKffEEviiiT16_PT17_ilS6_ilS4_S6_ilPT18_ili26rocblas_geam_ex_operation_
; %bb.0:
	s_load_dwordx4 s[20:23], s[0:1], 0x0
	s_load_dwordx4 s[4:7], s[0:1], 0x20
	s_waitcnt lgkmcnt(0)
	v_cmp_eq_f32_e64 s[8:9], s23, 0
	v_cmp_neq_f32_e64 s[16:17], s23, 0
	s_and_b64 vcc, exec, s[8:9]
	s_cbranch_vccnz .LBB89_3
; %bb.1:
	s_load_dwordx2 s[10:11], s[0:1], 0x10
	s_mul_i32 s5, s3, s5
	s_mul_hi_u32 s12, s3, s4
	s_add_i32 s5, s12, s5
	s_mul_i32 s4, s3, s4
	s_lshl_b64 s[4:5], s[4:5], 2
	s_waitcnt lgkmcnt(0)
	s_add_u32 s26, s10, s4
	s_addc_u32 s27, s11, s5
	s_andn2_b64 vcc, exec, s[8:9]
	s_cbranch_vccnz .LBB89_4
.LBB89_2:
	s_mov_b32 s13, 0
	s_mov_b64 s[18:19], 0
	s_cbranch_execz .LBB89_5
	s_branch .LBB89_6
.LBB89_3:
	s_mov_b64 s[26:27], 0
	s_andn2_b64 vcc, exec, s[8:9]
	s_cbranch_vccz .LBB89_2
.LBB89_4:
                                        ; implicit-def: $sgpr18_sgpr19
                                        ; implicit-def: $sgpr12_sgpr13
.LBB89_5:
	s_load_dwordx2 s[4:5], s[0:1], 0x38
	s_mov_b32 s13, 0
	s_waitcnt lgkmcnt(0)
	s_mul_i32 s5, s3, s5
	s_mul_hi_u32 s8, s3, s4
	s_add_i32 s5, s8, s5
	s_mul_i32 s4, s3, s4
	s_lshl_b64 s[4:5], s[4:5], 2
	s_add_u32 s18, s6, s4
	s_addc_u32 s19, s7, s5
.LBB89_6:
	s_load_dword s30, s[0:1], 0x40
	s_load_dwordx4 s[8:11], s[0:1], 0x58
	s_waitcnt lgkmcnt(0)
	v_cmp_eq_f32_e64 s[4:5], s30, 0
	v_cmp_neq_f32_e64 s[14:15], s30, 0
	s_and_b64 vcc, exec, s[4:5]
	s_cbranch_vccnz .LBB89_8
; %bb.7:
	s_load_dwordx2 s[4:5], s[0:1], 0x48
	s_mul_i32 s6, s3, s9
	s_mul_hi_u32 s7, s3, s8
	s_add_i32 s6, s7, s6
	s_mul_i32 s7, s13, s8
	s_add_i32 s7, s6, s7
	s_mul_i32 s6, s3, s8
	s_lshl_b64 s[6:7], s[6:7], 2
	s_waitcnt lgkmcnt(0)
	s_add_u32 s24, s4, s6
	s_addc_u32 s25, s5, s7
	s_branch .LBB89_9
.LBB89_8:
	s_mov_b64 s[24:25], 0
.LBB89_9:
	s_add_i32 s4, s20, -1
	s_ashr_i32 s5, s4, 31
	s_lshr_b32 s5, s5, 26
	s_add_i32 s4, s4, s5
	s_ashr_i32 s4, s4, 6
	s_add_i32 s5, s4, 1
	v_cvt_f32_u32_e32 v1, s5
	s_not_b32 s4, s4
	v_and_b32_e32 v200, 0x3ff, v0
	v_bfe_u32 v201, v0, 10, 10
	v_rcp_iflag_f32_e32 v1, v1
	v_lshl_add_u32 v0, v201, 3, v200
	s_load_dword s34, s[0:1], 0x18
	v_lshrrev_b32_e32 v4, 2, v0
	v_mul_f32_e32 v1, 0x4f7ffffe, v1
	v_cvt_u32_f32_e32 v1, v1
	v_and_b32_e32 v202, 3, v200
	v_mov_b32_e32 v9, 0
	v_lshlrev_b32_e32 v0, 2, v202
	v_readfirstlane_b32 s6, v1
	s_mul_i32 s4, s4, s6
	s_mul_hi_u32 s4, s6, s4
	s_add_i32 s6, s6, s4
	s_mul_hi_u32 s4, s2, s6
	s_mul_i32 s6, s4, s5
	s_sub_i32 s6, s2, s6
	s_add_i32 s7, s4, 1
	s_sub_i32 s8, s6, s5
	s_cmp_ge_u32 s6, s5
	s_cselect_b32 s4, s7, s4
	s_cselect_b32 s6, s8, s6
	s_add_i32 s7, s4, 1
	s_cmp_ge_u32 s6, s5
	s_cselect_b32 s6, s7, s4
	s_mul_i32 s35, s6, s5
	s_sub_i32 s4, s2, s35
	s_lshl_b32 s12, s4, 6
	v_add_u32_e32 v7, s12, v4
	v_cmp_gt_i32_e64 s[4:5], s22, v202
	v_cmp_gt_i32_e32 vcc, s20, v7
	s_and_b64 s[4:5], s[4:5], vcc
	s_and_b64 s[8:9], s[16:17], s[4:5]
	v_mov_b32_e32 v10, 0
	s_and_saveexec_b64 s[4:5], s[8:9]
	s_cbranch_execz .LBB89_11
; %bb.10:
	s_waitcnt lgkmcnt(0)
	v_mad_i64_i32 v[2:3], s[8:9], v7, s34, 0
	v_lshl_add_u64 v[2:3], v[2:3], 2, s[26:27]
	v_mov_b32_e32 v1, 0
	v_lshl_add_u64 v[2:3], v[2:3], 0, v[0:1]
	flat_load_dword v1, v[2:3]
	s_waitcnt vmcnt(0) lgkmcnt(0)
	v_mul_f32_e32 v10, s23, v1
.LBB89_11:
	s_or_b64 exec, exec, s[4:5]
	s_lshl_b32 s31, s6, 7
	s_load_dword s36, s[0:1], 0x30
	v_add_u32_e32 v5, s31, v4
	s_add_i32 s33, s22, -1
	v_cmp_le_i32_e64 s[6:7], s21, v5
	s_xor_b64 s[28:29], s[16:17], -1
	v_cmp_le_i32_e64 s[4:5], s22, v202
	v_min_i32_e32 v2, s33, v202
	s_or_b64 s[8:9], s[6:7], s[28:29]
	v_ashrrev_i32_e32 v3, 31, v2
	s_or_b64 s[6:7], s[4:5], s[8:9]
	v_lshl_add_u64 v[2:3], v[2:3], 2, s[18:19]
	s_xor_b64 s[38:39], s[6:7], -1
	s_and_saveexec_b64 s[6:7], s[38:39]
	s_cbranch_execz .LBB89_13
; %bb.12:
	s_waitcnt lgkmcnt(0)
	v_mad_i64_i32 v[8:9], s[38:39], v5, s36, 0
	v_lshl_add_u64 v[8:9], v[8:9], 2, v[2:3]
	flat_load_dword v1, v[8:9]
	s_waitcnt vmcnt(0) lgkmcnt(0)
	v_mul_f32_e32 v9, s23, v1
.LBB89_13:
	s_or_b64 exec, exec, s[6:7]
	v_add_u32_e32 v6, 64, v5
	v_cmp_le_i32_e64 s[6:7], s21, v6
	s_or_b64 s[6:7], s[6:7], s[28:29]
	s_or_b64 s[4:5], s[4:5], s[6:7]
	s_xor_b64 s[28:29], s[4:5], -1
	v_mov_b32_e32 v1, 0
	v_mov_b32_e32 v11, 0
	s_and_saveexec_b64 s[4:5], s[28:29]
	s_cbranch_execz .LBB89_15
; %bb.14:
	s_waitcnt lgkmcnt(0)
	v_mad_i64_i32 v[12:13], s[28:29], v6, s36, 0
	v_lshl_add_u64 v[2:3], v[12:13], 2, v[2:3]
	flat_load_dword v2, v[2:3]
	s_waitcnt vmcnt(0) lgkmcnt(0)
	v_mul_f32_e32 v11, s23, v2
.LBB89_15:
	s_or_b64 exec, exec, s[4:5]
	v_or_b32_e32 v2, 4, v202
	v_cmp_gt_i32_e64 s[4:5], s22, v2
	s_and_b64 s[4:5], s[4:5], vcc
	s_and_b64 s[28:29], s[16:17], s[4:5]
	s_and_saveexec_b64 s[4:5], s[28:29]
	s_cbranch_execz .LBB89_17
; %bb.16:
	s_waitcnt lgkmcnt(0)
	v_mad_i64_i32 v[12:13], s[28:29], v7, s34, 0
	v_lshl_add_u64 v[12:13], v[12:13], 2, s[26:27]
	v_mov_b32_e32 v1, 0
	v_lshl_add_u64 v[12:13], v[12:13], 0, v[0:1]
	flat_load_dword v1, v[12:13] offset:16
	s_waitcnt vmcnt(0) lgkmcnt(0)
	v_mul_f32_e32 v1, s23, v1
.LBB89_17:
	s_or_b64 exec, exec, s[4:5]
	v_cmp_le_i32_e64 s[4:5], s22, v2
	v_min_i32_e32 v2, s33, v2
	v_ashrrev_i32_e32 v3, 31, v2
	s_or_b64 s[28:29], s[4:5], s[8:9]
	v_lshl_add_u64 v[2:3], v[2:3], 2, s[18:19]
	s_xor_b64 s[38:39], s[28:29], -1
	v_mov_b32_e32 v7, 0
	v_mov_b32_e32 v8, 0
	s_and_saveexec_b64 s[28:29], s[38:39]
	s_cbranch_execz .LBB89_19
; %bb.18:
	s_waitcnt lgkmcnt(0)
	v_mad_i64_i32 v[12:13], s[38:39], v5, s36, 0
	v_lshl_add_u64 v[12:13], v[12:13], 2, v[2:3]
	flat_load_dword v8, v[12:13]
	s_waitcnt vmcnt(0) lgkmcnt(0)
	v_mul_f32_e32 v8, s23, v8
.LBB89_19:
	s_or_b64 exec, exec, s[28:29]
	s_or_b64 s[4:5], s[4:5], s[6:7]
	s_xor_b64 s[28:29], s[4:5], -1
	s_and_saveexec_b64 s[4:5], s[28:29]
	s_cbranch_execz .LBB89_21
; %bb.20:
	s_waitcnt lgkmcnt(0)
	v_mad_i64_i32 v[12:13], s[28:29], v6, s36, 0
	v_lshl_add_u64 v[2:3], v[12:13], 2, v[2:3]
	flat_load_dword v2, v[2:3]
	s_waitcnt vmcnt(0) lgkmcnt(0)
	v_mul_f32_e32 v7, s23, v2
.LBB89_21:
	s_or_b64 exec, exec, s[4:5]
	v_lshl_or_b32 v205, v4, 4, v0
	v_lshlrev_b32_e32 v204, 4, v201
	ds_write_b32 v205, v10 offset:4096
	ds_write2st64_b32 v205, v9, v11 offset1:4
	s_waitcnt lgkmcnt(0)
	s_barrier
	ds_read_b128 v[10:13], v204
	v_lshlrev_b32_e32 v203, 4, v200
	ds_read_b128 v[14:17], v203 offset:4992
	ds_read_b128 v[18:21], v204 offset:512
	;; [unrolled: 1-line block ×5, first 2 shown]
	s_waitcnt lgkmcnt(5)
	v_max_f32_e32 v9, v11, v11
	v_max_f32_e32 v56, v10, v10
	;; [unrolled: 1-line block ×4, first 2 shown]
	ds_read_b128 v[10:13], v203 offset:4352
	s_waitcnt lgkmcnt(5)
	v_max_f32_e32 v60, v15, v15
	v_max_f32_e32 v61, v14, v14
	s_waitcnt lgkmcnt(4)
	v_max_f32_e32 v58, v19, v19
	v_max_f32_e32 v59, v18, v18
	;; [unrolled: 1-line block ×4, first 2 shown]
	ds_read_b128 v[14:17], v203 offset:4480
	v_max_f32_e32 v122, v21, v21
	v_max_f32_e32 v123, v20, v20
	s_waitcnt lgkmcnt(2)
	v_max_f32_e32 v124, v33, v33
	v_max_f32_e32 v125, v32, v32
	s_waitcnt lgkmcnt(1)
	v_max_f32_e32 v32, v10, v10
	v_max_f32_e32 v33, v11, v11
	;; [unrolled: 1-line block ×3, first 2 shown]
	ds_read_b128 v[18:21], v203 offset:4608
	v_max_f32_e32 v73, v13, v13
	ds_read_b128 v[10:13], v203 offset:4736
	ds_read_b128 v[34:37], v203 offset:4096
	;; [unrolled: 1-line block ×3, first 2 shown]
	v_max_f32_e32 v62, v31, v31
	v_max_f32_e32 v63, v30, v30
	;; [unrolled: 1-line block ×4, first 2 shown]
	s_waitcnt lgkmcnt(2)
	v_max_f32_e32 v54, v10, v10
	v_max_f32_e32 v55, v11, v11
	s_waitcnt lgkmcnt(1)
	v_max_f32_e32 v30, v34, v34
	v_max_f32_e32 v31, v35, v35
	;; [unrolled: 3-line block ×3, first 2 shown]
	v_max_f32_e32 v38, v14, v14
	v_max_f32_e32 v39, v15, v15
	;; [unrolled: 1-line block ×6, first 2 shown]
	v_min_f32_e32 v48, v54, v56
	v_min_f32_e32 v49, v55, v9
	;; [unrolled: 1-line block ×10, first 2 shown]
	v_max_f32_e32 v127, v28, v28
	v_max_f32_e32 v70, v40, v40
	;; [unrolled: 1-line block ×8, first 2 shown]
	v_min_f32_e32 v2, v30, v56
	v_min_f32_e32 v10, v30, v59
	;; [unrolled: 1-line block ×33, first 2 shown]
	v_pk_add_f32 v[54:55], v[54:55], 0 op_sel_hi:[1,0]
	v_min_f32_e32 v61, v120, v112
	v_min_f32_e32 v60, v121, v113
	v_pk_add_f32 v[96:97], v[54:55], v[60:61]
	v_pk_add_f32 v[54:55], v[56:57], 0 op_sel_hi:[1,0]
	v_min_f32_e32 v57, v120, v122
	v_min_f32_e32 v56, v121, v123
	v_max_f32_e32 v68, v36, v36
	v_max_f32_e32 v69, v37, v37
	v_min_f32_e32 v3, v31, v9
	v_pk_add_f32 v[80:81], v[54:55], v[56:57]
	v_pk_add_f32 v[54:55], v[58:59], 0 op_sel_hi:[1,0]
	v_min_f32_e32 v57, v120, v124
	v_min_f32_e32 v56, v121, v125
	v_max_f32_e32 v126, v29, v29
	v_max_f32_e32 v71, v41, v41
	;; [unrolled: 1-line block ×4, first 2 shown]
	v_min_f32_e32 v13, v31, v62
	v_min_f32_e32 v15, v31, v64
	;; [unrolled: 1-line block ×17, first 2 shown]
	v_pk_add_f32 v[64:65], v[54:55], v[56:57]
	v_pk_add_f32 v[2:3], v[2:3], 0 op_sel_hi:[1,0]
	v_min_f32_e32 v54, v68, v113
	v_min_f32_e32 v55, v69, v112
	v_pk_add_f32 v[116:117], v[2:3], v[54:55]
	v_pk_add_f32 v[2:3], v[10:11], 0 op_sel_hi:[1,0]
	v_min_f32_e32 v10, v68, v123
	v_min_f32_e32 v11, v69, v122
	;; [unrolled: 4-line block ×3, first 2 shown]
	v_pk_add_f32 v[78:79], v[2:3], v[10:11]
	v_min_f32_e32 v3, v69, v126
	v_min_f32_e32 v2, v68, v127
	v_pk_add_f32 v[10:11], v[14:15], 0 op_sel_hi:[1,0]
	v_min_f32_e32 v100, v74, v63
	v_min_f32_e32 v101, v75, v62
	v_pk_add_f32 v[62:63], v[10:11], v[2:3]
	v_pk_add_f32 v[2:3], v[16:17], 0 op_sel_hi:[1,0]
	v_min_f32_e32 v10, v70, v113
	v_min_f32_e32 v11, v71, v112
	v_pk_add_f32 v[114:115], v[2:3], v[10:11]
	;; [unrolled: 4-line block ×4, first 2 shown]
	v_min_f32_e32 v3, v71, v126
	v_min_f32_e32 v2, v70, v127
	v_pk_add_f32 v[10:11], v[22:23], 0 op_sel_hi:[1,0]
	v_min_f32_e32 v83, v75, v9
	v_pk_add_f32 v[60:61], v[10:11], v[2:3]
	v_pk_add_f32 v[2:3], v[24:25], 0 op_sel_hi:[1,0]
	v_min_f32_e32 v10, v72, v113
	v_min_f32_e32 v11, v73, v112
	v_pk_add_f32 v[104:105], v[2:3], v[10:11]
	v_pk_add_f32 v[2:3], v[26:27], 0 op_sel_hi:[1,0]
	v_min_f32_e32 v10, v72, v123
	;; [unrolled: 4-line block ×3, first 2 shown]
	v_min_f32_e32 v11, v73, v124
	v_pk_add_f32 v[74:75], v[2:3], v[10:11]
	v_min_f32_e32 v3, v73, v126
	v_min_f32_e32 v2, v72, v127
	v_pk_add_f32 v[10:11], v[30:31], 0 op_sel_hi:[1,0]
	s_cmp_lt_i32 s22, 9
	v_pk_add_f32 v[58:59], v[10:11], v[2:3]
	v_pk_add_f32 v[2:3], v[32:33], 0 op_sel_hi:[1,0]
	v_min_f32_e32 v10, v84, v113
	v_min_f32_e32 v11, v85, v112
	v_pk_add_f32 v[106:107], v[2:3], v[10:11]
	v_pk_add_f32 v[2:3], v[34:35], 0 op_sel_hi:[1,0]
	v_min_f32_e32 v10, v84, v123
	v_min_f32_e32 v11, v85, v122
	;; [unrolled: 4-line block ×3, first 2 shown]
	v_pk_add_f32 v[72:73], v[2:3], v[10:11]
	v_min_f32_e32 v3, v85, v126
	v_min_f32_e32 v2, v84, v127
	v_pk_add_f32 v[10:11], v[38:39], 0 op_sel_hi:[1,0]
	ds_write2st64_b32 v205, v8, v7 offset0:8 offset1:12
	ds_write_b32 v205, v1 offset:5120
	v_pk_add_f32 v[56:57], v[10:11], v[2:3]
	v_pk_add_f32 v[2:3], v[40:41], 0 op_sel_hi:[1,0]
	v_min_f32_e32 v10, v110, v113
	v_min_f32_e32 v11, v111, v112
	v_pk_add_f32 v[108:109], v[2:3], v[10:11]
	v_pk_add_f32 v[2:3], v[42:43], 0 op_sel_hi:[1,0]
	v_min_f32_e32 v10, v110, v123
	v_min_f32_e32 v11, v111, v122
	v_pk_add_f32 v[86:87], v[2:3], v[10:11]
	v_pk_add_f32 v[2:3], v[44:45], 0 op_sel_hi:[1,0]
	v_min_f32_e32 v10, v110, v125
	v_min_f32_e32 v11, v111, v124
	v_pk_add_f32 v[70:71], v[2:3], v[10:11]
	v_min_f32_e32 v3, v111, v126
	v_min_f32_e32 v2, v110, v127
	v_pk_add_f32 v[10:11], v[46:47], 0 op_sel_hi:[1,0]
	s_waitcnt lgkmcnt(0)
	v_pk_add_f32 v[54:55], v[10:11], v[2:3]
	v_pk_add_f32 v[2:3], v[48:49], 0 op_sel_hi:[1,0]
	v_min_f32_e32 v10, v128, v113
	v_min_f32_e32 v11, v129, v112
	v_pk_add_f32 v[110:111], v[2:3], v[10:11]
	v_pk_add_f32 v[2:3], v[50:51], 0 op_sel_hi:[1,0]
	v_min_f32_e32 v10, v128, v123
	v_min_f32_e32 v11, v129, v122
	;; [unrolled: 4-line block ×3, first 2 shown]
	v_pk_add_f32 v[68:69], v[2:3], v[10:11]
	v_min_f32_e32 v3, v129, v126
	v_min_f32_e32 v2, v128, v127
	v_pk_add_f32 v[10:11], v[66:67], 0 op_sel_hi:[1,0]
	s_barrier
	v_pk_add_f32 v[52:53], v[10:11], v[2:3]
	v_min_f32_e32 v2, v130, v113
	v_min_f32_e32 v3, v131, v112
	v_pk_add_f32 v[10:11], v[82:83], 0 op_sel_hi:[1,0]
	s_nop 0
	v_pk_add_f32 v[112:113], v[10:11], v[2:3]
	v_min_f32_e32 v2, v130, v123
	v_min_f32_e32 v3, v131, v122
	v_pk_add_f32 v[10:11], v[98:99], 0 op_sel_hi:[1,0]
	s_nop 0
	;; [unrolled: 5-line block ×5, first 2 shown]
	v_pk_add_f32 v[48:49], v[10:11], v[2:3]
	s_cbranch_scc1 .LBB89_36
; %bb.22:
	v_mov_b32_e32 v1, 0x1400
	v_lshl_add_u32 v210, v200, 4, v1
	v_mov_b32_e32 v1, 0x800
	v_lshl_add_u32 v211, v201, 4, v1
	v_lshl_add_u32 v1, s2, 6, v4
	s_lshl_b32 s2, s35, 6
	v_subrev_u32_e32 v1, s2, v1
	v_mad_i64_i32 v[2:3], s[4:5], s34, v1, 0
	v_mov_b32_e32 v1, 0
	v_lshl_add_u64 v[0:1], v[2:3], 2, v[0:1]
	v_lshl_add_u64 v[0:1], v[0:1], 0, s[26:27]
	v_add_u32_e32 v206, 0x1000, v205
	v_add_u32_e32 v207, 0x1000, v203
	;; [unrolled: 1-line block ×4, first 2 shown]
	s_add_i32 s28, s22, -8
	v_mad_i64_i32 v[98:99], s[4:5], v5, s36, 0
	v_mad_i64_i32 v[100:101], s[4:5], v6, s36, 0
	v_lshl_add_u64 v[102:103], v[0:1], 0, 48
	s_mov_b32 s2, 0
	s_branch .LBB89_24
.LBB89_23:                              ;   in Loop: Header=BB89_24 Depth=1
	s_or_b64 exec, exec, s[4:5]
	v_pk_add_f32 v[40:41], v[96:97], v[40:41]
	v_pk_add_f32 v[32:33], v[64:65], v[32:33]
	;; [unrolled: 1-line block ×21, first 2 shown]
	ds_read_b128 v[0:3], v204
	ds_read_b128 v[8:11], v204 offset:512
	v_pk_add_f32 v[20:21], v[116:117], v[6:7]
	ds_read_b128 v[4:7], v207 offset:896
	v_pk_add_f32 v[44:45], v[94:95], v[44:45]
	v_pk_add_f32 v[94:95], v[58:59], v[132:133]
	;; [unrolled: 1-line block ×18, first 2 shown]
	ds_read_b128 v[12:15], v207 offset:768
	s_waitcnt lgkmcnt(1)
	v_max_f32_e32 v93, v5, v5
	v_max_f32_e32 v95, v4, v4
	;; [unrolled: 1-line block ×4, first 2 shown]
	v_pk_add_f32 v[76:77], v[36:37], v[38:39]
	v_pk_add_f32 v[72:73], v[28:29], v[30:31]
	;; [unrolled: 1-line block ×6, first 2 shown]
	ds_read_b128 v[80:83], v204 offset:1536
	ds_read_b128 v[84:87], v204 offset:1024
	v_min_f32_e32 v5, v93, v96
	v_min_f32_e32 v4, v95, v97
	v_pk_add_f32 v[60:61], v[62:63], v[164:165]
	v_pk_add_f32 v[62:63], v[78:79], v[162:163]
	;; [unrolled: 1-line block ×3, first 2 shown]
	ds_read_b128 v[76:79], v207
	v_pk_add_f32 v[112:113], v[112:113], v[154:155]
	v_pk_add_f32 v[90:91], v[90:91], v[128:129]
	;; [unrolled: 1-line block ×5, first 2 shown]
	s_waitcnt lgkmcnt(1)
	v_max_f32_e32 v112, v85, v85
	v_max_f32_e32 v113, v84, v84
	v_pk_add_f32 v[106:107], v[108:109], v[142:143]
	v_pk_add_f32 v[108:109], v[54:55], v[144:145]
	;; [unrolled: 1-line block ×4, first 2 shown]
	ds_read_b128 v[88:91], v207 offset:128
	v_max_f32_e32 v92, v1, v1
	v_max_f32_e32 v94, v0, v0
	v_min_f32_e32 v9, v93, v112
	v_min_f32_e32 v8, v95, v113
	s_waitcnt lgkmcnt(1)
	v_max_f32_e32 v84, v76, v76
	v_max_f32_e32 v85, v77, v77
	v_pk_add_f32 v[8:9], v[74:75], v[8:9]
	v_min_f32_e32 v74, v84, v94
	v_min_f32_e32 v75, v85, v92
	v_pk_add_f32 v[74:75], v[68:69], v[74:75]
	v_min_f32_e32 v68, v84, v97
	v_min_f32_e32 v69, v85, v96
	;; [unrolled: 3-line block ×3, first 2 shown]
	v_max_f32_e32 v81, v81, v81
	v_max_f32_e32 v80, v80, v80
	v_pk_add_f32 v[72:73], v[72:73], v[68:69]
	v_min_f32_e32 v69, v85, v81
	v_min_f32_e32 v68, v84, v80
	v_pk_add_f32 v[84:85], v[66:67], v[68:69]
	s_waitcnt lgkmcnt(0)
	v_max_f32_e32 v68, v88, v88
	v_max_f32_e32 v69, v89, v89
	v_min_f32_e32 v66, v68, v94
	v_min_f32_e32 v67, v69, v92
	v_pk_add_f32 v[60:61], v[60:61], v[66:67]
	v_min_f32_e32 v66, v68, v97
	v_min_f32_e32 v67, v69, v96
	v_pk_add_f32 v[88:89], v[62:63], v[66:67]
	;; [unrolled: 3-line block ×3, first 2 shown]
	v_pk_add_f32 v[104:105], v[64:65], v[62:63]
	ds_read_b128 v[64:67], v207 offset:256
	v_min_f32_e32 v63, v69, v81
	v_min_f32_e32 v62, v68, v80
	ds_read_b128 v[68:71], v207 offset:384
	v_pk_add_f32 v[58:59], v[58:59], v[62:63]
	s_waitcnt lgkmcnt(1)
	v_max_f32_e32 v64, v64, v64
	v_max_f32_e32 v65, v65, v65
	v_min_f32_e32 v62, v64, v94
	v_min_f32_e32 v63, v65, v92
	v_pk_add_f32 v[52:53], v[52:53], v[62:63]
	v_min_f32_e32 v62, v64, v97
	v_min_f32_e32 v63, v65, v96
	v_pk_add_f32 v[54:55], v[54:55], v[62:63]
	;; [unrolled: 3-line block ×4, first 2 shown]
	v_pk_add_f32 v[106:107], v[50:51], v[62:63]
	s_waitcnt lgkmcnt(0)
	v_max_f32_e32 v62, v68, v68
	v_max_f32_e32 v63, v69, v69
	v_min_f32_e32 v50, v62, v94
	v_min_f32_e32 v51, v63, v92
	v_pk_add_f32 v[68:69], v[44:45], v[50:51]
	v_min_f32_e32 v44, v62, v97
	v_min_f32_e32 v45, v63, v96
	v_pk_add_f32 v[110:111], v[110:111], v[148:149]
	v_pk_add_f32 v[34:35], v[108:109], v[184:185]
	;; [unrolled: 1-line block ×3, first 2 shown]
	v_min_f32_e32 v44, v62, v113
	v_min_f32_e32 v45, v63, v112
	v_pk_add_f32 v[28:29], v[110:111], v[192:193]
	v_pk_add_f32 v[110:111], v[48:49], v[44:45]
	ds_read_b128 v[44:47], v207 offset:512
	v_min_f32_e32 v49, v63, v81
	v_min_f32_e32 v48, v62, v80
	v_pk_add_f32 v[42:43], v[42:43], v[48:49]
	ds_read_b128 v[48:51], v207 offset:640
	s_waitcnt lgkmcnt(1)
	v_max_f32_e32 v62, v44, v44
	v_max_f32_e32 v63, v45, v45
	v_min_f32_e32 v44, v62, v94
	v_min_f32_e32 v45, v63, v92
	v_pk_add_f32 v[36:37], v[36:37], v[44:45]
	v_min_f32_e32 v44, v62, v97
	v_min_f32_e32 v45, v63, v96
	v_pk_add_f32 v[38:39], v[38:39], v[44:45]
	;; [unrolled: 3-line block ×3, first 2 shown]
	v_min_f32_e32 v45, v63, v81
	v_min_f32_e32 v44, v62, v80
	s_waitcnt lgkmcnt(0)
	v_max_f32_e32 v48, v48, v48
	v_max_f32_e32 v49, v49, v49
	v_pk_add_f32 v[34:35], v[34:35], v[44:45]
	v_min_f32_e32 v44, v48, v94
	v_min_f32_e32 v45, v49, v92
	v_pk_add_f32 v[28:29], v[28:29], v[44:45]
	v_min_f32_e32 v44, v48, v97
	v_min_f32_e32 v45, v49, v96
	;; [unrolled: 3-line block ×3, first 2 shown]
	v_pk_add_f32 v[26:27], v[114:115], v[194:195]
	v_pk_add_f32 v[32:33], v[32:33], v[44:45]
	v_min_f32_e32 v45, v49, v81
	v_min_f32_e32 v44, v48, v80
	v_pk_add_f32 v[26:27], v[26:27], v[44:45]
	v_max_f32_e32 v44, v12, v12
	v_max_f32_e32 v45, v13, v13
	v_min_f32_e32 v12, v44, v94
	v_min_f32_e32 v13, v45, v92
	v_pk_add_f32 v[12:13], v[24:25], v[12:13]
	v_min_f32_e32 v24, v44, v97
	v_min_f32_e32 v25, v45, v96
	v_pk_add_f32 v[22:23], v[22:23], v[24:25]
	;; [unrolled: 3-line block ×4, first 2 shown]
	v_pk_add_f32 v[20:21], v[20:21], v[24:25]
	v_min_f32_e32 v25, v93, v81
	v_min_f32_e32 v24, v95, v80
	;; [unrolled: 1-line block ×4, first 2 shown]
	v_pk_add_f32 v[16:17], v[16:17], v[24:25]
	v_max_f32_e32 v24, v3, v3
	v_max_f32_e32 v7, v7, v7
	v_max_f32_e32 v25, v2, v2
	v_max_f32_e32 v6, v6, v6
	v_pk_add_f32 v[0:1], v[120:121], v[0:1]
	v_min_f32_e32 v3, v7, v24
	v_min_f32_e32 v2, v6, v25
	v_pk_add_f32 v[96:97], v[0:1], v[2:3]
	v_max_f32_e32 v2, v11, v11
	v_max_f32_e32 v3, v10, v10
	v_min_f32_e32 v1, v7, v2
	v_min_f32_e32 v0, v6, v3
	v_pk_add_f32 v[80:81], v[4:5], v[0:1]
	v_max_f32_e32 v4, v87, v87
	v_max_f32_e32 v5, v86, v86
	;; [unrolled: 5-line block ×3, first 2 shown]
	v_min_f32_e32 v0, v8, v25
	v_min_f32_e32 v1, v9, v24
	v_pk_add_f32 v[116:117], v[74:75], v[0:1]
	v_min_f32_e32 v0, v8, v3
	v_min_f32_e32 v1, v9, v2
	v_pk_add_f32 v[94:95], v[76:77], v[0:1]
	v_min_f32_e32 v0, v8, v5
	v_min_f32_e32 v1, v9, v4
	v_max_f32_e32 v10, v83, v83
	v_pk_add_f32 v[78:79], v[72:73], v[0:1]
	v_min_f32_e32 v1, v9, v10
	v_max_f32_e32 v9, v82, v82
	v_min_f32_e32 v0, v8, v9
	v_max_f32_e32 v8, v90, v90
	v_max_f32_e32 v11, v91, v91
	v_pk_add_f32 v[62:63], v[84:85], v[0:1]
	v_min_f32_e32 v0, v8, v25
	v_min_f32_e32 v1, v11, v24
	v_pk_add_f32 v[114:115], v[60:61], v[0:1]
	v_min_f32_e32 v0, v8, v3
	v_min_f32_e32 v1, v11, v2
	v_pk_add_f32 v[92:93], v[88:89], v[0:1]
	v_min_f32_e32 v0, v8, v5
	v_min_f32_e32 v1, v11, v4
	v_pk_add_f32 v[76:77], v[104:105], v[0:1]
	v_min_f32_e32 v1, v11, v10
	v_min_f32_e32 v0, v8, v9
	v_max_f32_e32 v8, v66, v66
	v_max_f32_e32 v11, v67, v67
	v_pk_add_f32 v[60:61], v[58:59], v[0:1]
	v_min_f32_e32 v0, v8, v25
	v_min_f32_e32 v1, v11, v24
	v_pk_add_f32 v[104:105], v[52:53], v[0:1]
	v_min_f32_e32 v0, v8, v3
	v_min_f32_e32 v1, v11, v2
	v_pk_add_f32 v[90:91], v[54:55], v[0:1]
	v_min_f32_e32 v0, v8, v5
	v_min_f32_e32 v1, v11, v4
	v_pk_add_f32 v[74:75], v[56:57], v[0:1]
	v_min_f32_e32 v1, v11, v10
	;; [unrolled: 14-line block ×6, first 2 shown]
	v_min_f32_e32 v0, v8, v9
	v_pk_add_f32 v[50:51], v[20:21], v[0:1]
	v_min_f32_e32 v1, v7, v10
	v_min_f32_e32 v0, v6, v9
	s_add_i32 s2, s2, 8
	v_pk_add_f32 v[48:49], v[16:17], v[0:1]
	s_cmp_ge_i32 s2, s28
	v_lshl_add_u64 v[102:103], v[102:103], 0, 32
	ds_write_b32 v208, v213
	ds_write2st64_b32 v209, v212, v214 offset1:4
	s_waitcnt lgkmcnt(0)
	s_barrier
	s_cbranch_scc1 .LBB89_36
.LBB89_24:                              ; =>This Inner Loop Header: Depth=1
	v_add_u32_e32 v118, s2, v202
	v_add_u32_e32 v0, 8, v118
	v_cmp_gt_i32_e64 s[4:5], s22, v0
	s_and_b64 s[4:5], s[4:5], vcc
	s_and_b64 s[4:5], s[16:17], s[4:5]
	v_mov_b32_e32 v119, 0
	s_and_saveexec_b64 s[26:27], s[4:5]
	s_cbranch_execz .LBB89_26
; %bb.25:                               ;   in Loop: Header=BB89_24 Depth=1
	v_add_co_u32_e64 v2, s[4:5], -16, v102
	s_nop 1
	v_addc_co_u32_e64 v3, s[4:5], -1, v103, s[4:5]
	flat_load_dword v1, v[2:3]
	s_waitcnt vmcnt(0) lgkmcnt(0)
	v_mul_f32_e32 v119, s23, v1
.LBB89_26:                              ;   in Loop: Header=BB89_24 Depth=1
	s_or_b64 exec, exec, s[26:27]
	v_cmp_le_i32_e64 s[4:5], s22, v0
	v_min_i32_e32 v0, s33, v0
	v_ashrrev_i32_e32 v1, 31, v0
	s_or_b64 s[26:27], s[8:9], s[4:5]
	v_lshl_add_u64 v[0:1], v[0:1], 2, s[18:19]
	s_xor_b64 s[34:35], s[26:27], -1
	v_mov_b32_e32 v120, 0
	v_mov_b32_e32 v121, 0
	s_and_saveexec_b64 s[26:27], s[34:35]
	s_cbranch_execz .LBB89_28
; %bb.27:                               ;   in Loop: Header=BB89_24 Depth=1
	v_lshl_add_u64 v[2:3], v[98:99], 2, v[0:1]
	flat_load_dword v2, v[2:3]
	s_waitcnt vmcnt(0) lgkmcnt(0)
	v_mul_f32_e32 v121, s23, v2
.LBB89_28:                              ;   in Loop: Header=BB89_24 Depth=1
	s_or_b64 exec, exec, s[26:27]
	s_or_b64 s[4:5], s[6:7], s[4:5]
	s_xor_b64 s[26:27], s[4:5], -1
	s_and_saveexec_b64 s[4:5], s[26:27]
	s_cbranch_execz .LBB89_30
; %bb.29:                               ;   in Loop: Header=BB89_24 Depth=1
	v_lshl_add_u64 v[0:1], v[100:101], 2, v[0:1]
	flat_load_dword v0, v[0:1]
	s_waitcnt vmcnt(0) lgkmcnt(0)
	v_mul_f32_e32 v120, s23, v0
.LBB89_30:                              ;   in Loop: Header=BB89_24 Depth=1
	s_or_b64 exec, exec, s[4:5]
	ds_read_b128 v[40:43], v211
	ds_read_b128 v[36:39], v211 offset:512
	ds_read_b128 v[24:27], v211 offset:1536
	;; [unrolled: 1-line block ×3, first 2 shown]
	ds_read_b128 v[28:31], v210
	ds_read_b128 v[20:23], v210 offset:128
	ds_read_b128 v[16:19], v210 offset:256
	;; [unrolled: 1-line block ×7, first 2 shown]
	v_add_u32_e32 v118, 12, v118
	v_cmp_gt_i32_e64 s[4:5], s22, v118
	s_and_b64 s[4:5], s[4:5], vcc
	s_and_b64 s[26:27], s[16:17], s[4:5]
	v_mov_b32_e32 v212, 0
	v_mov_b32_e32 v213, 0
	ds_write_b32 v206, v119
	ds_write2st64_b32 v205, v121, v120 offset1:4
	s_waitcnt lgkmcnt(0)
	s_barrier
	s_and_saveexec_b64 s[4:5], s[26:27]
	s_cbranch_execz .LBB89_32
; %bb.31:                               ;   in Loop: Header=BB89_24 Depth=1
	flat_load_dword v119, v[102:103]
	s_waitcnt vmcnt(0) lgkmcnt(0)
	v_mul_f32_e32 v213, s23, v119
.LBB89_32:                              ;   in Loop: Header=BB89_24 Depth=1
	s_or_b64 exec, exec, s[4:5]
	v_cmp_le_i32_e64 s[4:5], s22, v118
	v_min_i32_e32 v118, s33, v118
	v_ashrrev_i32_e32 v119, 31, v118
	s_or_b64 s[26:27], s[8:9], s[4:5]
	v_lshl_add_u64 v[118:119], v[118:119], 2, s[18:19]
	s_xor_b64 s[34:35], s[26:27], -1
	s_and_saveexec_b64 s[26:27], s[34:35]
	s_cbranch_execz .LBB89_34
; %bb.33:                               ;   in Loop: Header=BB89_24 Depth=1
	v_lshl_add_u64 v[120:121], v[98:99], 2, v[118:119]
	flat_load_dword v120, v[120:121]
	s_waitcnt vmcnt(0) lgkmcnt(0)
	v_mul_f32_e32 v212, s23, v120
.LBB89_34:                              ;   in Loop: Header=BB89_24 Depth=1
	s_or_b64 exec, exec, s[26:27]
	v_max_f32_e32 v152, v41, v41
	v_max_f32_e32 v158, v45, v45
	;; [unrolled: 1-line block ×34, first 2 shown]
	v_min_f32_e32 v41, v158, v152
	v_min_f32_e32 v40, v160, v153
	v_min_f32_e32 v37, v158, v156
	v_min_f32_e32 v36, v160, v157
	v_min_f32_e32 v33, v158, v159
	v_min_f32_e32 v120, v122, v153
	v_min_f32_e32 v121, v123, v152
	v_min_f32_e32 v44, v122, v157
	v_min_f32_e32 v45, v123, v156
	v_min_f32_e32 v28, v122, v161
	v_min_f32_e32 v29, v123, v159
	v_min_f32_e32 v25, v123, v162
	v_min_f32_e32 v24, v122, v163
	v_min_f32_e32 v124, v126, v153
	v_min_f32_e32 v125, v127, v152
	v_min_f32_e32 v122, v126, v157
	v_min_f32_e32 v123, v127, v156
	v_min_f32_e32 v20, v126, v161
	v_min_f32_e32 v21, v127, v159
	v_min_f32_e32 v127, v127, v162
	v_min_f32_e32 v126, v126, v163
	v_min_f32_e32 v130, v132, v153
	v_min_f32_e32 v131, v133, v152
	v_min_f32_e32 v128, v132, v157
	v_min_f32_e32 v129, v133, v156
	v_min_f32_e32 v16, v132, v161
	v_min_f32_e32 v17, v133, v159
	v_min_f32_e32 v133, v133, v162
	v_min_f32_e32 v132, v132, v163
	v_min_f32_e32 v136, v138, v153
	v_min_f32_e32 v137, v139, v152
	v_min_f32_e32 v134, v138, v157
	v_min_f32_e32 v135, v139, v156
	v_min_f32_e32 v12, v138, v161
	v_min_f32_e32 v13, v139, v159
	v_min_f32_e32 v139, v139, v162
	v_min_f32_e32 v138, v138, v163
	v_min_f32_e32 v142, v144, v153
	v_min_f32_e32 v143, v145, v152
	v_min_f32_e32 v140, v144, v157
	v_min_f32_e32 v141, v145, v156
	v_min_f32_e32 v8, v144, v161
	v_min_f32_e32 v9, v145, v159
	v_min_f32_e32 v145, v145, v162
	v_min_f32_e32 v144, v144, v163
	v_min_f32_e32 v148, v150, v153
	v_min_f32_e32 v149, v151, v152
	v_min_f32_e32 v146, v150, v157
	v_min_f32_e32 v147, v151, v156
	v_min_f32_e32 v4, v150, v161
	v_min_f32_e32 v5, v151, v159
	v_min_f32_e32 v151, v151, v162
	v_min_f32_e32 v150, v150, v163
	v_min_f32_e32 v154, v164, v153
	v_min_f32_e32 v155, v165, v152
	v_min_f32_e32 v152, v164, v157
	v_min_f32_e32 v153, v165, v156
	v_min_f32_e32 v1, v165, v159
	v_min_f32_e32 v157, v165, v162
	v_min_f32_e32 v156, v164, v163
	v_min_f32_e32 v159, v158, v162
	v_min_f32_e32 v158, v160, v163
	v_max_f32_e32 v189, v47, v47
	v_max_f32_e32 v214, v46, v46
	;; [unrolled: 1-line block ×12, first 2 shown]
	v_min_f32_e32 v192, v6, v196
	v_min_f32_e32 v193, v7, v188
	v_min_f32_e32 v190, v6, v215
	v_min_f32_e32 v191, v7, v197
	v_min_f32_e32 v186, v6, v217
	v_min_f32_e32 v187, v7, v216
	v_min_f32_e32 v195, v7, v218
	v_min_f32_e32 v194, v6, v219
	v_max_f32_e32 v6, v2, v2
	v_max_f32_e32 v7, v3, v3
	s_or_b64 s[4:5], s[6:7], s[4:5]
	v_min_f32_e32 v32, v160, v161
	v_min_f32_e32 v0, v164, v161
	v_min_f32_e32 v43, v189, v188
	v_min_f32_e32 v42, v214, v196
	v_min_f32_e32 v39, v189, v197
	v_min_f32_e32 v38, v214, v215
	v_min_f32_e32 v35, v189, v216
	v_min_f32_e32 v34, v214, v217
	v_min_f32_e32 v160, v162, v196
	v_min_f32_e32 v161, v163, v188
	v_min_f32_e32 v46, v162, v215
	v_min_f32_e32 v47, v163, v197
	v_min_f32_e32 v30, v162, v217
	v_min_f32_e32 v31, v163, v216
	v_min_f32_e32 v27, v163, v218
	v_min_f32_e32 v26, v162, v219
	v_min_f32_e32 v164, v166, v196
	v_min_f32_e32 v165, v167, v188
	v_min_f32_e32 v162, v166, v215
	v_min_f32_e32 v163, v167, v197
	v_min_f32_e32 v22, v166, v217
	v_min_f32_e32 v23, v167, v216
	v_min_f32_e32 v167, v167, v218
	v_min_f32_e32 v166, v166, v219
	v_min_f32_e32 v170, v172, v196
	v_min_f32_e32 v171, v173, v188
	v_min_f32_e32 v168, v172, v215
	v_min_f32_e32 v169, v173, v197
	v_min_f32_e32 v18, v172, v217
	v_min_f32_e32 v19, v173, v216
	v_min_f32_e32 v173, v173, v218
	v_min_f32_e32 v172, v172, v219
	v_min_f32_e32 v176, v178, v196
	v_min_f32_e32 v177, v179, v188
	v_min_f32_e32 v174, v178, v215
	v_min_f32_e32 v175, v179, v197
	v_min_f32_e32 v14, v178, v217
	v_min_f32_e32 v15, v179, v216
	v_min_f32_e32 v179, v179, v218
	v_min_f32_e32 v178, v178, v219
	v_min_f32_e32 v182, v184, v196
	v_min_f32_e32 v183, v185, v188
	v_min_f32_e32 v180, v184, v215
	v_min_f32_e32 v181, v185, v197
	v_min_f32_e32 v10, v184, v217
	v_min_f32_e32 v11, v185, v216
	v_min_f32_e32 v185, v185, v218
	v_min_f32_e32 v184, v184, v219
	v_min_f32_e32 v198, v6, v196
	v_min_f32_e32 v199, v7, v188
	v_min_f32_e32 v196, v6, v215
	v_min_f32_e32 v197, v7, v197
	v_min_f32_e32 v2, v6, v217
	v_min_f32_e32 v3, v7, v216
	v_min_f32_e32 v7, v7, v218
	v_min_f32_e32 v6, v6, v219
	v_min_f32_e32 v189, v189, v218
	v_min_f32_e32 v188, v214, v219
	s_xor_b64 s[26:27], s[4:5], -1
	v_mov_b32_e32 v214, 0
	s_and_saveexec_b64 s[4:5], s[26:27]
	s_cbranch_execz .LBB89_23
; %bb.35:                               ;   in Loop: Header=BB89_24 Depth=1
	v_lshl_add_u64 v[118:119], v[100:101], 2, v[118:119]
	flat_load_dword v118, v[118:119]
	s_waitcnt vmcnt(0) lgkmcnt(0)
	v_mul_f32_e32 v214, s23, v118
	s_branch .LBB89_23
.LBB89_36:
	s_load_dwordx2 s[4:5], s[0:1], 0x70
	s_load_dword s29, s[0:1], 0x50
	s_load_dword s28, s[0:1], 0x68
	ds_read_b128 v[44:47], v204 offset:2048
	ds_read_b128 v[40:43], v204 offset:2560
	;; [unrolled: 1-line block ×12, first 2 shown]
	v_add_u32_e32 v122, s31, v201
	s_waitcnt lgkmcnt(0)
	s_mul_i32 s0, s3, s5
	s_mul_hi_u32 s1, s3, s4
	s_mul_i32 s2, s13, s4
	s_add_i32 s0, s1, s0
	s_add_i32 s1, s0, s2
	s_mul_i32 s0, s3, s4
	s_lshl_b64 s[0:1], s[0:1], 2
	s_add_u32 s22, s10, s0
	s_addc_u32 s23, s11, s1
	v_mad_i64_i32 v[100:101], s[0:1], v122, s29, 0
	v_add_u32_e32 v98, s12, v200
	v_lshl_add_u64 v[120:121], v[100:101], 2, s[24:25]
	v_mad_i64_i32 v[100:101], s[0:1], v122, s28, 0
	v_cmp_gt_i32_e64 s[18:19], s21, v122
	v_lshl_add_u64 v[118:119], v[100:101], 2, s[22:23]
	v_cmp_gt_i32_e64 s[2:3], s20, v98
	v_cndmask_b32_e64 v100, 0, 1, s[14:15]
	s_and_b64 s[6:7], s[2:3], s[18:19]
	v_ashrrev_i32_e32 v99, 31, v98
	v_cmp_ne_u32_e64 s[0:1], 1, v100
	s_and_saveexec_b64 s[4:5], s[6:7]
	s_cbranch_execz .LBB89_41
; %bb.37:
	s_and_b64 vcc, exec, s[0:1]
	s_cbranch_vccnz .LBB89_39
; %bb.38:
	v_lshl_add_u64 v[100:101], v[98:99], 2, v[120:121]
	flat_load_dword v100, v[100:101]
	s_waitcnt vmcnt(0) lgkmcnt(0)
	v_mul_f32_e32 v100, s30, v100
	s_branch .LBB89_40
.LBB89_39:
	v_mov_b32_e32 v100, 0
.LBB89_40:
	v_max_f32_e32 v101, v44, v44
	v_max_f32_e32 v102, v32, v32
	v_min_f32_e32 v102, v102, v101
	v_max_f32_e32 v101, v45, v45
	v_max_f32_e32 v103, v33, v33
	v_min_f32_e32 v103, v103, v101
	v_pk_add_f32 v[102:103], v[116:117], v[102:103]
	v_max_f32_e32 v101, v46, v46
	v_max_f32_e32 v116, v34, v34
	v_min_f32_e32 v116, v116, v101
	v_max_f32_e32 v101, v47, v47
	v_max_f32_e32 v117, v35, v35
	v_min_f32_e32 v117, v117, v101
	v_pk_add_f32 v[102:103], v[102:103], v[116:117]
	s_nop 0
	v_add_f32_e32 v101, v102, v103
	v_add_f32_e32 v102, v101, v100
	v_lshl_add_u64 v[100:101], v[98:99], 2, v[118:119]
	global_store_dword v[100:101], v102, off
.LBB89_41:
	s_or_b64 exec, exec, s[4:5]
	v_add_u32_e32 v100, 8, v98
	v_cmp_gt_i32_e64 s[4:5], s20, v100
	s_and_b64 s[8:9], s[4:5], s[18:19]
	v_ashrrev_i32_e32 v101, 31, v100
	s_and_saveexec_b64 s[6:7], s[8:9]
	s_cbranch_execz .LBB89_46
; %bb.42:
	s_and_b64 vcc, exec, s[0:1]
	s_cbranch_vccnz .LBB89_44
; %bb.43:
	v_lshl_add_u64 v[102:103], v[100:101], 2, v[120:121]
	flat_load_dword v102, v[102:103]
	s_waitcnt vmcnt(0) lgkmcnt(0)
	v_mul_f32_e32 v102, s30, v102
	s_branch .LBB89_45
.LBB89_44:
	v_mov_b32_e32 v102, 0
.LBB89_45:
	v_max_f32_e32 v103, v44, v44
	v_max_f32_e32 v116, v28, v28
	v_min_f32_e32 v116, v116, v103
	v_max_f32_e32 v103, v45, v45
	v_max_f32_e32 v117, v29, v29
	v_min_f32_e32 v117, v117, v103
	v_pk_add_f32 v[114:115], v[114:115], v[116:117]
	v_max_f32_e32 v103, v46, v46
	v_max_f32_e32 v116, v30, v30
	v_min_f32_e32 v116, v116, v103
	v_max_f32_e32 v103, v47, v47
	v_max_f32_e32 v117, v31, v31
	v_min_f32_e32 v117, v117, v103
	v_pk_add_f32 v[114:115], v[114:115], v[116:117]
	s_nop 0
	v_add_f32_e32 v103, v114, v115
	v_add_f32_e32 v114, v103, v102
	v_lshl_add_u64 v[102:103], v[100:101], 2, v[118:119]
	global_store_dword v[102:103], v114, off
.LBB89_46:
	s_or_b64 exec, exec, s[6:7]
	v_add_u32_e32 v102, 16, v98
	v_cmp_gt_i32_e64 s[6:7], s20, v102
	s_and_b64 s[10:11], s[6:7], s[18:19]
	v_ashrrev_i32_e32 v103, 31, v102
	;; [unrolled: 39-line block ×7, first 2 shown]
	s_and_saveexec_b64 s[18:19], s[26:27]
	s_cbranch_execz .LBB89_76
; %bb.72:
	s_and_b64 vcc, exec, s[0:1]
	s_cbranch_vccnz .LBB89_74
; %bb.73:
	v_lshl_add_u64 v[114:115], v[112:113], 2, v[120:121]
	flat_load_dword v114, v[114:115]
	s_waitcnt vmcnt(0) lgkmcnt(0)
	v_mul_f32_e32 v114, s30, v114
	s_branch .LBB89_75
.LBB89_74:
	v_mov_b32_e32 v114, 0
.LBB89_75:
	v_max_f32_e32 v45, v45, v45
	v_max_f32_e32 v115, v5, v5
	v_min_f32_e32 v45, v115, v45
	v_max_f32_e32 v44, v44, v44
	v_max_f32_e32 v115, v4, v4
	v_min_f32_e32 v44, v115, v44
	v_pk_add_f32 v[44:45], v[96:97], v[44:45]
	v_max_f32_e32 v47, v47, v47
	v_max_f32_e32 v96, v7, v7
	v_min_f32_e32 v47, v96, v47
	v_max_f32_e32 v46, v46, v46
	v_max_f32_e32 v96, v6, v6
	v_min_f32_e32 v46, v96, v46
	v_pk_add_f32 v[44:45], v[44:45], v[46:47]
	s_nop 0
	v_add_f32_e32 v44, v44, v45
	v_add_f32_e32 v46, v44, v114
	v_lshl_add_u64 v[44:45], v[112:113], 2, v[118:119]
	global_store_dword v[44:45], v46, off
.LBB89_76:
	s_or_b64 exec, exec, s[18:19]
	v_add_u32_e32 v96, 32, v122
	v_mad_i64_i32 v[44:45], s[26:27], v96, s29, 0
	v_cmp_gt_i32_e64 s[18:19], s21, v96
	v_lshl_add_u64 v[46:47], v[44:45], 2, s[24:25]
	v_mad_i64_i32 v[44:45], s[26:27], v96, s28, 0
	v_lshl_add_u64 v[44:45], v[44:45], 2, s[22:23]
	s_and_b64 s[34:35], s[2:3], s[18:19]
	s_and_saveexec_b64 s[26:27], s[34:35]
	s_cbranch_execnz .LBB89_84
; %bb.77:
	s_or_b64 exec, exec, s[26:27]
	s_and_b64 s[34:35], s[4:5], s[18:19]
	s_and_saveexec_b64 s[26:27], s[34:35]
	s_cbranch_execnz .LBB89_88
.LBB89_78:
	s_or_b64 exec, exec, s[26:27]
	s_and_b64 s[34:35], s[6:7], s[18:19]
	s_and_saveexec_b64 s[26:27], s[34:35]
	s_cbranch_execnz .LBB89_92
.LBB89_79:
	s_or_b64 exec, exec, s[26:27]
	s_and_b64 s[34:35], s[8:9], s[18:19]
	s_and_saveexec_b64 s[26:27], s[34:35]
	s_cbranch_execnz .LBB89_96
.LBB89_80:
	s_or_b64 exec, exec, s[26:27]
	s_and_b64 s[34:35], s[10:11], s[18:19]
	s_and_saveexec_b64 s[26:27], s[34:35]
	s_cbranch_execnz .LBB89_100
.LBB89_81:
	s_or_b64 exec, exec, s[26:27]
	s_and_b64 s[34:35], s[12:13], s[18:19]
	s_and_saveexec_b64 s[26:27], s[34:35]
	s_cbranch_execnz .LBB89_104
.LBB89_82:
	s_or_b64 exec, exec, s[26:27]
	s_and_b64 s[34:35], s[14:15], s[18:19]
	s_and_saveexec_b64 s[26:27], s[34:35]
	s_cbranch_execnz .LBB89_108
.LBB89_83:
	s_or_b64 exec, exec, s[26:27]
	s_and_b64 s[26:27], s[16:17], s[18:19]
	s_and_saveexec_b64 s[18:19], s[26:27]
	s_cbranch_execnz .LBB89_112
	s_branch .LBB89_116
.LBB89_84:
	s_and_b64 vcc, exec, s[0:1]
	s_cbranch_vccnz .LBB89_86
; %bb.85:
	v_lshl_add_u64 v[96:97], v[98:99], 2, v[46:47]
	flat_load_dword v96, v[96:97]
	s_waitcnt vmcnt(0) lgkmcnt(0)
	v_mul_f32_e32 v96, s30, v96
	s_branch .LBB89_87
.LBB89_86:
	v_mov_b32_e32 v96, 0
.LBB89_87:
	v_max_f32_e32 v97, v40, v40
	v_max_f32_e32 v114, v32, v32
	v_min_f32_e32 v114, v114, v97
	v_max_f32_e32 v97, v41, v41
	v_max_f32_e32 v115, v33, v33
	v_min_f32_e32 v115, v115, v97
	v_pk_add_f32 v[94:95], v[94:95], v[114:115]
	v_max_f32_e32 v97, v42, v42
	v_max_f32_e32 v114, v34, v34
	v_min_f32_e32 v114, v114, v97
	v_max_f32_e32 v97, v43, v43
	v_max_f32_e32 v115, v35, v35
	v_min_f32_e32 v115, v115, v97
	v_pk_add_f32 v[94:95], v[94:95], v[114:115]
	s_nop 0
	v_add_f32_e32 v94, v94, v95
	v_add_f32_e32 v96, v94, v96
	v_lshl_add_u64 v[94:95], v[98:99], 2, v[44:45]
	global_store_dword v[94:95], v96, off
	s_or_b64 exec, exec, s[26:27]
	s_and_b64 s[34:35], s[4:5], s[18:19]
	s_and_saveexec_b64 s[26:27], s[34:35]
	s_cbranch_execz .LBB89_78
.LBB89_88:
	s_and_b64 vcc, exec, s[0:1]
	s_cbranch_vccnz .LBB89_90
; %bb.89:
	v_lshl_add_u64 v[94:95], v[100:101], 2, v[46:47]
	flat_load_dword v94, v[94:95]
	s_waitcnt vmcnt(0) lgkmcnt(0)
	v_mul_f32_e32 v94, s30, v94
	s_branch .LBB89_91
.LBB89_90:
	v_mov_b32_e32 v94, 0
.LBB89_91:
	v_max_f32_e32 v95, v40, v40
	v_max_f32_e32 v96, v28, v28
	v_min_f32_e32 v96, v96, v95
	v_max_f32_e32 v95, v41, v41
	v_max_f32_e32 v97, v29, v29
	v_min_f32_e32 v97, v97, v95
	v_pk_add_f32 v[92:93], v[92:93], v[96:97]
	v_max_f32_e32 v95, v42, v42
	v_max_f32_e32 v96, v30, v30
	v_min_f32_e32 v96, v96, v95
	v_max_f32_e32 v95, v43, v43
	v_max_f32_e32 v97, v31, v31
	v_min_f32_e32 v97, v97, v95
	v_pk_add_f32 v[92:93], v[92:93], v[96:97]
	s_nop 0
	v_add_f32_e32 v92, v92, v93
	v_add_f32_e32 v94, v92, v94
	v_lshl_add_u64 v[92:93], v[100:101], 2, v[44:45]
	global_store_dword v[92:93], v94, off
	s_or_b64 exec, exec, s[26:27]
	s_and_b64 s[34:35], s[6:7], s[18:19]
	s_and_saveexec_b64 s[26:27], s[34:35]
	s_cbranch_execz .LBB89_79
.LBB89_92:
	s_and_b64 vcc, exec, s[0:1]
	s_cbranch_vccnz .LBB89_94
; %bb.93:
	v_lshl_add_u64 v[92:93], v[102:103], 2, v[46:47]
	flat_load_dword v92, v[92:93]
	s_waitcnt vmcnt(0) lgkmcnt(0)
	v_mul_f32_e32 v92, s30, v92
	s_branch .LBB89_95
.LBB89_94:
	v_mov_b32_e32 v92, 0
.LBB89_95:
	v_max_f32_e32 v93, v40, v40
	v_max_f32_e32 v94, v24, v24
	v_min_f32_e32 v94, v94, v93
	v_max_f32_e32 v93, v41, v41
	v_max_f32_e32 v95, v25, v25
	v_min_f32_e32 v95, v95, v93
	v_pk_add_f32 v[90:91], v[90:91], v[94:95]
	v_max_f32_e32 v93, v42, v42
	v_max_f32_e32 v94, v26, v26
	v_min_f32_e32 v94, v94, v93
	v_max_f32_e32 v93, v43, v43
	v_max_f32_e32 v95, v27, v27
	v_min_f32_e32 v95, v95, v93
	v_pk_add_f32 v[90:91], v[90:91], v[94:95]
	s_nop 0
	v_add_f32_e32 v90, v90, v91
	v_add_f32_e32 v92, v90, v92
	v_lshl_add_u64 v[90:91], v[102:103], 2, v[44:45]
	global_store_dword v[90:91], v92, off
	s_or_b64 exec, exec, s[26:27]
	s_and_b64 s[34:35], s[8:9], s[18:19]
	s_and_saveexec_b64 s[26:27], s[34:35]
	s_cbranch_execz .LBB89_80
.LBB89_96:
	s_and_b64 vcc, exec, s[0:1]
	s_cbranch_vccnz .LBB89_98
; %bb.97:
	v_lshl_add_u64 v[90:91], v[104:105], 2, v[46:47]
	flat_load_dword v90, v[90:91]
	s_waitcnt vmcnt(0) lgkmcnt(0)
	v_mul_f32_e32 v90, s30, v90
	s_branch .LBB89_99
.LBB89_98:
	v_mov_b32_e32 v90, 0
.LBB89_99:
	v_max_f32_e32 v91, v40, v40
	v_max_f32_e32 v92, v20, v20
	v_min_f32_e32 v92, v92, v91
	v_max_f32_e32 v91, v41, v41
	v_max_f32_e32 v93, v21, v21
	v_min_f32_e32 v93, v93, v91
	v_pk_add_f32 v[88:89], v[88:89], v[92:93]
	v_max_f32_e32 v91, v42, v42
	v_max_f32_e32 v92, v22, v22
	v_min_f32_e32 v92, v92, v91
	v_max_f32_e32 v91, v43, v43
	v_max_f32_e32 v93, v23, v23
	v_min_f32_e32 v93, v93, v91
	v_pk_add_f32 v[88:89], v[88:89], v[92:93]
	s_nop 0
	v_add_f32_e32 v88, v88, v89
	v_add_f32_e32 v90, v88, v90
	v_lshl_add_u64 v[88:89], v[104:105], 2, v[44:45]
	global_store_dword v[88:89], v90, off
	s_or_b64 exec, exec, s[26:27]
	s_and_b64 s[34:35], s[10:11], s[18:19]
	s_and_saveexec_b64 s[26:27], s[34:35]
	s_cbranch_execz .LBB89_81
.LBB89_100:
	s_and_b64 vcc, exec, s[0:1]
	s_cbranch_vccnz .LBB89_102
; %bb.101:
	v_lshl_add_u64 v[88:89], v[106:107], 2, v[46:47]
	flat_load_dword v88, v[88:89]
	s_waitcnt vmcnt(0) lgkmcnt(0)
	v_mul_f32_e32 v88, s30, v88
	s_branch .LBB89_103
.LBB89_102:
	v_mov_b32_e32 v88, 0
.LBB89_103:
	v_max_f32_e32 v89, v40, v40
	v_max_f32_e32 v90, v16, v16
	v_min_f32_e32 v90, v90, v89
	v_max_f32_e32 v89, v41, v41
	v_max_f32_e32 v91, v17, v17
	v_min_f32_e32 v91, v91, v89
	v_pk_add_f32 v[86:87], v[86:87], v[90:91]
	v_max_f32_e32 v89, v42, v42
	v_max_f32_e32 v90, v18, v18
	v_min_f32_e32 v90, v90, v89
	v_max_f32_e32 v89, v43, v43
	v_max_f32_e32 v91, v19, v19
	v_min_f32_e32 v91, v91, v89
	v_pk_add_f32 v[86:87], v[86:87], v[90:91]
	s_nop 0
	v_add_f32_e32 v86, v86, v87
	v_add_f32_e32 v88, v86, v88
	v_lshl_add_u64 v[86:87], v[106:107], 2, v[44:45]
	global_store_dword v[86:87], v88, off
	s_or_b64 exec, exec, s[26:27]
	s_and_b64 s[34:35], s[12:13], s[18:19]
	s_and_saveexec_b64 s[26:27], s[34:35]
	s_cbranch_execz .LBB89_82
.LBB89_104:
	s_and_b64 vcc, exec, s[0:1]
	s_cbranch_vccnz .LBB89_106
; %bb.105:
	v_lshl_add_u64 v[86:87], v[108:109], 2, v[46:47]
	flat_load_dword v86, v[86:87]
	s_waitcnt vmcnt(0) lgkmcnt(0)
	v_mul_f32_e32 v86, s30, v86
	s_branch .LBB89_107
.LBB89_106:
	v_mov_b32_e32 v86, 0
.LBB89_107:
	v_max_f32_e32 v87, v40, v40
	v_max_f32_e32 v88, v12, v12
	v_min_f32_e32 v88, v88, v87
	v_max_f32_e32 v87, v41, v41
	v_max_f32_e32 v89, v13, v13
	v_min_f32_e32 v89, v89, v87
	v_pk_add_f32 v[84:85], v[84:85], v[88:89]
	v_max_f32_e32 v87, v42, v42
	v_max_f32_e32 v88, v14, v14
	v_min_f32_e32 v88, v88, v87
	v_max_f32_e32 v87, v43, v43
	v_max_f32_e32 v89, v15, v15
	v_min_f32_e32 v89, v89, v87
	v_pk_add_f32 v[84:85], v[84:85], v[88:89]
	s_nop 0
	v_add_f32_e32 v84, v84, v85
	v_add_f32_e32 v86, v84, v86
	v_lshl_add_u64 v[84:85], v[108:109], 2, v[44:45]
	global_store_dword v[84:85], v86, off
	s_or_b64 exec, exec, s[26:27]
	s_and_b64 s[34:35], s[14:15], s[18:19]
	s_and_saveexec_b64 s[26:27], s[34:35]
	s_cbranch_execz .LBB89_83
.LBB89_108:
	s_and_b64 vcc, exec, s[0:1]
	s_cbranch_vccnz .LBB89_110
; %bb.109:
	v_lshl_add_u64 v[84:85], v[110:111], 2, v[46:47]
	flat_load_dword v84, v[84:85]
	s_waitcnt vmcnt(0) lgkmcnt(0)
	v_mul_f32_e32 v84, s30, v84
	s_branch .LBB89_111
.LBB89_110:
	v_mov_b32_e32 v84, 0
.LBB89_111:
	v_max_f32_e32 v85, v40, v40
	v_max_f32_e32 v86, v8, v8
	v_min_f32_e32 v86, v86, v85
	v_max_f32_e32 v85, v41, v41
	v_max_f32_e32 v87, v9, v9
	v_min_f32_e32 v87, v87, v85
	v_pk_add_f32 v[82:83], v[82:83], v[86:87]
	v_max_f32_e32 v85, v42, v42
	v_max_f32_e32 v86, v10, v10
	v_min_f32_e32 v86, v86, v85
	v_max_f32_e32 v85, v43, v43
	v_max_f32_e32 v87, v11, v11
	v_min_f32_e32 v87, v87, v85
	v_pk_add_f32 v[82:83], v[82:83], v[86:87]
	s_nop 0
	v_add_f32_e32 v82, v82, v83
	v_add_f32_e32 v84, v82, v84
	v_lshl_add_u64 v[82:83], v[110:111], 2, v[44:45]
	global_store_dword v[82:83], v84, off
	s_or_b64 exec, exec, s[26:27]
	s_and_b64 s[26:27], s[16:17], s[18:19]
	s_and_saveexec_b64 s[18:19], s[26:27]
	s_cbranch_execz .LBB89_116
.LBB89_112:
	s_and_b64 vcc, exec, s[0:1]
	s_cbranch_vccnz .LBB89_114
; %bb.113:
	v_lshl_add_u64 v[46:47], v[112:113], 2, v[46:47]
	flat_load_dword v46, v[46:47]
	s_waitcnt vmcnt(0) lgkmcnt(0)
	v_mul_f32_e32 v46, s30, v46
	s_branch .LBB89_115
.LBB89_114:
	v_mov_b32_e32 v46, 0
.LBB89_115:
	v_max_f32_e32 v41, v41, v41
	v_max_f32_e32 v47, v5, v5
	v_min_f32_e32 v41, v47, v41
	v_max_f32_e32 v40, v40, v40
	v_max_f32_e32 v47, v4, v4
	v_min_f32_e32 v40, v47, v40
	;; [unrolled: 3-line block ×3, first 2 shown]
	v_max_f32_e32 v42, v42, v42
	v_max_f32_e32 v47, v6, v6
	v_pk_add_f32 v[40:41], v[80:81], v[40:41]
	v_min_f32_e32 v42, v47, v42
	v_pk_add_f32 v[40:41], v[40:41], v[42:43]
	s_nop 0
	v_add_f32_e32 v40, v40, v41
	v_add_f32_e32 v42, v40, v46
	v_lshl_add_u64 v[40:41], v[112:113], 2, v[44:45]
	global_store_dword v[40:41], v42, off
.LBB89_116:
	s_or_b64 exec, exec, s[18:19]
	v_add_u32_e32 v44, 64, v122
	v_mad_i64_i32 v[40:41], s[26:27], v44, s29, 0
	v_cmp_gt_i32_e64 s[18:19], s21, v44
	v_lshl_add_u64 v[42:43], v[40:41], 2, s[24:25]
	v_mad_i64_i32 v[40:41], s[26:27], v44, s28, 0
	v_lshl_add_u64 v[40:41], v[40:41], 2, s[22:23]
	s_and_b64 s[34:35], s[2:3], s[18:19]
	s_and_saveexec_b64 s[26:27], s[34:35]
	s_cbranch_execnz .LBB89_124
; %bb.117:
	s_or_b64 exec, exec, s[26:27]
	s_and_b64 s[34:35], s[4:5], s[18:19]
	s_and_saveexec_b64 s[26:27], s[34:35]
	s_cbranch_execnz .LBB89_128
.LBB89_118:
	s_or_b64 exec, exec, s[26:27]
	s_and_b64 s[34:35], s[6:7], s[18:19]
	s_and_saveexec_b64 s[26:27], s[34:35]
	s_cbranch_execnz .LBB89_132
.LBB89_119:
	s_or_b64 exec, exec, s[26:27]
	s_and_b64 s[34:35], s[8:9], s[18:19]
	s_and_saveexec_b64 s[26:27], s[34:35]
	s_cbranch_execnz .LBB89_136
.LBB89_120:
	s_or_b64 exec, exec, s[26:27]
	s_and_b64 s[34:35], s[10:11], s[18:19]
	s_and_saveexec_b64 s[26:27], s[34:35]
	s_cbranch_execnz .LBB89_140
.LBB89_121:
	s_or_b64 exec, exec, s[26:27]
	s_and_b64 s[34:35], s[12:13], s[18:19]
	s_and_saveexec_b64 s[26:27], s[34:35]
	s_cbranch_execnz .LBB89_144
.LBB89_122:
	s_or_b64 exec, exec, s[26:27]
	s_and_b64 s[34:35], s[14:15], s[18:19]
	s_and_saveexec_b64 s[26:27], s[34:35]
	s_cbranch_execnz .LBB89_148
.LBB89_123:
	s_or_b64 exec, exec, s[26:27]
	s_and_b64 s[26:27], s[16:17], s[18:19]
	s_and_saveexec_b64 s[18:19], s[26:27]
	s_cbranch_execnz .LBB89_152
	s_branch .LBB89_156
.LBB89_124:
	s_and_b64 vcc, exec, s[0:1]
	s_cbranch_vccnz .LBB89_126
; %bb.125:
	v_lshl_add_u64 v[44:45], v[98:99], 2, v[42:43]
	flat_load_dword v44, v[44:45]
	s_waitcnt vmcnt(0) lgkmcnt(0)
	v_mul_f32_e32 v44, s30, v44
	s_branch .LBB89_127
.LBB89_126:
	v_mov_b32_e32 v44, 0
.LBB89_127:
	v_max_f32_e32 v45, v36, v36
	v_max_f32_e32 v46, v32, v32
	v_min_f32_e32 v46, v46, v45
	v_max_f32_e32 v45, v37, v37
	v_max_f32_e32 v47, v33, v33
	v_min_f32_e32 v47, v47, v45
	v_pk_add_f32 v[46:47], v[78:79], v[46:47]
	v_max_f32_e32 v45, v38, v38
	v_max_f32_e32 v78, v34, v34
	v_min_f32_e32 v78, v78, v45
	v_max_f32_e32 v45, v39, v39
	v_max_f32_e32 v79, v35, v35
	v_min_f32_e32 v79, v79, v45
	v_pk_add_f32 v[46:47], v[46:47], v[78:79]
	s_nop 0
	v_add_f32_e32 v45, v46, v47
	v_add_f32_e32 v46, v45, v44
	v_lshl_add_u64 v[44:45], v[98:99], 2, v[40:41]
	global_store_dword v[44:45], v46, off
	s_or_b64 exec, exec, s[26:27]
	s_and_b64 s[34:35], s[4:5], s[18:19]
	s_and_saveexec_b64 s[26:27], s[34:35]
	s_cbranch_execz .LBB89_118
.LBB89_128:
	s_and_b64 vcc, exec, s[0:1]
	s_cbranch_vccnz .LBB89_130
; %bb.129:
	v_lshl_add_u64 v[44:45], v[100:101], 2, v[42:43]
	flat_load_dword v44, v[44:45]
	s_waitcnt vmcnt(0) lgkmcnt(0)
	v_mul_f32_e32 v44, s30, v44
	s_branch .LBB89_131
.LBB89_130:
	v_mov_b32_e32 v44, 0
.LBB89_131:
	v_max_f32_e32 v45, v36, v36
	v_max_f32_e32 v46, v28, v28
	v_min_f32_e32 v46, v46, v45
	v_max_f32_e32 v45, v37, v37
	v_max_f32_e32 v47, v29, v29
	v_min_f32_e32 v47, v47, v45
	v_pk_add_f32 v[46:47], v[76:77], v[46:47]
	v_max_f32_e32 v45, v38, v38
	v_max_f32_e32 v76, v30, v30
	v_min_f32_e32 v76, v76, v45
	v_max_f32_e32 v45, v39, v39
	v_max_f32_e32 v77, v31, v31
	v_min_f32_e32 v77, v77, v45
	v_pk_add_f32 v[46:47], v[46:47], v[76:77]
	s_nop 0
	v_add_f32_e32 v45, v46, v47
	v_add_f32_e32 v46, v45, v44
	v_lshl_add_u64 v[44:45], v[100:101], 2, v[40:41]
	global_store_dword v[44:45], v46, off
	s_or_b64 exec, exec, s[26:27]
	s_and_b64 s[34:35], s[6:7], s[18:19]
	s_and_saveexec_b64 s[26:27], s[34:35]
	s_cbranch_execz .LBB89_119
.LBB89_132:
	s_and_b64 vcc, exec, s[0:1]
	s_cbranch_vccnz .LBB89_134
; %bb.133:
	v_lshl_add_u64 v[44:45], v[102:103], 2, v[42:43]
	flat_load_dword v44, v[44:45]
	s_waitcnt vmcnt(0) lgkmcnt(0)
	v_mul_f32_e32 v44, s30, v44
	s_branch .LBB89_135
.LBB89_134:
	v_mov_b32_e32 v44, 0
.LBB89_135:
	v_max_f32_e32 v45, v36, v36
	v_max_f32_e32 v46, v24, v24
	v_min_f32_e32 v46, v46, v45
	v_max_f32_e32 v45, v37, v37
	v_max_f32_e32 v47, v25, v25
	v_min_f32_e32 v47, v47, v45
	v_pk_add_f32 v[46:47], v[74:75], v[46:47]
	v_max_f32_e32 v45, v38, v38
	v_max_f32_e32 v74, v26, v26
	v_min_f32_e32 v74, v74, v45
	v_max_f32_e32 v45, v39, v39
	v_max_f32_e32 v75, v27, v27
	v_min_f32_e32 v75, v75, v45
	v_pk_add_f32 v[46:47], v[46:47], v[74:75]
	s_nop 0
	v_add_f32_e32 v45, v46, v47
	v_add_f32_e32 v46, v45, v44
	v_lshl_add_u64 v[44:45], v[102:103], 2, v[40:41]
	global_store_dword v[44:45], v46, off
	s_or_b64 exec, exec, s[26:27]
	s_and_b64 s[34:35], s[8:9], s[18:19]
	s_and_saveexec_b64 s[26:27], s[34:35]
	s_cbranch_execz .LBB89_120
.LBB89_136:
	s_and_b64 vcc, exec, s[0:1]
	s_cbranch_vccnz .LBB89_138
; %bb.137:
	v_lshl_add_u64 v[44:45], v[104:105], 2, v[42:43]
	flat_load_dword v44, v[44:45]
	s_waitcnt vmcnt(0) lgkmcnt(0)
	v_mul_f32_e32 v44, s30, v44
	s_branch .LBB89_139
.LBB89_138:
	v_mov_b32_e32 v44, 0
.LBB89_139:
	v_max_f32_e32 v45, v36, v36
	v_max_f32_e32 v46, v20, v20
	v_min_f32_e32 v46, v46, v45
	v_max_f32_e32 v45, v37, v37
	v_max_f32_e32 v47, v21, v21
	v_min_f32_e32 v47, v47, v45
	v_pk_add_f32 v[46:47], v[72:73], v[46:47]
	v_max_f32_e32 v45, v38, v38
	v_max_f32_e32 v72, v22, v22
	v_min_f32_e32 v72, v72, v45
	v_max_f32_e32 v45, v39, v39
	v_max_f32_e32 v73, v23, v23
	v_min_f32_e32 v73, v73, v45
	v_pk_add_f32 v[46:47], v[46:47], v[72:73]
	s_nop 0
	v_add_f32_e32 v45, v46, v47
	v_add_f32_e32 v46, v45, v44
	v_lshl_add_u64 v[44:45], v[104:105], 2, v[40:41]
	global_store_dword v[44:45], v46, off
	s_or_b64 exec, exec, s[26:27]
	s_and_b64 s[34:35], s[10:11], s[18:19]
	s_and_saveexec_b64 s[26:27], s[34:35]
	s_cbranch_execz .LBB89_121
.LBB89_140:
	s_and_b64 vcc, exec, s[0:1]
	s_cbranch_vccnz .LBB89_142
; %bb.141:
	v_lshl_add_u64 v[44:45], v[106:107], 2, v[42:43]
	flat_load_dword v44, v[44:45]
	s_waitcnt vmcnt(0) lgkmcnt(0)
	v_mul_f32_e32 v44, s30, v44
	s_branch .LBB89_143
.LBB89_142:
	v_mov_b32_e32 v44, 0
.LBB89_143:
	v_max_f32_e32 v45, v36, v36
	v_max_f32_e32 v46, v16, v16
	v_min_f32_e32 v46, v46, v45
	v_max_f32_e32 v45, v37, v37
	v_max_f32_e32 v47, v17, v17
	v_min_f32_e32 v47, v47, v45
	v_pk_add_f32 v[46:47], v[70:71], v[46:47]
	v_max_f32_e32 v45, v38, v38
	v_max_f32_e32 v70, v18, v18
	v_min_f32_e32 v70, v70, v45
	v_max_f32_e32 v45, v39, v39
	v_max_f32_e32 v71, v19, v19
	v_min_f32_e32 v71, v71, v45
	v_pk_add_f32 v[46:47], v[46:47], v[70:71]
	s_nop 0
	v_add_f32_e32 v45, v46, v47
	v_add_f32_e32 v46, v45, v44
	v_lshl_add_u64 v[44:45], v[106:107], 2, v[40:41]
	global_store_dword v[44:45], v46, off
	s_or_b64 exec, exec, s[26:27]
	s_and_b64 s[34:35], s[12:13], s[18:19]
	s_and_saveexec_b64 s[26:27], s[34:35]
	s_cbranch_execz .LBB89_122
.LBB89_144:
	s_and_b64 vcc, exec, s[0:1]
	s_cbranch_vccnz .LBB89_146
; %bb.145:
	v_lshl_add_u64 v[44:45], v[108:109], 2, v[42:43]
	flat_load_dword v44, v[44:45]
	s_waitcnt vmcnt(0) lgkmcnt(0)
	v_mul_f32_e32 v44, s30, v44
	s_branch .LBB89_147
.LBB89_146:
	v_mov_b32_e32 v44, 0
.LBB89_147:
	v_max_f32_e32 v45, v36, v36
	v_max_f32_e32 v46, v12, v12
	v_min_f32_e32 v46, v46, v45
	v_max_f32_e32 v45, v37, v37
	v_max_f32_e32 v47, v13, v13
	v_min_f32_e32 v47, v47, v45
	v_pk_add_f32 v[46:47], v[68:69], v[46:47]
	v_max_f32_e32 v45, v38, v38
	v_max_f32_e32 v68, v14, v14
	v_min_f32_e32 v68, v68, v45
	v_max_f32_e32 v45, v39, v39
	v_max_f32_e32 v69, v15, v15
	v_min_f32_e32 v69, v69, v45
	v_pk_add_f32 v[46:47], v[46:47], v[68:69]
	s_nop 0
	v_add_f32_e32 v45, v46, v47
	v_add_f32_e32 v46, v45, v44
	v_lshl_add_u64 v[44:45], v[108:109], 2, v[40:41]
	global_store_dword v[44:45], v46, off
	s_or_b64 exec, exec, s[26:27]
	s_and_b64 s[34:35], s[14:15], s[18:19]
	s_and_saveexec_b64 s[26:27], s[34:35]
	s_cbranch_execz .LBB89_123
.LBB89_148:
	s_and_b64 vcc, exec, s[0:1]
	s_cbranch_vccnz .LBB89_150
; %bb.149:
	v_lshl_add_u64 v[44:45], v[110:111], 2, v[42:43]
	flat_load_dword v44, v[44:45]
	s_waitcnt vmcnt(0) lgkmcnt(0)
	v_mul_f32_e32 v44, s30, v44
	s_branch .LBB89_151
.LBB89_150:
	v_mov_b32_e32 v44, 0
.LBB89_151:
	v_max_f32_e32 v45, v36, v36
	v_max_f32_e32 v46, v8, v8
	v_min_f32_e32 v46, v46, v45
	v_max_f32_e32 v45, v37, v37
	v_max_f32_e32 v47, v9, v9
	v_min_f32_e32 v47, v47, v45
	v_pk_add_f32 v[46:47], v[66:67], v[46:47]
	v_max_f32_e32 v45, v38, v38
	v_max_f32_e32 v66, v10, v10
	v_min_f32_e32 v66, v66, v45
	v_max_f32_e32 v45, v39, v39
	v_max_f32_e32 v67, v11, v11
	v_min_f32_e32 v67, v67, v45
	v_pk_add_f32 v[46:47], v[46:47], v[66:67]
	s_nop 0
	v_add_f32_e32 v45, v46, v47
	v_add_f32_e32 v46, v45, v44
	v_lshl_add_u64 v[44:45], v[110:111], 2, v[40:41]
	global_store_dword v[44:45], v46, off
	s_or_b64 exec, exec, s[26:27]
	s_and_b64 s[26:27], s[16:17], s[18:19]
	s_and_saveexec_b64 s[18:19], s[26:27]
	s_cbranch_execz .LBB89_156
.LBB89_152:
	s_and_b64 vcc, exec, s[0:1]
	s_cbranch_vccnz .LBB89_154
; %bb.153:
	v_lshl_add_u64 v[42:43], v[112:113], 2, v[42:43]
	flat_load_dword v42, v[42:43]
	s_waitcnt vmcnt(0) lgkmcnt(0)
	v_mul_f32_e32 v42, s30, v42
	s_branch .LBB89_155
.LBB89_154:
	v_mov_b32_e32 v42, 0
.LBB89_155:
	v_max_f32_e32 v37, v37, v37
	v_max_f32_e32 v43, v5, v5
	v_min_f32_e32 v37, v43, v37
	v_max_f32_e32 v36, v36, v36
	v_max_f32_e32 v43, v4, v4
	v_min_f32_e32 v36, v43, v36
	;; [unrolled: 3-line block ×3, first 2 shown]
	v_max_f32_e32 v38, v38, v38
	v_max_f32_e32 v43, v6, v6
	v_pk_add_f32 v[36:37], v[64:65], v[36:37]
	v_min_f32_e32 v38, v43, v38
	v_pk_add_f32 v[36:37], v[36:37], v[38:39]
	s_nop 0
	v_add_f32_e32 v36, v36, v37
	v_add_f32_e32 v38, v36, v42
	v_lshl_add_u64 v[36:37], v[112:113], 2, v[40:41]
	global_store_dword v[36:37], v38, off
.LBB89_156:
	s_or_b64 exec, exec, s[18:19]
	v_add_u32_e32 v40, 0x60, v122
	v_cmp_gt_i32_e64 s[18:19], s21, v40
	v_mad_i64_i32 v[36:37], s[20:21], v40, s29, 0
	v_lshl_add_u64 v[38:39], v[36:37], 2, s[24:25]
	v_mad_i64_i32 v[36:37], s[20:21], v40, s28, 0
	v_lshl_add_u64 v[36:37], v[36:37], 2, s[22:23]
	s_and_b64 s[20:21], s[2:3], s[18:19]
	s_and_saveexec_b64 s[2:3], s[20:21]
	s_cbranch_execnz .LBB89_165
; %bb.157:
	s_or_b64 exec, exec, s[2:3]
	s_and_b64 s[4:5], s[4:5], s[18:19]
	s_and_saveexec_b64 s[2:3], s[4:5]
	s_cbranch_execnz .LBB89_169
.LBB89_158:
	s_or_b64 exec, exec, s[2:3]
	s_and_b64 s[4:5], s[6:7], s[18:19]
	s_and_saveexec_b64 s[2:3], s[4:5]
	s_cbranch_execnz .LBB89_173
.LBB89_159:
	s_or_b64 exec, exec, s[2:3]
	s_and_b64 s[4:5], s[8:9], s[18:19]
	s_and_saveexec_b64 s[2:3], s[4:5]
	s_cbranch_execnz .LBB89_177
.LBB89_160:
	s_or_b64 exec, exec, s[2:3]
	s_and_b64 s[4:5], s[10:11], s[18:19]
	s_and_saveexec_b64 s[2:3], s[4:5]
	s_cbranch_execnz .LBB89_181
.LBB89_161:
	s_or_b64 exec, exec, s[2:3]
	s_and_b64 s[4:5], s[12:13], s[18:19]
	s_and_saveexec_b64 s[2:3], s[4:5]
	s_cbranch_execnz .LBB89_185
.LBB89_162:
	s_or_b64 exec, exec, s[2:3]
	s_and_b64 s[4:5], s[14:15], s[18:19]
	s_and_saveexec_b64 s[2:3], s[4:5]
	s_cbranch_execnz .LBB89_189
.LBB89_163:
	s_or_b64 exec, exec, s[2:3]
	s_and_b64 s[2:3], s[16:17], s[18:19]
	s_and_saveexec_b64 s[4:5], s[2:3]
	s_cbranch_execnz .LBB89_193
.LBB89_164:
	s_endpgm
.LBB89_165:
	s_and_b64 vcc, exec, s[0:1]
	s_cbranch_vccnz .LBB89_167
; %bb.166:
	v_lshl_add_u64 v[40:41], v[98:99], 2, v[38:39]
	flat_load_dword v40, v[40:41]
	s_waitcnt vmcnt(0) lgkmcnt(0)
	v_mul_f32_e32 v40, s30, v40
	s_branch .LBB89_168
.LBB89_167:
	v_mov_b32_e32 v40, 0
.LBB89_168:
	v_max_f32_e32 v41, v1, v1
	v_max_f32_e32 v33, v33, v33
	v_min_f32_e32 v33, v33, v41
	v_max_f32_e32 v41, v0, v0
	v_max_f32_e32 v32, v32, v32
	v_min_f32_e32 v32, v32, v41
	;; [unrolled: 3-line block ×3, first 2 shown]
	v_max_f32_e32 v41, v2, v2
	v_max_f32_e32 v34, v34, v34
	v_pk_add_f32 v[32:33], v[62:63], v[32:33]
	v_min_f32_e32 v34, v34, v41
	v_pk_add_f32 v[32:33], v[32:33], v[34:35]
	s_nop 0
	v_add_f32_e32 v32, v32, v33
	v_add_f32_e32 v34, v32, v40
	v_lshl_add_u64 v[32:33], v[98:99], 2, v[36:37]
	global_store_dword v[32:33], v34, off
	s_or_b64 exec, exec, s[2:3]
	s_and_b64 s[4:5], s[4:5], s[18:19]
	s_and_saveexec_b64 s[2:3], s[4:5]
	s_cbranch_execz .LBB89_158
.LBB89_169:
	s_and_b64 vcc, exec, s[0:1]
	s_cbranch_vccnz .LBB89_171
; %bb.170:
	v_lshl_add_u64 v[32:33], v[100:101], 2, v[38:39]
	flat_load_dword v32, v[32:33]
	s_waitcnt vmcnt(0) lgkmcnt(0)
	v_mul_f32_e32 v32, s30, v32
	s_branch .LBB89_172
.LBB89_171:
	v_mov_b32_e32 v32, 0
.LBB89_172:
	v_max_f32_e32 v33, v1, v1
	v_max_f32_e32 v29, v29, v29
	v_min_f32_e32 v29, v29, v33
	v_max_f32_e32 v33, v0, v0
	v_max_f32_e32 v28, v28, v28
	v_min_f32_e32 v28, v28, v33
	;; [unrolled: 3-line block ×3, first 2 shown]
	v_max_f32_e32 v33, v2, v2
	v_max_f32_e32 v30, v30, v30
	v_pk_add_f32 v[28:29], v[60:61], v[28:29]
	v_min_f32_e32 v30, v30, v33
	v_pk_add_f32 v[28:29], v[28:29], v[30:31]
	s_nop 0
	v_add_f32_e32 v28, v28, v29
	v_add_f32_e32 v30, v28, v32
	v_lshl_add_u64 v[28:29], v[100:101], 2, v[36:37]
	global_store_dword v[28:29], v30, off
	s_or_b64 exec, exec, s[2:3]
	s_and_b64 s[4:5], s[6:7], s[18:19]
	s_and_saveexec_b64 s[2:3], s[4:5]
	s_cbranch_execz .LBB89_159
.LBB89_173:
	s_and_b64 vcc, exec, s[0:1]
	s_cbranch_vccnz .LBB89_175
; %bb.174:
	v_lshl_add_u64 v[28:29], v[102:103], 2, v[38:39]
	flat_load_dword v28, v[28:29]
	s_waitcnt vmcnt(0) lgkmcnt(0)
	v_mul_f32_e32 v28, s30, v28
	s_branch .LBB89_176
.LBB89_175:
	v_mov_b32_e32 v28, 0
.LBB89_176:
	v_max_f32_e32 v29, v1, v1
	v_max_f32_e32 v25, v25, v25
	v_min_f32_e32 v25, v25, v29
	v_max_f32_e32 v29, v0, v0
	v_max_f32_e32 v24, v24, v24
	v_min_f32_e32 v24, v24, v29
	;; [unrolled: 3-line block ×3, first 2 shown]
	v_max_f32_e32 v29, v2, v2
	v_max_f32_e32 v26, v26, v26
	v_pk_add_f32 v[24:25], v[58:59], v[24:25]
	v_min_f32_e32 v26, v26, v29
	v_pk_add_f32 v[24:25], v[24:25], v[26:27]
	s_nop 0
	v_add_f32_e32 v24, v24, v25
	v_add_f32_e32 v26, v24, v28
	v_lshl_add_u64 v[24:25], v[102:103], 2, v[36:37]
	global_store_dword v[24:25], v26, off
	s_or_b64 exec, exec, s[2:3]
	s_and_b64 s[4:5], s[8:9], s[18:19]
	s_and_saveexec_b64 s[2:3], s[4:5]
	s_cbranch_execz .LBB89_160
.LBB89_177:
	s_and_b64 vcc, exec, s[0:1]
	s_cbranch_vccnz .LBB89_179
; %bb.178:
	v_lshl_add_u64 v[24:25], v[104:105], 2, v[38:39]
	flat_load_dword v24, v[24:25]
	s_waitcnt vmcnt(0) lgkmcnt(0)
	v_mul_f32_e32 v24, s30, v24
	s_branch .LBB89_180
.LBB89_179:
	v_mov_b32_e32 v24, 0
.LBB89_180:
	v_max_f32_e32 v25, v1, v1
	v_max_f32_e32 v21, v21, v21
	v_min_f32_e32 v21, v21, v25
	v_max_f32_e32 v25, v0, v0
	v_max_f32_e32 v20, v20, v20
	v_min_f32_e32 v20, v20, v25
	;; [unrolled: 3-line block ×3, first 2 shown]
	v_max_f32_e32 v25, v2, v2
	v_max_f32_e32 v22, v22, v22
	v_pk_add_f32 v[20:21], v[56:57], v[20:21]
	v_min_f32_e32 v22, v22, v25
	v_pk_add_f32 v[20:21], v[20:21], v[22:23]
	s_nop 0
	v_add_f32_e32 v20, v20, v21
	v_add_f32_e32 v22, v20, v24
	v_lshl_add_u64 v[20:21], v[104:105], 2, v[36:37]
	global_store_dword v[20:21], v22, off
	s_or_b64 exec, exec, s[2:3]
	s_and_b64 s[4:5], s[10:11], s[18:19]
	s_and_saveexec_b64 s[2:3], s[4:5]
	s_cbranch_execz .LBB89_161
.LBB89_181:
	s_and_b64 vcc, exec, s[0:1]
	s_cbranch_vccnz .LBB89_183
; %bb.182:
	v_lshl_add_u64 v[20:21], v[106:107], 2, v[38:39]
	flat_load_dword v20, v[20:21]
	s_waitcnt vmcnt(0) lgkmcnt(0)
	v_mul_f32_e32 v20, s30, v20
	s_branch .LBB89_184
.LBB89_183:
	v_mov_b32_e32 v20, 0
.LBB89_184:
	v_max_f32_e32 v21, v1, v1
	v_max_f32_e32 v17, v17, v17
	v_min_f32_e32 v17, v17, v21
	v_max_f32_e32 v21, v0, v0
	v_max_f32_e32 v16, v16, v16
	v_min_f32_e32 v16, v16, v21
	;; [unrolled: 3-line block ×3, first 2 shown]
	v_max_f32_e32 v21, v2, v2
	v_max_f32_e32 v18, v18, v18
	v_pk_add_f32 v[16:17], v[54:55], v[16:17]
	v_min_f32_e32 v18, v18, v21
	v_pk_add_f32 v[16:17], v[16:17], v[18:19]
	s_nop 0
	v_add_f32_e32 v16, v16, v17
	v_add_f32_e32 v18, v16, v20
	v_lshl_add_u64 v[16:17], v[106:107], 2, v[36:37]
	global_store_dword v[16:17], v18, off
	s_or_b64 exec, exec, s[2:3]
	s_and_b64 s[4:5], s[12:13], s[18:19]
	s_and_saveexec_b64 s[2:3], s[4:5]
	s_cbranch_execz .LBB89_162
.LBB89_185:
	s_and_b64 vcc, exec, s[0:1]
	s_cbranch_vccnz .LBB89_187
; %bb.186:
	v_lshl_add_u64 v[16:17], v[108:109], 2, v[38:39]
	flat_load_dword v16, v[16:17]
	s_waitcnt vmcnt(0) lgkmcnt(0)
	v_mul_f32_e32 v16, s30, v16
	s_branch .LBB89_188
.LBB89_187:
	v_mov_b32_e32 v16, 0
.LBB89_188:
	v_max_f32_e32 v17, v1, v1
	v_max_f32_e32 v13, v13, v13
	v_min_f32_e32 v13, v13, v17
	v_max_f32_e32 v17, v0, v0
	v_max_f32_e32 v12, v12, v12
	v_min_f32_e32 v12, v12, v17
	;; [unrolled: 3-line block ×3, first 2 shown]
	v_max_f32_e32 v17, v2, v2
	v_max_f32_e32 v14, v14, v14
	v_pk_add_f32 v[12:13], v[52:53], v[12:13]
	v_min_f32_e32 v14, v14, v17
	v_pk_add_f32 v[12:13], v[12:13], v[14:15]
	s_nop 0
	v_add_f32_e32 v12, v12, v13
	v_add_f32_e32 v14, v12, v16
	v_lshl_add_u64 v[12:13], v[108:109], 2, v[36:37]
	global_store_dword v[12:13], v14, off
	s_or_b64 exec, exec, s[2:3]
	s_and_b64 s[4:5], s[14:15], s[18:19]
	s_and_saveexec_b64 s[2:3], s[4:5]
	s_cbranch_execz .LBB89_163
.LBB89_189:
	s_and_b64 vcc, exec, s[0:1]
	s_cbranch_vccnz .LBB89_191
; %bb.190:
	v_lshl_add_u64 v[12:13], v[110:111], 2, v[38:39]
	flat_load_dword v12, v[12:13]
	s_waitcnt vmcnt(0) lgkmcnt(0)
	v_mul_f32_e32 v12, s30, v12
	s_branch .LBB89_192
.LBB89_191:
	v_mov_b32_e32 v12, 0
.LBB89_192:
	v_max_f32_e32 v13, v1, v1
	v_max_f32_e32 v9, v9, v9
	v_min_f32_e32 v9, v9, v13
	v_max_f32_e32 v13, v0, v0
	v_max_f32_e32 v8, v8, v8
	v_min_f32_e32 v8, v8, v13
	v_max_f32_e32 v13, v3, v3
	v_max_f32_e32 v11, v11, v11
	v_min_f32_e32 v11, v11, v13
	v_max_f32_e32 v13, v2, v2
	v_max_f32_e32 v10, v10, v10
	v_pk_add_f32 v[8:9], v[50:51], v[8:9]
	v_min_f32_e32 v10, v10, v13
	v_pk_add_f32 v[8:9], v[8:9], v[10:11]
	s_nop 0
	v_add_f32_e32 v8, v8, v9
	v_add_f32_e32 v10, v8, v12
	v_lshl_add_u64 v[8:9], v[110:111], 2, v[36:37]
	global_store_dword v[8:9], v10, off
	s_or_b64 exec, exec, s[2:3]
	s_and_b64 s[2:3], s[16:17], s[18:19]
	s_and_saveexec_b64 s[4:5], s[2:3]
	s_cbranch_execz .LBB89_164
.LBB89_193:
	s_and_b64 vcc, exec, s[0:1]
	s_cbranch_vccnz .LBB89_195
; %bb.194:
	v_lshl_add_u64 v[8:9], v[112:113], 2, v[38:39]
	flat_load_dword v8, v[8:9]
	s_waitcnt vmcnt(0) lgkmcnt(0)
	v_mul_f32_e32 v8, s30, v8
	s_branch .LBB89_196
.LBB89_195:
	v_mov_b32_e32 v8, 0
.LBB89_196:
	v_max_f32_e32 v0, v0, v0
	v_max_f32_e32 v4, v4, v4
	;; [unrolled: 1-line block ×4, first 2 shown]
	v_min_f32_e32 v0, v4, v0
	v_max_f32_e32 v3, v3, v3
	v_max_f32_e32 v4, v7, v7
	v_min_f32_e32 v1, v5, v1
	v_min_f32_e32 v3, v4, v3
	v_max_f32_e32 v2, v2, v2
	v_max_f32_e32 v4, v6, v6
	v_pk_add_f32 v[0:1], v[48:49], v[0:1]
	v_min_f32_e32 v2, v4, v2
	v_pk_add_f32 v[0:1], v[0:1], v[2:3]
	s_nop 0
	v_add_f32_e32 v0, v0, v1
	v_add_f32_e32 v2, v0, v8
	v_lshl_add_u64 v[0:1], v[112:113], 2, v[36:37]
	global_store_dword v[0:1], v2, off
	s_endpgm
	.section	.rodata,"a",@progbits
	.p2align	6, 0x0
	.amdhsa_kernel _ZN12_GLOBAL__N_120geam_min_plus_kernelIf15HIP_vector_typeIfLj2EES2_Li8ELi32ELi64ELi128ELi4ELi4ELi64ELi4ELi64ELc84ELc78ELb0ELb1ELb0EfKffEEviiiT16_PT17_ilS6_ilS4_S6_ilPT18_ili26rocblas_geam_ex_operation_
		.amdhsa_group_segment_fixed_size 6144
		.amdhsa_private_segment_fixed_size 0
		.amdhsa_kernarg_size 128
		.amdhsa_user_sgpr_count 2
		.amdhsa_user_sgpr_dispatch_ptr 0
		.amdhsa_user_sgpr_queue_ptr 0
		.amdhsa_user_sgpr_kernarg_segment_ptr 1
		.amdhsa_user_sgpr_dispatch_id 0
		.amdhsa_user_sgpr_kernarg_preload_length 0
		.amdhsa_user_sgpr_kernarg_preload_offset 0
		.amdhsa_user_sgpr_private_segment_size 0
		.amdhsa_uses_dynamic_stack 0
		.amdhsa_enable_private_segment 0
		.amdhsa_system_sgpr_workgroup_id_x 1
		.amdhsa_system_sgpr_workgroup_id_y 0
		.amdhsa_system_sgpr_workgroup_id_z 1
		.amdhsa_system_sgpr_workgroup_info 0
		.amdhsa_system_vgpr_workitem_id 1
		.amdhsa_next_free_vgpr 220
		.amdhsa_next_free_sgpr 40
		.amdhsa_accum_offset 220
		.amdhsa_reserve_vcc 1
		.amdhsa_float_round_mode_32 0
		.amdhsa_float_round_mode_16_64 0
		.amdhsa_float_denorm_mode_32 3
		.amdhsa_float_denorm_mode_16_64 3
		.amdhsa_dx10_clamp 1
		.amdhsa_ieee_mode 1
		.amdhsa_fp16_overflow 0
		.amdhsa_tg_split 0
		.amdhsa_exception_fp_ieee_invalid_op 0
		.amdhsa_exception_fp_denorm_src 0
		.amdhsa_exception_fp_ieee_div_zero 0
		.amdhsa_exception_fp_ieee_overflow 0
		.amdhsa_exception_fp_ieee_underflow 0
		.amdhsa_exception_fp_ieee_inexact 0
		.amdhsa_exception_int_div_zero 0
	.end_amdhsa_kernel
	.section	.text._ZN12_GLOBAL__N_120geam_min_plus_kernelIf15HIP_vector_typeIfLj2EES2_Li8ELi32ELi64ELi128ELi4ELi4ELi64ELi4ELi64ELc84ELc78ELb0ELb1ELb0EfKffEEviiiT16_PT17_ilS6_ilS4_S6_ilPT18_ili26rocblas_geam_ex_operation_,"axG",@progbits,_ZN12_GLOBAL__N_120geam_min_plus_kernelIf15HIP_vector_typeIfLj2EES2_Li8ELi32ELi64ELi128ELi4ELi4ELi64ELi4ELi64ELc84ELc78ELb0ELb1ELb0EfKffEEviiiT16_PT17_ilS6_ilS4_S6_ilPT18_ili26rocblas_geam_ex_operation_,comdat
.Lfunc_end89:
	.size	_ZN12_GLOBAL__N_120geam_min_plus_kernelIf15HIP_vector_typeIfLj2EES2_Li8ELi32ELi64ELi128ELi4ELi4ELi64ELi4ELi64ELc84ELc78ELb0ELb1ELb0EfKffEEviiiT16_PT17_ilS6_ilS4_S6_ilPT18_ili26rocblas_geam_ex_operation_, .Lfunc_end89-_ZN12_GLOBAL__N_120geam_min_plus_kernelIf15HIP_vector_typeIfLj2EES2_Li8ELi32ELi64ELi128ELi4ELi4ELi64ELi4ELi64ELc84ELc78ELb0ELb1ELb0EfKffEEviiiT16_PT17_ilS6_ilS4_S6_ilPT18_ili26rocblas_geam_ex_operation_
                                        ; -- End function
	.section	.AMDGPU.csdata,"",@progbits
; Kernel info:
; codeLenInByte = 11184
; NumSgprs: 46
; NumVgprs: 220
; NumAgprs: 0
; TotalNumVgprs: 220
; ScratchSize: 0
; MemoryBound: 0
; FloatMode: 240
; IeeeMode: 1
; LDSByteSize: 6144 bytes/workgroup (compile time only)
; SGPRBlocks: 5
; VGPRBlocks: 27
; NumSGPRsForWavesPerEU: 46
; NumVGPRsForWavesPerEU: 220
; AccumOffset: 220
; Occupancy: 2
; WaveLimiterHint : 0
; COMPUTE_PGM_RSRC2:SCRATCH_EN: 0
; COMPUTE_PGM_RSRC2:USER_SGPR: 2
; COMPUTE_PGM_RSRC2:TRAP_HANDLER: 0
; COMPUTE_PGM_RSRC2:TGID_X_EN: 1
; COMPUTE_PGM_RSRC2:TGID_Y_EN: 0
; COMPUTE_PGM_RSRC2:TGID_Z_EN: 1
; COMPUTE_PGM_RSRC2:TIDIG_COMP_CNT: 1
; COMPUTE_PGM_RSRC3_GFX90A:ACCUM_OFFSET: 54
; COMPUTE_PGM_RSRC3_GFX90A:TG_SPLIT: 0
	.section	.text._ZN12_GLOBAL__N_120geam_min_plus_kernelIf15HIP_vector_typeIfLj2EES2_Li8ELi32ELi64ELi128ELi4ELi64ELi4ELi64ELi4ELc78ELc84ELb0ELb0ELb0EPKfS3_fEEviiiT16_PT17_ilS7_ilS5_S7_ilPT18_ili26rocblas_geam_ex_operation_,"axG",@progbits,_ZN12_GLOBAL__N_120geam_min_plus_kernelIf15HIP_vector_typeIfLj2EES2_Li8ELi32ELi64ELi128ELi4ELi64ELi4ELi64ELi4ELc78ELc84ELb0ELb0ELb0EPKfS3_fEEviiiT16_PT17_ilS7_ilS5_S7_ilPT18_ili26rocblas_geam_ex_operation_,comdat
	.globl	_ZN12_GLOBAL__N_120geam_min_plus_kernelIf15HIP_vector_typeIfLj2EES2_Li8ELi32ELi64ELi128ELi4ELi64ELi4ELi64ELi4ELc78ELc84ELb0ELb0ELb0EPKfS3_fEEviiiT16_PT17_ilS7_ilS5_S7_ilPT18_ili26rocblas_geam_ex_operation_ ; -- Begin function _ZN12_GLOBAL__N_120geam_min_plus_kernelIf15HIP_vector_typeIfLj2EES2_Li8ELi32ELi64ELi128ELi4ELi64ELi4ELi64ELi4ELc78ELc84ELb0ELb0ELb0EPKfS3_fEEviiiT16_PT17_ilS7_ilS5_S7_ilPT18_ili26rocblas_geam_ex_operation_
	.p2align	8
	.type	_ZN12_GLOBAL__N_120geam_min_plus_kernelIf15HIP_vector_typeIfLj2EES2_Li8ELi32ELi64ELi128ELi4ELi64ELi4ELi64ELi4ELc78ELc84ELb0ELb0ELb0EPKfS3_fEEviiiT16_PT17_ilS7_ilS5_S7_ilPT18_ili26rocblas_geam_ex_operation_,@function
_ZN12_GLOBAL__N_120geam_min_plus_kernelIf15HIP_vector_typeIfLj2EES2_Li8ELi32ELi64ELi128ELi4ELi64ELi4ELi64ELi4ELc78ELc84ELb0ELb0ELb0EPKfS3_fEEviiiT16_PT17_ilS7_ilS5_S7_ilPT18_ili26rocblas_geam_ex_operation_: ; @_ZN12_GLOBAL__N_120geam_min_plus_kernelIf15HIP_vector_typeIfLj2EES2_Li8ELi32ELi64ELi128ELi4ELi64ELi4ELi64ELi4ELc78ELc84ELb0ELb0ELb0EPKfS3_fEEviiiT16_PT17_ilS7_ilS5_S7_ilPT18_ili26rocblas_geam_ex_operation_
; %bb.0:
	s_load_dwordx4 s[12:15], s[0:1], 0x10
	s_load_dwordx4 s[4:7], s[0:1], 0x28
	s_mov_b32 s16, s3
	s_mov_b32 s17, 0
	s_lshl_b64 s[18:19], s[16:17], 2
	s_waitcnt lgkmcnt(0)
	s_add_u32 s20, s12, s18
	s_load_dwordx4 s[8:11], s[0:1], 0x40
	s_addc_u32 s21, s13, s19
	s_load_dword s12, s[20:21], 0x0
	s_load_dwordx2 s[22:23], s[0:1], 0x50
	s_mov_b64 s[20:21], 0
	s_waitcnt lgkmcnt(0)
	s_add_u32 s10, s10, s18
	s_addc_u32 s11, s11, s19
	v_cmp_eq_f32_e64 s[18:19], s12, 0
	v_cmp_neq_f32_e64 s[24:25], s12, 0
	s_and_b64 vcc, exec, s[18:19]
	s_mov_b64 s[18:19], 0
	s_cbranch_vccnz .LBB90_2
; %bb.1:
	s_mul_i32 s3, s16, s5
	s_mul_hi_u32 s5, s16, s4
	s_add_i32 s5, s5, s3
	s_mul_i32 s4, s16, s4
	s_lshl_b64 s[4:5], s[4:5], 2
	s_add_u32 s18, s14, s4
	s_addc_u32 s19, s15, s5
.LBB90_2:
	s_load_dword s17, s[10:11], 0x0
	v_cndmask_b32_e64 v1, 0, 1, s[24:25]
	v_cmp_ne_u32_e64 s[4:5], 1, v1
	s_andn2_b64 vcc, exec, s[24:25]
	s_cbranch_vccnz .LBB90_4
; %bb.3:
	s_mul_i32 s3, s16, s9
	s_mul_hi_u32 s9, s16, s8
	s_add_i32 s9, s9, s3
	s_mul_i32 s8, s16, s8
	s_lshl_b64 s[8:9], s[8:9], 2
	s_add_u32 s20, s6, s8
	s_addc_u32 s21, s7, s9
.LBB90_4:
	s_load_dwordx4 s[8:11], s[0:1], 0x60
	s_waitcnt lgkmcnt(0)
	v_cmp_eq_f32_e64 s[6:7], s17, 0
	s_and_b64 s[6:7], exec, s[6:7]
	s_mov_b64 vcc, s[6:7]
	s_cbranch_vccnz .LBB90_6
; %bb.5:
	s_mul_i32 s3, s16, s9
	s_mul_hi_u32 s9, s16, s8
	s_add_i32 s9, s9, s3
	s_mul_i32 s8, s16, s8
	s_lshl_b64 s[8:9], s[8:9], 2
	s_add_u32 s8, s22, s8
	s_addc_u32 s9, s23, s9
	s_branch .LBB90_7
.LBB90_6:
	s_mov_b64 s[8:9], 0
.LBB90_7:
	s_load_dword s3, s[0:1], 0x0
	s_load_dword s22, s[0:1], 0x20
	v_and_b32_e32 v206, 0x3ff, v0
	v_bfe_u32 v207, v0, 10, 10
	v_lshl_add_u32 v0, v207, 3, v206
	s_waitcnt lgkmcnt(0)
	s_add_i32 s3, s3, -1
	s_ashr_i32 s13, s3, 31
	s_lshr_b32 s13, s13, 26
	s_add_i32 s3, s3, s13
	s_ashr_i32 s3, s3, 6
	s_add_i32 s14, s3, 1
	v_cvt_f32_u32_e32 v1, s14
	s_not_b32 s3, s3
	s_ashr_i32 s23, s22, 31
	v_and_b32_e32 v7, 63, v0
	v_rcp_iflag_f32_e32 v1, v1
	v_lshrrev_b32_e32 v6, 6, v0
	v_mul_f32_e32 v1, 0x4f7ffffe, v1
	v_cvt_u32_f32_e32 v1, v1
	s_nop 0
	v_readfirstlane_b32 s13, v1
	s_mul_i32 s3, s3, s13
	s_mul_hi_u32 s3, s13, s3
	s_add_i32 s13, s13, s3
	s_mul_hi_u32 s3, s2, s13
	s_mul_i32 s13, s3, s14
	s_sub_i32 s13, s2, s13
	s_add_i32 s15, s3, 1
	s_sub_i32 s24, s13, s14
	s_cmp_ge_u32 s13, s14
	s_cselect_b32 s3, s15, s3
	s_cselect_b32 s13, s24, s13
	s_add_i32 s15, s3, 1
	s_cmp_ge_u32 s13, s14
	s_cselect_b32 s13, s15, s3
	s_mul_i32 s3, s13, s14
	s_sub_i32 s14, s2, s3
	s_lshl_b32 s26, s14, 6
	v_or_b32_e32 v0, s26, v7
	s_and_b64 vcc, exec, s[4:5]
	v_ashrrev_i32_e32 v1, 31, v0
	s_cbranch_vccnz .LBB90_9
; %bb.8:
	v_mad_i64_i32 v[2:3], s[14:15], s22, v6, 0
	v_lshl_add_u64 v[2:3], v[2:3], 2, s[18:19]
	v_lshl_add_u64 v[2:3], v[0:1], 2, v[2:3]
	flat_load_dword v2, v[2:3]
	s_waitcnt vmcnt(0) lgkmcnt(0)
	v_mul_f32_e32 v9, s12, v2
	s_branch .LBB90_10
.LBB90_9:
	v_mov_b32_e32 v9, 0
.LBB90_10:
	s_load_dword s24, s[0:1], 0x38
	s_lshl_b32 s27, s13, 7
	v_or_b32_e32 v4, s27, v7
	s_and_b64 vcc, exec, s[4:5]
	v_ashrrev_i32_e32 v5, 31, v4
	s_waitcnt lgkmcnt(0)
	s_ashr_i32 s25, s24, 31
	s_cbranch_vccnz .LBB90_14
; %bb.11:
	v_mad_i64_i32 v[2:3], s[14:15], s24, v6, 0
	v_lshl_add_u64 v[2:3], v[2:3], 2, s[20:21]
	v_lshl_add_u64 v[2:3], v[4:5], 2, v[2:3]
	flat_load_dword v10, v[2:3]
	flat_load_dword v11, v[2:3] offset:256
	s_waitcnt vmcnt(0) lgkmcnt(0)
	v_pk_mul_f32 v[2:3], s[12:13], v[10:11] op_sel_hi:[0,1]
	s_and_b64 vcc, exec, s[4:5]
	v_add_u32_e32 v10, 4, v6
	s_cbranch_vccnz .LBB90_15
.LBB90_12:
	v_mad_i64_i32 v[12:13], s[14:15], s22, v10, 0
	v_lshl_add_u64 v[12:13], v[12:13], 2, s[18:19]
	v_lshl_add_u64 v[0:1], v[0:1], 2, v[12:13]
	flat_load_dword v0, v[0:1]
	s_waitcnt vmcnt(0) lgkmcnt(0)
	v_mul_f32_e32 v8, s12, v0
	s_and_b64 vcc, exec, s[4:5]
	s_cbranch_vccnz .LBB90_16
.LBB90_13:
	v_mad_i64_i32 v[0:1], s[14:15], s24, v10, 0
	v_lshl_add_u64 v[0:1], v[0:1], 2, s[20:21]
	v_lshl_add_u64 v[0:1], v[4:5], 2, v[0:1]
	flat_load_dword v4, v[0:1]
	flat_load_dword v5, v[0:1] offset:256
	s_waitcnt vmcnt(0) lgkmcnt(0)
	v_pk_mul_f32 v[0:1], s[12:13], v[4:5] op_sel_hi:[0,1]
	s_branch .LBB90_17
.LBB90_14:
	v_mov_b32_e32 v2, 0
	v_mov_b32_e32 v3, 0
	s_and_b64 vcc, exec, s[4:5]
	v_add_u32_e32 v10, 4, v6
	s_cbranch_vccz .LBB90_12
.LBB90_15:
	v_mov_b32_e32 v8, 0
	s_and_b64 vcc, exec, s[4:5]
	s_cbranch_vccz .LBB90_13
.LBB90_16:
	v_mov_b32_e32 v0, 0
	v_mov_b32_e32 v1, 0
.LBB90_17:
	v_lshlrev_b32_e32 v4, 2, v6
	v_lshl_add_u32 v210, v7, 4, v4
	v_lshlrev_b32_e32 v209, 4, v207
	ds_write_b32 v210, v9 offset:4096
	ds_write2st64_b32 v210, v2, v3 offset1:4
	s_waitcnt lgkmcnt(0)
	s_barrier
	ds_read_b128 v[2:5], v209
	v_lshlrev_b32_e32 v208, 4, v206
	ds_read_b128 v[10:13], v208 offset:4992
	ds_read_b128 v[14:17], v209 offset:512
	;; [unrolled: 1-line block ×5, first 2 shown]
	s_waitcnt lgkmcnt(5)
	v_max_f32_e32 v9, v3, v3
	v_max_f32_e32 v52, v2, v2
	ds_read_b128 v[30:33], v208 offset:4096
	ds_read_b128 v[34:37], v208 offset:4224
	v_max_f32_e32 v104, v5, v5
	v_max_f32_e32 v106, v4, v4
	ds_read_b128 v[2:5], v208 offset:4352
	s_waitcnt lgkmcnt(7)
	v_max_f32_e32 v56, v11, v11
	v_max_f32_e32 v57, v10, v10
	s_waitcnt lgkmcnt(6)
	v_max_f32_e32 v54, v15, v15
	v_max_f32_e32 v55, v14, v14
	s_waitcnt lgkmcnt(3)
	v_max_f32_e32 v59, v26, v26
	s_waitcnt lgkmcnt(2)
	v_max_f32_e32 v26, v30, v30
	v_max_f32_e32 v105, v13, v13
	;; [unrolled: 1-line block ×3, first 2 shown]
	ds_read_b128 v[10:13], v208 offset:4480
	v_max_f32_e32 v108, v17, v17
	v_max_f32_e32 v109, v16, v16
	s_waitcnt lgkmcnt(1)
	v_max_f32_e32 v30, v2, v2
	v_max_f32_e32 v125, v28, v28
	v_max_f32_e32 v28, v3, v3
	v_max_f32_e32 v72, v4, v4
	ds_read_b128 v[14:17], v208 offset:4608
	v_max_f32_e32 v73, v5, v5
	ds_read_b128 v[2:5], v208 offset:4736
	v_max_f32_e32 v58, v27, v27
	v_max_f32_e32 v60, v23, v23
	;; [unrolled: 1-line block ×4, first 2 shown]
	s_waitcnt lgkmcnt(0)
	v_max_f32_e32 v50, v2, v2
	v_max_f32_e32 v51, v3, v3
	;; [unrolled: 1-line block ×10, first 2 shown]
	v_min_f32_e32 v46, v50, v52
	v_min_f32_e32 v47, v51, v9
	;; [unrolled: 1-line block ×10, first 2 shown]
	v_max_f32_e32 v124, v29, v29
	v_max_f32_e32 v66, v32, v32
	v_max_f32_e32 v67, v33, v33
	v_max_f32_e32 v126, v25, v25
	v_max_f32_e32 v127, v24, v24
	v_max_f32_e32 v68, v36, v36
	v_max_f32_e32 v76, v12, v12
	v_max_f32_e32 v77, v13, v13
	v_max_f32_e32 v78, v16, v16
	v_max_f32_e32 v79, v17, v17
	v_max_f32_e32 v110, v4, v4
	v_max_f32_e32 v111, v5, v5
	v_max_f32_e32 v128, v20, v20
	v_max_f32_e32 v129, v21, v21
	v_min_f32_e32 v2, v26, v52
	v_min_f32_e32 v3, v27, v9
	;; [unrolled: 1-line block ×41, first 2 shown]
	v_pk_add_f32 v[50:51], v[50:51], 0 op_sel_hi:[1,0]
	v_min_f32_e32 v57, v105, v104
	v_min_f32_e32 v56, v107, v106
	v_pk_add_f32 v[88:89], v[56:57], v[50:51]
	v_pk_add_f32 v[50:51], v[52:53], 0 op_sel_hi:[1,0]
	v_min_f32_e32 v53, v105, v108
	v_min_f32_e32 v52, v107, v109
	v_pk_add_f32 v[74:75], v[52:53], v[50:51]
	v_pk_add_f32 v[50:51], v[54:55], 0 op_sel_hi:[1,0]
	v_min_f32_e32 v53, v105, v124
	v_min_f32_e32 v52, v107, v125
	v_max_f32_e32 v69, v37, v37
	v_min_f32_e32 v31, v39, v9
	v_min_f32_e32 v35, v39, v58
	;; [unrolled: 1-line block ×10, first 2 shown]
	v_pk_add_f32 v[60:61], v[52:53], v[50:51]
	v_pk_add_f32 v[2:3], v[2:3], 0 op_sel_hi:[1,0]
	v_min_f32_e32 v50, v66, v106
	v_min_f32_e32 v51, v67, v104
	v_pk_add_f32 v[122:123], v[50:51], v[2:3]
	v_pk_add_f32 v[2:3], v[4:5], 0 op_sel_hi:[1,0]
	v_min_f32_e32 v4, v66, v109
	v_min_f32_e32 v5, v67, v108
	;; [unrolled: 4-line block ×3, first 2 shown]
	v_min_f32_e32 v81, v71, v9
	v_min_f32_e32 v98, v70, v59
	;; [unrolled: 1-line block ×3, first 2 shown]
	v_pk_add_f32 v[70:71], v[4:5], v[2:3]
	v_min_f32_e32 v3, v67, v126
	v_min_f32_e32 v2, v66, v127
	v_pk_add_f32 v[4:5], v[12:13], 0 op_sel_hi:[1,0]
	s_load_dword s28, s[0:1], 0x8
	v_pk_add_f32 v[56:57], v[2:3], v[4:5]
	v_pk_add_f32 v[2:3], v[14:15], 0 op_sel_hi:[1,0]
	v_min_f32_e32 v4, v68, v106
	v_min_f32_e32 v5, v69, v104
	v_pk_add_f32 v[120:121], v[4:5], v[2:3]
	v_pk_add_f32 v[2:3], v[16:17], 0 op_sel_hi:[1,0]
	v_min_f32_e32 v4, v68, v109
	v_min_f32_e32 v5, v69, v108
	;; [unrolled: 4-line block ×3, first 2 shown]
	v_pk_add_f32 v[66:67], v[4:5], v[2:3]
	v_min_f32_e32 v3, v69, v126
	v_min_f32_e32 v2, v68, v127
	v_pk_add_f32 v[4:5], v[20:21], 0 op_sel_hi:[1,0]
	s_waitcnt lgkmcnt(0)
	s_cmp_lt_i32 s28, 9
	v_pk_add_f32 v[50:51], v[2:3], v[4:5]
	v_pk_add_f32 v[2:3], v[22:23], 0 op_sel_hi:[1,0]
	v_min_f32_e32 v4, v72, v106
	v_min_f32_e32 v5, v73, v104
	v_pk_add_f32 v[118:119], v[4:5], v[2:3]
	v_pk_add_f32 v[2:3], v[24:25], 0 op_sel_hi:[1,0]
	v_min_f32_e32 v4, v72, v109
	v_min_f32_e32 v5, v73, v108
	;; [unrolled: 4-line block ×3, first 2 shown]
	v_pk_add_f32 v[68:69], v[4:5], v[2:3]
	v_min_f32_e32 v3, v73, v126
	v_min_f32_e32 v2, v72, v127
	v_pk_add_f32 v[4:5], v[28:29], 0 op_sel_hi:[1,0]
	ds_write2st64_b32 v210, v0, v1 offset0:8 offset1:12
	ds_write_b32 v210, v8 offset:5120
	v_pk_add_f32 v[52:53], v[2:3], v[4:5]
	v_pk_add_f32 v[2:3], v[30:31], 0 op_sel_hi:[1,0]
	v_min_f32_e32 v4, v76, v106
	v_min_f32_e32 v5, v77, v104
	v_pk_add_f32 v[116:117], v[4:5], v[2:3]
	v_pk_add_f32 v[2:3], v[32:33], 0 op_sel_hi:[1,0]
	v_min_f32_e32 v4, v76, v109
	v_min_f32_e32 v5, v77, v108
	;; [unrolled: 4-line block ×3, first 2 shown]
	v_pk_add_f32 v[72:73], v[4:5], v[2:3]
	v_min_f32_e32 v3, v77, v126
	v_min_f32_e32 v2, v76, v127
	v_pk_add_f32 v[4:5], v[36:37], 0 op_sel_hi:[1,0]
	s_waitcnt lgkmcnt(0)
	v_pk_add_f32 v[54:55], v[2:3], v[4:5]
	v_pk_add_f32 v[2:3], v[38:39], 0 op_sel_hi:[1,0]
	v_min_f32_e32 v4, v78, v106
	v_min_f32_e32 v5, v79, v104
	v_pk_add_f32 v[114:115], v[4:5], v[2:3]
	v_pk_add_f32 v[2:3], v[40:41], 0 op_sel_hi:[1,0]
	v_min_f32_e32 v4, v78, v109
	v_min_f32_e32 v5, v79, v108
	;; [unrolled: 4-line block ×3, first 2 shown]
	v_pk_add_f32 v[76:77], v[4:5], v[2:3]
	v_min_f32_e32 v3, v79, v126
	v_min_f32_e32 v2, v78, v127
	v_pk_add_f32 v[4:5], v[44:45], 0 op_sel_hi:[1,0]
	s_barrier
	v_pk_add_f32 v[58:59], v[2:3], v[4:5]
	v_pk_add_f32 v[2:3], v[46:47], 0 op_sel_hi:[1,0]
	v_min_f32_e32 v4, v110, v106
	v_min_f32_e32 v5, v111, v104
	v_pk_add_f32 v[112:113], v[4:5], v[2:3]
	v_pk_add_f32 v[2:3], v[48:49], 0 op_sel_hi:[1,0]
	v_min_f32_e32 v4, v110, v109
	v_min_f32_e32 v5, v111, v108
	;; [unrolled: 4-line block ×3, first 2 shown]
	v_pk_add_f32 v[78:79], v[4:5], v[2:3]
	v_min_f32_e32 v3, v111, v126
	v_min_f32_e32 v2, v110, v127
	v_pk_add_f32 v[4:5], v[64:65], 0 op_sel_hi:[1,0]
	s_nop 0
	v_pk_add_f32 v[62:63], v[2:3], v[4:5]
	v_min_f32_e32 v2, v128, v106
	v_min_f32_e32 v3, v129, v104
	v_pk_add_f32 v[4:5], v[80:81], 0 op_sel_hi:[1,0]
	s_nop 0
	;; [unrolled: 5-line block ×6, first 2 shown]
	v_pk_add_f32 v[48:49], v[2:3], v[4:5]
	s_cbranch_scc1 .LBB90_31
; %bb.18:
	v_mov_b32_e32 v0, 0x1400
	v_lshl_add_u32 v215, v206, 4, v0
	v_mov_b32_e32 v0, 0x800
	v_add_u32_e32 v2, 12, v6
	v_lshl_add_u32 v216, v207, 4, v0
	v_mad_i64_i32 v[0:1], s[14:15], v2, s24, 0
	v_lshlrev_b64 v[98:99], 2, v[0:1]
	v_add_u32_e32 v0, s27, v7
	v_ashrrev_i32_e32 v1, 31, v0
	v_lshl_add_u64 v[100:101], v[0:1], 2, s[20:21]
	v_mad_i64_i32 v[0:1], s[20:21], v2, s22, 0
	v_lshlrev_b64 v[102:103], 2, v[0:1]
	v_lshl_or_b32 v0, s2, 6, v7
	s_lshl_b32 s2, s3, 6
	v_subrev_u32_e32 v0, s2, v0
	v_ashrrev_i32_e32 v1, 31, v0
	v_add_u32_e32 v2, 8, v6
	v_lshl_add_u64 v[104:105], v[0:1], 2, s[18:19]
	v_mad_i64_i32 v[0:1], s[18:19], v2, s24, 0
	v_lshlrev_b64 v[106:107], 2, v[0:1]
	v_mad_i64_i32 v[0:1], s[18:19], v2, s22, 0
	v_or_b32_e32 v211, 0x1000, v210
	v_add_u32_e32 v212, 0x1000, v208
	v_add_u32_e32 v213, 0x1400, v210
	v_or_b32_e32 v214, 0x800, v210
	s_add_i32 s28, s28, -8
	s_mov_b32 s13, s12
	s_lshl_b64 s[14:15], s[24:25], 5
	s_lshl_b64 s[2:3], s[22:23], 5
	v_lshlrev_b64 v[108:109], 2, v[0:1]
	s_mov_b32 s18, 0
	s_branch .LBB90_21
.LBB90_19:                              ;   in Loop: Header=BB90_21 Depth=1
	v_lshl_add_u64 v[16:17], v[100:101], 0, v[98:99]
	flat_load_dword v218, v[16:17]
	flat_load_dword v219, v[16:17] offset:256
	s_waitcnt vmcnt(0) lgkmcnt(0)
	v_pk_mul_f32 v[16:17], s[12:13], v[218:219]
.LBB90_20:                              ;   in Loop: Header=BB90_21 Depth=1
	v_pk_add_f32 v[40:41], v[40:41], v[88:89]
	v_pk_add_f32 v[32:33], v[32:33], v[60:61]
	;; [unrolled: 1-line block ×32, first 2 shown]
	ds_read_b128 v[0:3], v209
	ds_read_b128 v[8:11], v209 offset:512
	v_pk_add_f32 v[22:23], v[6:7], v[80:81]
	ds_read_b128 v[4:7], v212 offset:896
	ds_read_b128 v[12:15], v212 offset:768
	;; [unrolled: 1-line block ×4, first 2 shown]
	v_pk_add_f32 v[88:89], v[132:133], v[68:69]
	v_pk_add_f32 v[90:91], v[140:141], v[90:91]
	;; [unrolled: 1-line block ×6, first 2 shown]
	ds_read_b128 v[88:91], v212
	v_pk_add_f32 v[36:37], v[36:37], v[74:75]
	v_pk_add_f32 v[116:117], v[142:143], v[116:117]
	;; [unrolled: 1-line block ×9, first 2 shown]
	s_waitcnt lgkmcnt(4)
	v_max_f32_e32 v117, v5, v5
	v_max_f32_e32 v119, v4, v4
	;; [unrolled: 1-line block ×4, first 2 shown]
	s_waitcnt lgkmcnt(1)
	v_max_f32_e32 v122, v85, v85
	v_max_f32_e32 v123, v84, v84
	v_min_f32_e32 v5, v117, v120
	v_min_f32_e32 v4, v119, v121
	;; [unrolled: 1-line block ×4, first 2 shown]
	v_max_f32_e32 v116, v1, v1
	v_max_f32_e32 v118, v0, v0
	v_pk_add_f32 v[4:5], v[4:5], v[78:79]
	v_pk_add_f32 v[8:9], v[8:9], v[76:77]
	ds_read_b128 v[76:79], v212 offset:128
	s_waitcnt lgkmcnt(1)
	v_max_f32_e32 v88, v88, v88
	v_max_f32_e32 v89, v89, v89
	v_min_f32_e32 v84, v88, v118
	v_min_f32_e32 v85, v89, v116
	v_pk_add_f32 v[92:93], v[146:147], v[92:93]
	v_pk_add_f32 v[84:85], v[84:85], v[70:71]
	v_min_f32_e32 v70, v88, v121
	v_min_f32_e32 v71, v89, v120
	v_pk_add_f32 v[94:95], v[152:153], v[94:95]
	v_pk_add_f32 v[40:41], v[186:187], v[92:93]
	;; [unrolled: 1-line block ×3, first 2 shown]
	v_min_f32_e32 v70, v88, v123
	v_min_f32_e32 v71, v89, v122
	v_pk_add_f32 v[32:33], v[196:197], v[94:95]
	v_pk_add_f32 v[94:95], v[70:71], v[74:75]
	v_max_f32_e32 v74, v81, v81
	v_max_f32_e32 v75, v80, v80
	v_pk_add_f32 v[68:69], v[26:27], v[24:25]
	v_min_f32_e32 v71, v89, v74
	v_min_f32_e32 v70, v88, v75
	s_waitcnt lgkmcnt(0)
	v_max_f32_e32 v72, v76, v76
	v_max_f32_e32 v73, v77, v77
	v_pk_add_f32 v[68:69], v[70:71], v[68:69]
	v_min_f32_e32 v70, v72, v118
	v_min_f32_e32 v71, v73, v116
	v_pk_add_f32 v[76:77], v[70:71], v[62:63]
	v_min_f32_e32 v62, v72, v121
	v_min_f32_e32 v63, v73, v120
	;; [unrolled: 3-line block ×3, first 2 shown]
	v_pk_add_f32 v[66:67], v[62:63], v[66:67]
	ds_read_b128 v[62:65], v212 offset:256
	v_pk_add_f32 v[96:97], v[158:159], v[96:97]
	v_min_f32_e32 v71, v73, v74
	v_min_f32_e32 v70, v72, v75
	v_pk_add_f32 v[24:25], v[202:203], v[96:97]
	v_pk_add_f32 v[96:97], v[70:71], v[60:61]
	ds_read_b128 v[70:73], v212 offset:384
	s_waitcnt lgkmcnt(1)
	v_max_f32_e32 v62, v62, v62
	v_max_f32_e32 v63, v63, v63
	v_min_f32_e32 v60, v62, v118
	v_min_f32_e32 v61, v63, v116
	v_pk_add_f32 v[110:111], v[160:161], v[110:111]
	v_pk_add_f32 v[54:55], v[60:61], v[54:55]
	v_min_f32_e32 v60, v62, v121
	v_min_f32_e32 v61, v63, v120
	v_pk_add_f32 v[52:53], v[138:139], v[52:53]
	v_pk_add_f32 v[26:27], v[204:205], v[110:111]
	;; [unrolled: 1-line block ×3, first 2 shown]
	v_min_f32_e32 v56, v62, v123
	v_min_f32_e32 v57, v63, v122
	v_pk_add_f32 v[52:53], v[178:179], v[52:53]
	v_pk_add_f32 v[58:59], v[56:57], v[58:59]
	v_min_f32_e32 v57, v63, v74
	v_min_f32_e32 v56, v62, v75
	s_waitcnt lgkmcnt(0)
	v_max_f32_e32 v60, v70, v70
	v_max_f32_e32 v61, v71, v71
	v_pk_add_f32 v[112:113], v[154:155], v[112:113]
	v_pk_add_f32 v[52:53], v[56:57], v[52:53]
	v_min_f32_e32 v56, v60, v118
	v_min_f32_e32 v57, v61, v116
	v_pk_add_f32 v[114:115], v[148:149], v[114:115]
	v_pk_add_f32 v[30:31], v[198:199], v[112:113]
	;; [unrolled: 1-line block ×3, first 2 shown]
	v_min_f32_e32 v46, v60, v121
	v_min_f32_e32 v47, v61, v120
	v_pk_add_f32 v[38:39], v[188:189], v[114:115]
	v_pk_add_f32 v[114:115], v[46:47], v[48:49]
	v_min_f32_e32 v46, v60, v123
	v_min_f32_e32 v47, v61, v122
	v_pk_add_f32 v[18:19], v[194:195], v[124:125]
	v_pk_add_f32 v[124:125], v[46:47], v[50:51]
	ds_read_b128 v[46:49], v212 offset:512
	v_min_f32_e32 v51, v61, v74
	v_min_f32_e32 v50, v60, v75
	ds_read_b128 v[60:63], v212 offset:640
	v_pk_add_f32 v[44:45], v[50:51], v[44:45]
	s_waitcnt lgkmcnt(1)
	v_max_f32_e32 v50, v46, v46
	v_max_f32_e32 v51, v47, v47
	v_min_f32_e32 v46, v50, v118
	v_min_f32_e32 v47, v51, v116
	v_pk_add_f32 v[38:39], v[46:47], v[38:39]
	v_min_f32_e32 v46, v50, v121
	v_min_f32_e32 v47, v51, v120
	v_pk_add_f32 v[40:41], v[46:47], v[40:41]
	;; [unrolled: 3-line block ×3, first 2 shown]
	v_min_f32_e32 v47, v51, v74
	v_min_f32_e32 v46, v50, v75
	s_waitcnt lgkmcnt(0)
	v_max_f32_e32 v50, v60, v60
	v_max_f32_e32 v51, v61, v61
	v_pk_add_f32 v[36:37], v[46:47], v[36:37]
	v_min_f32_e32 v46, v50, v118
	v_min_f32_e32 v47, v51, v116
	v_pk_add_f32 v[30:31], v[46:47], v[30:31]
	v_min_f32_e32 v46, v50, v121
	v_min_f32_e32 v47, v51, v120
	;; [unrolled: 3-line block ×4, first 2 shown]
	v_pk_add_f32 v[28:29], v[46:47], v[28:29]
	v_max_f32_e32 v46, v12, v12
	v_max_f32_e32 v47, v13, v13
	v_min_f32_e32 v12, v46, v118
	v_min_f32_e32 v13, v47, v116
	v_pk_add_f32 v[12:13], v[12:13], v[26:27]
	v_min_f32_e32 v26, v46, v121
	v_min_f32_e32 v27, v47, v120
	v_pk_add_f32 v[24:25], v[26:27], v[24:25]
	v_min_f32_e32 v26, v46, v123
	v_min_f32_e32 v27, v47, v122
	v_pk_add_f32 v[20:21], v[26:27], v[20:21]
	v_min_f32_e32 v27, v47, v74
	v_min_f32_e32 v26, v46, v75
	v_pk_add_f32 v[22:23], v[26:27], v[22:23]
	v_min_f32_e32 v27, v117, v74
	v_min_f32_e32 v26, v119, v75
	;; [unrolled: 1-line block ×4, first 2 shown]
	v_pk_add_f32 v[18:19], v[26:27], v[18:19]
	v_max_f32_e32 v26, v3, v3
	v_max_f32_e32 v7, v7, v7
	;; [unrolled: 1-line block ×4, first 2 shown]
	v_pk_add_f32 v[0:1], v[0:1], v[126:127]
	v_min_f32_e32 v3, v7, v26
	v_min_f32_e32 v2, v6, v27
	v_pk_add_f32 v[88:89], v[2:3], v[0:1]
	v_max_f32_e32 v2, v11, v11
	v_max_f32_e32 v3, v10, v10
	v_min_f32_e32 v1, v7, v2
	v_min_f32_e32 v0, v6, v3
	v_pk_add_f32 v[74:75], v[0:1], v[4:5]
	v_max_f32_e32 v4, v87, v87
	v_max_f32_e32 v5, v86, v86
	;; [unrolled: 5-line block ×3, first 2 shown]
	v_min_f32_e32 v0, v8, v27
	v_min_f32_e32 v1, v9, v26
	v_pk_add_f32 v[122:123], v[0:1], v[84:85]
	v_min_f32_e32 v0, v8, v3
	v_min_f32_e32 v1, v9, v2
	v_pk_add_f32 v[86:87], v[0:1], v[92:93]
	v_min_f32_e32 v0, v8, v5
	v_min_f32_e32 v1, v9, v4
	v_max_f32_e32 v10, v83, v83
	v_pk_add_f32 v[70:71], v[0:1], v[94:95]
	v_min_f32_e32 v1, v9, v10
	v_max_f32_e32 v9, v82, v82
	v_min_f32_e32 v0, v8, v9
	v_max_f32_e32 v8, v78, v78
	v_max_f32_e32 v11, v79, v79
	v_pk_add_f32 v[56:57], v[0:1], v[68:69]
	v_min_f32_e32 v0, v8, v27
	v_min_f32_e32 v1, v11, v26
	v_pk_add_f32 v[120:121], v[0:1], v[76:77]
	v_min_f32_e32 v0, v8, v3
	v_min_f32_e32 v1, v11, v2
	v_pk_add_f32 v[82:83], v[0:1], v[80:81]
	v_min_f32_e32 v0, v8, v5
	v_min_f32_e32 v1, v11, v4
	v_pk_add_f32 v[66:67], v[0:1], v[66:67]
	v_min_f32_e32 v1, v11, v10
	v_min_f32_e32 v0, v8, v9
	v_max_f32_e32 v8, v64, v64
	v_max_f32_e32 v11, v65, v65
	v_pk_add_f32 v[50:51], v[0:1], v[96:97]
	v_min_f32_e32 v0, v8, v27
	v_min_f32_e32 v1, v11, v26
	v_pk_add_f32 v[118:119], v[0:1], v[54:55]
	v_min_f32_e32 v0, v8, v3
	v_min_f32_e32 v1, v11, v2
	v_pk_add_f32 v[84:85], v[0:1], v[110:111]
	v_min_f32_e32 v0, v8, v5
	v_min_f32_e32 v1, v11, v4
	v_pk_add_f32 v[68:69], v[0:1], v[58:59]
	v_min_f32_e32 v1, v11, v10
	v_min_f32_e32 v0, v8, v9
	v_max_f32_e32 v8, v72, v72
	v_max_f32_e32 v11, v73, v73
	v_pk_add_f32 v[52:53], v[0:1], v[52:53]
	v_min_f32_e32 v0, v8, v27
	v_min_f32_e32 v1, v11, v26
	v_pk_add_f32 v[116:117], v[0:1], v[112:113]
	v_min_f32_e32 v0, v8, v3
	v_min_f32_e32 v1, v11, v2
	v_pk_add_f32 v[90:91], v[0:1], v[114:115]
	v_min_f32_e32 v0, v8, v5
	v_min_f32_e32 v1, v11, v4
	v_pk_add_f32 v[72:73], v[0:1], v[124:125]
	v_min_f32_e32 v1, v11, v10
	v_min_f32_e32 v0, v8, v9
	v_max_f32_e32 v8, v48, v48
	v_max_f32_e32 v11, v49, v49
	v_pk_add_f32 v[54:55], v[0:1], v[44:45]
	v_min_f32_e32 v0, v8, v27
	v_min_f32_e32 v1, v11, v26
	v_pk_add_f32 v[114:115], v[0:1], v[38:39]
	v_min_f32_e32 v0, v8, v3
	v_min_f32_e32 v1, v11, v2
	v_pk_add_f32 v[92:93], v[0:1], v[40:41]
	v_min_f32_e32 v0, v8, v5
	v_min_f32_e32 v1, v11, v4
	v_pk_add_f32 v[76:77], v[0:1], v[42:43]
	v_min_f32_e32 v1, v11, v10
	v_min_f32_e32 v0, v8, v9
	v_max_f32_e32 v8, v62, v62
	v_max_f32_e32 v11, v63, v63
	v_pk_add_f32 v[58:59], v[0:1], v[36:37]
	v_min_f32_e32 v0, v8, v27
	v_min_f32_e32 v1, v11, v26
	v_pk_add_f32 v[112:113], v[0:1], v[30:31]
	v_min_f32_e32 v0, v8, v3
	v_min_f32_e32 v1, v11, v2
	v_pk_add_f32 v[94:95], v[0:1], v[32:33]
	v_min_f32_e32 v0, v8, v5
	v_min_f32_e32 v1, v11, v4
	v_pk_add_f32 v[78:79], v[0:1], v[34:35]
	v_min_f32_e32 v1, v11, v10
	v_min_f32_e32 v0, v8, v9
	v_max_f32_e32 v8, v14, v14
	v_max_f32_e32 v11, v15, v15
	v_pk_add_f32 v[62:63], v[0:1], v[28:29]
	v_min_f32_e32 v0, v8, v27
	v_min_f32_e32 v1, v11, v26
	v_pk_add_f32 v[110:111], v[0:1], v[12:13]
	v_min_f32_e32 v0, v8, v3
	v_min_f32_e32 v1, v11, v2
	v_pk_add_f32 v[96:97], v[0:1], v[24:25]
	v_min_f32_e32 v0, v8, v5
	v_min_f32_e32 v1, v11, v4
	v_pk_add_f32 v[80:81], v[0:1], v[20:21]
	v_min_f32_e32 v1, v11, v10
	v_min_f32_e32 v0, v8, v9
	v_pk_add_f32 v[64:65], v[0:1], v[22:23]
	v_min_f32_e32 v1, v7, v10
	v_min_f32_e32 v0, v6, v9
	s_add_i32 s18, s18, 8
	v_pk_add_f32 v[48:49], v[0:1], v[18:19]
	v_lshl_add_u64 v[100:101], v[100:101], 0, s[14:15]
	s_cmp_ge_i32 s18, s28
	v_lshl_add_u64 v[104:105], v[104:105], 0, s[2:3]
	ds_write_b32 v213, v217
	ds_write2st64_b32 v214, v16, v17 offset1:4
	s_waitcnt lgkmcnt(0)
	s_barrier
	s_cbranch_scc1 .LBB90_31
.LBB90_21:                              ; =>This Inner Loop Header: Depth=1
	s_and_b64 vcc, exec, s[4:5]
	s_cbranch_vccnz .LBB90_24
; %bb.22:                               ;   in Loop: Header=BB90_21 Depth=1
	v_lshl_add_u64 v[0:1], v[104:105], 0, v[108:109]
	flat_load_dword v0, v[0:1]
	s_waitcnt vmcnt(0) lgkmcnt(0)
	v_mul_f32_e32 v126, s12, v0
	s_and_b64 vcc, exec, s[4:5]
	s_cbranch_vccnz .LBB90_25
.LBB90_23:                              ;   in Loop: Header=BB90_21 Depth=1
	v_lshl_add_u64 v[0:1], v[100:101], 0, v[106:107]
	flat_load_dword v2, v[0:1]
	flat_load_dword v3, v[0:1] offset:256
	s_waitcnt vmcnt(0) lgkmcnt(0)
	v_pk_mul_f32 v[124:125], s[12:13], v[2:3]
	s_branch .LBB90_26
.LBB90_24:                              ;   in Loop: Header=BB90_21 Depth=1
	v_mov_b32_e32 v126, 0
	s_and_b64 vcc, exec, s[4:5]
	s_cbranch_vccz .LBB90_23
.LBB90_25:                              ;   in Loop: Header=BB90_21 Depth=1
	v_mov_b32_e32 v124, 0
	v_mov_b32_e32 v125, 0
.LBB90_26:                              ;   in Loop: Header=BB90_21 Depth=1
	ds_read_b128 v[40:43], v216
	ds_read_b128 v[36:39], v216 offset:512
	ds_read_b128 v[24:27], v216 offset:1536
	ds_read_b128 v[32:35], v216 offset:1024
	ds_read_b128 v[28:31], v215
	ds_read_b128 v[20:23], v215 offset:128
	ds_read_b128 v[16:19], v215 offset:256
	;; [unrolled: 1-line block ×7, first 2 shown]
	s_and_b64 vcc, exec, s[4:5]
	ds_write_b32 v211, v126
	ds_write2st64_b32 v210, v124, v125 offset1:4
	s_waitcnt lgkmcnt(0)
	s_barrier
	s_cbranch_vccnz .LBB90_28
; %bb.27:                               ;   in Loop: Header=BB90_21 Depth=1
	v_lshl_add_u64 v[124:125], v[104:105], 0, v[102:103]
	flat_load_dword v124, v[124:125]
	s_waitcnt vmcnt(0) lgkmcnt(0)
	v_mul_f32_e32 v217, s12, v124
	s_branch .LBB90_29
.LBB90_28:                              ;   in Loop: Header=BB90_21 Depth=1
	v_mov_b32_e32 v217, 0
.LBB90_29:                              ;   in Loop: Header=BB90_21 Depth=1
	v_max_f32_e32 v158, v41, v41
	v_max_f32_e32 v159, v40, v40
	v_max_f32_e32 v162, v37, v37
	v_max_f32_e32 v163, v36, v36
	v_max_f32_e32 v165, v33, v33
	v_max_f32_e32 v167, v32, v32
	v_max_f32_e32 v168, v25, v25
	v_max_f32_e32 v169, v24, v24
	v_max_f32_e32 v16, v16, v16
	v_max_f32_e32 v17, v17, v17
	v_min_f32_e32 v136, v16, v159
	v_min_f32_e32 v137, v17, v158
	v_min_f32_e32 v134, v16, v163
	v_min_f32_e32 v135, v17, v162
	v_min_f32_e32 v132, v16, v167
	v_min_f32_e32 v133, v17, v165
	v_min_f32_e32 v139, v17, v168
	v_min_f32_e32 v138, v16, v169
	v_max_f32_e32 v16, v12, v12
	v_max_f32_e32 v17, v13, v13
	v_min_f32_e32 v142, v16, v159
	v_min_f32_e32 v143, v17, v158
	v_min_f32_e32 v140, v16, v163
	v_min_f32_e32 v141, v17, v162
	v_min_f32_e32 v12, v16, v167
	v_min_f32_e32 v13, v17, v165
	v_min_f32_e32 v145, v17, v168
	v_min_f32_e32 v144, v16, v169
	v_max_f32_e32 v16, v8, v8
	v_max_f32_e32 v17, v9, v9
	;; [unrolled: 10-line block ×3, first 2 shown]
	v_max_f32_e32 v164, v45, v45
	v_max_f32_e32 v166, v44, v44
	;; [unrolled: 1-line block ×6, first 2 shown]
	v_min_f32_e32 v154, v16, v159
	v_min_f32_e32 v155, v17, v158
	;; [unrolled: 1-line block ×8, first 2 shown]
	v_max_f32_e32 v16, v0, v0
	v_max_f32_e32 v17, v1, v1
	v_min_f32_e32 v41, v164, v158
	v_min_f32_e32 v40, v166, v159
	;; [unrolled: 1-line block ×17, first 2 shown]
	v_max_f32_e32 v16, v43, v43
	v_max_f32_e32 v194, v42, v42
	;; [unrolled: 1-line block ×10, first 2 shown]
	v_min_f32_e32 v36, v166, v163
	v_min_f32_e32 v33, v164, v165
	;; [unrolled: 1-line block ×14, first 2 shown]
	v_max_f32_e32 v17, v47, v47
	v_max_f32_e32 v218, v46, v46
	;; [unrolled: 1-line block ×12, first 2 shown]
	v_min_f32_e32 v198, v6, v194
	v_min_f32_e32 v199, v7, v16
	;; [unrolled: 1-line block ×8, first 2 shown]
	v_max_f32_e32 v6, v2, v2
	v_max_f32_e32 v7, v3, v3
	v_min_f32_e32 v32, v166, v167
	v_min_f32_e32 v43, v17, v16
	;; [unrolled: 1-line block ×56, first 2 shown]
	s_and_b64 vcc, exec, s[4:5]
	v_min_f32_e32 v194, v218, v222
	s_cbranch_vccz .LBB90_19
; %bb.30:                               ;   in Loop: Header=BB90_21 Depth=1
	v_mov_b32_e32 v16, 0
	v_mov_b32_e32 v17, 0
	s_branch .LBB90_20
.LBB90_31:
	s_load_dword s12, s[0:1], 0x58
	ds_read_b128 v[40:43], v209 offset:2048
	ds_read_b128 v[44:47], v208 offset:5120
	v_add_u32_e32 v102, s27, v207
	v_cmp_neq_f32_e64 s[4:5], s17, 0
	v_add_u32_e32 v98, s26, v206
	s_waitcnt lgkmcnt(0)
	v_mad_i64_i32 v[0:1], s[2:3], v102, s12, 0
	v_ashrrev_i32_e32 v99, 31, v98
	v_lshl_add_u64 v[100:101], v[0:1], 2, s[8:9]
	s_and_b64 vcc, exec, s[4:5]
	v_mov_b32_e32 v105, 0
	v_mov_b32_e32 v104, 0
	s_cbranch_vccz .LBB90_33
; %bb.32:
	v_lshl_add_u64 v[0:1], v[98:99], 2, v[100:101]
	flat_load_dword v0, v[0:1]
	s_waitcnt vmcnt(0) lgkmcnt(0)
	v_mul_f32_e32 v104, s17, v0
.LBB90_33:
	ds_read_b128 v[12:15], v208 offset:6016
	ds_read_b128 v[0:3], v209 offset:3584
	ds_read_b128 v[8:11], v209 offset:2560
	ds_read_b128 v[4:7], v209 offset:3072
	ds_read_b128 v[36:39], v208 offset:5248
	ds_read_b128 v[32:35], v208 offset:5376
	s_load_dword s13, s[0:1], 0x70
	s_load_dwordx2 s[2:3], s[0:1], 0x78
	v_max_f32_e32 v124, v40, v40
	v_max_f32_e32 v44, v44, v44
	;; [unrolled: 1-line block ×4, first 2 shown]
	ds_read_b128 v[28:31], v208 offset:5504
	ds_read_b128 v[24:27], v208 offset:5632
	;; [unrolled: 1-line block ×4, first 2 shown]
	s_waitcnt lgkmcnt(0)
	s_mul_i32 s0, s16, s3
	s_mul_hi_u32 s1, s16, s2
	v_min_f32_e32 v40, v44, v124
	v_min_f32_e32 v41, v103, v125
	s_add_i32 s1, s1, s0
	s_mul_i32 s0, s16, s2
	v_pk_add_f32 v[40:41], v[40:41], v[122:123]
	v_max_f32_e32 v122, v42, v42
	v_max_f32_e32 v45, v46, v46
	;; [unrolled: 1-line block ×4, first 2 shown]
	s_lshl_b64 s[0:1], s[0:1], 2
	v_min_f32_e32 v42, v45, v122
	v_min_f32_e32 v43, v46, v123
	s_add_u32 s2, s10, s0
	v_pk_add_f32 v[106:107], v[42:43], v[40:41]
	s_addc_u32 s3, s11, s1
	v_mad_i64_i32 v[42:43], s[0:1], v102, s13, 0
	v_add_f32_e32 v47, v106, v107
	v_add_u32_e32 v40, 8, v98
	v_lshl_add_u64 v[42:43], v[42:43], 2, s[2:3]
	v_add_f32_e32 v47, v47, v104
	v_cndmask_b32_e64 v104, 0, 1, s[4:5]
	v_ashrrev_i32_e32 v41, 31, v40
	v_lshl_add_u64 v[106:107], v[98:99], 2, v[42:43]
	v_cmp_ne_u32_e64 s[0:1], 1, v104
	s_andn2_b64 vcc, exec, s[4:5]
	global_store_dword v[106:107], v47, off
	s_cbranch_vccnz .LBB90_35
; %bb.34:
	v_lshl_add_u64 v[104:105], v[40:41], 2, v[100:101]
	flat_load_dword v47, v[104:105]
	s_waitcnt vmcnt(0) lgkmcnt(0)
	v_mul_f32_e32 v105, s17, v47
.LBB90_35:
	v_max_f32_e32 v47, v36, v36
	v_max_f32_e32 v104, v37, v37
	v_min_f32_e32 v36, v47, v124
	v_min_f32_e32 v37, v104, v125
	v_max_f32_e32 v38, v38, v38
	v_max_f32_e32 v39, v39, v39
	v_pk_add_f32 v[36:37], v[36:37], v[120:121]
	v_min_f32_e32 v106, v38, v122
	v_min_f32_e32 v107, v39, v123
	v_pk_add_f32 v[36:37], v[106:107], v[36:37]
	s_and_b64 vcc, exec, s[0:1]
	v_add_f32_e32 v106, v36, v37
	v_add_u32_e32 v36, 16, v98
	v_add_f32_e32 v105, v106, v105
	v_lshl_add_u64 v[106:107], v[40:41], 2, v[42:43]
	v_ashrrev_i32_e32 v37, 31, v36
	global_store_dword v[106:107], v105, off
	v_mov_b32_e32 v109, 0
	v_mov_b32_e32 v107, 0
	s_cbranch_vccnz .LBB90_37
; %bb.36:
	v_lshl_add_u64 v[106:107], v[36:37], 2, v[100:101]
	flat_load_dword v105, v[106:107]
	s_waitcnt vmcnt(0) lgkmcnt(0)
	v_mul_f32_e32 v107, s17, v105
.LBB90_37:
	v_max_f32_e32 v105, v32, v32
	v_max_f32_e32 v106, v33, v33
	v_min_f32_e32 v32, v105, v124
	v_min_f32_e32 v33, v106, v125
	v_max_f32_e32 v34, v34, v34
	v_max_f32_e32 v35, v35, v35
	v_pk_add_f32 v[32:33], v[32:33], v[118:119]
	v_min_f32_e32 v118, v34, v122
	v_min_f32_e32 v119, v35, v123
	v_pk_add_f32 v[32:33], v[118:119], v[32:33]
	v_lshl_add_u64 v[118:119], v[36:37], 2, v[42:43]
	v_add_f32_e32 v108, v32, v33
	v_add_u32_e32 v32, 24, v98
	v_ashrrev_i32_e32 v33, 31, v32
	v_add_f32_e32 v107, v108, v107
	s_and_b64 vcc, exec, s[0:1]
	global_store_dword v[118:119], v107, off
	s_cbranch_vccnz .LBB90_39
; %bb.38:
	v_lshl_add_u64 v[108:109], v[32:33], 2, v[100:101]
	flat_load_dword v107, v[108:109]
	s_waitcnt vmcnt(0) lgkmcnt(0)
	v_mul_f32_e32 v109, s17, v107
.LBB90_39:
	v_max_f32_e32 v107, v28, v28
	v_max_f32_e32 v108, v29, v29
	v_min_f32_e32 v28, v107, v124
	v_min_f32_e32 v29, v108, v125
	v_max_f32_e32 v30, v30, v30
	v_max_f32_e32 v31, v31, v31
	v_pk_add_f32 v[28:29], v[28:29], v[116:117]
	v_min_f32_e32 v116, v30, v122
	v_min_f32_e32 v117, v31, v123
	v_pk_add_f32 v[28:29], v[116:117], v[28:29]
	s_and_b64 vcc, exec, s[0:1]
	v_add_f32_e32 v116, v28, v29
	v_add_u32_e32 v28, 32, v98
	v_add_f32_e32 v109, v116, v109
	v_lshl_add_u64 v[116:117], v[32:33], 2, v[42:43]
	v_ashrrev_i32_e32 v29, 31, v28
	global_store_dword v[116:117], v109, off
	v_mov_b32_e32 v117, 0
	v_mov_b32_e32 v118, 0
	s_cbranch_vccnz .LBB90_41
; %bb.40:
	v_lshl_add_u64 v[118:119], v[28:29], 2, v[100:101]
	flat_load_dword v109, v[118:119]
	s_waitcnt vmcnt(0) lgkmcnt(0)
	v_mul_f32_e32 v118, s17, v109
.LBB90_41:
	v_max_f32_e32 v109, v24, v24
	v_max_f32_e32 v116, v25, v25
	v_min_f32_e32 v24, v109, v124
	v_min_f32_e32 v25, v116, v125
	v_max_f32_e32 v26, v26, v26
	v_max_f32_e32 v27, v27, v27
	v_pk_add_f32 v[24:25], v[24:25], v[114:115]
	v_min_f32_e32 v114, v26, v122
	v_min_f32_e32 v115, v27, v123
	v_pk_add_f32 v[24:25], v[114:115], v[24:25]
	s_and_b64 vcc, exec, s[0:1]
	v_add_f32_e32 v114, v24, v25
	v_add_u32_e32 v24, 40, v98
	v_ashrrev_i32_e32 v25, 31, v24
	v_add_f32_e32 v118, v114, v118
	v_lshl_add_u64 v[114:115], v[28:29], 2, v[42:43]
	global_store_dword v[114:115], v118, off
	s_cbranch_vccnz .LBB90_43
; %bb.42:
	v_lshl_add_u64 v[114:115], v[24:25], 2, v[100:101]
	flat_load_dword v114, v[114:115]
	s_waitcnt vmcnt(0) lgkmcnt(0)
	v_mul_f32_e32 v117, s17, v114
.LBB90_43:
	v_max_f32_e32 v114, v20, v20
	v_max_f32_e32 v115, v21, v21
	v_min_f32_e32 v20, v114, v124
	v_min_f32_e32 v21, v115, v125
	v_max_f32_e32 v22, v22, v22
	v_max_f32_e32 v23, v23, v23
	v_pk_add_f32 v[20:21], v[20:21], v[112:113]
	v_min_f32_e32 v112, v22, v122
	v_min_f32_e32 v113, v23, v123
	v_pk_add_f32 v[20:21], v[112:113], v[20:21]
	s_and_b64 vcc, exec, s[0:1]
	v_add_f32_e32 v112, v20, v21
	v_add_u32_e32 v20, 48, v98
	v_add_f32_e32 v117, v112, v117
	v_lshl_add_u64 v[112:113], v[24:25], 2, v[42:43]
	v_ashrrev_i32_e32 v21, 31, v20
	global_store_dword v[112:113], v117, off
	v_mov_b32_e32 v117, 0
	v_mov_b32_e32 v118, 0
	s_cbranch_vccnz .LBB90_45
; %bb.44:
	v_lshl_add_u64 v[112:113], v[20:21], 2, v[100:101]
	flat_load_dword v112, v[112:113]
	s_waitcnt vmcnt(0) lgkmcnt(0)
	v_mul_f32_e32 v118, s17, v112
.LBB90_45:
	v_max_f32_e32 v112, v16, v16
	v_max_f32_e32 v113, v17, v17
	v_min_f32_e32 v16, v112, v124
	v_min_f32_e32 v17, v113, v125
	v_pk_add_f32 v[16:17], v[16:17], v[110:111]
	v_max_f32_e32 v110, v18, v18
	v_max_f32_e32 v111, v19, v19
	v_min_f32_e32 v18, v110, v122
	v_min_f32_e32 v19, v111, v123
	v_pk_add_f32 v[16:17], v[18:19], v[16:17]
	s_and_b64 vcc, exec, s[0:1]
	v_add_f32_e32 v18, v16, v17
	v_add_u32_e32 v16, 56, v98
	v_ashrrev_i32_e32 v17, 31, v16
	v_add_f32_e32 v118, v18, v118
	v_lshl_add_u64 v[18:19], v[20:21], 2, v[42:43]
	global_store_dword v[18:19], v118, off
	s_cbranch_vccnz .LBB90_47
; %bb.46:
	v_lshl_add_u64 v[18:19], v[16:17], 2, v[100:101]
	flat_load_dword v18, v[18:19]
	s_waitcnt vmcnt(0) lgkmcnt(0)
	v_mul_f32_e32 v117, s17, v18
.LBB90_47:
	v_max_f32_e32 v18, v13, v13
	v_max_f32_e32 v19, v12, v12
	v_min_f32_e32 v13, v18, v125
	v_min_f32_e32 v12, v19, v124
	v_max_f32_e32 v15, v15, v15
	v_max_f32_e32 v14, v14, v14
	v_pk_add_f32 v[12:13], v[12:13], v[88:89]
	v_min_f32_e32 v89, v15, v123
	v_min_f32_e32 v88, v14, v122
	v_pk_add_f32 v[12:13], v[88:89], v[12:13]
	v_add_u32_e32 v89, 32, v102
	v_add_f32_e32 v12, v12, v13
	v_add_f32_e32 v88, v12, v117
	v_lshl_add_u64 v[12:13], v[16:17], 2, v[42:43]
	global_store_dword v[12:13], v88, off
	v_mad_i64_i32 v[12:13], s[4:5], v89, s12, 0
	v_lshl_add_u64 v[12:13], v[12:13], 2, s[8:9]
	s_and_b64 vcc, exec, s[0:1]
	v_mov_b32_e32 v88, 0
	v_mov_b32_e32 v100, 0
	s_cbranch_vccnz .LBB90_49
; %bb.48:
	v_lshl_add_u64 v[42:43], v[98:99], 2, v[12:13]
	flat_load_dword v42, v[42:43]
	s_waitcnt vmcnt(0) lgkmcnt(0)
	v_mul_f32_e32 v100, s17, v42
.LBB90_49:
	v_max_f32_e32 v42, v8, v8
	v_max_f32_e32 v43, v9, v9
	v_min_f32_e32 v8, v44, v42
	v_min_f32_e32 v9, v103, v43
	v_max_f32_e32 v10, v10, v10
	v_max_f32_e32 v11, v11, v11
	v_pk_add_f32 v[8:9], v[8:9], v[86:87]
	v_min_f32_e32 v86, v45, v10
	v_min_f32_e32 v87, v46, v11
	v_pk_add_f32 v[86:87], v[86:87], v[8:9]
	v_mad_i64_i32 v[8:9], s[4:5], v89, s13, 0
	v_lshl_add_u64 v[8:9], v[8:9], 2, s[2:3]
	v_add_f32_e32 v86, v86, v87
	v_add_f32_e32 v89, v86, v100
	v_lshl_add_u64 v[86:87], v[98:99], 2, v[8:9]
	s_and_b64 vcc, exec, s[0:1]
	global_store_dword v[86:87], v89, off
	s_cbranch_vccnz .LBB90_51
; %bb.50:
	v_lshl_add_u64 v[86:87], v[40:41], 2, v[12:13]
	flat_load_dword v86, v[86:87]
	s_waitcnt vmcnt(0) lgkmcnt(0)
	v_mul_f32_e32 v88, s17, v86
.LBB90_51:
	v_min_f32_e32 v86, v47, v42
	v_min_f32_e32 v87, v104, v43
	v_pk_add_f32 v[82:83], v[86:87], v[82:83]
	v_min_f32_e32 v86, v38, v10
	v_min_f32_e32 v87, v39, v11
	v_pk_add_f32 v[82:83], v[86:87], v[82:83]
	s_and_b64 vcc, exec, s[0:1]
	v_add_f32_e32 v82, v82, v83
	v_add_f32_e32 v86, v82, v88
	v_lshl_add_u64 v[82:83], v[40:41], 2, v[8:9]
	global_store_dword v[82:83], v86, off
	v_mov_b32_e32 v82, 0
	v_mov_b32_e32 v83, 0
	s_cbranch_vccnz .LBB90_53
; %bb.52:
	v_lshl_add_u64 v[86:87], v[36:37], 2, v[12:13]
	flat_load_dword v83, v[86:87]
	s_waitcnt vmcnt(0) lgkmcnt(0)
	v_mul_f32_e32 v83, s17, v83
.LBB90_53:
	v_min_f32_e32 v86, v105, v42
	v_min_f32_e32 v87, v106, v43
	v_pk_add_f32 v[84:85], v[86:87], v[84:85]
	v_min_f32_e32 v86, v34, v10
	v_min_f32_e32 v87, v35, v11
	v_pk_add_f32 v[84:85], v[86:87], v[84:85]
	s_and_b64 vcc, exec, s[0:1]
	v_add_f32_e32 v84, v84, v85
	v_add_f32_e32 v83, v84, v83
	v_lshl_add_u64 v[84:85], v[36:37], 2, v[8:9]
	global_store_dword v[84:85], v83, off
	s_cbranch_vccnz .LBB90_55
; %bb.54:
	v_lshl_add_u64 v[82:83], v[32:33], 2, v[12:13]
	flat_load_dword v82, v[82:83]
	s_waitcnt vmcnt(0) lgkmcnt(0)
	v_mul_f32_e32 v82, s17, v82
.LBB90_55:
	v_min_f32_e32 v84, v107, v42
	v_min_f32_e32 v85, v108, v43
	v_pk_add_f32 v[84:85], v[84:85], v[90:91]
	v_min_f32_e32 v86, v30, v10
	v_min_f32_e32 v87, v31, v11
	v_pk_add_f32 v[84:85], v[86:87], v[84:85]
	s_and_b64 vcc, exec, s[0:1]
	v_add_f32_e32 v83, v84, v85
	v_add_f32_e32 v84, v83, v82
	v_lshl_add_u64 v[82:83], v[32:33], 2, v[8:9]
	global_store_dword v[82:83], v84, off
	v_mov_b32_e32 v82, 0
	v_mov_b32_e32 v83, 0
	s_cbranch_vccnz .LBB90_57
; %bb.56:
	v_lshl_add_u64 v[84:85], v[28:29], 2, v[12:13]
	flat_load_dword v83, v[84:85]
	s_waitcnt vmcnt(0) lgkmcnt(0)
	v_mul_f32_e32 v83, s17, v83
.LBB90_57:
	v_min_f32_e32 v84, v109, v42
	v_min_f32_e32 v85, v116, v43
	v_pk_add_f32 v[84:85], v[84:85], v[92:93]
	v_min_f32_e32 v86, v26, v10
	v_min_f32_e32 v87, v27, v11
	v_pk_add_f32 v[84:85], v[86:87], v[84:85]
	s_and_b64 vcc, exec, s[0:1]
	v_add_f32_e32 v84, v84, v85
	v_add_f32_e32 v83, v84, v83
	v_lshl_add_u64 v[84:85], v[28:29], 2, v[8:9]
	global_store_dword v[84:85], v83, off
	s_cbranch_vccnz .LBB90_59
; %bb.58:
	v_lshl_add_u64 v[82:83], v[24:25], 2, v[12:13]
	flat_load_dword v82, v[82:83]
	s_waitcnt vmcnt(0) lgkmcnt(0)
	v_mul_f32_e32 v82, s17, v82
.LBB90_59:
	v_min_f32_e32 v84, v114, v42
	v_min_f32_e32 v85, v115, v43
	v_pk_add_f32 v[84:85], v[84:85], v[94:95]
	v_min_f32_e32 v86, v22, v10
	v_min_f32_e32 v87, v23, v11
	v_pk_add_f32 v[84:85], v[86:87], v[84:85]
	s_and_b64 vcc, exec, s[0:1]
	v_add_f32_e32 v83, v84, v85
	v_add_f32_e32 v84, v83, v82
	v_lshl_add_u64 v[82:83], v[24:25], 2, v[8:9]
	global_store_dword v[82:83], v84, off
	v_mov_b32_e32 v82, 0
	v_mov_b32_e32 v83, 0
	s_cbranch_vccnz .LBB90_61
; %bb.60:
	v_lshl_add_u64 v[84:85], v[20:21], 2, v[12:13]
	flat_load_dword v83, v[84:85]
	s_waitcnt vmcnt(0) lgkmcnt(0)
	v_mul_f32_e32 v83, s17, v83
.LBB90_61:
	v_min_f32_e32 v84, v112, v42
	v_min_f32_e32 v85, v113, v43
	v_pk_add_f32 v[84:85], v[84:85], v[96:97]
	v_min_f32_e32 v86, v110, v10
	v_min_f32_e32 v87, v111, v11
	v_pk_add_f32 v[84:85], v[86:87], v[84:85]
	s_and_b64 vcc, exec, s[0:1]
	v_add_f32_e32 v84, v84, v85
	v_add_f32_e32 v83, v84, v83
	v_lshl_add_u64 v[84:85], v[20:21], 2, v[8:9]
	global_store_dword v[84:85], v83, off
	s_cbranch_vccnz .LBB90_63
; %bb.62:
	v_lshl_add_u64 v[12:13], v[16:17], 2, v[12:13]
	flat_load_dword v12, v[12:13]
	s_waitcnt vmcnt(0) lgkmcnt(0)
	v_mul_f32_e32 v82, s17, v12
.LBB90_63:
	v_min_f32_e32 v13, v18, v43
	v_min_f32_e32 v12, v19, v42
	v_pk_add_f32 v[12:13], v[12:13], v[74:75]
	v_min_f32_e32 v11, v15, v11
	v_min_f32_e32 v10, v14, v10
	v_pk_add_f32 v[10:11], v[10:11], v[12:13]
	v_lshl_add_u64 v[8:9], v[16:17], 2, v[8:9]
	v_add_f32_e32 v10, v10, v11
	v_add_f32_e32 v10, v10, v82
	v_add_u32_e32 v13, 64, v102
	global_store_dword v[8:9], v10, off
	v_mad_i64_i32 v[8:9], s[4:5], v13, s12, 0
	v_lshl_add_u64 v[8:9], v[8:9], 2, s[8:9]
	s_and_b64 vcc, exec, s[0:1]
	v_mov_b32_e32 v12, 0
	v_mov_b32_e32 v42, 0
	s_cbranch_vccnz .LBB90_65
; %bb.64:
	v_lshl_add_u64 v[10:11], v[98:99], 2, v[8:9]
	flat_load_dword v10, v[10:11]
	s_waitcnt vmcnt(0) lgkmcnt(0)
	v_mul_f32_e32 v42, s17, v10
.LBB90_65:
	v_max_f32_e32 v10, v4, v4
	v_max_f32_e32 v11, v5, v5
	v_min_f32_e32 v4, v44, v10
	v_min_f32_e32 v5, v103, v11
	v_max_f32_e32 v6, v6, v6
	v_max_f32_e32 v7, v7, v7
	v_pk_add_f32 v[4:5], v[4:5], v[70:71]
	v_min_f32_e32 v70, v45, v6
	v_min_f32_e32 v71, v46, v7
	v_pk_add_f32 v[70:71], v[70:71], v[4:5]
	v_mad_i64_i32 v[4:5], s[4:5], v13, s13, 0
	v_lshl_add_u64 v[4:5], v[4:5], 2, s[2:3]
	v_add_f32_e32 v13, v70, v71
	v_add_f32_e32 v13, v13, v42
	v_lshl_add_u64 v[42:43], v[98:99], 2, v[4:5]
	s_and_b64 vcc, exec, s[0:1]
	global_store_dword v[42:43], v13, off
	s_cbranch_vccnz .LBB90_67
; %bb.66:
	v_lshl_add_u64 v[12:13], v[40:41], 2, v[8:9]
	flat_load_dword v12, v[12:13]
	s_waitcnt vmcnt(0) lgkmcnt(0)
	v_mul_f32_e32 v12, s17, v12
.LBB90_67:
	v_min_f32_e32 v42, v47, v10
	v_min_f32_e32 v43, v104, v11
	v_pk_add_f32 v[42:43], v[42:43], v[66:67]
	v_min_f32_e32 v66, v38, v6
	v_min_f32_e32 v67, v39, v7
	v_pk_add_f32 v[42:43], v[66:67], v[42:43]
	s_and_b64 vcc, exec, s[0:1]
	v_add_f32_e32 v13, v42, v43
	v_add_f32_e32 v42, v13, v12
	v_lshl_add_u64 v[12:13], v[40:41], 2, v[4:5]
	global_store_dword v[12:13], v42, off
	v_mov_b32_e32 v12, 0
	v_mov_b32_e32 v13, 0
	s_cbranch_vccnz .LBB90_69
; %bb.68:
	v_lshl_add_u64 v[42:43], v[36:37], 2, v[8:9]
	flat_load_dword v13, v[42:43]
	s_waitcnt vmcnt(0) lgkmcnt(0)
	v_mul_f32_e32 v13, s17, v13
.LBB90_69:
	v_min_f32_e32 v42, v105, v10
	v_min_f32_e32 v43, v106, v11
	v_pk_add_f32 v[42:43], v[42:43], v[68:69]
	v_min_f32_e32 v66, v34, v6
	v_min_f32_e32 v67, v35, v7
	v_pk_add_f32 v[42:43], v[66:67], v[42:43]
	s_and_b64 vcc, exec, s[0:1]
	v_add_f32_e32 v42, v42, v43
	v_add_f32_e32 v13, v42, v13
	v_lshl_add_u64 v[42:43], v[36:37], 2, v[4:5]
	global_store_dword v[42:43], v13, off
	s_cbranch_vccnz .LBB90_71
; %bb.70:
	v_lshl_add_u64 v[12:13], v[32:33], 2, v[8:9]
	flat_load_dword v12, v[12:13]
	s_waitcnt vmcnt(0) lgkmcnt(0)
	v_mul_f32_e32 v12, s17, v12
.LBB90_71:
	v_min_f32_e32 v42, v107, v10
	v_min_f32_e32 v43, v108, v11
	v_pk_add_f32 v[42:43], v[42:43], v[72:73]
	v_min_f32_e32 v66, v30, v6
	v_min_f32_e32 v67, v31, v7
	v_pk_add_f32 v[42:43], v[66:67], v[42:43]
	s_and_b64 vcc, exec, s[0:1]
	v_add_f32_e32 v13, v42, v43
	v_add_f32_e32 v42, v13, v12
	v_lshl_add_u64 v[12:13], v[32:33], 2, v[4:5]
	global_store_dword v[12:13], v42, off
	v_mov_b32_e32 v12, 0
	v_mov_b32_e32 v13, 0
	s_cbranch_vccnz .LBB90_73
; %bb.72:
	v_lshl_add_u64 v[42:43], v[28:29], 2, v[8:9]
	flat_load_dword v13, v[42:43]
	s_waitcnt vmcnt(0) lgkmcnt(0)
	v_mul_f32_e32 v13, s17, v13
.LBB90_73:
	v_min_f32_e32 v42, v109, v10
	v_min_f32_e32 v43, v116, v11
	v_pk_add_f32 v[42:43], v[42:43], v[76:77]
	v_min_f32_e32 v66, v26, v6
	v_min_f32_e32 v67, v27, v7
	v_pk_add_f32 v[42:43], v[66:67], v[42:43]
	s_and_b64 vcc, exec, s[0:1]
	v_add_f32_e32 v42, v42, v43
	v_add_f32_e32 v13, v42, v13
	v_lshl_add_u64 v[42:43], v[28:29], 2, v[4:5]
	;; [unrolled: 38-line block ×3, first 2 shown]
	global_store_dword v[42:43], v13, off
	s_cbranch_vccnz .LBB90_79
; %bb.78:
	v_lshl_add_u64 v[8:9], v[16:17], 2, v[8:9]
	flat_load_dword v8, v[8:9]
	s_waitcnt vmcnt(0) lgkmcnt(0)
	v_mul_f32_e32 v12, s17, v8
.LBB90_79:
	v_min_f32_e32 v9, v18, v11
	v_min_f32_e32 v8, v19, v10
	v_pk_add_f32 v[8:9], v[8:9], v[60:61]
	v_min_f32_e32 v7, v15, v7
	v_min_f32_e32 v6, v14, v6
	v_pk_add_f32 v[6:7], v[6:7], v[8:9]
	v_lshl_add_u64 v[4:5], v[16:17], 2, v[4:5]
	v_add_f32_e32 v6, v6, v7
	v_add_f32_e32 v6, v6, v12
	v_add_u32_e32 v9, 0x60, v102
	global_store_dword v[4:5], v6, off
	v_mad_i64_i32 v[4:5], s[4:5], v9, s12, 0
	v_lshl_add_u64 v[4:5], v[4:5], 2, s[8:9]
	s_and_b64 vcc, exec, s[0:1]
	v_mov_b32_e32 v8, 0
	v_mov_b32_e32 v10, 0
	s_cbranch_vccnz .LBB90_81
; %bb.80:
	v_lshl_add_u64 v[6:7], v[98:99], 2, v[4:5]
	flat_load_dword v6, v[6:7]
	s_waitcnt vmcnt(0) lgkmcnt(0)
	v_mul_f32_e32 v10, s17, v6
.LBB90_81:
	v_max_f32_e32 v6, v1, v1
	v_max_f32_e32 v7, v0, v0
	v_min_f32_e32 v1, v103, v6
	v_min_f32_e32 v0, v44, v7
	v_max_f32_e32 v3, v3, v3
	v_max_f32_e32 v2, v2, v2
	v_pk_add_f32 v[0:1], v[0:1], v[56:57]
	v_min_f32_e32 v13, v46, v3
	v_min_f32_e32 v12, v45, v2
	v_pk_add_f32 v[12:13], v[12:13], v[0:1]
	v_mad_i64_i32 v[0:1], s[4:5], v9, s13, 0
	v_lshl_add_u64 v[0:1], v[0:1], 2, s[2:3]
	v_add_f32_e32 v9, v12, v13
	v_add_f32_e32 v9, v9, v10
	v_lshl_add_u64 v[10:11], v[98:99], 2, v[0:1]
	s_and_b64 vcc, exec, s[0:1]
	global_store_dword v[10:11], v9, off
	s_cbranch_vccnz .LBB90_83
; %bb.82:
	v_lshl_add_u64 v[8:9], v[40:41], 2, v[4:5]
	flat_load_dword v8, v[8:9]
	s_waitcnt vmcnt(0) lgkmcnt(0)
	v_mul_f32_e32 v8, s17, v8
.LBB90_83:
	v_min_f32_e32 v11, v104, v6
	v_min_f32_e32 v10, v47, v7
	v_pk_add_f32 v[10:11], v[10:11], v[50:51]
	v_min_f32_e32 v13, v39, v3
	v_min_f32_e32 v12, v38, v2
	v_pk_add_f32 v[10:11], v[12:13], v[10:11]
	s_and_b64 vcc, exec, s[0:1]
	v_add_f32_e32 v9, v10, v11
	v_add_f32_e32 v10, v9, v8
	v_lshl_add_u64 v[8:9], v[40:41], 2, v[0:1]
	global_store_dword v[8:9], v10, off
	v_mov_b32_e32 v8, 0
	v_mov_b32_e32 v9, 0
	s_cbranch_vccnz .LBB90_85
; %bb.84:
	v_lshl_add_u64 v[10:11], v[36:37], 2, v[4:5]
	flat_load_dword v9, v[10:11]
	s_waitcnt vmcnt(0) lgkmcnt(0)
	v_mul_f32_e32 v9, s17, v9
.LBB90_85:
	v_min_f32_e32 v11, v106, v6
	v_min_f32_e32 v10, v105, v7
	v_pk_add_f32 v[10:11], v[10:11], v[52:53]
	v_min_f32_e32 v13, v35, v3
	v_min_f32_e32 v12, v34, v2
	v_pk_add_f32 v[10:11], v[12:13], v[10:11]
	s_and_b64 vcc, exec, s[0:1]
	v_add_f32_e32 v10, v10, v11
	v_add_f32_e32 v9, v10, v9
	v_lshl_add_u64 v[10:11], v[36:37], 2, v[0:1]
	global_store_dword v[10:11], v9, off
	s_cbranch_vccnz .LBB90_87
; %bb.86:
	v_lshl_add_u64 v[8:9], v[32:33], 2, v[4:5]
	flat_load_dword v8, v[8:9]
	s_waitcnt vmcnt(0) lgkmcnt(0)
	v_mul_f32_e32 v8, s17, v8
.LBB90_87:
	v_min_f32_e32 v11, v108, v6
	v_min_f32_e32 v10, v107, v7
	v_pk_add_f32 v[10:11], v[10:11], v[54:55]
	v_min_f32_e32 v13, v31, v3
	v_min_f32_e32 v12, v30, v2
	v_pk_add_f32 v[10:11], v[12:13], v[10:11]
	s_and_b64 vcc, exec, s[0:1]
	v_add_f32_e32 v9, v10, v11
	v_add_f32_e32 v10, v9, v8
	v_lshl_add_u64 v[8:9], v[32:33], 2, v[0:1]
	global_store_dword v[8:9], v10, off
	v_mov_b32_e32 v8, 0
	v_mov_b32_e32 v9, 0
	s_cbranch_vccnz .LBB90_89
; %bb.88:
	v_lshl_add_u64 v[10:11], v[28:29], 2, v[4:5]
	flat_load_dword v9, v[10:11]
	s_waitcnt vmcnt(0) lgkmcnt(0)
	v_mul_f32_e32 v9, s17, v9
.LBB90_89:
	v_min_f32_e32 v11, v116, v6
	v_min_f32_e32 v10, v109, v7
	v_pk_add_f32 v[10:11], v[10:11], v[58:59]
	v_min_f32_e32 v13, v27, v3
	v_min_f32_e32 v12, v26, v2
	v_pk_add_f32 v[10:11], v[12:13], v[10:11]
	s_and_b64 vcc, exec, s[0:1]
	v_add_f32_e32 v10, v10, v11
	v_add_f32_e32 v9, v10, v9
	v_lshl_add_u64 v[10:11], v[28:29], 2, v[0:1]
	global_store_dword v[10:11], v9, off
	s_cbranch_vccnz .LBB90_91
; %bb.90:
	v_lshl_add_u64 v[8:9], v[24:25], 2, v[4:5]
	flat_load_dword v8, v[8:9]
	s_waitcnt vmcnt(0) lgkmcnt(0)
	v_mul_f32_e32 v8, s17, v8
.LBB90_91:
	v_min_f32_e32 v11, v115, v6
	v_min_f32_e32 v10, v114, v7
	v_pk_add_f32 v[10:11], v[10:11], v[62:63]
	v_min_f32_e32 v13, v23, v3
	v_min_f32_e32 v12, v22, v2
	v_pk_add_f32 v[10:11], v[12:13], v[10:11]
	v_min_f32_e32 v13, v111, v3
	v_add_f32_e32 v9, v10, v11
	v_min_f32_e32 v11, v113, v6
	v_min_f32_e32 v10, v112, v7
	v_pk_add_f32 v[10:11], v[10:11], v[64:65]
	v_min_f32_e32 v12, v110, v2
	v_pk_add_f32 v[10:11], v[12:13], v[10:11]
	v_add_f32_e32 v12, v9, v8
	v_lshl_add_u64 v[8:9], v[24:25], 2, v[0:1]
	global_store_dword v[8:9], v12, off
	v_add_f32_e32 v8, v10, v11
	s_mov_b64 vcc, s[6:7]
	s_cbranch_vccz .LBB90_94
; %bb.92:
	v_add_f32_e32 v9, 0, v8
	v_lshl_add_u64 v[10:11], v[20:21], 2, v[0:1]
	s_mov_b32 s2, 0
	global_store_dword v[10:11], v9, off
	s_cbranch_execz .LBB90_95
; %bb.93:
	v_mov_b32_e32 v4, s2
	s_branch .LBB90_96
.LBB90_94:
                                        ; implicit-def: $sgpr2
.LBB90_95:
	v_lshlrev_b64 v[10:11], 2, v[20:21]
	v_lshl_add_u64 v[12:13], v[4:5], 0, v[10:11]
	flat_load_dword v9, v[12:13]
	v_lshl_add_u64 v[10:11], v[0:1], 0, v[10:11]
	v_lshl_add_u64 v[4:5], v[16:17], 2, v[4:5]
	s_waitcnt vmcnt(0) lgkmcnt(0)
	v_fmac_f32_e32 v8, s17, v9
	global_store_dword v[10:11], v8, off
	flat_load_dword v4, v[4:5]
	s_waitcnt vmcnt(0) lgkmcnt(0)
	v_mul_f32_e32 v4, s17, v4
.LBB90_96:
	v_min_f32_e32 v9, v18, v6
	v_min_f32_e32 v8, v19, v7
	;; [unrolled: 1-line block ×4, first 2 shown]
	v_pk_add_f32 v[6:7], v[8:9], v[48:49]
	v_lshl_add_u64 v[0:1], v[16:17], 2, v[0:1]
	v_pk_add_f32 v[2:3], v[2:3], v[6:7]
	s_nop 0
	v_add_f32_e32 v2, v2, v3
	v_add_f32_e32 v2, v2, v4
	global_store_dword v[0:1], v2, off
	s_endpgm
	.section	.rodata,"a",@progbits
	.p2align	6, 0x0
	.amdhsa_kernel _ZN12_GLOBAL__N_120geam_min_plus_kernelIf15HIP_vector_typeIfLj2EES2_Li8ELi32ELi64ELi128ELi4ELi64ELi4ELi64ELi4ELc78ELc84ELb0ELb0ELb0EPKfS3_fEEviiiT16_PT17_ilS7_ilS5_S7_ilPT18_ili26rocblas_geam_ex_operation_
		.amdhsa_group_segment_fixed_size 6144
		.amdhsa_private_segment_fixed_size 0
		.amdhsa_kernarg_size 136
		.amdhsa_user_sgpr_count 2
		.amdhsa_user_sgpr_dispatch_ptr 0
		.amdhsa_user_sgpr_queue_ptr 0
		.amdhsa_user_sgpr_kernarg_segment_ptr 1
		.amdhsa_user_sgpr_dispatch_id 0
		.amdhsa_user_sgpr_kernarg_preload_length 0
		.amdhsa_user_sgpr_kernarg_preload_offset 0
		.amdhsa_user_sgpr_private_segment_size 0
		.amdhsa_uses_dynamic_stack 0
		.amdhsa_enable_private_segment 0
		.amdhsa_system_sgpr_workgroup_id_x 1
		.amdhsa_system_sgpr_workgroup_id_y 0
		.amdhsa_system_sgpr_workgroup_id_z 1
		.amdhsa_system_sgpr_workgroup_info 0
		.amdhsa_system_vgpr_workitem_id 1
		.amdhsa_next_free_vgpr 223
		.amdhsa_next_free_sgpr 29
		.amdhsa_accum_offset 224
		.amdhsa_reserve_vcc 1
		.amdhsa_float_round_mode_32 0
		.amdhsa_float_round_mode_16_64 0
		.amdhsa_float_denorm_mode_32 3
		.amdhsa_float_denorm_mode_16_64 3
		.amdhsa_dx10_clamp 1
		.amdhsa_ieee_mode 1
		.amdhsa_fp16_overflow 0
		.amdhsa_tg_split 0
		.amdhsa_exception_fp_ieee_invalid_op 0
		.amdhsa_exception_fp_denorm_src 0
		.amdhsa_exception_fp_ieee_div_zero 0
		.amdhsa_exception_fp_ieee_overflow 0
		.amdhsa_exception_fp_ieee_underflow 0
		.amdhsa_exception_fp_ieee_inexact 0
		.amdhsa_exception_int_div_zero 0
	.end_amdhsa_kernel
	.section	.text._ZN12_GLOBAL__N_120geam_min_plus_kernelIf15HIP_vector_typeIfLj2EES2_Li8ELi32ELi64ELi128ELi4ELi64ELi4ELi64ELi4ELc78ELc84ELb0ELb0ELb0EPKfS3_fEEviiiT16_PT17_ilS7_ilS5_S7_ilPT18_ili26rocblas_geam_ex_operation_,"axG",@progbits,_ZN12_GLOBAL__N_120geam_min_plus_kernelIf15HIP_vector_typeIfLj2EES2_Li8ELi32ELi64ELi128ELi4ELi64ELi4ELi64ELi4ELc78ELc84ELb0ELb0ELb0EPKfS3_fEEviiiT16_PT17_ilS7_ilS5_S7_ilPT18_ili26rocblas_geam_ex_operation_,comdat
.Lfunc_end90:
	.size	_ZN12_GLOBAL__N_120geam_min_plus_kernelIf15HIP_vector_typeIfLj2EES2_Li8ELi32ELi64ELi128ELi4ELi64ELi4ELi64ELi4ELc78ELc84ELb0ELb0ELb0EPKfS3_fEEviiiT16_PT17_ilS7_ilS5_S7_ilPT18_ili26rocblas_geam_ex_operation_, .Lfunc_end90-_ZN12_GLOBAL__N_120geam_min_plus_kernelIf15HIP_vector_typeIfLj2EES2_Li8ELi32ELi64ELi128ELi4ELi64ELi4ELi64ELi4ELc78ELc84ELb0ELb0ELb0EPKfS3_fEEviiiT16_PT17_ilS7_ilS5_S7_ilPT18_ili26rocblas_geam_ex_operation_
                                        ; -- End function
	.section	.AMDGPU.csdata,"",@progbits
; Kernel info:
; codeLenInByte = 8896
; NumSgprs: 35
; NumVgprs: 223
; NumAgprs: 0
; TotalNumVgprs: 223
; ScratchSize: 0
; MemoryBound: 0
; FloatMode: 240
; IeeeMode: 1
; LDSByteSize: 6144 bytes/workgroup (compile time only)
; SGPRBlocks: 4
; VGPRBlocks: 27
; NumSGPRsForWavesPerEU: 35
; NumVGPRsForWavesPerEU: 223
; AccumOffset: 224
; Occupancy: 2
; WaveLimiterHint : 1
; COMPUTE_PGM_RSRC2:SCRATCH_EN: 0
; COMPUTE_PGM_RSRC2:USER_SGPR: 2
; COMPUTE_PGM_RSRC2:TRAP_HANDLER: 0
; COMPUTE_PGM_RSRC2:TGID_X_EN: 1
; COMPUTE_PGM_RSRC2:TGID_Y_EN: 0
; COMPUTE_PGM_RSRC2:TGID_Z_EN: 1
; COMPUTE_PGM_RSRC2:TIDIG_COMP_CNT: 1
; COMPUTE_PGM_RSRC3_GFX90A:ACCUM_OFFSET: 55
; COMPUTE_PGM_RSRC3_GFX90A:TG_SPLIT: 0
	.section	.text._ZN12_GLOBAL__N_120geam_min_plus_kernelIf15HIP_vector_typeIfLj2EES2_Li8ELi32ELi64ELi128ELi4ELi64ELi4ELi64ELi4ELc78ELc84ELb1ELb0ELb0EfKffEEviiiT16_PT17_ilS6_ilS4_S6_ilPT18_ili26rocblas_geam_ex_operation_,"axG",@progbits,_ZN12_GLOBAL__N_120geam_min_plus_kernelIf15HIP_vector_typeIfLj2EES2_Li8ELi32ELi64ELi128ELi4ELi64ELi4ELi64ELi4ELc78ELc84ELb1ELb0ELb0EfKffEEviiiT16_PT17_ilS6_ilS4_S6_ilPT18_ili26rocblas_geam_ex_operation_,comdat
	.globl	_ZN12_GLOBAL__N_120geam_min_plus_kernelIf15HIP_vector_typeIfLj2EES2_Li8ELi32ELi64ELi128ELi4ELi64ELi4ELi64ELi4ELc78ELc84ELb1ELb0ELb0EfKffEEviiiT16_PT17_ilS6_ilS4_S6_ilPT18_ili26rocblas_geam_ex_operation_ ; -- Begin function _ZN12_GLOBAL__N_120geam_min_plus_kernelIf15HIP_vector_typeIfLj2EES2_Li8ELi32ELi64ELi128ELi4ELi64ELi4ELi64ELi4ELc78ELc84ELb1ELb0ELb0EfKffEEviiiT16_PT17_ilS6_ilS4_S6_ilPT18_ili26rocblas_geam_ex_operation_
	.p2align	8
	.type	_ZN12_GLOBAL__N_120geam_min_plus_kernelIf15HIP_vector_typeIfLj2EES2_Li8ELi32ELi64ELi128ELi4ELi64ELi4ELi64ELi4ELc78ELc84ELb1ELb0ELb0EfKffEEviiiT16_PT17_ilS6_ilS4_S6_ilPT18_ili26rocblas_geam_ex_operation_,@function
_ZN12_GLOBAL__N_120geam_min_plus_kernelIf15HIP_vector_typeIfLj2EES2_Li8ELi32ELi64ELi128ELi4ELi64ELi4ELi64ELi4ELc78ELc84ELb1ELb0ELb0EfKffEEviiiT16_PT17_ilS6_ilS4_S6_ilPT18_ili26rocblas_geam_ex_operation_: ; @_ZN12_GLOBAL__N_120geam_min_plus_kernelIf15HIP_vector_typeIfLj2EES2_Li8ELi32ELi64ELi128ELi4ELi64ELi4ELi64ELi4ELc78ELc84ELb1ELb0ELb0EfKffEEviiiT16_PT17_ilS6_ilS4_S6_ilPT18_ili26rocblas_geam_ex_operation_
; %bb.0:
	s_load_dwordx2 s[14:15], s[0:1], 0x8
	s_load_dwordx4 s[4:7], s[0:1], 0x20
	s_waitcnt lgkmcnt(0)
	v_cmp_eq_f32_e64 s[8:9], s15, 0
	s_and_b64 vcc, exec, s[8:9]
	s_cbranch_vccnz .LBB91_3
; %bb.1:
	s_load_dwordx2 s[10:11], s[0:1], 0x10
	s_mul_i32 s5, s3, s5
	s_mul_hi_u32 s12, s3, s4
	s_add_i32 s5, s12, s5
	s_mul_i32 s4, s3, s4
	s_lshl_b64 s[4:5], s[4:5], 2
	s_waitcnt lgkmcnt(0)
	s_add_u32 s16, s10, s4
	s_addc_u32 s17, s11, s5
	s_andn2_b64 vcc, exec, s[8:9]
	s_cbranch_vccnz .LBB91_4
.LBB91_2:
	s_mov_b32 s13, 0
	s_mov_b64 s[18:19], 0
	s_cbranch_execz .LBB91_5
	s_branch .LBB91_6
.LBB91_3:
	s_mov_b64 s[16:17], 0
	s_andn2_b64 vcc, exec, s[8:9]
	s_cbranch_vccz .LBB91_2
.LBB91_4:
                                        ; implicit-def: $sgpr18_sgpr19
                                        ; implicit-def: $sgpr12_sgpr13
.LBB91_5:
	s_load_dwordx2 s[4:5], s[0:1], 0x38
	s_mov_b32 s13, 0
	s_waitcnt lgkmcnt(0)
	s_mul_i32 s5, s3, s5
	s_mul_hi_u32 s8, s3, s4
	s_add_i32 s5, s8, s5
	s_mul_i32 s4, s3, s4
	s_lshl_b64 s[4:5], s[4:5], 2
	s_add_u32 s18, s6, s4
	s_addc_u32 s19, s7, s5
.LBB91_6:
	s_load_dword s12, s[0:1], 0x40
	s_load_dwordx4 s[8:11], s[0:1], 0x58
	s_waitcnt lgkmcnt(0)
	v_cmp_eq_f32_e64 s[4:5], s12, 0
	s_and_b64 s[4:5], exec, s[4:5]
	s_mov_b64 vcc, s[4:5]
	s_cbranch_vccnz .LBB91_8
; %bb.7:
	s_load_dwordx2 s[6:7], s[0:1], 0x48
	s_mul_i32 s9, s3, s9
	s_mul_hi_u32 s15, s3, s8
	s_add_i32 s9, s15, s9
	s_mul_i32 s15, s13, s8
	s_add_i32 s9, s9, s15
	s_mul_i32 s8, s3, s8
	s_lshl_b64 s[8:9], s[8:9], 2
	s_waitcnt lgkmcnt(0)
	s_add_u32 s6, s6, s8
	s_addc_u32 s7, s7, s9
	s_branch .LBB91_9
.LBB91_8:
	s_mov_b64 s[6:7], 0
.LBB91_9:
	s_load_dword s8, s[0:1], 0x0
	s_load_dword s20, s[0:1], 0x18
	;; [unrolled: 1-line block ×3, first 2 shown]
	v_and_b32_e32 v132, 0x3ff, v0
	v_bfe_u32 v133, v0, 10, 10
	s_waitcnt lgkmcnt(0)
	s_add_i32 s8, s8, -1
	s_ashr_i32 s9, s8, 31
	s_lshr_b32 s9, s9, 26
	s_add_i32 s8, s8, s9
	s_ashr_i32 s15, s8, 6
	s_add_i32 s21, s15, 1
	v_cvt_f32_u32_e32 v1, s21
	v_lshlrev_b32_e32 v135, 4, v133
	v_lshlrev_b32_e32 v134, 4, v132
	v_rcp_iflag_f32_e32 v0, v1
	v_lshl_add_u32 v1, v133, 3, v132
	v_lshrrev_b32_e32 v32, 6, v1
	v_and_b32_e32 v8, 63, v1
	v_mul_f32_e32 v0, 0x4f7ffffe, v0
	v_cvt_u32_f32_e32 v2, v0
	v_mad_i64_i32 v[0:1], s[8:9], s20, v32, 0
	s_not_b32 s8, s15
	v_readfirstlane_b32 s9, v2
	s_mul_i32 s8, s8, s9
	s_mul_hi_u32 s8, s9, s8
	s_add_i32 s9, s9, s8
	s_mul_hi_u32 s8, s2, s9
	s_mul_i32 s9, s8, s21
	s_sub_i32 s9, s2, s9
	s_add_i32 s15, s8, 1
	s_sub_i32 s23, s9, s21
	s_cmp_ge_u32 s9, s21
	s_cselect_b32 s8, s15, s8
	s_cselect_b32 s9, s23, s9
	s_add_i32 s15, s8, 1
	s_cmp_ge_u32 s9, s21
	s_cselect_b32 s8, s15, s8
	s_mul_i32 s9, s8, s21
	s_lshl_b32 s24, s8, 7
	s_sub_i32 s2, s2, s9
	s_lshl_b32 s2, s2, 6
	v_or_b32_e32 v30, s24, v8
	v_or_b32_e32 v28, s2, v8
	v_mad_i64_i32 v[4:5], s[8:9], s22, v32, 0
	v_ashrrev_i32_e32 v31, 31, v30
	v_ashrrev_i32_e32 v29, 31, v28
	v_lshl_add_u64 v[4:5], v[4:5], 2, s[18:19]
	v_lshlrev_b64 v[6:7], 2, v[30:31]
	v_lshl_add_u64 v[0:1], v[0:1], 2, s[16:17]
	v_lshlrev_b64 v[2:3], 2, v[28:29]
	v_lshl_add_u64 v[4:5], v[4:5], 0, v[6:7]
	v_lshl_add_u64 v[0:1], v[0:1], 0, v[2:3]
	flat_load_dword v9, v[4:5]
	flat_load_dword v10, v[4:5] offset:256
	flat_load_dword v11, v[0:1]
	v_add_u32_e32 v4, 4, v32
	v_lshlrev_b32_e32 v0, 2, v32
	v_lshl_add_u32 v136, v8, 4, v0
	v_mad_i64_i32 v[0:1], s[8:9], s20, v4, 0
	v_mad_i64_i32 v[4:5], s[8:9], s22, v4, 0
	v_lshl_add_u64 v[4:5], v[4:5], 2, s[18:19]
	v_lshl_add_u64 v[0:1], v[0:1], 2, s[16:17]
	;; [unrolled: 1-line block ×3, first 2 shown]
	flat_load_dword v33, v[4:5]
	flat_load_dword v34, v[4:5] offset:256
	v_lshl_add_u64 v[0:1], v[0:1], 0, v[2:3]
	flat_load_dword v35, v[0:1]
	s_cmp_lt_i32 s14, 9
	s_waitcnt vmcnt(0) lgkmcnt(0)
	ds_write2st64_b32 v136, v9, v10 offset1:4
	ds_write_b32 v136, v11 offset:4096
	s_waitcnt lgkmcnt(0)
	s_barrier
	ds_read_b128 v[4:7], v135
	ds_read_b128 v[8:11], v135 offset:512
	ds_read_b128 v[0:3], v135 offset:1536
	ds_read_b128 v[12:15], v135 offset:1024
	ds_read_b128 v[16:19], v134 offset:4096
	ds_read_b128 v[20:23], v134 offset:4224
	ds_read_b128 v[24:27], v134 offset:4352
	ds_read_b128 v[36:39], v134 offset:4480
	ds_read_b128 v[40:43], v134 offset:4992
	ds_read_b128 v[44:47], v134 offset:4864
	ds_read_b128 v[48:51], v134 offset:4608
	ds_read_b128 v[52:55], v134 offset:4736
	s_waitcnt lgkmcnt(11)
	v_max_f32_e32 v56, v5, v5
	s_waitcnt lgkmcnt(3)
	v_max_f32_e32 v57, v41, v41
	v_max_f32_e32 v58, v4, v4
	;; [unrolled: 1-line block ×13, first 2 shown]
	s_waitcnt lgkmcnt(1)
	v_max_f32_e32 v48, v48, v48
	v_max_f32_e32 v49, v49, v49
	;; [unrolled: 1-line block ×4, first 2 shown]
	s_waitcnt lgkmcnt(0)
	v_max_f32_e32 v50, v52, v52
	v_max_f32_e32 v51, v53, v53
	;; [unrolled: 1-line block ×24, first 2 shown]
	v_min_f32_e32 v16, v24, v58
	v_min_f32_e32 v17, v25, v56
	;; [unrolled: 1-line block ×34, first 2 shown]
	v_max_f32_e32 v122, v11, v11
	v_max_f32_e32 v123, v10, v10
	;; [unrolled: 1-line block ×3, first 2 shown]
	v_min_f32_e32 v1, v7, v56
	v_min_f32_e32 v9, v15, v56
	;; [unrolled: 1-line block ×7, first 2 shown]
	v_pk_add_f32 v[50:51], v[50:51], 0 op_sel_hi:[1,0]
	v_min_f32_e32 v57, v120, v110
	v_min_f32_e32 v56, v121, v111
	v_max_f32_e32 v112, v54, v54
	v_min_f32_e32 v54, v59, v65
	v_pk_add_f32 v[82:83], v[56:57], v[50:51]
	v_pk_add_f32 v[50:51], v[52:53], 0 op_sel_hi:[1,0]
	v_min_f32_e32 v53, v120, v122
	v_min_f32_e32 v52, v121, v123
	;; [unrolled: 1-line block ×10, first 2 shown]
	v_pk_add_f32 v[68:69], v[52:53], v[50:51]
	v_pk_add_f32 v[50:51], v[54:55], 0 op_sel_hi:[1,0]
	v_min_f32_e32 v53, v120, v124
	v_min_f32_e32 v52, v121, v125
	v_max_f32_e32 v126, v3, v3
	v_max_f32_e32 v127, v2, v2
	v_min_f32_e32 v2, v6, v61
	v_min_f32_e32 v3, v7, v60
	v_pk_add_f32 v[52:53], v[52:53], v[50:51]
	v_pk_add_f32 v[0:1], v[0:1], 0 op_sel_hi:[1,0]
	v_min_f32_e32 v50, v70, v111
	v_min_f32_e32 v51, v71, v110
	v_min_f32_e32 v4, v6, v65
	v_min_f32_e32 v5, v7, v64
	v_pk_add_f32 v[94:95], v[50:51], v[0:1]
	v_pk_add_f32 v[0:1], v[2:3], 0 op_sel_hi:[1,0]
	v_min_f32_e32 v2, v70, v123
	v_min_f32_e32 v3, v71, v122
	;; [unrolled: 6-line block ×3, first 2 shown]
	v_min_f32_e32 v8, v14, v58
	v_min_f32_e32 v10, v14, v61
	;; [unrolled: 1-line block ×8, first 2 shown]
	v_pk_add_f32 v[66:67], v[2:3], v[0:1]
	v_min_f32_e32 v1, v71, v126
	v_min_f32_e32 v0, v70, v127
	v_pk_add_f32 v[2:3], v[6:7], 0 op_sel_hi:[1,0]
	ds_write2st64_b32 v136, v33, v34 offset0:8 offset1:12
	ds_write_b32 v136, v35 offset:5120
	v_pk_add_f32 v[56:57], v[0:1], v[2:3]
	v_pk_add_f32 v[0:1], v[8:9], 0 op_sel_hi:[1,0]
	v_min_f32_e32 v2, v72, v111
	v_min_f32_e32 v3, v73, v110
	v_pk_add_f32 v[92:93], v[2:3], v[0:1]
	v_pk_add_f32 v[0:1], v[10:11], 0 op_sel_hi:[1,0]
	v_min_f32_e32 v2, v72, v123
	v_min_f32_e32 v3, v73, v122
	;; [unrolled: 4-line block ×3, first 2 shown]
	v_pk_add_f32 v[64:65], v[2:3], v[0:1]
	v_min_f32_e32 v1, v73, v126
	v_min_f32_e32 v0, v72, v127
	v_pk_add_f32 v[2:3], v[14:15], 0 op_sel_hi:[1,0]
	s_waitcnt lgkmcnt(0)
	v_pk_add_f32 v[50:51], v[0:1], v[2:3]
	v_pk_add_f32 v[0:1], v[16:17], 0 op_sel_hi:[1,0]
	v_min_f32_e32 v2, v74, v111
	v_min_f32_e32 v3, v75, v110
	v_pk_add_f32 v[96:97], v[2:3], v[0:1]
	v_pk_add_f32 v[0:1], v[18:19], 0 op_sel_hi:[1,0]
	v_min_f32_e32 v2, v74, v123
	v_min_f32_e32 v3, v75, v122
	;; [unrolled: 4-line block ×3, first 2 shown]
	v_pk_add_f32 v[70:71], v[2:3], v[0:1]
	v_min_f32_e32 v1, v75, v126
	v_min_f32_e32 v0, v74, v127
	v_pk_add_f32 v[2:3], v[22:23], 0 op_sel_hi:[1,0]
	s_barrier
	v_pk_add_f32 v[54:55], v[0:1], v[2:3]
	v_pk_add_f32 v[0:1], v[24:25], 0 op_sel_hi:[1,0]
	v_min_f32_e32 v2, v88, v111
	v_min_f32_e32 v3, v89, v110
	v_pk_add_f32 v[98:99], v[2:3], v[0:1]
	v_pk_add_f32 v[0:1], v[26:27], 0 op_sel_hi:[1,0]
	v_min_f32_e32 v2, v88, v123
	v_min_f32_e32 v3, v89, v122
	v_pk_add_f32 v[86:87], v[2:3], v[0:1]
	v_pk_add_f32 v[0:1], v[36:37], 0 op_sel_hi:[1,0]
	v_min_f32_e32 v2, v88, v125
	v_min_f32_e32 v3, v89, v124
	v_pk_add_f32 v[72:73], v[2:3], v[0:1]
	v_min_f32_e32 v1, v89, v126
	v_min_f32_e32 v0, v88, v127
	v_pk_add_f32 v[2:3], v[38:39], 0 op_sel_hi:[1,0]
	s_nop 0
	v_pk_add_f32 v[58:59], v[0:1], v[2:3]
	v_pk_add_f32 v[0:1], v[40:41], 0 op_sel_hi:[1,0]
	v_min_f32_e32 v2, v90, v111
	v_min_f32_e32 v3, v91, v110
	v_pk_add_f32 v[100:101], v[2:3], v[0:1]
	v_pk_add_f32 v[0:1], v[42:43], 0 op_sel_hi:[1,0]
	v_min_f32_e32 v2, v90, v123
	v_min_f32_e32 v3, v91, v122
	v_pk_add_f32 v[88:89], v[2:3], v[0:1]
	v_pk_add_f32 v[0:1], v[44:45], 0 op_sel_hi:[1,0]
	v_min_f32_e32 v2, v90, v125
	v_min_f32_e32 v3, v91, v124
	v_pk_add_f32 v[74:75], v[2:3], v[0:1]
	v_min_f32_e32 v1, v91, v126
	v_min_f32_e32 v0, v90, v127
	v_pk_add_f32 v[2:3], v[46:47], 0 op_sel_hi:[1,0]
	s_nop 0
	;; [unrolled: 17-line block ×3, first 2 shown]
	v_pk_add_f32 v[62:63], v[0:1], v[2:3]
	v_min_f32_e32 v0, v128, v111
	v_min_f32_e32 v1, v129, v110
	v_pk_add_f32 v[2:3], v[106:107], 0 op_sel_hi:[1,0]
	s_nop 0
	v_pk_add_f32 v[112:113], v[0:1], v[2:3]
	v_min_f32_e32 v0, v128, v123
	v_min_f32_e32 v1, v129, v122
	v_pk_add_f32 v[2:3], v[108:109], 0 op_sel_hi:[1,0]
	s_nop 0
	;; [unrolled: 5-line block ×5, first 2 shown]
	v_pk_add_f32 v[104:105], v[0:1], v[2:3]
	s_cbranch_scc1 .LBB91_12
; %bb.10:
	v_mov_b32_e32 v0, 0x1400
	v_lshl_add_u32 v141, v132, 4, v0
	v_mov_b32_e32 v0, 0x800
	v_add_u32_e32 v2, 8, v32
	v_lshl_add_u32 v142, v133, 4, v0
	v_mad_i64_i32 v[0:1], s[8:9], v2, s22, 0
	v_add_u32_e32 v3, 12, v32
	s_add_i32 s25, s14, -8
	v_lshlrev_b64 v[42:43], 2, v[0:1]
	v_mad_i64_i32 v[0:1], s[14:15], v3, s20, 0
	v_lshl_add_u64 v[38:39], v[28:29], 2, s[16:17]
	v_lshlrev_b64 v[44:45], 2, v[0:1]
	v_mad_i64_i32 v[0:1], s[16:17], v2, s20, 0
	s_ashr_i32 s21, s20, 31
	s_ashr_i32 s23, s22, 31
	v_lshlrev_b64 v[46:47], 2, v[0:1]
	v_mad_i64_i32 v[0:1], s[16:17], v3, s22, 0
	v_or_b32_e32 v137, 0x1000, v136
	v_add_u32_e32 v138, 0x1000, v134
	v_add_u32_e32 v139, 0x1400, v136
	v_or_b32_e32 v140, 0x800, v136
	v_lshl_add_u64 v[40:41], v[30:31], 2, s[18:19]
	s_lshl_b64 s[8:9], s[22:23], 5
	s_lshl_b64 s[14:15], s[20:21], 5
	v_lshlrev_b64 v[48:49], 2, v[0:1]
	s_mov_b32 s16, 0
.LBB91_11:                              ; =>This Inner Loop Header: Depth=1
	v_lshl_add_u64 v[0:1], v[38:39], 0, v[46:47]
	flat_load_dword v145, v[0:1]
	v_lshl_add_u64 v[0:1], v[40:41], 0, v[42:43]
	flat_load_dword v143, v[0:1]
	flat_load_dword v144, v[0:1] offset:256
	ds_read_b128 v[16:19], v141 offset:896
	ds_read_b128 v[8:11], v142 offset:1536
	ds_read_b128 v[22:25], v142
	ds_read_b128 v[30:33], v141
	ds_read_b128 v[34:37], v141 offset:128
	ds_read_b128 v[26:29], v142 offset:1024
	s_waitcnt lgkmcnt(0)
	v_max_f32_e32 v147, v17, v17
	v_max_f32_e32 v146, v23, v23
	;; [unrolled: 1-line block ×3, first 2 shown]
	ds_read_b128 v[20:23], v142 offset:512
	v_max_f32_e32 v149, v16, v16
	v_min_f32_e32 v1, v147, v146
	v_min_f32_e32 v0, v149, v148
	v_pk_add_f32 v[114:115], v[0:1], v[82:83]
	s_waitcnt lgkmcnt(0)
	v_max_f32_e32 v150, v21, v21
	v_max_f32_e32 v151, v20, v20
	v_min_f32_e32 v1, v147, v150
	v_min_f32_e32 v0, v149, v151
	v_max_f32_e32 v152, v27, v27
	v_max_f32_e32 v153, v26, v26
	v_pk_add_f32 v[116:117], v[0:1], v[68:69]
	v_min_f32_e32 v1, v147, v152
	v_min_f32_e32 v0, v149, v153
	v_max_f32_e32 v2, v30, v30
	v_max_f32_e32 v3, v31, v31
	v_pk_add_f32 v[118:119], v[0:1], v[52:53]
	v_min_f32_e32 v0, v2, v148
	v_min_f32_e32 v1, v3, v146
	v_pk_add_f32 v[120:121], v[0:1], v[94:95]
	v_min_f32_e32 v0, v2, v151
	v_min_f32_e32 v1, v3, v150
	;; [unrolled: 3-line block ×3, first 2 shown]
	v_max_f32_e32 v52, v9, v9
	v_max_f32_e32 v154, v8, v8
	ds_read_b128 v[14:17], v141 offset:256
	ds_read_b128 v[6:9], v141 offset:512
	v_pk_add_f32 v[124:125], v[0:1], v[66:67]
	v_min_f32_e32 v1, v3, v52
	v_min_f32_e32 v0, v2, v154
	v_max_f32_e32 v2, v34, v34
	v_max_f32_e32 v3, v35, v35
	v_pk_add_f32 v[94:95], v[0:1], v[56:57]
	v_min_f32_e32 v0, v2, v148
	v_min_f32_e32 v1, v3, v146
	v_pk_add_f32 v[92:93], v[0:1], v[92:93]
	v_min_f32_e32 v0, v2, v151
	v_min_f32_e32 v1, v3, v150
	;; [unrolled: 3-line block ×4, first 2 shown]
	s_waitcnt lgkmcnt(0)
	v_max_f32_e32 v2, v14, v14
	v_max_f32_e32 v3, v15, v15
	ds_read_b128 v[12:15], v141 offset:384
	v_pk_add_f32 v[130:131], v[0:1], v[50:51]
	v_min_f32_e32 v0, v2, v148
	v_min_f32_e32 v1, v3, v146
	v_pk_add_f32 v[78:79], v[0:1], v[96:97]
	v_min_f32_e32 v0, v2, v151
	v_min_f32_e32 v1, v3, v150
	;; [unrolled: 3-line block ×4, first 2 shown]
	s_waitcnt lgkmcnt(0)
	v_max_f32_e32 v2, v12, v12
	v_max_f32_e32 v3, v13, v13
	v_pk_add_f32 v[84:85], v[0:1], v[54:55]
	v_min_f32_e32 v0, v2, v148
	v_min_f32_e32 v1, v3, v146
	v_pk_add_f32 v[64:65], v[0:1], v[98:99]
	v_min_f32_e32 v0, v2, v151
	v_min_f32_e32 v1, v3, v150
	;; [unrolled: 3-line block ×4, first 2 shown]
	v_max_f32_e32 v2, v6, v6
	v_max_f32_e32 v3, v7, v7
	v_pk_add_f32 v[70:71], v[0:1], v[58:59]
	v_min_f32_e32 v0, v2, v148
	v_min_f32_e32 v1, v3, v146
	v_pk_add_f32 v[54:55], v[0:1], v[100:101]
	v_min_f32_e32 v0, v2, v151
	v_min_f32_e32 v1, v3, v150
	;; [unrolled: 3-line block ×4, first 2 shown]
	v_pk_add_f32 v[60:61], v[0:1], v[60:61]
	ds_read_b128 v[0:3], v141 offset:640
	v_min_f32_e32 v53, v147, v52
	v_max_f32_e32 v96, v19, v19
	v_max_f32_e32 v97, v18, v18
	;; [unrolled: 1-line block ×3, first 2 shown]
	s_waitcnt lgkmcnt(0)
	v_max_f32_e32 v6, v0, v0
	v_max_f32_e32 v7, v1, v1
	v_min_f32_e32 v4, v6, v151
	v_min_f32_e32 v5, v7, v150
	v_pk_add_f32 v[12:13], v[4:5], v[90:91]
	v_min_f32_e32 v4, v6, v153
	v_min_f32_e32 v5, v7, v152
	v_pk_add_f32 v[20:21], v[4:5], v[76:77]
	v_min_f32_e32 v5, v7, v52
	v_min_f32_e32 v4, v6, v154
	;; [unrolled: 1-line block ×4, first 2 shown]
	v_pk_add_f32 v[26:27], v[4:5], v[62:63]
	ds_read_b128 v[4:7], v141 offset:768
	v_min_f32_e32 v22, v97, v147
	v_max_f32_e32 v29, v29, v29
	v_max_f32_e32 v28, v28, v28
	;; [unrolled: 1-line block ×3, first 2 shown]
	s_waitcnt lgkmcnt(0)
	v_max_f32_e32 v51, v5, v5
	v_min_f32_e32 v5, v51, v146
	v_max_f32_e32 v146, v23, v23
	v_min_f32_e32 v23, v96, v146
	v_max_f32_e32 v24, v24, v24
	v_pk_add_f32 v[62:63], v[22:23], v[116:117]
	v_min_f32_e32 v23, v96, v29
	v_min_f32_e32 v22, v97, v28
	v_max_f32_e32 v86, v32, v32
	v_max_f32_e32 v87, v33, v33
	v_pk_add_f32 v[72:73], v[22:23], v[118:119]
	v_min_f32_e32 v22, v86, v24
	v_min_f32_e32 v23, v87, v25
	v_pk_add_f32 v[32:33], v[22:23], v[120:121]
	v_min_f32_e32 v22, v86, v147
	v_min_f32_e32 v23, v87, v146
	;; [unrolled: 3-line block ×3, first 2 shown]
	v_pk_add_f32 v[76:77], v[22:23], v[124:125]
	v_max_f32_e32 v22, v11, v11
	v_max_f32_e32 v23, v10, v10
	v_min_f32_e32 v11, v87, v22
	v_min_f32_e32 v10, v86, v23
	v_pk_add_f32 v[86:87], v[10:11], v[94:95]
	v_max_f32_e32 v94, v36, v36
	v_max_f32_e32 v95, v37, v37
	v_min_f32_e32 v10, v94, v24
	v_min_f32_e32 v11, v95, v25
	v_pk_add_f32 v[36:37], v[10:11], v[92:93]
	v_min_f32_e32 v10, v94, v147
	v_min_f32_e32 v11, v95, v146
	v_pk_add_f32 v[88:89], v[10:11], v[126:127]
	;; [unrolled: 3-line block ×3, first 2 shown]
	v_min_f32_e32 v11, v95, v22
	v_min_f32_e32 v10, v94, v23
	v_max_f32_e32 v16, v16, v16
	v_max_f32_e32 v17, v17, v17
	v_pk_add_f32 v[94:95], v[10:11], v[130:131]
	v_min_f32_e32 v10, v16, v24
	v_min_f32_e32 v11, v17, v25
	v_pk_add_f32 v[98:99], v[10:11], v[78:79]
	v_min_f32_e32 v10, v16, v147
	v_min_f32_e32 v11, v17, v146
	;; [unrolled: 3-line block ×4, first 2 shown]
	v_max_f32_e32 v14, v14, v14
	v_max_f32_e32 v15, v15, v15
	v_pk_add_f32 v[0:1], v[0:1], v[102:103]
	v_max_f32_e32 v50, v4, v4
	v_min_f32_e32 v31, v51, v150
	v_min_f32_e32 v35, v51, v152
	;; [unrolled: 1-line block ×4, first 2 shown]
	v_pk_add_f32 v[102:103], v[10:11], v[84:85]
	v_min_f32_e32 v10, v14, v24
	v_min_f32_e32 v11, v15, v25
	;; [unrolled: 1-line block ×6, first 2 shown]
	v_pk_add_f32 v[52:53], v[52:53], v[104:105]
	v_pk_add_f32 v[104:105], v[10:11], v[64:65]
	v_min_f32_e32 v10, v14, v147
	v_min_f32_e32 v11, v15, v146
	v_pk_add_f32 v[50:51], v[50:51], v[106:107]
	v_pk_add_f32 v[106:107], v[10:11], v[66:67]
	v_min_f32_e32 v10, v14, v28
	v_min_f32_e32 v11, v15, v29
	;; [unrolled: 4-line block ×3, first 2 shown]
	v_pk_add_f32 v[30:31], v[30:31], v[110:111]
	v_pk_add_f32 v[110:111], v[10:11], v[70:71]
	v_max_f32_e32 v10, v8, v8
	v_max_f32_e32 v11, v9, v9
	v_min_f32_e32 v8, v10, v24
	v_min_f32_e32 v9, v11, v25
	v_pk_add_f32 v[4:5], v[4:5], v[112:113]
	v_min_f32_e32 v19, v96, v25
	v_min_f32_e32 v18, v97, v24
	v_pk_add_f32 v[112:113], v[8:9], v[54:55]
	v_min_f32_e32 v8, v10, v147
	v_min_f32_e32 v9, v11, v146
	v_pk_add_f32 v[18:19], v[18:19], v[114:115]
	v_pk_add_f32 v[114:115], v[8:9], v[56:57]
	v_min_f32_e32 v8, v10, v28
	v_min_f32_e32 v9, v11, v29
	v_pk_add_f32 v[116:117], v[8:9], v[58:59]
	v_min_f32_e32 v9, v11, v22
	v_min_f32_e32 v8, v10, v23
	v_pk_add_f32 v[118:119], v[8:9], v[60:61]
	v_max_f32_e32 v8, v2, v2
	v_max_f32_e32 v9, v3, v3
	v_min_f32_e32 v2, v8, v24
	v_min_f32_e32 v3, v9, v25
	v_pk_add_f32 v[0:1], v[2:3], v[0:1]
	v_min_f32_e32 v2, v8, v147
	v_min_f32_e32 v3, v9, v146
	v_pk_add_f32 v[120:121], v[2:3], v[12:13]
	;; [unrolled: 3-line block ×3, first 2 shown]
	v_min_f32_e32 v3, v9, v22
	v_min_f32_e32 v2, v8, v23
	v_max_f32_e32 v6, v6, v6
	v_max_f32_e32 v7, v7, v7
	v_pk_add_f32 v[124:125], v[2:3], v[26:27]
	v_min_f32_e32 v2, v6, v24
	v_min_f32_e32 v3, v7, v25
	v_pk_add_f32 v[130:131], v[2:3], v[4:5]
	v_min_f32_e32 v2, v6, v147
	v_min_f32_e32 v3, v7, v146
	v_pk_add_f32 v[30:31], v[2:3], v[30:31]
	v_min_f32_e32 v2, v6, v28
	v_min_f32_e32 v3, v7, v29
	v_pk_add_f32 v[146:147], v[2:3], v[34:35]
	v_min_f32_e32 v3, v7, v22
	v_min_f32_e32 v2, v6, v23
	v_pk_add_f32 v[148:149], v[2:3], v[50:51]
	v_min_f32_e32 v3, v96, v22
	v_min_f32_e32 v2, v97, v23
	v_pk_add_f32 v[150:151], v[2:3], v[52:53]
	v_lshl_add_u64 v[2:3], v[38:39], 0, v[44:45]
	s_waitcnt vmcnt(0)
	ds_write_b32 v137, v145
	ds_write2st64_b32 v136, v143, v144 offset1:4
	s_waitcnt lgkmcnt(0)
	s_barrier
	flat_load_dword v126, v[2:3]
	v_lshl_add_u64 v[2:3], v[40:41], 0, v[48:49]
	flat_load_dword v127, v[2:3]
	flat_load_dword v128, v[2:3] offset:256
	ds_read_b128 v[20:23], v138 offset:896
	ds_read_b128 v[10:13], v135 offset:1536
	ds_read_b128 v[26:29], v135
	s_add_i32 s16, s16, 8
	v_lshl_add_u64 v[40:41], v[40:41], 0, s[8:9]
	s_waitcnt lgkmcnt(0)
	v_max_f32_e32 v143, v21, v21
	v_max_f32_e32 v145, v20, v20
	;; [unrolled: 1-line block ×4, first 2 shown]
	v_min_f32_e32 v3, v143, v129
	v_min_f32_e32 v2, v145, v144
	v_pk_add_f32 v[80:81], v[2:3], v[18:19]
	ds_read_b128 v[24:27], v135 offset:512
	ds_read_b128 v[18:21], v135 offset:1024
	v_max_f32_e32 v154, v11, v11
	v_max_f32_e32 v155, v10, v10
	ds_read_b128 v[8:11], v138 offset:256
	s_waitcnt lgkmcnt(0)
	v_max_f32_e32 v25, v25, v25
	v_max_f32_e32 v152, v19, v19
	;; [unrolled: 1-line block ×3, first 2 shown]
	ds_read_b128 v[16:19], v138
	v_max_f32_e32 v24, v24, v24
	v_min_f32_e32 v3, v143, v25
	v_min_f32_e32 v2, v145, v24
	v_pk_add_f32 v[68:69], v[2:3], v[62:63]
	s_waitcnt lgkmcnt(0)
	v_max_f32_e32 v4, v16, v16
	v_max_f32_e32 v5, v17, v17
	ds_read_b128 v[14:17], v138 offset:128
	v_min_f32_e32 v3, v143, v152
	v_min_f32_e32 v2, v145, v153
	v_pk_add_f32 v[52:53], v[2:3], v[72:73]
	v_min_f32_e32 v2, v4, v144
	v_min_f32_e32 v3, v5, v129
	v_pk_add_f32 v[66:67], v[2:3], v[32:33]
	;; [unrolled: 3-line block ×4, first 2 shown]
	v_min_f32_e32 v3, v5, v154
	v_min_f32_e32 v2, v4, v155
	s_waitcnt lgkmcnt(0)
	v_max_f32_e32 v4, v14, v14
	v_max_f32_e32 v5, v15, v15
	v_pk_add_f32 v[56:57], v[2:3], v[86:87]
	v_min_f32_e32 v2, v4, v144
	v_min_f32_e32 v3, v5, v129
	v_pk_add_f32 v[50:51], v[2:3], v[36:37]
	v_min_f32_e32 v2, v4, v24
	v_min_f32_e32 v3, v5, v25
	;; [unrolled: 3-line block ×4, first 2 shown]
	v_max_f32_e32 v4, v8, v8
	v_max_f32_e32 v5, v9, v9
	ds_read_b128 v[6:9], v138 offset:384
	v_pk_add_f32 v[96:97], v[2:3], v[94:95]
	v_min_f32_e32 v2, v4, v144
	v_min_f32_e32 v3, v5, v129
	v_pk_add_f32 v[54:55], v[2:3], v[98:99]
	v_min_f32_e32 v2, v4, v24
	v_min_f32_e32 v3, v5, v25
	;; [unrolled: 3-line block ×4, first 2 shown]
	v_max_f32_e32 v29, v29, v29
	v_max_f32_e32 v23, v23, v23
	;; [unrolled: 1-line block ×4, first 2 shown]
	v_pk_add_f32 v[98:99], v[2:3], v[102:103]
	s_waitcnt lgkmcnt(0)
	v_max_f32_e32 v4, v6, v6
	v_max_f32_e32 v5, v7, v7
	v_min_f32_e32 v83, v23, v29
	v_min_f32_e32 v82, v22, v28
	v_max_f32_e32 v27, v27, v27
	v_max_f32_e32 v26, v26, v26
	;; [unrolled: 1-line block ×4, first 2 shown]
	v_min_f32_e32 v2, v4, v144
	v_min_f32_e32 v3, v5, v129
	v_pk_add_f32 v[82:83], v[82:83], v[80:81]
	v_min_f32_e32 v81, v23, v27
	v_min_f32_e32 v80, v22, v26
	v_max_f32_e32 v21, v21, v21
	v_max_f32_e32 v20, v20, v20
	v_min_f32_e32 v18, v102, v28
	v_min_f32_e32 v19, v103, v29
	v_pk_add_f32 v[58:59], v[2:3], v[104:105]
	v_min_f32_e32 v2, v4, v24
	v_min_f32_e32 v3, v5, v25
	v_pk_add_f32 v[68:69], v[80:81], v[68:69]
	;; [unrolled: 3-line block ×5, first 2 shown]
	v_pk_add_f32 v[80:81], v[18:19], v[78:79]
	v_min_f32_e32 v18, v102, v20
	v_min_f32_e32 v19, v103, v21
	v_max_f32_e32 v13, v13, v13
	v_max_f32_e32 v12, v12, v12
	v_pk_add_f32 v[88:89], v[2:3], v[108:109]
	v_min_f32_e32 v3, v5, v154
	v_min_f32_e32 v2, v4, v155
	ds_read_b128 v[4:7], v138 offset:512
	v_pk_add_f32 v[66:67], v[18:19], v[92:93]
	v_min_f32_e32 v19, v103, v13
	v_min_f32_e32 v18, v102, v12
	v_pk_add_f32 v[56:57], v[18:19], v[56:57]
	v_max_f32_e32 v18, v16, v16
	v_max_f32_e32 v19, v17, v17
	v_min_f32_e32 v16, v18, v28
	v_min_f32_e32 v17, v19, v29
	v_pk_add_f32 v[92:93], v[16:17], v[50:51]
	v_min_f32_e32 v16, v18, v26
	v_min_f32_e32 v17, v19, v27
	v_pk_add_f32 v[78:79], v[16:17], v[64:65]
	v_min_f32_e32 v16, v18, v20
	v_min_f32_e32 v17, v19, v21
	s_waitcnt lgkmcnt(0)
	v_max_f32_e32 v4, v4, v4
	v_max_f32_e32 v5, v5, v5
	v_pk_add_f32 v[64:65], v[16:17], v[84:85]
	v_min_f32_e32 v17, v19, v13
	v_min_f32_e32 v16, v18, v12
	v_pk_add_f32 v[100:101], v[2:3], v[110:111]
	v_min_f32_e32 v2, v4, v144
	v_min_f32_e32 v3, v5, v129
	v_pk_add_f32 v[50:51], v[16:17], v[96:97]
	v_max_f32_e32 v16, v10, v10
	v_max_f32_e32 v17, v11, v11
	v_pk_add_f32 v[60:61], v[2:3], v[112:113]
	v_min_f32_e32 v2, v4, v24
	v_min_f32_e32 v3, v5, v25
	;; [unrolled: 1-line block ×4, first 2 shown]
	v_pk_add_f32 v[74:75], v[2:3], v[114:115]
	v_min_f32_e32 v2, v4, v153
	v_min_f32_e32 v3, v5, v152
	v_pk_add_f32 v[96:97], v[10:11], v[54:55]
	v_min_f32_e32 v10, v16, v26
	v_min_f32_e32 v11, v17, v27
	;; [unrolled: 3-line block ×4, first 2 shown]
	v_pk_add_f32 v[90:91], v[2:3], v[118:119]
	ds_read_b128 v[2:5], v138 offset:640
	v_pk_add_f32 v[70:71], v[10:11], v[86:87]
	v_min_f32_e32 v11, v17, v13
	v_min_f32_e32 v10, v16, v12
	v_pk_add_f32 v[54:55], v[10:11], v[98:99]
	v_max_f32_e32 v10, v8, v8
	v_max_f32_e32 v11, v9, v9
	v_min_f32_e32 v8, v10, v28
	v_min_f32_e32 v9, v11, v29
	v_pk_add_f32 v[98:99], v[8:9], v[58:59]
	v_min_f32_e32 v8, v10, v26
	v_min_f32_e32 v9, v11, v27
	v_pk_add_f32 v[86:87], v[8:9], v[72:73]
	v_min_f32_e32 v8, v10, v20
	v_min_f32_e32 v9, v11, v21
	s_waitcnt lgkmcnt(0)
	v_max_f32_e32 v14, v2, v2
	v_max_f32_e32 v15, v3, v3
	v_pk_add_f32 v[72:73], v[8:9], v[88:89]
	v_min_f32_e32 v9, v11, v13
	v_min_f32_e32 v8, v10, v12
	;; [unrolled: 1-line block ×4, first 2 shown]
	v_pk_add_f32 v[58:59], v[8:9], v[100:101]
	v_max_f32_e32 v8, v6, v6
	v_max_f32_e32 v9, v7, v7
	v_pk_add_f32 v[34:35], v[2:3], v[0:1]
	v_min_f32_e32 v0, v14, v24
	v_min_f32_e32 v1, v15, v25
	;; [unrolled: 1-line block ×4, first 2 shown]
	v_pk_add_f32 v[36:37], v[0:1], v[120:121]
	v_min_f32_e32 v0, v14, v153
	v_min_f32_e32 v1, v15, v152
	v_pk_add_f32 v[100:101], v[6:7], v[60:61]
	v_min_f32_e32 v6, v8, v26
	v_min_f32_e32 v7, v9, v27
	;; [unrolled: 3-line block ×4, first 2 shown]
	v_pk_add_f32 v[104:105], v[0:1], v[124:125]
	ds_read_b128 v[0:3], v138 offset:768
	v_pk_add_f32 v[74:75], v[6:7], v[76:77]
	v_min_f32_e32 v7, v9, v13
	v_min_f32_e32 v6, v8, v12
	v_pk_add_f32 v[60:61], v[6:7], v[90:91]
	v_max_f32_e32 v6, v4, v4
	v_max_f32_e32 v7, v5, v5
	v_min_f32_e32 v4, v6, v28
	v_min_f32_e32 v5, v7, v29
	v_pk_add_f32 v[102:103], v[4:5], v[34:35]
	v_min_f32_e32 v4, v6, v26
	v_min_f32_e32 v5, v7, v27
	v_pk_add_f32 v[90:91], v[4:5], v[36:37]
	v_min_f32_e32 v4, v6, v20
	v_min_f32_e32 v5, v7, v21
	s_waitcnt lgkmcnt(0)
	v_max_f32_e32 v14, v0, v0
	v_max_f32_e32 v15, v1, v1
	v_pk_add_f32 v[76:77], v[4:5], v[62:63]
	v_min_f32_e32 v5, v7, v13
	v_min_f32_e32 v4, v6, v12
	;; [unrolled: 1-line block ×4, first 2 shown]
	v_pk_add_f32 v[62:63], v[4:5], v[104:105]
	v_max_f32_e32 v4, v2, v2
	v_max_f32_e32 v5, v3, v3
	v_pk_add_f32 v[32:33], v[0:1], v[130:131]
	v_min_f32_e32 v0, v14, v24
	v_min_f32_e32 v1, v15, v25
	;; [unrolled: 1-line block ×4, first 2 shown]
	v_pk_add_f32 v[30:31], v[0:1], v[30:31]
	v_min_f32_e32 v0, v14, v153
	v_min_f32_e32 v1, v15, v152
	v_pk_add_f32 v[112:113], v[2:3], v[32:33]
	v_min_f32_e32 v2, v4, v26
	v_min_f32_e32 v3, v5, v27
	;; [unrolled: 3-line block ×6, first 2 shown]
	v_pk_add_f32 v[0:1], v[0:1], v[150:151]
	v_pk_add_f32 v[106:107], v[2:3], v[14:15]
	v_min_f32_e32 v3, v23, v13
	v_min_f32_e32 v2, v22, v12
	v_pk_add_f32 v[104:105], v[2:3], v[0:1]
	v_lshl_add_u64 v[38:39], v[38:39], 0, s[14:15]
	s_cmp_ge_i32 s16, s25
	s_waitcnt vmcnt(0)
	ds_write_b32 v139, v126
	ds_write2st64_b32 v140, v127, v128 offset1:4
	s_waitcnt lgkmcnt(0)
	s_barrier
	s_cbranch_scc0 .LBB91_11
.LBB91_12:
	s_load_dword s14, s[0:1], 0x50
	ds_read_b128 v[40:43], v135 offset:2048
	ds_read_b128 v[44:47], v134 offset:5120
	v_add_u32_e32 v116, s24, v133
	v_cmp_neq_f32_e64 s[8:9], s12, 0
	v_add_u32_e32 v48, s2, v132
	s_waitcnt lgkmcnt(0)
	v_mad_i64_i32 v[0:1], s[16:17], v116, s14, 0
	v_ashrrev_i32_e32 v49, 31, v48
	v_lshl_add_u64 v[114:115], v[0:1], 2, s[6:7]
	s_and_b64 vcc, exec, s[8:9]
	v_mov_b32_e32 v122, 0
	v_mov_b32_e32 v123, 0
	s_cbranch_vccz .LBB91_14
; %bb.13:
	v_lshl_add_u64 v[0:1], v[48:49], 2, v[114:115]
	flat_load_dword v0, v[0:1]
	s_waitcnt vmcnt(0) lgkmcnt(0)
	v_mul_f32_e32 v123, s12, v0
.LBB91_14:
	ds_read_b128 v[12:15], v134 offset:6016
	ds_read_b128 v[0:3], v135 offset:3584
	;; [unrolled: 1-line block ×6, first 2 shown]
	s_load_dword s15, s[0:1], 0x68
	s_load_dwordx2 s[16:17], s[0:1], 0x70
	ds_read_b128 v[28:31], v134 offset:5504
	ds_read_b128 v[24:27], v134 offset:5632
	;; [unrolled: 1-line block ×4, first 2 shown]
	v_max_f32_e32 v118, v40, v40
	v_max_f32_e32 v44, v44, v44
	;; [unrolled: 1-line block ×3, first 2 shown]
	s_waitcnt lgkmcnt(0)
	s_mul_i32 s0, s3, s17
	s_mul_hi_u32 s1, s3, s16
	s_add_i32 s0, s1, s0
	s_mul_i32 s1, s13, s16
	v_max_f32_e32 v117, v45, v45
	s_add_i32 s1, s0, s1
	s_mul_i32 s0, s3, s16
	v_min_f32_e32 v40, v44, v118
	v_min_f32_e32 v41, v117, v120
	v_max_f32_e32 v119, v42, v42
	v_max_f32_e32 v45, v46, v46
	;; [unrolled: 1-line block ×4, first 2 shown]
	s_lshl_b64 s[0:1], s[0:1], 2
	v_pk_add_f32 v[40:41], v[40:41], v[94:95]
	v_min_f32_e32 v42, v45, v119
	v_min_f32_e32 v43, v46, v121
	s_add_u32 s2, s10, s0
	v_pk_add_f32 v[94:95], v[42:43], v[40:41]
	s_addc_u32 s3, s11, s1
	v_mad_i64_i32 v[42:43], s[0:1], v116, s15, 0
	v_add_f32_e32 v47, v94, v95
	v_add_u32_e32 v40, 8, v48
	v_lshl_add_u64 v[42:43], v[42:43], 2, s[2:3]
	v_add_f32_e32 v47, v47, v123
	v_cndmask_b32_e64 v123, 0, 1, s[8:9]
	v_ashrrev_i32_e32 v41, 31, v40
	v_lshl_add_u64 v[94:95], v[48:49], 2, v[42:43]
	v_cmp_ne_u32_e64 s[0:1], 1, v123
	s_andn2_b64 vcc, exec, s[8:9]
	global_store_dword v[94:95], v47, off
	s_cbranch_vccnz .LBB91_16
; %bb.15:
	v_lshl_add_u64 v[94:95], v[40:41], 2, v[114:115]
	flat_load_dword v47, v[94:95]
	s_waitcnt vmcnt(0) lgkmcnt(0)
	v_mul_f32_e32 v122, s12, v47
.LBB91_16:
	v_max_f32_e32 v47, v36, v36
	v_max_f32_e32 v94, v37, v37
	v_min_f32_e32 v36, v47, v118
	v_min_f32_e32 v37, v94, v120
	v_max_f32_e32 v38, v38, v38
	v_max_f32_e32 v39, v39, v39
	v_pk_add_f32 v[36:37], v[36:37], v[92:93]
	v_min_f32_e32 v92, v38, v119
	v_min_f32_e32 v93, v39, v121
	v_pk_add_f32 v[36:37], v[92:93], v[36:37]
	s_and_b64 vcc, exec, s[0:1]
	v_add_f32_e32 v92, v36, v37
	v_add_u32_e32 v36, 16, v48
	v_add_f32_e32 v95, v92, v122
	v_lshl_add_u64 v[92:93], v[40:41], 2, v[42:43]
	v_ashrrev_i32_e32 v37, 31, v36
	global_store_dword v[92:93], v95, off
	v_mov_b32_e32 v122, 0
	v_mov_b32_e32 v95, 0
	s_cbranch_vccnz .LBB91_18
; %bb.17:
	v_lshl_add_u64 v[92:93], v[36:37], 2, v[114:115]
	flat_load_dword v92, v[92:93]
	s_waitcnt vmcnt(0) lgkmcnt(0)
	v_mul_f32_e32 v95, s12, v92
.LBB91_18:
	v_max_f32_e32 v92, v32, v32
	v_max_f32_e32 v93, v33, v33
	v_min_f32_e32 v32, v92, v118
	v_min_f32_e32 v33, v93, v120
	v_max_f32_e32 v34, v34, v34
	v_max_f32_e32 v35, v35, v35
	v_pk_add_f32 v[32:33], v[32:33], v[96:97]
	v_min_f32_e32 v96, v34, v119
	v_min_f32_e32 v97, v35, v121
	v_pk_add_f32 v[32:33], v[96:97], v[32:33]
	s_and_b64 vcc, exec, s[0:1]
	v_add_f32_e32 v96, v32, v33
	v_add_u32_e32 v32, 24, v48
	v_ashrrev_i32_e32 v33, 31, v32
	v_add_f32_e32 v95, v96, v95
	v_lshl_add_u64 v[96:97], v[36:37], 2, v[42:43]
	global_store_dword v[96:97], v95, off
	s_cbranch_vccnz .LBB91_20
; %bb.19:
	v_lshl_add_u64 v[96:97], v[32:33], 2, v[114:115]
	flat_load_dword v95, v[96:97]
	s_waitcnt vmcnt(0) lgkmcnt(0)
	v_mul_f32_e32 v122, s12, v95
.LBB91_20:
	v_max_f32_e32 v95, v28, v28
	v_max_f32_e32 v96, v29, v29
	v_min_f32_e32 v28, v95, v118
	v_min_f32_e32 v29, v96, v120
	v_max_f32_e32 v30, v30, v30
	v_max_f32_e32 v31, v31, v31
	v_pk_add_f32 v[28:29], v[28:29], v[98:99]
	v_min_f32_e32 v98, v30, v119
	v_min_f32_e32 v99, v31, v121
	v_pk_add_f32 v[28:29], v[98:99], v[28:29]
	v_lshl_add_u64 v[98:99], v[32:33], 2, v[42:43]
	v_add_f32_e32 v97, v28, v29
	v_add_u32_e32 v28, 32, v48
	v_add_f32_e32 v97, v97, v122
	v_ashrrev_i32_e32 v29, 31, v28
	global_store_dword v[98:99], v97, off
	s_and_b64 vcc, exec, s[0:1]
	v_mov_b32_e32 v122, 0
	v_mov_b32_e32 v99, 0
	s_cbranch_vccnz .LBB91_22
; %bb.21:
	v_lshl_add_u64 v[98:99], v[28:29], 2, v[114:115]
	flat_load_dword v97, v[98:99]
	s_waitcnt vmcnt(0) lgkmcnt(0)
	v_mul_f32_e32 v99, s12, v97
.LBB91_22:
	v_max_f32_e32 v97, v24, v24
	v_max_f32_e32 v98, v25, v25
	v_min_f32_e32 v24, v97, v118
	v_min_f32_e32 v25, v98, v120
	v_max_f32_e32 v26, v26, v26
	v_max_f32_e32 v27, v27, v27
	v_pk_add_f32 v[24:25], v[24:25], v[100:101]
	v_min_f32_e32 v100, v26, v119
	v_min_f32_e32 v101, v27, v121
	v_pk_add_f32 v[24:25], v[100:101], v[24:25]
	s_and_b64 vcc, exec, s[0:1]
	v_add_f32_e32 v100, v24, v25
	v_add_u32_e32 v24, 40, v48
	v_ashrrev_i32_e32 v25, 31, v24
	v_add_f32_e32 v99, v100, v99
	v_lshl_add_u64 v[100:101], v[28:29], 2, v[42:43]
	global_store_dword v[100:101], v99, off
	s_cbranch_vccnz .LBB91_24
; %bb.23:
	v_lshl_add_u64 v[100:101], v[24:25], 2, v[114:115]
	flat_load_dword v99, v[100:101]
	s_waitcnt vmcnt(0) lgkmcnt(0)
	v_mul_f32_e32 v122, s12, v99
.LBB91_24:
	v_max_f32_e32 v99, v20, v20
	v_max_f32_e32 v100, v21, v21
	v_min_f32_e32 v20, v99, v118
	v_min_f32_e32 v21, v100, v120
	v_max_f32_e32 v22, v22, v22
	v_max_f32_e32 v23, v23, v23
	v_pk_add_f32 v[20:21], v[20:21], v[102:103]
	v_min_f32_e32 v102, v22, v119
	v_min_f32_e32 v103, v23, v121
	v_pk_add_f32 v[20:21], v[102:103], v[20:21]
	v_lshl_add_u64 v[102:103], v[24:25], 2, v[42:43]
	v_add_f32_e32 v101, v20, v21
	v_add_u32_e32 v20, 48, v48
	v_ashrrev_i32_e32 v21, 31, v20
	v_add_f32_e32 v101, v101, v122
	s_and_b64 vcc, exec, s[0:1]
	v_mov_b32_e32 v122, 0
	v_mov_b32_e32 v123, 0
	global_store_dword v[102:103], v101, off
	s_cbranch_vccnz .LBB91_26
; %bb.25:
	v_lshl_add_u64 v[102:103], v[20:21], 2, v[114:115]
	flat_load_dword v101, v[102:103]
	s_waitcnt vmcnt(0) lgkmcnt(0)
	v_mul_f32_e32 v123, s12, v101
.LBB91_26:
	v_max_f32_e32 v101, v16, v16
	v_max_f32_e32 v103, v17, v17
	v_min_f32_e32 v16, v101, v118
	v_min_f32_e32 v17, v103, v120
	v_pk_add_f32 v[16:17], v[16:17], v[112:113]
	v_max_f32_e32 v102, v18, v18
	v_max_f32_e32 v112, v19, v19
	v_min_f32_e32 v18, v102, v119
	v_min_f32_e32 v19, v112, v121
	v_pk_add_f32 v[16:17], v[18:19], v[16:17]
	s_and_b64 vcc, exec, s[0:1]
	v_add_f32_e32 v18, v16, v17
	v_add_u32_e32 v16, 56, v48
	v_ashrrev_i32_e32 v17, 31, v16
	v_add_f32_e32 v113, v18, v123
	v_lshl_add_u64 v[18:19], v[20:21], 2, v[42:43]
	global_store_dword v[18:19], v113, off
	s_cbranch_vccnz .LBB91_28
; %bb.27:
	v_lshl_add_u64 v[18:19], v[16:17], 2, v[114:115]
	flat_load_dword v18, v[18:19]
	s_waitcnt vmcnt(0) lgkmcnt(0)
	v_mul_f32_e32 v122, s12, v18
.LBB91_28:
	v_max_f32_e32 v18, v13, v13
	v_max_f32_e32 v19, v12, v12
	v_min_f32_e32 v13, v18, v120
	v_min_f32_e32 v12, v19, v118
	v_max_f32_e32 v15, v15, v15
	v_max_f32_e32 v14, v14, v14
	v_pk_add_f32 v[12:13], v[12:13], v[82:83]
	v_min_f32_e32 v83, v15, v121
	v_min_f32_e32 v82, v14, v119
	v_pk_add_f32 v[12:13], v[82:83], v[12:13]
	v_add_u32_e32 v83, 32, v116
	v_add_f32_e32 v12, v12, v13
	v_add_f32_e32 v82, v12, v122
	v_lshl_add_u64 v[12:13], v[16:17], 2, v[42:43]
	global_store_dword v[12:13], v82, off
	v_mad_i64_i32 v[12:13], s[8:9], v83, s14, 0
	v_lshl_add_u64 v[12:13], v[12:13], 2, s[6:7]
	s_and_b64 vcc, exec, s[0:1]
	v_mov_b32_e32 v82, 0
	v_mov_b32_e32 v113, 0
	s_cbranch_vccnz .LBB91_30
; %bb.29:
	v_lshl_add_u64 v[42:43], v[48:49], 2, v[12:13]
	flat_load_dword v42, v[42:43]
	s_waitcnt vmcnt(0) lgkmcnt(0)
	v_mul_f32_e32 v113, s12, v42
.LBB91_30:
	v_max_f32_e32 v42, v8, v8
	v_max_f32_e32 v43, v9, v9
	v_min_f32_e32 v8, v44, v42
	v_min_f32_e32 v9, v117, v43
	v_max_f32_e32 v10, v10, v10
	v_max_f32_e32 v11, v11, v11
	v_pk_add_f32 v[8:9], v[8:9], v[80:81]
	v_min_f32_e32 v80, v45, v10
	v_min_f32_e32 v81, v46, v11
	v_pk_add_f32 v[80:81], v[80:81], v[8:9]
	v_mad_i64_i32 v[8:9], s[8:9], v83, s15, 0
	v_lshl_add_u64 v[8:9], v[8:9], 2, s[2:3]
	v_add_f32_e32 v80, v80, v81
	v_add_f32_e32 v83, v80, v113
	v_lshl_add_u64 v[80:81], v[48:49], 2, v[8:9]
	s_and_b64 vcc, exec, s[0:1]
	global_store_dword v[80:81], v83, off
	s_cbranch_vccnz .LBB91_32
; %bb.31:
	v_lshl_add_u64 v[80:81], v[40:41], 2, v[12:13]
	flat_load_dword v80, v[80:81]
	s_waitcnt vmcnt(0) lgkmcnt(0)
	v_mul_f32_e32 v82, s12, v80
.LBB91_32:
	v_min_f32_e32 v80, v47, v42
	v_min_f32_e32 v81, v94, v43
	v_pk_add_f32 v[78:79], v[80:81], v[78:79]
	v_min_f32_e32 v80, v38, v10
	v_min_f32_e32 v81, v39, v11
	v_pk_add_f32 v[78:79], v[80:81], v[78:79]
	s_and_b64 vcc, exec, s[0:1]
	v_add_f32_e32 v78, v78, v79
	v_add_f32_e32 v80, v78, v82
	v_lshl_add_u64 v[78:79], v[40:41], 2, v[8:9]
	global_store_dword v[78:79], v80, off
	v_mov_b32_e32 v78, 0
	v_mov_b32_e32 v79, 0
	s_cbranch_vccnz .LBB91_34
; %bb.33:
	v_lshl_add_u64 v[80:81], v[36:37], 2, v[12:13]
	flat_load_dword v79, v[80:81]
	s_waitcnt vmcnt(0) lgkmcnt(0)
	v_mul_f32_e32 v79, s12, v79
.LBB91_34:
	v_min_f32_e32 v80, v92, v42
	v_min_f32_e32 v81, v93, v43
	v_pk_add_f32 v[80:81], v[80:81], v[84:85]
	v_min_f32_e32 v82, v34, v10
	v_min_f32_e32 v83, v35, v11
	v_pk_add_f32 v[80:81], v[82:83], v[80:81]
	s_and_b64 vcc, exec, s[0:1]
	v_add_f32_e32 v80, v80, v81
	v_add_f32_e32 v79, v80, v79
	v_lshl_add_u64 v[80:81], v[36:37], 2, v[8:9]
	global_store_dword v[80:81], v79, off
	s_cbranch_vccnz .LBB91_36
; %bb.35:
	v_lshl_add_u64 v[78:79], v[32:33], 2, v[12:13]
	flat_load_dword v78, v[78:79]
	s_waitcnt vmcnt(0) lgkmcnt(0)
	v_mul_f32_e32 v78, s12, v78
.LBB91_36:
	v_min_f32_e32 v80, v95, v42
	v_min_f32_e32 v81, v96, v43
	v_pk_add_f32 v[80:81], v[80:81], v[86:87]
	v_min_f32_e32 v82, v30, v10
	v_min_f32_e32 v83, v31, v11
	v_pk_add_f32 v[80:81], v[82:83], v[80:81]
	s_and_b64 vcc, exec, s[0:1]
	v_add_f32_e32 v79, v80, v81
	v_add_f32_e32 v80, v79, v78
	v_lshl_add_u64 v[78:79], v[32:33], 2, v[8:9]
	global_store_dword v[78:79], v80, off
	v_mov_b32_e32 v78, 0
	v_mov_b32_e32 v79, 0
	s_cbranch_vccnz .LBB91_38
; %bb.37:
	v_lshl_add_u64 v[80:81], v[28:29], 2, v[12:13]
	flat_load_dword v79, v[80:81]
	s_waitcnt vmcnt(0) lgkmcnt(0)
	v_mul_f32_e32 v79, s12, v79
.LBB91_38:
	v_min_f32_e32 v80, v97, v42
	v_min_f32_e32 v81, v98, v43
	v_pk_add_f32 v[80:81], v[80:81], v[88:89]
	v_min_f32_e32 v82, v26, v10
	v_min_f32_e32 v83, v27, v11
	v_pk_add_f32 v[80:81], v[82:83], v[80:81]
	s_and_b64 vcc, exec, s[0:1]
	v_add_f32_e32 v80, v80, v81
	v_add_f32_e32 v79, v80, v79
	v_lshl_add_u64 v[80:81], v[28:29], 2, v[8:9]
	;; [unrolled: 38-line block ×3, first 2 shown]
	global_store_dword v[80:81], v79, off
	s_cbranch_vccnz .LBB91_44
; %bb.43:
	v_lshl_add_u64 v[12:13], v[16:17], 2, v[12:13]
	flat_load_dword v12, v[12:13]
	s_waitcnt vmcnt(0) lgkmcnt(0)
	v_mul_f32_e32 v78, s12, v12
.LBB91_44:
	v_min_f32_e32 v13, v18, v43
	v_min_f32_e32 v12, v19, v42
	v_pk_add_f32 v[12:13], v[12:13], v[68:69]
	v_min_f32_e32 v11, v15, v11
	v_min_f32_e32 v10, v14, v10
	v_pk_add_f32 v[10:11], v[10:11], v[12:13]
	v_lshl_add_u64 v[8:9], v[16:17], 2, v[8:9]
	v_add_f32_e32 v10, v10, v11
	v_add_f32_e32 v10, v10, v78
	v_add_u32_e32 v13, 64, v116
	global_store_dword v[8:9], v10, off
	v_mad_i64_i32 v[8:9], s[8:9], v13, s14, 0
	v_lshl_add_u64 v[8:9], v[8:9], 2, s[6:7]
	s_and_b64 vcc, exec, s[0:1]
	v_mov_b32_e32 v12, 0
	v_mov_b32_e32 v42, 0
	s_cbranch_vccnz .LBB91_46
; %bb.45:
	v_lshl_add_u64 v[10:11], v[48:49], 2, v[8:9]
	flat_load_dword v10, v[10:11]
	s_waitcnt vmcnt(0) lgkmcnt(0)
	v_mul_f32_e32 v42, s12, v10
.LBB91_46:
	v_max_f32_e32 v10, v4, v4
	v_max_f32_e32 v11, v5, v5
	v_min_f32_e32 v4, v44, v10
	v_min_f32_e32 v5, v117, v11
	v_max_f32_e32 v6, v6, v6
	v_max_f32_e32 v7, v7, v7
	v_pk_add_f32 v[4:5], v[4:5], v[66:67]
	v_min_f32_e32 v66, v45, v6
	v_min_f32_e32 v67, v46, v7
	v_pk_add_f32 v[66:67], v[66:67], v[4:5]
	v_mad_i64_i32 v[4:5], s[8:9], v13, s15, 0
	v_lshl_add_u64 v[4:5], v[4:5], 2, s[2:3]
	v_add_f32_e32 v13, v66, v67
	v_add_f32_e32 v13, v13, v42
	v_lshl_add_u64 v[42:43], v[48:49], 2, v[4:5]
	s_and_b64 vcc, exec, s[0:1]
	global_store_dword v[42:43], v13, off
	s_cbranch_vccnz .LBB91_48
; %bb.47:
	v_lshl_add_u64 v[12:13], v[40:41], 2, v[8:9]
	flat_load_dword v12, v[12:13]
	s_waitcnt vmcnt(0) lgkmcnt(0)
	v_mul_f32_e32 v12, s12, v12
.LBB91_48:
	v_min_f32_e32 v42, v47, v10
	v_min_f32_e32 v43, v94, v11
	v_pk_add_f32 v[42:43], v[42:43], v[64:65]
	v_min_f32_e32 v64, v38, v6
	v_min_f32_e32 v65, v39, v7
	v_pk_add_f32 v[42:43], v[64:65], v[42:43]
	s_and_b64 vcc, exec, s[0:1]
	v_add_f32_e32 v13, v42, v43
	v_add_f32_e32 v42, v13, v12
	v_lshl_add_u64 v[12:13], v[40:41], 2, v[4:5]
	global_store_dword v[12:13], v42, off
	v_mov_b32_e32 v12, 0
	v_mov_b32_e32 v13, 0
	s_cbranch_vccnz .LBB91_50
; %bb.49:
	v_lshl_add_u64 v[42:43], v[36:37], 2, v[8:9]
	flat_load_dword v13, v[42:43]
	s_waitcnt vmcnt(0) lgkmcnt(0)
	v_mul_f32_e32 v13, s12, v13
.LBB91_50:
	v_min_f32_e32 v42, v92, v10
	v_min_f32_e32 v43, v93, v11
	v_pk_add_f32 v[42:43], v[42:43], v[70:71]
	v_min_f32_e32 v64, v34, v6
	v_min_f32_e32 v65, v35, v7
	v_pk_add_f32 v[42:43], v[64:65], v[42:43]
	s_and_b64 vcc, exec, s[0:1]
	v_add_f32_e32 v42, v42, v43
	v_add_f32_e32 v13, v42, v13
	v_lshl_add_u64 v[42:43], v[36:37], 2, v[4:5]
	global_store_dword v[42:43], v13, off
	s_cbranch_vccnz .LBB91_52
; %bb.51:
	v_lshl_add_u64 v[12:13], v[32:33], 2, v[8:9]
	flat_load_dword v12, v[12:13]
	s_waitcnt vmcnt(0) lgkmcnt(0)
	v_mul_f32_e32 v12, s12, v12
.LBB91_52:
	v_min_f32_e32 v42, v95, v10
	v_min_f32_e32 v43, v96, v11
	v_pk_add_f32 v[42:43], v[42:43], v[72:73]
	v_min_f32_e32 v64, v30, v6
	v_min_f32_e32 v65, v31, v7
	v_pk_add_f32 v[42:43], v[64:65], v[42:43]
	s_and_b64 vcc, exec, s[0:1]
	v_add_f32_e32 v13, v42, v43
	v_add_f32_e32 v42, v13, v12
	v_lshl_add_u64 v[12:13], v[32:33], 2, v[4:5]
	global_store_dword v[12:13], v42, off
	v_mov_b32_e32 v12, 0
	v_mov_b32_e32 v13, 0
	s_cbranch_vccnz .LBB91_54
; %bb.53:
	v_lshl_add_u64 v[42:43], v[28:29], 2, v[8:9]
	flat_load_dword v13, v[42:43]
	s_waitcnt vmcnt(0) lgkmcnt(0)
	v_mul_f32_e32 v13, s12, v13
.LBB91_54:
	v_min_f32_e32 v42, v97, v10
	v_min_f32_e32 v43, v98, v11
	v_pk_add_f32 v[42:43], v[42:43], v[74:75]
	v_min_f32_e32 v64, v26, v6
	v_min_f32_e32 v65, v27, v7
	v_pk_add_f32 v[42:43], v[64:65], v[42:43]
	s_and_b64 vcc, exec, s[0:1]
	v_add_f32_e32 v42, v42, v43
	v_add_f32_e32 v13, v42, v13
	v_lshl_add_u64 v[42:43], v[28:29], 2, v[4:5]
	;; [unrolled: 38-line block ×3, first 2 shown]
	global_store_dword v[42:43], v13, off
	s_cbranch_vccnz .LBB91_60
; %bb.59:
	v_lshl_add_u64 v[8:9], v[16:17], 2, v[8:9]
	flat_load_dword v8, v[8:9]
	s_waitcnt vmcnt(0) lgkmcnt(0)
	v_mul_f32_e32 v12, s12, v8
.LBB91_60:
	v_min_f32_e32 v9, v18, v11
	v_min_f32_e32 v8, v19, v10
	v_pk_add_f32 v[8:9], v[8:9], v[52:53]
	v_min_f32_e32 v7, v15, v7
	v_min_f32_e32 v6, v14, v6
	v_pk_add_f32 v[6:7], v[6:7], v[8:9]
	v_lshl_add_u64 v[4:5], v[16:17], 2, v[4:5]
	v_add_f32_e32 v6, v6, v7
	v_add_f32_e32 v6, v6, v12
	v_add_u32_e32 v9, 0x60, v116
	global_store_dword v[4:5], v6, off
	v_mad_i64_i32 v[4:5], s[8:9], v9, s14, 0
	v_lshl_add_u64 v[4:5], v[4:5], 2, s[6:7]
	s_and_b64 vcc, exec, s[0:1]
	v_mov_b32_e32 v8, 0
	v_mov_b32_e32 v10, 0
	s_cbranch_vccnz .LBB91_62
; %bb.61:
	v_lshl_add_u64 v[6:7], v[48:49], 2, v[4:5]
	flat_load_dword v6, v[6:7]
	s_waitcnt vmcnt(0) lgkmcnt(0)
	v_mul_f32_e32 v10, s12, v6
.LBB91_62:
	v_max_f32_e32 v6, v1, v1
	v_max_f32_e32 v7, v0, v0
	v_min_f32_e32 v1, v117, v6
	v_min_f32_e32 v0, v44, v7
	v_max_f32_e32 v3, v3, v3
	v_max_f32_e32 v2, v2, v2
	v_pk_add_f32 v[0:1], v[0:1], v[56:57]
	v_min_f32_e32 v13, v46, v3
	v_min_f32_e32 v12, v45, v2
	v_pk_add_f32 v[12:13], v[12:13], v[0:1]
	v_mad_i64_i32 v[0:1], s[6:7], v9, s15, 0
	v_lshl_add_u64 v[0:1], v[0:1], 2, s[2:3]
	v_add_f32_e32 v9, v12, v13
	v_add_f32_e32 v9, v9, v10
	v_lshl_add_u64 v[10:11], v[48:49], 2, v[0:1]
	s_and_b64 vcc, exec, s[0:1]
	global_store_dword v[10:11], v9, off
	s_cbranch_vccnz .LBB91_64
; %bb.63:
	v_lshl_add_u64 v[8:9], v[40:41], 2, v[4:5]
	flat_load_dword v8, v[8:9]
	s_waitcnt vmcnt(0) lgkmcnt(0)
	v_mul_f32_e32 v8, s12, v8
.LBB91_64:
	v_min_f32_e32 v11, v94, v6
	v_min_f32_e32 v10, v47, v7
	v_pk_add_f32 v[10:11], v[10:11], v[50:51]
	v_min_f32_e32 v13, v39, v3
	v_min_f32_e32 v12, v38, v2
	v_pk_add_f32 v[10:11], v[12:13], v[10:11]
	s_and_b64 vcc, exec, s[0:1]
	v_add_f32_e32 v9, v10, v11
	v_add_f32_e32 v10, v9, v8
	v_lshl_add_u64 v[8:9], v[40:41], 2, v[0:1]
	global_store_dword v[8:9], v10, off
	v_mov_b32_e32 v8, 0
	v_mov_b32_e32 v9, 0
	s_cbranch_vccnz .LBB91_66
; %bb.65:
	v_lshl_add_u64 v[10:11], v[36:37], 2, v[4:5]
	flat_load_dword v9, v[10:11]
	s_waitcnt vmcnt(0) lgkmcnt(0)
	v_mul_f32_e32 v9, s12, v9
.LBB91_66:
	v_min_f32_e32 v11, v93, v6
	v_min_f32_e32 v10, v92, v7
	v_pk_add_f32 v[10:11], v[10:11], v[54:55]
	v_min_f32_e32 v13, v35, v3
	v_min_f32_e32 v12, v34, v2
	v_pk_add_f32 v[10:11], v[12:13], v[10:11]
	s_and_b64 vcc, exec, s[0:1]
	v_add_f32_e32 v10, v10, v11
	v_add_f32_e32 v9, v10, v9
	v_lshl_add_u64 v[10:11], v[36:37], 2, v[0:1]
	global_store_dword v[10:11], v9, off
	s_cbranch_vccnz .LBB91_68
; %bb.67:
	v_lshl_add_u64 v[8:9], v[32:33], 2, v[4:5]
	flat_load_dword v8, v[8:9]
	s_waitcnt vmcnt(0) lgkmcnt(0)
	v_mul_f32_e32 v8, s12, v8
.LBB91_68:
	v_min_f32_e32 v11, v96, v6
	v_min_f32_e32 v10, v95, v7
	v_pk_add_f32 v[10:11], v[10:11], v[58:59]
	v_min_f32_e32 v13, v31, v3
	v_min_f32_e32 v12, v30, v2
	v_pk_add_f32 v[10:11], v[12:13], v[10:11]
	s_and_b64 vcc, exec, s[0:1]
	v_add_f32_e32 v9, v10, v11
	v_add_f32_e32 v10, v9, v8
	v_lshl_add_u64 v[8:9], v[32:33], 2, v[0:1]
	global_store_dword v[8:9], v10, off
	v_mov_b32_e32 v8, 0
	v_mov_b32_e32 v9, 0
	s_cbranch_vccnz .LBB91_70
; %bb.69:
	v_lshl_add_u64 v[10:11], v[28:29], 2, v[4:5]
	flat_load_dword v9, v[10:11]
	s_waitcnt vmcnt(0) lgkmcnt(0)
	v_mul_f32_e32 v9, s12, v9
.LBB91_70:
	v_min_f32_e32 v11, v98, v6
	v_min_f32_e32 v10, v97, v7
	v_pk_add_f32 v[10:11], v[10:11], v[60:61]
	v_min_f32_e32 v13, v27, v3
	v_min_f32_e32 v12, v26, v2
	v_pk_add_f32 v[10:11], v[12:13], v[10:11]
	s_and_b64 vcc, exec, s[0:1]
	v_add_f32_e32 v10, v10, v11
	v_add_f32_e32 v9, v10, v9
	v_lshl_add_u64 v[10:11], v[28:29], 2, v[0:1]
	global_store_dword v[10:11], v9, off
	s_cbranch_vccnz .LBB91_72
; %bb.71:
	v_lshl_add_u64 v[8:9], v[24:25], 2, v[4:5]
	flat_load_dword v8, v[8:9]
	s_waitcnt vmcnt(0) lgkmcnt(0)
	v_mul_f32_e32 v8, s12, v8
.LBB91_72:
	v_min_f32_e32 v11, v100, v6
	v_min_f32_e32 v10, v99, v7
	v_pk_add_f32 v[10:11], v[10:11], v[62:63]
	v_min_f32_e32 v13, v23, v3
	v_min_f32_e32 v12, v22, v2
	v_pk_add_f32 v[10:11], v[12:13], v[10:11]
	v_min_f32_e32 v13, v112, v3
	v_add_f32_e32 v9, v10, v11
	v_min_f32_e32 v11, v103, v6
	v_min_f32_e32 v10, v101, v7
	v_pk_add_f32 v[10:11], v[10:11], v[106:107]
	v_min_f32_e32 v12, v102, v2
	v_pk_add_f32 v[10:11], v[12:13], v[10:11]
	v_add_f32_e32 v12, v9, v8
	v_lshl_add_u64 v[8:9], v[24:25], 2, v[0:1]
	global_store_dword v[8:9], v12, off
	v_add_f32_e32 v8, v10, v11
	s_mov_b64 vcc, s[4:5]
	s_cbranch_vccz .LBB91_75
; %bb.73:
	v_add_f32_e32 v9, 0, v8
	v_lshl_add_u64 v[10:11], v[20:21], 2, v[0:1]
	s_mov_b32 s2, 0
	global_store_dword v[10:11], v9, off
	s_cbranch_execz .LBB91_76
; %bb.74:
	v_mov_b32_e32 v4, s2
	s_branch .LBB91_77
.LBB91_75:
                                        ; implicit-def: $sgpr2
.LBB91_76:
	v_lshlrev_b64 v[10:11], 2, v[20:21]
	v_lshl_add_u64 v[12:13], v[4:5], 0, v[10:11]
	flat_load_dword v9, v[12:13]
	v_lshl_add_u64 v[10:11], v[0:1], 0, v[10:11]
	v_lshl_add_u64 v[4:5], v[16:17], 2, v[4:5]
	s_waitcnt vmcnt(0) lgkmcnt(0)
	v_fmac_f32_e32 v8, s12, v9
	global_store_dword v[10:11], v8, off
	flat_load_dword v4, v[4:5]
	s_waitcnt vmcnt(0) lgkmcnt(0)
	v_mul_f32_e32 v4, s12, v4
.LBB91_77:
	v_min_f32_e32 v9, v18, v6
	v_min_f32_e32 v8, v19, v7
	;; [unrolled: 1-line block ×4, first 2 shown]
	v_pk_add_f32 v[6:7], v[8:9], v[104:105]
	v_lshl_add_u64 v[0:1], v[16:17], 2, v[0:1]
	v_pk_add_f32 v[2:3], v[2:3], v[6:7]
	s_nop 0
	v_add_f32_e32 v2, v2, v3
	v_add_f32_e32 v2, v2, v4
	global_store_dword v[0:1], v2, off
	s_endpgm
	.section	.rodata,"a",@progbits
	.p2align	6, 0x0
	.amdhsa_kernel _ZN12_GLOBAL__N_120geam_min_plus_kernelIf15HIP_vector_typeIfLj2EES2_Li8ELi32ELi64ELi128ELi4ELi64ELi4ELi64ELi4ELc78ELc84ELb1ELb0ELb0EfKffEEviiiT16_PT17_ilS6_ilS4_S6_ilPT18_ili26rocblas_geam_ex_operation_
		.amdhsa_group_segment_fixed_size 6144
		.amdhsa_private_segment_fixed_size 0
		.amdhsa_kernarg_size 128
		.amdhsa_user_sgpr_count 2
		.amdhsa_user_sgpr_dispatch_ptr 0
		.amdhsa_user_sgpr_queue_ptr 0
		.amdhsa_user_sgpr_kernarg_segment_ptr 1
		.amdhsa_user_sgpr_dispatch_id 0
		.amdhsa_user_sgpr_kernarg_preload_length 0
		.amdhsa_user_sgpr_kernarg_preload_offset 0
		.amdhsa_user_sgpr_private_segment_size 0
		.amdhsa_uses_dynamic_stack 0
		.amdhsa_enable_private_segment 0
		.amdhsa_system_sgpr_workgroup_id_x 1
		.amdhsa_system_sgpr_workgroup_id_y 0
		.amdhsa_system_sgpr_workgroup_id_z 1
		.amdhsa_system_sgpr_workgroup_info 0
		.amdhsa_system_vgpr_workitem_id 1
		.amdhsa_next_free_vgpr 156
		.amdhsa_next_free_sgpr 26
		.amdhsa_accum_offset 156
		.amdhsa_reserve_vcc 1
		.amdhsa_float_round_mode_32 0
		.amdhsa_float_round_mode_16_64 0
		.amdhsa_float_denorm_mode_32 3
		.amdhsa_float_denorm_mode_16_64 3
		.amdhsa_dx10_clamp 1
		.amdhsa_ieee_mode 1
		.amdhsa_fp16_overflow 0
		.amdhsa_tg_split 0
		.amdhsa_exception_fp_ieee_invalid_op 0
		.amdhsa_exception_fp_denorm_src 0
		.amdhsa_exception_fp_ieee_div_zero 0
		.amdhsa_exception_fp_ieee_overflow 0
		.amdhsa_exception_fp_ieee_underflow 0
		.amdhsa_exception_fp_ieee_inexact 0
		.amdhsa_exception_int_div_zero 0
	.end_amdhsa_kernel
	.section	.text._ZN12_GLOBAL__N_120geam_min_plus_kernelIf15HIP_vector_typeIfLj2EES2_Li8ELi32ELi64ELi128ELi4ELi64ELi4ELi64ELi4ELc78ELc84ELb1ELb0ELb0EfKffEEviiiT16_PT17_ilS6_ilS4_S6_ilPT18_ili26rocblas_geam_ex_operation_,"axG",@progbits,_ZN12_GLOBAL__N_120geam_min_plus_kernelIf15HIP_vector_typeIfLj2EES2_Li8ELi32ELi64ELi128ELi4ELi64ELi4ELi64ELi4ELc78ELc84ELb1ELb0ELb0EfKffEEviiiT16_PT17_ilS6_ilS4_S6_ilPT18_ili26rocblas_geam_ex_operation_,comdat
.Lfunc_end91:
	.size	_ZN12_GLOBAL__N_120geam_min_plus_kernelIf15HIP_vector_typeIfLj2EES2_Li8ELi32ELi64ELi128ELi4ELi64ELi4ELi64ELi4ELc78ELc84ELb1ELb0ELb0EfKffEEviiiT16_PT17_ilS6_ilS4_S6_ilPT18_ili26rocblas_geam_ex_operation_, .Lfunc_end91-_ZN12_GLOBAL__N_120geam_min_plus_kernelIf15HIP_vector_typeIfLj2EES2_Li8ELi32ELi64ELi128ELi4ELi64ELi4ELi64ELi4ELc78ELc84ELb1ELb0ELb0EfKffEEviiiT16_PT17_ilS6_ilS4_S6_ilPT18_ili26rocblas_geam_ex_operation_
                                        ; -- End function
	.section	.AMDGPU.csdata,"",@progbits
; Kernel info:
; codeLenInByte = 8644
; NumSgprs: 32
; NumVgprs: 156
; NumAgprs: 0
; TotalNumVgprs: 156
; ScratchSize: 0
; MemoryBound: 0
; FloatMode: 240
; IeeeMode: 1
; LDSByteSize: 6144 bytes/workgroup (compile time only)
; SGPRBlocks: 3
; VGPRBlocks: 19
; NumSGPRsForWavesPerEU: 32
; NumVGPRsForWavesPerEU: 156
; AccumOffset: 156
; Occupancy: 3
; WaveLimiterHint : 1
; COMPUTE_PGM_RSRC2:SCRATCH_EN: 0
; COMPUTE_PGM_RSRC2:USER_SGPR: 2
; COMPUTE_PGM_RSRC2:TRAP_HANDLER: 0
; COMPUTE_PGM_RSRC2:TGID_X_EN: 1
; COMPUTE_PGM_RSRC2:TGID_Y_EN: 0
; COMPUTE_PGM_RSRC2:TGID_Z_EN: 1
; COMPUTE_PGM_RSRC2:TIDIG_COMP_CNT: 1
; COMPUTE_PGM_RSRC3_GFX90A:ACCUM_OFFSET: 38
; COMPUTE_PGM_RSRC3_GFX90A:TG_SPLIT: 0
	.section	.text._ZN12_GLOBAL__N_120geam_min_plus_kernelIf15HIP_vector_typeIfLj2EES2_Li8ELi32ELi64ELi128ELi4ELi64ELi4ELi64ELi4ELc78ELc84ELb0ELb0ELb0EfKffEEviiiT16_PT17_ilS6_ilS4_S6_ilPT18_ili26rocblas_geam_ex_operation_,"axG",@progbits,_ZN12_GLOBAL__N_120geam_min_plus_kernelIf15HIP_vector_typeIfLj2EES2_Li8ELi32ELi64ELi128ELi4ELi64ELi4ELi64ELi4ELc78ELc84ELb0ELb0ELb0EfKffEEviiiT16_PT17_ilS6_ilS4_S6_ilPT18_ili26rocblas_geam_ex_operation_,comdat
	.globl	_ZN12_GLOBAL__N_120geam_min_plus_kernelIf15HIP_vector_typeIfLj2EES2_Li8ELi32ELi64ELi128ELi4ELi64ELi4ELi64ELi4ELc78ELc84ELb0ELb0ELb0EfKffEEviiiT16_PT17_ilS6_ilS4_S6_ilPT18_ili26rocblas_geam_ex_operation_ ; -- Begin function _ZN12_GLOBAL__N_120geam_min_plus_kernelIf15HIP_vector_typeIfLj2EES2_Li8ELi32ELi64ELi128ELi4ELi64ELi4ELi64ELi4ELc78ELc84ELb0ELb0ELb0EfKffEEviiiT16_PT17_ilS6_ilS4_S6_ilPT18_ili26rocblas_geam_ex_operation_
	.p2align	8
	.type	_ZN12_GLOBAL__N_120geam_min_plus_kernelIf15HIP_vector_typeIfLj2EES2_Li8ELi32ELi64ELi128ELi4ELi64ELi4ELi64ELi4ELc78ELc84ELb0ELb0ELb0EfKffEEviiiT16_PT17_ilS6_ilS4_S6_ilPT18_ili26rocblas_geam_ex_operation_,@function
_ZN12_GLOBAL__N_120geam_min_plus_kernelIf15HIP_vector_typeIfLj2EES2_Li8ELi32ELi64ELi128ELi4ELi64ELi4ELi64ELi4ELc78ELc84ELb0ELb0ELb0EfKffEEviiiT16_PT17_ilS6_ilS4_S6_ilPT18_ili26rocblas_geam_ex_operation_: ; @_ZN12_GLOBAL__N_120geam_min_plus_kernelIf15HIP_vector_typeIfLj2EES2_Li8ELi32ELi64ELi128ELi4ELi64ELi4ELi64ELi4ELc78ELc84ELb0ELb0ELb0EfKffEEviiiT16_PT17_ilS6_ilS4_S6_ilPT18_ili26rocblas_geam_ex_operation_
; %bb.0:
	s_load_dwordx2 s[14:15], s[0:1], 0x8
	s_load_dwordx4 s[4:7], s[0:1], 0x20
	s_waitcnt lgkmcnt(0)
	v_cmp_eq_f32_e64 s[8:9], s15, 0
	s_and_b64 vcc, exec, s[8:9]
	s_cbranch_vccnz .LBB92_3
; %bb.1:
	s_load_dwordx2 s[10:11], s[0:1], 0x10
	s_mul_i32 s5, s3, s5
	s_mul_hi_u32 s12, s3, s4
	s_add_i32 s5, s12, s5
	s_mul_i32 s4, s3, s4
	s_lshl_b64 s[4:5], s[4:5], 2
	s_waitcnt lgkmcnt(0)
	s_add_u32 s18, s10, s4
	s_addc_u32 s19, s11, s5
	s_andn2_b64 vcc, exec, s[8:9]
	s_cbranch_vccnz .LBB92_4
.LBB92_2:
	s_mov_b32 s13, 0
	s_mov_b64 s[16:17], 0
	s_cbranch_execz .LBB92_5
	s_branch .LBB92_6
.LBB92_3:
	s_mov_b64 s[18:19], 0
	s_andn2_b64 vcc, exec, s[8:9]
	s_cbranch_vccz .LBB92_2
.LBB92_4:
                                        ; implicit-def: $sgpr16_sgpr17
                                        ; implicit-def: $sgpr12_sgpr13
.LBB92_5:
	s_load_dwordx2 s[4:5], s[0:1], 0x38
	s_mov_b32 s13, 0
	s_waitcnt lgkmcnt(0)
	s_mul_i32 s5, s3, s5
	s_mul_hi_u32 s8, s3, s4
	s_add_i32 s5, s8, s5
	s_mul_i32 s4, s3, s4
	s_lshl_b64 s[4:5], s[4:5], 2
	s_add_u32 s16, s6, s4
	s_addc_u32 s17, s7, s5
.LBB92_6:
	s_load_dword s12, s[0:1], 0x40
	s_load_dwordx4 s[8:11], s[0:1], 0x58
	v_cmp_neq_f32_e64 s[22:23], s15, 0
	s_waitcnt lgkmcnt(0)
	v_cmp_eq_f32_e64 s[4:5], s12, 0
	s_and_b64 s[6:7], exec, s[4:5]
	s_mov_b64 vcc, s[6:7]
	s_cbranch_vccnz .LBB92_8
; %bb.7:
	s_load_dwordx2 s[4:5], s[0:1], 0x48
	s_mul_i32 s9, s3, s9
	s_mul_hi_u32 s20, s3, s8
	s_add_i32 s9, s20, s9
	s_mul_i32 s20, s13, s8
	s_add_i32 s9, s9, s20
	s_mul_i32 s8, s3, s8
	s_lshl_b64 s[8:9], s[8:9], 2
	s_waitcnt lgkmcnt(0)
	s_add_u32 s8, s4, s8
	s_addc_u32 s9, s5, s9
	s_branch .LBB92_9
.LBB92_8:
	s_mov_b64 s[8:9], 0
.LBB92_9:
	s_load_dword s4, s[0:1], 0x0
	s_load_dword s20, s[0:1], 0x18
	v_and_b32_e32 v206, 0x3ff, v0
	v_bfe_u32 v207, v0, 10, 10
	v_cndmask_b32_e64 v0, 0, 1, s[22:23]
	s_waitcnt lgkmcnt(0)
	s_add_i32 s4, s4, -1
	s_ashr_i32 s5, s4, 31
	s_lshr_b32 s5, s5, 26
	s_add_i32 s4, s4, s5
	s_ashr_i32 s24, s4, 6
	s_add_i32 s26, s24, 1
	v_cvt_f32_u32_e32 v1, s26
	v_cmp_ne_u32_e64 s[4:5], 1, v0
	s_not_b32 s24, s24
	s_ashr_i32 s21, s20, 31
	v_rcp_iflag_f32_e32 v1, v1
	v_lshl_add_u32 v2, v207, 3, v206
	v_and_b32_e32 v7, 63, v2
	v_lshrrev_b32_e32 v6, 6, v2
	v_mul_f32_e32 v0, 0x4f7ffffe, v1
	v_cvt_u32_f32_e32 v0, v0
	s_nop 0
	v_readfirstlane_b32 s25, v0
	s_mul_i32 s24, s24, s25
	s_mul_hi_u32 s24, s25, s24
	s_add_i32 s25, s25, s24
	s_mul_hi_u32 s24, s2, s25
	s_mul_i32 s25, s24, s26
	s_sub_i32 s25, s2, s25
	s_add_i32 s27, s24, 1
	s_sub_i32 s28, s25, s26
	s_cmp_ge_u32 s25, s26
	s_cselect_b32 s24, s27, s24
	s_cselect_b32 s25, s28, s25
	s_add_i32 s27, s24, 1
	s_cmp_ge_u32 s25, s26
	s_cselect_b32 s25, s27, s24
	s_mul_i32 s27, s25, s26
	s_sub_i32 s24, s2, s27
	s_lshl_b32 s24, s24, 6
	v_or_b32_e32 v0, s24, v7
	s_andn2_b64 vcc, exec, s[22:23]
	v_ashrrev_i32_e32 v1, 31, v0
	s_cbranch_vccnz .LBB92_11
; %bb.10:
	v_mad_i64_i32 v[2:3], s[22:23], s20, v6, 0
	v_lshl_add_u64 v[2:3], v[2:3], 2, s[18:19]
	v_lshl_add_u64 v[2:3], v[0:1], 2, v[2:3]
	flat_load_dword v2, v[2:3]
	s_waitcnt vmcnt(0) lgkmcnt(0)
	v_mul_f32_e32 v9, s15, v2
	s_branch .LBB92_12
.LBB92_11:
	v_mov_b32_e32 v9, 0
.LBB92_12:
	s_load_dword s22, s[0:1], 0x30
	s_lshl_b32 s25, s25, 7
	v_or_b32_e32 v4, s25, v7
	s_and_b64 vcc, exec, s[4:5]
	v_ashrrev_i32_e32 v5, 31, v4
	s_waitcnt lgkmcnt(0)
	s_ashr_i32 s23, s22, 31
	s_cbranch_vccnz .LBB92_16
; %bb.13:
	v_mad_i64_i32 v[2:3], s[28:29], s22, v6, 0
	v_lshl_add_u64 v[2:3], v[2:3], 2, s[16:17]
	v_lshl_add_u64 v[2:3], v[4:5], 2, v[2:3]
	flat_load_dword v10, v[2:3]
	flat_load_dword v11, v[2:3] offset:256
	s_mov_b32 s26, s15
	s_waitcnt vmcnt(0) lgkmcnt(0)
	v_pk_mul_f32 v[2:3], v[10:11], s[26:27] op_sel_hi:[1,0]
	s_and_b64 vcc, exec, s[4:5]
	v_add_u32_e32 v10, 4, v6
	s_cbranch_vccnz .LBB92_17
.LBB92_14:
	v_mad_i64_i32 v[12:13], s[28:29], s20, v10, 0
	v_lshl_add_u64 v[12:13], v[12:13], 2, s[18:19]
	v_lshl_add_u64 v[0:1], v[0:1], 2, v[12:13]
	flat_load_dword v0, v[0:1]
	s_waitcnt vmcnt(0) lgkmcnt(0)
	v_mul_f32_e32 v8, s15, v0
	s_and_b64 vcc, exec, s[4:5]
	s_cbranch_vccnz .LBB92_18
.LBB92_15:
	v_mad_i64_i32 v[0:1], s[28:29], s22, v10, 0
	v_lshl_add_u64 v[0:1], v[0:1], 2, s[16:17]
	v_lshl_add_u64 v[0:1], v[4:5], 2, v[0:1]
	flat_load_dword v4, v[0:1]
	flat_load_dword v5, v[0:1] offset:256
	s_mov_b32 s26, s15
	s_waitcnt vmcnt(0) lgkmcnt(0)
	v_pk_mul_f32 v[0:1], v[4:5], s[26:27] op_sel_hi:[1,0]
	s_branch .LBB92_19
.LBB92_16:
	v_mov_b32_e32 v2, 0
	v_mov_b32_e32 v3, 0
	s_and_b64 vcc, exec, s[4:5]
	v_add_u32_e32 v10, 4, v6
	s_cbranch_vccz .LBB92_14
.LBB92_17:
	v_mov_b32_e32 v8, 0
	s_and_b64 vcc, exec, s[4:5]
	s_cbranch_vccz .LBB92_15
.LBB92_18:
	v_mov_b32_e32 v0, 0
	v_mov_b32_e32 v1, 0
.LBB92_19:
	v_lshlrev_b32_e32 v4, 2, v6
	v_lshl_add_u32 v210, v7, 4, v4
	v_lshlrev_b32_e32 v209, 4, v207
	ds_write_b32 v210, v9 offset:4096
	ds_write2st64_b32 v210, v2, v3 offset1:4
	s_waitcnt lgkmcnt(0)
	s_barrier
	ds_read_b128 v[2:5], v209
	v_lshlrev_b32_e32 v208, 4, v206
	ds_read_b128 v[10:13], v208 offset:4992
	ds_read_b128 v[14:17], v209 offset:512
	;; [unrolled: 1-line block ×5, first 2 shown]
	s_waitcnt lgkmcnt(5)
	v_max_f32_e32 v9, v3, v3
	v_max_f32_e32 v52, v2, v2
	ds_read_b128 v[30:33], v208 offset:4096
	ds_read_b128 v[34:37], v208 offset:4224
	v_max_f32_e32 v104, v5, v5
	v_max_f32_e32 v106, v4, v4
	ds_read_b128 v[2:5], v208 offset:4352
	s_waitcnt lgkmcnt(7)
	v_max_f32_e32 v56, v11, v11
	v_max_f32_e32 v57, v10, v10
	s_waitcnt lgkmcnt(6)
	v_max_f32_e32 v54, v15, v15
	v_max_f32_e32 v55, v14, v14
	s_waitcnt lgkmcnt(3)
	v_max_f32_e32 v59, v26, v26
	s_waitcnt lgkmcnt(2)
	v_max_f32_e32 v26, v30, v30
	v_max_f32_e32 v105, v13, v13
	;; [unrolled: 1-line block ×3, first 2 shown]
	ds_read_b128 v[10:13], v208 offset:4480
	v_max_f32_e32 v108, v17, v17
	v_max_f32_e32 v109, v16, v16
	s_waitcnt lgkmcnt(1)
	v_max_f32_e32 v30, v2, v2
	v_max_f32_e32 v125, v28, v28
	;; [unrolled: 1-line block ×4, first 2 shown]
	ds_read_b128 v[14:17], v208 offset:4608
	v_max_f32_e32 v73, v5, v5
	ds_read_b128 v[2:5], v208 offset:4736
	v_max_f32_e32 v58, v27, v27
	v_max_f32_e32 v60, v23, v23
	;; [unrolled: 1-line block ×4, first 2 shown]
	s_waitcnt lgkmcnt(0)
	v_max_f32_e32 v50, v2, v2
	v_max_f32_e32 v51, v3, v3
	;; [unrolled: 1-line block ×10, first 2 shown]
	v_min_f32_e32 v46, v50, v52
	v_min_f32_e32 v47, v51, v9
	;; [unrolled: 1-line block ×10, first 2 shown]
	v_max_f32_e32 v124, v29, v29
	v_max_f32_e32 v66, v32, v32
	;; [unrolled: 1-line block ×14, first 2 shown]
	v_min_f32_e32 v2, v26, v52
	v_min_f32_e32 v3, v27, v9
	;; [unrolled: 1-line block ×41, first 2 shown]
	v_pk_add_f32 v[50:51], v[50:51], 0 op_sel_hi:[1,0]
	v_min_f32_e32 v57, v105, v104
	v_min_f32_e32 v56, v107, v106
	v_pk_add_f32 v[88:89], v[56:57], v[50:51]
	v_pk_add_f32 v[50:51], v[52:53], 0 op_sel_hi:[1,0]
	v_min_f32_e32 v53, v105, v108
	v_min_f32_e32 v52, v107, v109
	v_pk_add_f32 v[74:75], v[52:53], v[50:51]
	v_pk_add_f32 v[50:51], v[54:55], 0 op_sel_hi:[1,0]
	v_min_f32_e32 v53, v105, v124
	v_min_f32_e32 v52, v107, v125
	v_max_f32_e32 v69, v37, v37
	v_min_f32_e32 v31, v39, v9
	v_min_f32_e32 v35, v39, v58
	;; [unrolled: 1-line block ×10, first 2 shown]
	v_pk_add_f32 v[60:61], v[52:53], v[50:51]
	v_pk_add_f32 v[2:3], v[2:3], 0 op_sel_hi:[1,0]
	v_min_f32_e32 v50, v66, v106
	v_min_f32_e32 v51, v67, v104
	v_pk_add_f32 v[122:123], v[50:51], v[2:3]
	v_pk_add_f32 v[2:3], v[4:5], 0 op_sel_hi:[1,0]
	v_min_f32_e32 v4, v66, v109
	v_min_f32_e32 v5, v67, v108
	v_pk_add_f32 v[86:87], v[4:5], v[2:3]
	v_pk_add_f32 v[2:3], v[10:11], 0 op_sel_hi:[1,0]
	v_min_f32_e32 v4, v66, v125
	v_min_f32_e32 v5, v67, v124
	v_min_f32_e32 v81, v71, v9
	v_min_f32_e32 v98, v70, v59
	;; [unrolled: 1-line block ×3, first 2 shown]
	v_pk_add_f32 v[70:71], v[4:5], v[2:3]
	v_min_f32_e32 v3, v67, v126
	v_min_f32_e32 v2, v66, v127
	v_pk_add_f32 v[4:5], v[12:13], 0 op_sel_hi:[1,0]
	s_cmp_lt_i32 s14, 9
	v_pk_add_f32 v[56:57], v[2:3], v[4:5]
	v_pk_add_f32 v[2:3], v[14:15], 0 op_sel_hi:[1,0]
	v_min_f32_e32 v4, v68, v106
	v_min_f32_e32 v5, v69, v104
	v_pk_add_f32 v[120:121], v[4:5], v[2:3]
	v_pk_add_f32 v[2:3], v[16:17], 0 op_sel_hi:[1,0]
	v_min_f32_e32 v4, v68, v109
	v_min_f32_e32 v5, v69, v108
	;; [unrolled: 4-line block ×3, first 2 shown]
	v_pk_add_f32 v[66:67], v[4:5], v[2:3]
	v_min_f32_e32 v3, v69, v126
	v_min_f32_e32 v2, v68, v127
	v_pk_add_f32 v[4:5], v[20:21], 0 op_sel_hi:[1,0]
	ds_write2st64_b32 v210, v0, v1 offset0:8 offset1:12
	ds_write_b32 v210, v8 offset:5120
	v_pk_add_f32 v[50:51], v[2:3], v[4:5]
	v_pk_add_f32 v[2:3], v[22:23], 0 op_sel_hi:[1,0]
	v_min_f32_e32 v4, v72, v106
	v_min_f32_e32 v5, v73, v104
	v_pk_add_f32 v[118:119], v[4:5], v[2:3]
	v_pk_add_f32 v[2:3], v[24:25], 0 op_sel_hi:[1,0]
	v_min_f32_e32 v4, v72, v109
	v_min_f32_e32 v5, v73, v108
	;; [unrolled: 4-line block ×3, first 2 shown]
	v_pk_add_f32 v[68:69], v[4:5], v[2:3]
	v_min_f32_e32 v3, v73, v126
	v_min_f32_e32 v2, v72, v127
	v_pk_add_f32 v[4:5], v[28:29], 0 op_sel_hi:[1,0]
	s_waitcnt lgkmcnt(0)
	v_pk_add_f32 v[52:53], v[2:3], v[4:5]
	v_pk_add_f32 v[2:3], v[30:31], 0 op_sel_hi:[1,0]
	v_min_f32_e32 v4, v76, v106
	v_min_f32_e32 v5, v77, v104
	v_pk_add_f32 v[116:117], v[4:5], v[2:3]
	v_pk_add_f32 v[2:3], v[32:33], 0 op_sel_hi:[1,0]
	v_min_f32_e32 v4, v76, v109
	v_min_f32_e32 v5, v77, v108
	v_pk_add_f32 v[90:91], v[4:5], v[2:3]
	v_pk_add_f32 v[2:3], v[34:35], 0 op_sel_hi:[1,0]
	v_min_f32_e32 v4, v76, v125
	v_min_f32_e32 v5, v77, v124
	v_pk_add_f32 v[72:73], v[4:5], v[2:3]
	v_min_f32_e32 v3, v77, v126
	v_min_f32_e32 v2, v76, v127
	v_pk_add_f32 v[4:5], v[36:37], 0 op_sel_hi:[1,0]
	s_barrier
	v_pk_add_f32 v[54:55], v[2:3], v[4:5]
	v_pk_add_f32 v[2:3], v[38:39], 0 op_sel_hi:[1,0]
	v_min_f32_e32 v4, v78, v106
	v_min_f32_e32 v5, v79, v104
	v_pk_add_f32 v[114:115], v[4:5], v[2:3]
	v_pk_add_f32 v[2:3], v[40:41], 0 op_sel_hi:[1,0]
	v_min_f32_e32 v4, v78, v109
	v_min_f32_e32 v5, v79, v108
	;; [unrolled: 4-line block ×3, first 2 shown]
	v_pk_add_f32 v[76:77], v[4:5], v[2:3]
	v_min_f32_e32 v3, v79, v126
	v_min_f32_e32 v2, v78, v127
	v_pk_add_f32 v[4:5], v[44:45], 0 op_sel_hi:[1,0]
	s_nop 0
	v_pk_add_f32 v[58:59], v[2:3], v[4:5]
	v_pk_add_f32 v[2:3], v[46:47], 0 op_sel_hi:[1,0]
	v_min_f32_e32 v4, v110, v106
	v_min_f32_e32 v5, v111, v104
	v_pk_add_f32 v[112:113], v[4:5], v[2:3]
	v_pk_add_f32 v[2:3], v[48:49], 0 op_sel_hi:[1,0]
	v_min_f32_e32 v4, v110, v109
	v_min_f32_e32 v5, v111, v108
	;; [unrolled: 4-line block ×3, first 2 shown]
	v_pk_add_f32 v[78:79], v[4:5], v[2:3]
	v_min_f32_e32 v3, v111, v126
	v_min_f32_e32 v2, v110, v127
	v_pk_add_f32 v[4:5], v[64:65], 0 op_sel_hi:[1,0]
	s_nop 0
	v_pk_add_f32 v[62:63], v[2:3], v[4:5]
	v_min_f32_e32 v2, v128, v106
	v_min_f32_e32 v3, v129, v104
	v_pk_add_f32 v[4:5], v[80:81], 0 op_sel_hi:[1,0]
	s_nop 0
	;; [unrolled: 5-line block ×6, first 2 shown]
	v_pk_add_f32 v[48:49], v[2:3], v[4:5]
	s_cbranch_scc1 .LBB92_33
; %bb.20:
	v_mov_b32_e32 v0, 0x1400
	v_lshl_add_u32 v215, v206, 4, v0
	v_mov_b32_e32 v0, 0x800
	v_add_u32_e32 v2, 12, v6
	v_lshl_add_u32 v216, v207, 4, v0
	v_mad_i64_i32 v[0:1], s[28:29], v2, s22, 0
	v_lshlrev_b64 v[98:99], 2, v[0:1]
	v_add_u32_e32 v0, s25, v7
	v_ashrrev_i32_e32 v1, 31, v0
	v_lshl_add_u64 v[100:101], v[0:1], 2, s[16:17]
	v_mad_i64_i32 v[0:1], s[28:29], v2, s20, 0
	v_lshlrev_b64 v[102:103], 2, v[0:1]
	v_lshl_or_b32 v0, s2, 6, v7
	s_lshl_b32 s2, s27, 6
	v_subrev_u32_e32 v0, s2, v0
	v_ashrrev_i32_e32 v1, 31, v0
	v_add_u32_e32 v2, 8, v6
	s_lshl_b64 s[16:17], s[22:23], 5
	v_lshl_add_u64 v[104:105], v[0:1], 2, s[18:19]
	v_mad_i64_i32 v[0:1], s[22:23], v2, s22, 0
	s_lshl_b64 s[18:19], s[20:21], 5
	v_lshlrev_b64 v[106:107], 2, v[0:1]
	v_mad_i64_i32 v[0:1], s[20:21], v2, s20, 0
	v_or_b32_e32 v211, 0x1000, v210
	v_add_u32_e32 v212, 0x1000, v208
	v_add_u32_e32 v213, 0x1400, v210
	v_or_b32_e32 v214, 0x800, v210
	s_add_i32 s26, s14, -8
	s_mov_b32 s14, s15
	v_lshlrev_b64 v[108:109], 2, v[0:1]
	s_mov_b32 s2, 0
	s_branch .LBB92_23
.LBB92_21:                              ;   in Loop: Header=BB92_23 Depth=1
	v_lshl_add_u64 v[16:17], v[100:101], 0, v[98:99]
	flat_load_dword v218, v[16:17]
	flat_load_dword v219, v[16:17] offset:256
	s_waitcnt vmcnt(0) lgkmcnt(0)
	v_pk_mul_f32 v[16:17], v[218:219], s[14:15]
.LBB92_22:                              ;   in Loop: Header=BB92_23 Depth=1
	v_pk_add_f32 v[40:41], v[40:41], v[88:89]
	v_pk_add_f32 v[32:33], v[32:33], v[60:61]
	;; [unrolled: 1-line block ×32, first 2 shown]
	ds_read_b128 v[0:3], v209
	ds_read_b128 v[8:11], v209 offset:512
	v_pk_add_f32 v[22:23], v[6:7], v[80:81]
	ds_read_b128 v[4:7], v212 offset:896
	ds_read_b128 v[12:15], v212 offset:768
	;; [unrolled: 1-line block ×4, first 2 shown]
	v_pk_add_f32 v[88:89], v[132:133], v[68:69]
	v_pk_add_f32 v[90:91], v[140:141], v[90:91]
	;; [unrolled: 1-line block ×6, first 2 shown]
	ds_read_b128 v[88:91], v212
	v_pk_add_f32 v[36:37], v[36:37], v[74:75]
	v_pk_add_f32 v[116:117], v[142:143], v[116:117]
	v_pk_add_f32 v[78:79], v[38:39], v[36:37]
	v_pk_add_f32 v[72:73], v[46:47], v[44:45]
	v_pk_add_f32 v[74:75], v[30:31], v[28:29]
	v_pk_add_f32 v[46:47], v[182:183], v[116:117]
	v_pk_add_f32 v[44:45], v[184:185], v[118:119]
	v_pk_add_f32 v[36:37], v[190:191], v[120:121]
	v_pk_add_f32 v[28:29], v[200:201], v[122:123]
	s_waitcnt lgkmcnt(4)
	v_max_f32_e32 v117, v5, v5
	v_max_f32_e32 v119, v4, v4
	;; [unrolled: 1-line block ×4, first 2 shown]
	s_waitcnt lgkmcnt(1)
	v_max_f32_e32 v122, v85, v85
	v_max_f32_e32 v123, v84, v84
	v_min_f32_e32 v5, v117, v120
	v_min_f32_e32 v4, v119, v121
	;; [unrolled: 1-line block ×4, first 2 shown]
	v_max_f32_e32 v116, v1, v1
	v_max_f32_e32 v118, v0, v0
	v_pk_add_f32 v[4:5], v[4:5], v[78:79]
	v_pk_add_f32 v[8:9], v[8:9], v[76:77]
	ds_read_b128 v[76:79], v212 offset:128
	s_waitcnt lgkmcnt(1)
	v_max_f32_e32 v88, v88, v88
	v_max_f32_e32 v89, v89, v89
	v_min_f32_e32 v84, v88, v118
	v_min_f32_e32 v85, v89, v116
	v_pk_add_f32 v[92:93], v[146:147], v[92:93]
	v_pk_add_f32 v[84:85], v[84:85], v[70:71]
	v_min_f32_e32 v70, v88, v121
	v_min_f32_e32 v71, v89, v120
	v_pk_add_f32 v[94:95], v[152:153], v[94:95]
	v_pk_add_f32 v[40:41], v[186:187], v[92:93]
	;; [unrolled: 1-line block ×3, first 2 shown]
	v_min_f32_e32 v70, v88, v123
	v_min_f32_e32 v71, v89, v122
	v_pk_add_f32 v[32:33], v[196:197], v[94:95]
	v_pk_add_f32 v[94:95], v[70:71], v[74:75]
	v_max_f32_e32 v74, v81, v81
	v_max_f32_e32 v75, v80, v80
	v_pk_add_f32 v[68:69], v[26:27], v[24:25]
	v_min_f32_e32 v71, v89, v74
	v_min_f32_e32 v70, v88, v75
	s_waitcnt lgkmcnt(0)
	v_max_f32_e32 v72, v76, v76
	v_max_f32_e32 v73, v77, v77
	v_pk_add_f32 v[68:69], v[70:71], v[68:69]
	v_min_f32_e32 v70, v72, v118
	v_min_f32_e32 v71, v73, v116
	v_pk_add_f32 v[76:77], v[70:71], v[62:63]
	v_min_f32_e32 v62, v72, v121
	v_min_f32_e32 v63, v73, v120
	;; [unrolled: 3-line block ×3, first 2 shown]
	v_pk_add_f32 v[66:67], v[62:63], v[66:67]
	ds_read_b128 v[62:65], v212 offset:256
	v_pk_add_f32 v[96:97], v[158:159], v[96:97]
	v_min_f32_e32 v71, v73, v74
	v_min_f32_e32 v70, v72, v75
	v_pk_add_f32 v[24:25], v[202:203], v[96:97]
	v_pk_add_f32 v[96:97], v[70:71], v[60:61]
	ds_read_b128 v[70:73], v212 offset:384
	s_waitcnt lgkmcnt(1)
	v_max_f32_e32 v62, v62, v62
	v_max_f32_e32 v63, v63, v63
	v_min_f32_e32 v60, v62, v118
	v_min_f32_e32 v61, v63, v116
	v_pk_add_f32 v[110:111], v[160:161], v[110:111]
	v_pk_add_f32 v[54:55], v[60:61], v[54:55]
	v_min_f32_e32 v60, v62, v121
	v_min_f32_e32 v61, v63, v120
	v_pk_add_f32 v[52:53], v[138:139], v[52:53]
	v_pk_add_f32 v[26:27], v[204:205], v[110:111]
	;; [unrolled: 1-line block ×3, first 2 shown]
	v_min_f32_e32 v56, v62, v123
	v_min_f32_e32 v57, v63, v122
	v_pk_add_f32 v[52:53], v[178:179], v[52:53]
	v_pk_add_f32 v[58:59], v[56:57], v[58:59]
	v_min_f32_e32 v57, v63, v74
	v_min_f32_e32 v56, v62, v75
	s_waitcnt lgkmcnt(0)
	v_max_f32_e32 v60, v70, v70
	v_max_f32_e32 v61, v71, v71
	v_pk_add_f32 v[112:113], v[154:155], v[112:113]
	v_pk_add_f32 v[52:53], v[56:57], v[52:53]
	v_min_f32_e32 v56, v60, v118
	v_min_f32_e32 v57, v61, v116
	v_pk_add_f32 v[114:115], v[148:149], v[114:115]
	v_pk_add_f32 v[30:31], v[198:199], v[112:113]
	;; [unrolled: 1-line block ×3, first 2 shown]
	v_min_f32_e32 v46, v60, v121
	v_min_f32_e32 v47, v61, v120
	v_pk_add_f32 v[38:39], v[188:189], v[114:115]
	v_pk_add_f32 v[114:115], v[46:47], v[48:49]
	v_min_f32_e32 v46, v60, v123
	v_min_f32_e32 v47, v61, v122
	v_pk_add_f32 v[18:19], v[194:195], v[124:125]
	v_pk_add_f32 v[124:125], v[46:47], v[50:51]
	ds_read_b128 v[46:49], v212 offset:512
	v_min_f32_e32 v51, v61, v74
	v_min_f32_e32 v50, v60, v75
	ds_read_b128 v[60:63], v212 offset:640
	v_pk_add_f32 v[44:45], v[50:51], v[44:45]
	s_waitcnt lgkmcnt(1)
	v_max_f32_e32 v50, v46, v46
	v_max_f32_e32 v51, v47, v47
	v_min_f32_e32 v46, v50, v118
	v_min_f32_e32 v47, v51, v116
	v_pk_add_f32 v[38:39], v[46:47], v[38:39]
	v_min_f32_e32 v46, v50, v121
	v_min_f32_e32 v47, v51, v120
	v_pk_add_f32 v[40:41], v[46:47], v[40:41]
	;; [unrolled: 3-line block ×3, first 2 shown]
	v_min_f32_e32 v47, v51, v74
	v_min_f32_e32 v46, v50, v75
	s_waitcnt lgkmcnt(0)
	v_max_f32_e32 v50, v60, v60
	v_max_f32_e32 v51, v61, v61
	v_pk_add_f32 v[36:37], v[46:47], v[36:37]
	v_min_f32_e32 v46, v50, v118
	v_min_f32_e32 v47, v51, v116
	v_pk_add_f32 v[30:31], v[46:47], v[30:31]
	v_min_f32_e32 v46, v50, v121
	v_min_f32_e32 v47, v51, v120
	;; [unrolled: 3-line block ×4, first 2 shown]
	v_pk_add_f32 v[28:29], v[46:47], v[28:29]
	v_max_f32_e32 v46, v12, v12
	v_max_f32_e32 v47, v13, v13
	v_min_f32_e32 v12, v46, v118
	v_min_f32_e32 v13, v47, v116
	v_pk_add_f32 v[12:13], v[12:13], v[26:27]
	v_min_f32_e32 v26, v46, v121
	v_min_f32_e32 v27, v47, v120
	v_pk_add_f32 v[24:25], v[26:27], v[24:25]
	v_min_f32_e32 v26, v46, v123
	v_min_f32_e32 v27, v47, v122
	v_pk_add_f32 v[20:21], v[26:27], v[20:21]
	v_min_f32_e32 v27, v47, v74
	v_min_f32_e32 v26, v46, v75
	v_pk_add_f32 v[22:23], v[26:27], v[22:23]
	v_min_f32_e32 v27, v117, v74
	v_min_f32_e32 v26, v119, v75
	;; [unrolled: 1-line block ×4, first 2 shown]
	v_pk_add_f32 v[18:19], v[26:27], v[18:19]
	v_max_f32_e32 v26, v3, v3
	v_max_f32_e32 v7, v7, v7
	;; [unrolled: 1-line block ×4, first 2 shown]
	v_pk_add_f32 v[0:1], v[0:1], v[126:127]
	v_min_f32_e32 v3, v7, v26
	v_min_f32_e32 v2, v6, v27
	v_pk_add_f32 v[88:89], v[2:3], v[0:1]
	v_max_f32_e32 v2, v11, v11
	v_max_f32_e32 v3, v10, v10
	v_min_f32_e32 v1, v7, v2
	v_min_f32_e32 v0, v6, v3
	v_pk_add_f32 v[74:75], v[0:1], v[4:5]
	v_max_f32_e32 v4, v87, v87
	v_max_f32_e32 v5, v86, v86
	;; [unrolled: 5-line block ×3, first 2 shown]
	v_min_f32_e32 v0, v8, v27
	v_min_f32_e32 v1, v9, v26
	v_pk_add_f32 v[122:123], v[0:1], v[84:85]
	v_min_f32_e32 v0, v8, v3
	v_min_f32_e32 v1, v9, v2
	v_pk_add_f32 v[86:87], v[0:1], v[92:93]
	v_min_f32_e32 v0, v8, v5
	v_min_f32_e32 v1, v9, v4
	v_max_f32_e32 v10, v83, v83
	v_pk_add_f32 v[70:71], v[0:1], v[94:95]
	v_min_f32_e32 v1, v9, v10
	v_max_f32_e32 v9, v82, v82
	v_min_f32_e32 v0, v8, v9
	v_max_f32_e32 v8, v78, v78
	v_max_f32_e32 v11, v79, v79
	v_pk_add_f32 v[56:57], v[0:1], v[68:69]
	v_min_f32_e32 v0, v8, v27
	v_min_f32_e32 v1, v11, v26
	v_pk_add_f32 v[120:121], v[0:1], v[76:77]
	v_min_f32_e32 v0, v8, v3
	v_min_f32_e32 v1, v11, v2
	v_pk_add_f32 v[82:83], v[0:1], v[80:81]
	v_min_f32_e32 v0, v8, v5
	v_min_f32_e32 v1, v11, v4
	v_pk_add_f32 v[66:67], v[0:1], v[66:67]
	v_min_f32_e32 v1, v11, v10
	v_min_f32_e32 v0, v8, v9
	v_max_f32_e32 v8, v64, v64
	v_max_f32_e32 v11, v65, v65
	v_pk_add_f32 v[50:51], v[0:1], v[96:97]
	v_min_f32_e32 v0, v8, v27
	v_min_f32_e32 v1, v11, v26
	v_pk_add_f32 v[118:119], v[0:1], v[54:55]
	v_min_f32_e32 v0, v8, v3
	v_min_f32_e32 v1, v11, v2
	v_pk_add_f32 v[84:85], v[0:1], v[110:111]
	v_min_f32_e32 v0, v8, v5
	v_min_f32_e32 v1, v11, v4
	v_pk_add_f32 v[68:69], v[0:1], v[58:59]
	v_min_f32_e32 v1, v11, v10
	;; [unrolled: 14-line block ×6, first 2 shown]
	v_min_f32_e32 v0, v8, v9
	v_pk_add_f32 v[64:65], v[0:1], v[22:23]
	v_min_f32_e32 v1, v7, v10
	v_min_f32_e32 v0, v6, v9
	s_add_i32 s2, s2, 8
	v_pk_add_f32 v[48:49], v[0:1], v[18:19]
	v_lshl_add_u64 v[100:101], v[100:101], 0, s[16:17]
	s_cmp_ge_i32 s2, s26
	v_lshl_add_u64 v[104:105], v[104:105], 0, s[18:19]
	ds_write_b32 v213, v217
	ds_write2st64_b32 v214, v16, v17 offset1:4
	s_waitcnt lgkmcnt(0)
	s_barrier
	s_cbranch_scc1 .LBB92_33
.LBB92_23:                              ; =>This Inner Loop Header: Depth=1
	s_and_b64 vcc, exec, s[4:5]
	s_cbranch_vccnz .LBB92_26
; %bb.24:                               ;   in Loop: Header=BB92_23 Depth=1
	v_lshl_add_u64 v[0:1], v[104:105], 0, v[108:109]
	flat_load_dword v0, v[0:1]
	s_waitcnt vmcnt(0) lgkmcnt(0)
	v_mul_f32_e32 v126, s15, v0
	s_and_b64 vcc, exec, s[4:5]
	s_cbranch_vccnz .LBB92_27
.LBB92_25:                              ;   in Loop: Header=BB92_23 Depth=1
	v_lshl_add_u64 v[0:1], v[100:101], 0, v[106:107]
	flat_load_dword v2, v[0:1]
	flat_load_dword v3, v[0:1] offset:256
	s_waitcnt vmcnt(0) lgkmcnt(0)
	v_pk_mul_f32 v[124:125], v[2:3], s[14:15]
	s_branch .LBB92_28
.LBB92_26:                              ;   in Loop: Header=BB92_23 Depth=1
	v_mov_b32_e32 v126, 0
	s_and_b64 vcc, exec, s[4:5]
	s_cbranch_vccz .LBB92_25
.LBB92_27:                              ;   in Loop: Header=BB92_23 Depth=1
	v_mov_b32_e32 v124, 0
	v_mov_b32_e32 v125, 0
.LBB92_28:                              ;   in Loop: Header=BB92_23 Depth=1
	ds_read_b128 v[40:43], v216
	ds_read_b128 v[36:39], v216 offset:512
	ds_read_b128 v[24:27], v216 offset:1536
	;; [unrolled: 1-line block ×3, first 2 shown]
	ds_read_b128 v[28:31], v215
	ds_read_b128 v[20:23], v215 offset:128
	ds_read_b128 v[16:19], v215 offset:256
	;; [unrolled: 1-line block ×7, first 2 shown]
	s_and_b64 vcc, exec, s[4:5]
	ds_write_b32 v211, v126
	ds_write2st64_b32 v210, v124, v125 offset1:4
	s_waitcnt lgkmcnt(0)
	s_barrier
	s_cbranch_vccnz .LBB92_30
; %bb.29:                               ;   in Loop: Header=BB92_23 Depth=1
	v_lshl_add_u64 v[124:125], v[104:105], 0, v[102:103]
	flat_load_dword v124, v[124:125]
	s_waitcnt vmcnt(0) lgkmcnt(0)
	v_mul_f32_e32 v217, s15, v124
	s_branch .LBB92_31
.LBB92_30:                              ;   in Loop: Header=BB92_23 Depth=1
	v_mov_b32_e32 v217, 0
.LBB92_31:                              ;   in Loop: Header=BB92_23 Depth=1
	v_max_f32_e32 v158, v41, v41
	v_max_f32_e32 v159, v40, v40
	;; [unrolled: 1-line block ×10, first 2 shown]
	v_min_f32_e32 v136, v16, v159
	v_min_f32_e32 v137, v17, v158
	v_min_f32_e32 v134, v16, v163
	v_min_f32_e32 v135, v17, v162
	v_min_f32_e32 v132, v16, v167
	v_min_f32_e32 v133, v17, v165
	v_min_f32_e32 v139, v17, v168
	v_min_f32_e32 v138, v16, v169
	v_max_f32_e32 v16, v12, v12
	v_max_f32_e32 v17, v13, v13
	v_min_f32_e32 v142, v16, v159
	v_min_f32_e32 v143, v17, v158
	v_min_f32_e32 v140, v16, v163
	v_min_f32_e32 v141, v17, v162
	v_min_f32_e32 v12, v16, v167
	v_min_f32_e32 v13, v17, v165
	v_min_f32_e32 v145, v17, v168
	v_min_f32_e32 v144, v16, v169
	v_max_f32_e32 v16, v8, v8
	v_max_f32_e32 v17, v9, v9
	;; [unrolled: 10-line block ×3, first 2 shown]
	v_max_f32_e32 v164, v45, v45
	v_max_f32_e32 v166, v44, v44
	;; [unrolled: 1-line block ×6, first 2 shown]
	v_min_f32_e32 v154, v16, v159
	v_min_f32_e32 v155, v17, v158
	;; [unrolled: 1-line block ×8, first 2 shown]
	v_max_f32_e32 v16, v0, v0
	v_max_f32_e32 v17, v1, v1
	v_min_f32_e32 v41, v164, v158
	v_min_f32_e32 v40, v166, v159
	;; [unrolled: 1-line block ×17, first 2 shown]
	v_max_f32_e32 v16, v43, v43
	v_max_f32_e32 v194, v42, v42
	;; [unrolled: 1-line block ×10, first 2 shown]
	v_min_f32_e32 v36, v166, v163
	v_min_f32_e32 v33, v164, v165
	;; [unrolled: 1-line block ×14, first 2 shown]
	v_max_f32_e32 v17, v47, v47
	v_max_f32_e32 v218, v46, v46
	;; [unrolled: 1-line block ×12, first 2 shown]
	v_min_f32_e32 v198, v6, v194
	v_min_f32_e32 v199, v7, v16
	v_min_f32_e32 v196, v6, v202
	v_min_f32_e32 v197, v7, v195
	v_min_f32_e32 v192, v6, v220
	v_min_f32_e32 v193, v7, v219
	v_min_f32_e32 v201, v7, v221
	v_min_f32_e32 v200, v6, v222
	v_max_f32_e32 v6, v2, v2
	v_max_f32_e32 v7, v3, v3
	v_min_f32_e32 v32, v166, v167
	v_min_f32_e32 v43, v17, v16
	;; [unrolled: 1-line block ×56, first 2 shown]
	s_and_b64 vcc, exec, s[4:5]
	v_min_f32_e32 v194, v218, v222
	s_cbranch_vccz .LBB92_21
; %bb.32:                               ;   in Loop: Header=BB92_23 Depth=1
	v_mov_b32_e32 v16, 0
	v_mov_b32_e32 v17, 0
	s_branch .LBB92_22
.LBB92_33:
	s_load_dword s14, s[0:1], 0x50
	ds_read_b128 v[40:43], v209 offset:2048
	ds_read_b128 v[44:47], v208 offset:5120
	v_add_u32_e32 v102, s25, v207
	v_cmp_neq_f32_e64 s[4:5], s12, 0
	v_add_u32_e32 v98, s24, v206
	s_waitcnt lgkmcnt(0)
	v_mad_i64_i32 v[0:1], s[16:17], v102, s14, 0
	v_ashrrev_i32_e32 v99, 31, v98
	v_lshl_add_u64 v[100:101], v[0:1], 2, s[8:9]
	s_and_b64 vcc, exec, s[4:5]
	v_mov_b32_e32 v105, 0
	v_mov_b32_e32 v104, 0
	s_cbranch_vccz .LBB92_35
; %bb.34:
	v_lshl_add_u64 v[0:1], v[98:99], 2, v[100:101]
	flat_load_dword v0, v[0:1]
	s_waitcnt vmcnt(0) lgkmcnt(0)
	v_mul_f32_e32 v104, s12, v0
.LBB92_35:
	ds_read_b128 v[12:15], v208 offset:6016
	ds_read_b128 v[0:3], v209 offset:3584
	;; [unrolled: 1-line block ×6, first 2 shown]
	s_load_dword s15, s[0:1], 0x68
	s_load_dwordx2 s[16:17], s[0:1], 0x70
	v_max_f32_e32 v124, v40, v40
	v_max_f32_e32 v44, v44, v44
	;; [unrolled: 1-line block ×4, first 2 shown]
	s_waitcnt lgkmcnt(0)
	s_mul_i32 s0, s3, s17
	s_mul_hi_u32 s1, s3, s16
	ds_read_b128 v[28:31], v208 offset:5504
	ds_read_b128 v[24:27], v208 offset:5632
	;; [unrolled: 1-line block ×4, first 2 shown]
	s_add_i32 s0, s1, s0
	s_mul_i32 s1, s13, s16
	v_min_f32_e32 v40, v44, v124
	v_min_f32_e32 v41, v103, v125
	s_add_i32 s1, s0, s1
	s_mul_i32 s0, s3, s16
	v_pk_add_f32 v[40:41], v[40:41], v[122:123]
	v_max_f32_e32 v122, v42, v42
	v_max_f32_e32 v45, v46, v46
	;; [unrolled: 1-line block ×4, first 2 shown]
	s_lshl_b64 s[0:1], s[0:1], 2
	v_min_f32_e32 v42, v45, v122
	v_min_f32_e32 v43, v46, v123
	s_add_u32 s2, s10, s0
	v_pk_add_f32 v[106:107], v[42:43], v[40:41]
	s_addc_u32 s3, s11, s1
	v_mad_i64_i32 v[42:43], s[0:1], v102, s15, 0
	v_add_f32_e32 v47, v106, v107
	v_add_u32_e32 v40, 8, v98
	v_lshl_add_u64 v[42:43], v[42:43], 2, s[2:3]
	v_add_f32_e32 v47, v47, v104
	v_cndmask_b32_e64 v104, 0, 1, s[4:5]
	v_ashrrev_i32_e32 v41, 31, v40
	v_lshl_add_u64 v[106:107], v[98:99], 2, v[42:43]
	v_cmp_ne_u32_e64 s[0:1], 1, v104
	s_andn2_b64 vcc, exec, s[4:5]
	global_store_dword v[106:107], v47, off
	s_cbranch_vccnz .LBB92_37
; %bb.36:
	v_lshl_add_u64 v[104:105], v[40:41], 2, v[100:101]
	flat_load_dword v47, v[104:105]
	s_waitcnt vmcnt(0) lgkmcnt(0)
	v_mul_f32_e32 v105, s12, v47
.LBB92_37:
	v_max_f32_e32 v47, v36, v36
	v_max_f32_e32 v104, v37, v37
	v_min_f32_e32 v36, v47, v124
	v_min_f32_e32 v37, v104, v125
	v_max_f32_e32 v38, v38, v38
	v_max_f32_e32 v39, v39, v39
	v_pk_add_f32 v[36:37], v[36:37], v[120:121]
	v_min_f32_e32 v106, v38, v122
	v_min_f32_e32 v107, v39, v123
	v_pk_add_f32 v[36:37], v[106:107], v[36:37]
	s_and_b64 vcc, exec, s[0:1]
	v_add_f32_e32 v106, v36, v37
	v_add_u32_e32 v36, 16, v98
	v_add_f32_e32 v105, v106, v105
	v_lshl_add_u64 v[106:107], v[40:41], 2, v[42:43]
	v_ashrrev_i32_e32 v37, 31, v36
	global_store_dword v[106:107], v105, off
	v_mov_b32_e32 v109, 0
	v_mov_b32_e32 v107, 0
	s_cbranch_vccnz .LBB92_39
; %bb.38:
	v_lshl_add_u64 v[106:107], v[36:37], 2, v[100:101]
	flat_load_dword v105, v[106:107]
	s_waitcnt vmcnt(0) lgkmcnt(0)
	v_mul_f32_e32 v107, s12, v105
.LBB92_39:
	v_max_f32_e32 v105, v32, v32
	v_max_f32_e32 v106, v33, v33
	v_min_f32_e32 v32, v105, v124
	v_min_f32_e32 v33, v106, v125
	v_max_f32_e32 v34, v34, v34
	v_max_f32_e32 v35, v35, v35
	v_pk_add_f32 v[32:33], v[32:33], v[118:119]
	v_min_f32_e32 v118, v34, v122
	v_min_f32_e32 v119, v35, v123
	v_pk_add_f32 v[32:33], v[118:119], v[32:33]
	v_lshl_add_u64 v[118:119], v[36:37], 2, v[42:43]
	v_add_f32_e32 v108, v32, v33
	v_add_u32_e32 v32, 24, v98
	v_ashrrev_i32_e32 v33, 31, v32
	v_add_f32_e32 v107, v108, v107
	s_and_b64 vcc, exec, s[0:1]
	global_store_dword v[118:119], v107, off
	s_cbranch_vccnz .LBB92_41
; %bb.40:
	v_lshl_add_u64 v[108:109], v[32:33], 2, v[100:101]
	flat_load_dword v107, v[108:109]
	s_waitcnt vmcnt(0) lgkmcnt(0)
	v_mul_f32_e32 v109, s12, v107
.LBB92_41:
	s_waitcnt lgkmcnt(3)
	v_max_f32_e32 v107, v28, v28
	v_max_f32_e32 v108, v29, v29
	v_min_f32_e32 v28, v107, v124
	v_min_f32_e32 v29, v108, v125
	v_max_f32_e32 v30, v30, v30
	v_max_f32_e32 v31, v31, v31
	v_pk_add_f32 v[28:29], v[28:29], v[116:117]
	v_min_f32_e32 v116, v30, v122
	v_min_f32_e32 v117, v31, v123
	v_pk_add_f32 v[28:29], v[116:117], v[28:29]
	s_and_b64 vcc, exec, s[0:1]
	v_add_f32_e32 v116, v28, v29
	v_add_u32_e32 v28, 32, v98
	v_add_f32_e32 v109, v116, v109
	v_lshl_add_u64 v[116:117], v[32:33], 2, v[42:43]
	v_ashrrev_i32_e32 v29, 31, v28
	global_store_dword v[116:117], v109, off
	v_mov_b32_e32 v117, 0
	v_mov_b32_e32 v118, 0
	s_cbranch_vccnz .LBB92_43
; %bb.42:
	v_lshl_add_u64 v[118:119], v[28:29], 2, v[100:101]
	flat_load_dword v109, v[118:119]
	s_waitcnt vmcnt(0) lgkmcnt(0)
	v_mul_f32_e32 v118, s12, v109
.LBB92_43:
	s_waitcnt lgkmcnt(2)
	v_max_f32_e32 v109, v24, v24
	v_max_f32_e32 v116, v25, v25
	v_min_f32_e32 v24, v109, v124
	v_min_f32_e32 v25, v116, v125
	v_max_f32_e32 v26, v26, v26
	v_max_f32_e32 v27, v27, v27
	v_pk_add_f32 v[24:25], v[24:25], v[114:115]
	v_min_f32_e32 v114, v26, v122
	v_min_f32_e32 v115, v27, v123
	v_pk_add_f32 v[24:25], v[114:115], v[24:25]
	s_and_b64 vcc, exec, s[0:1]
	v_add_f32_e32 v114, v24, v25
	v_add_u32_e32 v24, 40, v98
	v_ashrrev_i32_e32 v25, 31, v24
	v_add_f32_e32 v118, v114, v118
	v_lshl_add_u64 v[114:115], v[28:29], 2, v[42:43]
	global_store_dword v[114:115], v118, off
	s_cbranch_vccnz .LBB92_45
; %bb.44:
	v_lshl_add_u64 v[114:115], v[24:25], 2, v[100:101]
	flat_load_dword v114, v[114:115]
	s_waitcnt vmcnt(0) lgkmcnt(0)
	v_mul_f32_e32 v117, s12, v114
.LBB92_45:
	s_waitcnt lgkmcnt(1)
	v_max_f32_e32 v114, v20, v20
	v_max_f32_e32 v115, v21, v21
	v_min_f32_e32 v20, v114, v124
	v_min_f32_e32 v21, v115, v125
	v_max_f32_e32 v22, v22, v22
	v_max_f32_e32 v23, v23, v23
	v_pk_add_f32 v[20:21], v[20:21], v[112:113]
	v_min_f32_e32 v112, v22, v122
	v_min_f32_e32 v113, v23, v123
	v_pk_add_f32 v[20:21], v[112:113], v[20:21]
	s_and_b64 vcc, exec, s[0:1]
	v_add_f32_e32 v112, v20, v21
	v_add_u32_e32 v20, 48, v98
	v_add_f32_e32 v117, v112, v117
	v_lshl_add_u64 v[112:113], v[24:25], 2, v[42:43]
	v_ashrrev_i32_e32 v21, 31, v20
	global_store_dword v[112:113], v117, off
	v_mov_b32_e32 v117, 0
	v_mov_b32_e32 v118, 0
	s_cbranch_vccnz .LBB92_47
; %bb.46:
	v_lshl_add_u64 v[112:113], v[20:21], 2, v[100:101]
	flat_load_dword v112, v[112:113]
	s_waitcnt vmcnt(0) lgkmcnt(0)
	v_mul_f32_e32 v118, s12, v112
.LBB92_47:
	s_waitcnt lgkmcnt(0)
	v_max_f32_e32 v112, v16, v16
	v_max_f32_e32 v113, v17, v17
	v_min_f32_e32 v16, v112, v124
	v_min_f32_e32 v17, v113, v125
	v_pk_add_f32 v[16:17], v[16:17], v[110:111]
	v_max_f32_e32 v110, v18, v18
	v_max_f32_e32 v111, v19, v19
	v_min_f32_e32 v18, v110, v122
	v_min_f32_e32 v19, v111, v123
	v_pk_add_f32 v[16:17], v[18:19], v[16:17]
	s_and_b64 vcc, exec, s[0:1]
	v_add_f32_e32 v18, v16, v17
	v_add_u32_e32 v16, 56, v98
	v_ashrrev_i32_e32 v17, 31, v16
	v_add_f32_e32 v118, v18, v118
	v_lshl_add_u64 v[18:19], v[20:21], 2, v[42:43]
	global_store_dword v[18:19], v118, off
	s_cbranch_vccnz .LBB92_49
; %bb.48:
	v_lshl_add_u64 v[18:19], v[16:17], 2, v[100:101]
	flat_load_dword v18, v[18:19]
	s_waitcnt vmcnt(0) lgkmcnt(0)
	v_mul_f32_e32 v117, s12, v18
.LBB92_49:
	v_max_f32_e32 v18, v13, v13
	v_max_f32_e32 v19, v12, v12
	v_min_f32_e32 v13, v18, v125
	v_min_f32_e32 v12, v19, v124
	v_max_f32_e32 v15, v15, v15
	v_max_f32_e32 v14, v14, v14
	v_pk_add_f32 v[12:13], v[12:13], v[88:89]
	v_min_f32_e32 v89, v15, v123
	v_min_f32_e32 v88, v14, v122
	v_pk_add_f32 v[12:13], v[88:89], v[12:13]
	v_add_u32_e32 v89, 32, v102
	v_add_f32_e32 v12, v12, v13
	v_add_f32_e32 v88, v12, v117
	v_lshl_add_u64 v[12:13], v[16:17], 2, v[42:43]
	global_store_dword v[12:13], v88, off
	v_mad_i64_i32 v[12:13], s[4:5], v89, s14, 0
	v_lshl_add_u64 v[12:13], v[12:13], 2, s[8:9]
	s_and_b64 vcc, exec, s[0:1]
	v_mov_b32_e32 v88, 0
	v_mov_b32_e32 v100, 0
	s_cbranch_vccnz .LBB92_51
; %bb.50:
	v_lshl_add_u64 v[42:43], v[98:99], 2, v[12:13]
	flat_load_dword v42, v[42:43]
	s_waitcnt vmcnt(0) lgkmcnt(0)
	v_mul_f32_e32 v100, s12, v42
.LBB92_51:
	v_max_f32_e32 v42, v8, v8
	v_max_f32_e32 v43, v9, v9
	v_min_f32_e32 v8, v44, v42
	v_min_f32_e32 v9, v103, v43
	v_max_f32_e32 v10, v10, v10
	v_max_f32_e32 v11, v11, v11
	v_pk_add_f32 v[8:9], v[8:9], v[86:87]
	v_min_f32_e32 v86, v45, v10
	v_min_f32_e32 v87, v46, v11
	v_pk_add_f32 v[86:87], v[86:87], v[8:9]
	v_mad_i64_i32 v[8:9], s[4:5], v89, s15, 0
	v_lshl_add_u64 v[8:9], v[8:9], 2, s[2:3]
	v_add_f32_e32 v86, v86, v87
	v_add_f32_e32 v89, v86, v100
	v_lshl_add_u64 v[86:87], v[98:99], 2, v[8:9]
	s_and_b64 vcc, exec, s[0:1]
	global_store_dword v[86:87], v89, off
	s_cbranch_vccnz .LBB92_53
; %bb.52:
	v_lshl_add_u64 v[86:87], v[40:41], 2, v[12:13]
	flat_load_dword v86, v[86:87]
	s_waitcnt vmcnt(0) lgkmcnt(0)
	v_mul_f32_e32 v88, s12, v86
.LBB92_53:
	v_min_f32_e32 v86, v47, v42
	v_min_f32_e32 v87, v104, v43
	v_pk_add_f32 v[82:83], v[86:87], v[82:83]
	v_min_f32_e32 v86, v38, v10
	v_min_f32_e32 v87, v39, v11
	v_pk_add_f32 v[82:83], v[86:87], v[82:83]
	s_and_b64 vcc, exec, s[0:1]
	v_add_f32_e32 v82, v82, v83
	v_add_f32_e32 v86, v82, v88
	v_lshl_add_u64 v[82:83], v[40:41], 2, v[8:9]
	global_store_dword v[82:83], v86, off
	v_mov_b32_e32 v82, 0
	v_mov_b32_e32 v83, 0
	s_cbranch_vccnz .LBB92_55
; %bb.54:
	v_lshl_add_u64 v[86:87], v[36:37], 2, v[12:13]
	flat_load_dword v83, v[86:87]
	s_waitcnt vmcnt(0) lgkmcnt(0)
	v_mul_f32_e32 v83, s12, v83
.LBB92_55:
	v_min_f32_e32 v86, v105, v42
	v_min_f32_e32 v87, v106, v43
	v_pk_add_f32 v[84:85], v[86:87], v[84:85]
	v_min_f32_e32 v86, v34, v10
	v_min_f32_e32 v87, v35, v11
	v_pk_add_f32 v[84:85], v[86:87], v[84:85]
	s_and_b64 vcc, exec, s[0:1]
	v_add_f32_e32 v84, v84, v85
	v_add_f32_e32 v83, v84, v83
	v_lshl_add_u64 v[84:85], v[36:37], 2, v[8:9]
	global_store_dword v[84:85], v83, off
	s_cbranch_vccnz .LBB92_57
; %bb.56:
	v_lshl_add_u64 v[82:83], v[32:33], 2, v[12:13]
	flat_load_dword v82, v[82:83]
	s_waitcnt vmcnt(0) lgkmcnt(0)
	v_mul_f32_e32 v82, s12, v82
.LBB92_57:
	v_min_f32_e32 v84, v107, v42
	v_min_f32_e32 v85, v108, v43
	v_pk_add_f32 v[84:85], v[84:85], v[90:91]
	v_min_f32_e32 v86, v30, v10
	v_min_f32_e32 v87, v31, v11
	v_pk_add_f32 v[84:85], v[86:87], v[84:85]
	s_and_b64 vcc, exec, s[0:1]
	v_add_f32_e32 v83, v84, v85
	v_add_f32_e32 v84, v83, v82
	v_lshl_add_u64 v[82:83], v[32:33], 2, v[8:9]
	global_store_dword v[82:83], v84, off
	v_mov_b32_e32 v82, 0
	v_mov_b32_e32 v83, 0
	s_cbranch_vccnz .LBB92_59
; %bb.58:
	v_lshl_add_u64 v[84:85], v[28:29], 2, v[12:13]
	flat_load_dword v83, v[84:85]
	s_waitcnt vmcnt(0) lgkmcnt(0)
	v_mul_f32_e32 v83, s12, v83
.LBB92_59:
	v_min_f32_e32 v84, v109, v42
	v_min_f32_e32 v85, v116, v43
	v_pk_add_f32 v[84:85], v[84:85], v[92:93]
	v_min_f32_e32 v86, v26, v10
	v_min_f32_e32 v87, v27, v11
	v_pk_add_f32 v[84:85], v[86:87], v[84:85]
	s_and_b64 vcc, exec, s[0:1]
	v_add_f32_e32 v84, v84, v85
	v_add_f32_e32 v83, v84, v83
	v_lshl_add_u64 v[84:85], v[28:29], 2, v[8:9]
	;; [unrolled: 38-line block ×3, first 2 shown]
	global_store_dword v[84:85], v83, off
	s_cbranch_vccnz .LBB92_65
; %bb.64:
	v_lshl_add_u64 v[12:13], v[16:17], 2, v[12:13]
	flat_load_dword v12, v[12:13]
	s_waitcnt vmcnt(0) lgkmcnt(0)
	v_mul_f32_e32 v82, s12, v12
.LBB92_65:
	v_min_f32_e32 v13, v18, v43
	v_min_f32_e32 v12, v19, v42
	v_pk_add_f32 v[12:13], v[12:13], v[74:75]
	v_min_f32_e32 v11, v15, v11
	v_min_f32_e32 v10, v14, v10
	v_pk_add_f32 v[10:11], v[10:11], v[12:13]
	v_lshl_add_u64 v[8:9], v[16:17], 2, v[8:9]
	v_add_f32_e32 v10, v10, v11
	v_add_f32_e32 v10, v10, v82
	v_add_u32_e32 v13, 64, v102
	global_store_dword v[8:9], v10, off
	v_mad_i64_i32 v[8:9], s[4:5], v13, s14, 0
	v_lshl_add_u64 v[8:9], v[8:9], 2, s[8:9]
	s_and_b64 vcc, exec, s[0:1]
	v_mov_b32_e32 v12, 0
	v_mov_b32_e32 v42, 0
	s_cbranch_vccnz .LBB92_67
; %bb.66:
	v_lshl_add_u64 v[10:11], v[98:99], 2, v[8:9]
	flat_load_dword v10, v[10:11]
	s_waitcnt vmcnt(0) lgkmcnt(0)
	v_mul_f32_e32 v42, s12, v10
.LBB92_67:
	v_max_f32_e32 v10, v4, v4
	v_max_f32_e32 v11, v5, v5
	v_min_f32_e32 v4, v44, v10
	v_min_f32_e32 v5, v103, v11
	v_max_f32_e32 v6, v6, v6
	v_max_f32_e32 v7, v7, v7
	v_pk_add_f32 v[4:5], v[4:5], v[70:71]
	v_min_f32_e32 v70, v45, v6
	v_min_f32_e32 v71, v46, v7
	v_pk_add_f32 v[70:71], v[70:71], v[4:5]
	v_mad_i64_i32 v[4:5], s[4:5], v13, s15, 0
	v_lshl_add_u64 v[4:5], v[4:5], 2, s[2:3]
	v_add_f32_e32 v13, v70, v71
	v_add_f32_e32 v13, v13, v42
	v_lshl_add_u64 v[42:43], v[98:99], 2, v[4:5]
	s_and_b64 vcc, exec, s[0:1]
	global_store_dword v[42:43], v13, off
	s_cbranch_vccnz .LBB92_69
; %bb.68:
	v_lshl_add_u64 v[12:13], v[40:41], 2, v[8:9]
	flat_load_dword v12, v[12:13]
	s_waitcnt vmcnt(0) lgkmcnt(0)
	v_mul_f32_e32 v12, s12, v12
.LBB92_69:
	v_min_f32_e32 v42, v47, v10
	v_min_f32_e32 v43, v104, v11
	v_pk_add_f32 v[42:43], v[42:43], v[66:67]
	v_min_f32_e32 v66, v38, v6
	v_min_f32_e32 v67, v39, v7
	v_pk_add_f32 v[42:43], v[66:67], v[42:43]
	s_and_b64 vcc, exec, s[0:1]
	v_add_f32_e32 v13, v42, v43
	v_add_f32_e32 v42, v13, v12
	v_lshl_add_u64 v[12:13], v[40:41], 2, v[4:5]
	global_store_dword v[12:13], v42, off
	v_mov_b32_e32 v12, 0
	v_mov_b32_e32 v13, 0
	s_cbranch_vccnz .LBB92_71
; %bb.70:
	v_lshl_add_u64 v[42:43], v[36:37], 2, v[8:9]
	flat_load_dword v13, v[42:43]
	s_waitcnt vmcnt(0) lgkmcnt(0)
	v_mul_f32_e32 v13, s12, v13
.LBB92_71:
	v_min_f32_e32 v42, v105, v10
	v_min_f32_e32 v43, v106, v11
	v_pk_add_f32 v[42:43], v[42:43], v[68:69]
	v_min_f32_e32 v66, v34, v6
	v_min_f32_e32 v67, v35, v7
	v_pk_add_f32 v[42:43], v[66:67], v[42:43]
	s_and_b64 vcc, exec, s[0:1]
	v_add_f32_e32 v42, v42, v43
	v_add_f32_e32 v13, v42, v13
	v_lshl_add_u64 v[42:43], v[36:37], 2, v[4:5]
	global_store_dword v[42:43], v13, off
	s_cbranch_vccnz .LBB92_73
; %bb.72:
	v_lshl_add_u64 v[12:13], v[32:33], 2, v[8:9]
	flat_load_dword v12, v[12:13]
	s_waitcnt vmcnt(0) lgkmcnt(0)
	v_mul_f32_e32 v12, s12, v12
.LBB92_73:
	v_min_f32_e32 v42, v107, v10
	v_min_f32_e32 v43, v108, v11
	v_pk_add_f32 v[42:43], v[42:43], v[72:73]
	v_min_f32_e32 v66, v30, v6
	v_min_f32_e32 v67, v31, v7
	v_pk_add_f32 v[42:43], v[66:67], v[42:43]
	s_and_b64 vcc, exec, s[0:1]
	v_add_f32_e32 v13, v42, v43
	v_add_f32_e32 v42, v13, v12
	v_lshl_add_u64 v[12:13], v[32:33], 2, v[4:5]
	global_store_dword v[12:13], v42, off
	v_mov_b32_e32 v12, 0
	v_mov_b32_e32 v13, 0
	s_cbranch_vccnz .LBB92_75
; %bb.74:
	v_lshl_add_u64 v[42:43], v[28:29], 2, v[8:9]
	flat_load_dword v13, v[42:43]
	s_waitcnt vmcnt(0) lgkmcnt(0)
	v_mul_f32_e32 v13, s12, v13
.LBB92_75:
	v_min_f32_e32 v42, v109, v10
	v_min_f32_e32 v43, v116, v11
	v_pk_add_f32 v[42:43], v[42:43], v[76:77]
	v_min_f32_e32 v66, v26, v6
	v_min_f32_e32 v67, v27, v7
	v_pk_add_f32 v[42:43], v[66:67], v[42:43]
	s_and_b64 vcc, exec, s[0:1]
	v_add_f32_e32 v42, v42, v43
	v_add_f32_e32 v13, v42, v13
	v_lshl_add_u64 v[42:43], v[28:29], 2, v[4:5]
	;; [unrolled: 38-line block ×3, first 2 shown]
	global_store_dword v[42:43], v13, off
	s_cbranch_vccnz .LBB92_81
; %bb.80:
	v_lshl_add_u64 v[8:9], v[16:17], 2, v[8:9]
	flat_load_dword v8, v[8:9]
	s_waitcnt vmcnt(0) lgkmcnt(0)
	v_mul_f32_e32 v12, s12, v8
.LBB92_81:
	v_min_f32_e32 v9, v18, v11
	v_min_f32_e32 v8, v19, v10
	v_pk_add_f32 v[8:9], v[8:9], v[60:61]
	v_min_f32_e32 v7, v15, v7
	v_min_f32_e32 v6, v14, v6
	v_pk_add_f32 v[6:7], v[6:7], v[8:9]
	v_lshl_add_u64 v[4:5], v[16:17], 2, v[4:5]
	v_add_f32_e32 v6, v6, v7
	v_add_f32_e32 v6, v6, v12
	v_add_u32_e32 v9, 0x60, v102
	global_store_dword v[4:5], v6, off
	v_mad_i64_i32 v[4:5], s[4:5], v9, s14, 0
	v_lshl_add_u64 v[4:5], v[4:5], 2, s[8:9]
	s_and_b64 vcc, exec, s[0:1]
	v_mov_b32_e32 v8, 0
	v_mov_b32_e32 v10, 0
	s_cbranch_vccnz .LBB92_83
; %bb.82:
	v_lshl_add_u64 v[6:7], v[98:99], 2, v[4:5]
	flat_load_dword v6, v[6:7]
	s_waitcnt vmcnt(0) lgkmcnt(0)
	v_mul_f32_e32 v10, s12, v6
.LBB92_83:
	v_max_f32_e32 v6, v1, v1
	v_max_f32_e32 v7, v0, v0
	v_min_f32_e32 v1, v103, v6
	v_min_f32_e32 v0, v44, v7
	v_max_f32_e32 v3, v3, v3
	v_max_f32_e32 v2, v2, v2
	v_pk_add_f32 v[0:1], v[0:1], v[56:57]
	v_min_f32_e32 v13, v46, v3
	v_min_f32_e32 v12, v45, v2
	v_pk_add_f32 v[12:13], v[12:13], v[0:1]
	v_mad_i64_i32 v[0:1], s[4:5], v9, s15, 0
	v_lshl_add_u64 v[0:1], v[0:1], 2, s[2:3]
	v_add_f32_e32 v9, v12, v13
	v_add_f32_e32 v9, v9, v10
	v_lshl_add_u64 v[10:11], v[98:99], 2, v[0:1]
	s_and_b64 vcc, exec, s[0:1]
	global_store_dword v[10:11], v9, off
	s_cbranch_vccnz .LBB92_85
; %bb.84:
	v_lshl_add_u64 v[8:9], v[40:41], 2, v[4:5]
	flat_load_dword v8, v[8:9]
	s_waitcnt vmcnt(0) lgkmcnt(0)
	v_mul_f32_e32 v8, s12, v8
.LBB92_85:
	v_min_f32_e32 v11, v104, v6
	v_min_f32_e32 v10, v47, v7
	v_pk_add_f32 v[10:11], v[10:11], v[50:51]
	v_min_f32_e32 v13, v39, v3
	v_min_f32_e32 v12, v38, v2
	v_pk_add_f32 v[10:11], v[12:13], v[10:11]
	s_and_b64 vcc, exec, s[0:1]
	v_add_f32_e32 v9, v10, v11
	v_add_f32_e32 v10, v9, v8
	v_lshl_add_u64 v[8:9], v[40:41], 2, v[0:1]
	global_store_dword v[8:9], v10, off
	v_mov_b32_e32 v8, 0
	v_mov_b32_e32 v9, 0
	s_cbranch_vccnz .LBB92_87
; %bb.86:
	v_lshl_add_u64 v[10:11], v[36:37], 2, v[4:5]
	flat_load_dword v9, v[10:11]
	s_waitcnt vmcnt(0) lgkmcnt(0)
	v_mul_f32_e32 v9, s12, v9
.LBB92_87:
	v_min_f32_e32 v11, v106, v6
	v_min_f32_e32 v10, v105, v7
	v_pk_add_f32 v[10:11], v[10:11], v[52:53]
	v_min_f32_e32 v13, v35, v3
	v_min_f32_e32 v12, v34, v2
	v_pk_add_f32 v[10:11], v[12:13], v[10:11]
	s_and_b64 vcc, exec, s[0:1]
	v_add_f32_e32 v10, v10, v11
	v_add_f32_e32 v9, v10, v9
	v_lshl_add_u64 v[10:11], v[36:37], 2, v[0:1]
	global_store_dword v[10:11], v9, off
	s_cbranch_vccnz .LBB92_89
; %bb.88:
	v_lshl_add_u64 v[8:9], v[32:33], 2, v[4:5]
	flat_load_dword v8, v[8:9]
	s_waitcnt vmcnt(0) lgkmcnt(0)
	v_mul_f32_e32 v8, s12, v8
.LBB92_89:
	v_min_f32_e32 v11, v108, v6
	v_min_f32_e32 v10, v107, v7
	v_pk_add_f32 v[10:11], v[10:11], v[54:55]
	v_min_f32_e32 v13, v31, v3
	v_min_f32_e32 v12, v30, v2
	v_pk_add_f32 v[10:11], v[12:13], v[10:11]
	s_and_b64 vcc, exec, s[0:1]
	v_add_f32_e32 v9, v10, v11
	v_add_f32_e32 v10, v9, v8
	v_lshl_add_u64 v[8:9], v[32:33], 2, v[0:1]
	global_store_dword v[8:9], v10, off
	v_mov_b32_e32 v8, 0
	v_mov_b32_e32 v9, 0
	s_cbranch_vccnz .LBB92_91
; %bb.90:
	v_lshl_add_u64 v[10:11], v[28:29], 2, v[4:5]
	flat_load_dword v9, v[10:11]
	s_waitcnt vmcnt(0) lgkmcnt(0)
	v_mul_f32_e32 v9, s12, v9
.LBB92_91:
	v_min_f32_e32 v11, v116, v6
	v_min_f32_e32 v10, v109, v7
	v_pk_add_f32 v[10:11], v[10:11], v[58:59]
	v_min_f32_e32 v13, v27, v3
	v_min_f32_e32 v12, v26, v2
	v_pk_add_f32 v[10:11], v[12:13], v[10:11]
	s_and_b64 vcc, exec, s[0:1]
	v_add_f32_e32 v10, v10, v11
	v_add_f32_e32 v9, v10, v9
	v_lshl_add_u64 v[10:11], v[28:29], 2, v[0:1]
	global_store_dword v[10:11], v9, off
	s_cbranch_vccnz .LBB92_93
; %bb.92:
	v_lshl_add_u64 v[8:9], v[24:25], 2, v[4:5]
	flat_load_dword v8, v[8:9]
	s_waitcnt vmcnt(0) lgkmcnt(0)
	v_mul_f32_e32 v8, s12, v8
.LBB92_93:
	v_min_f32_e32 v11, v115, v6
	v_min_f32_e32 v10, v114, v7
	v_pk_add_f32 v[10:11], v[10:11], v[62:63]
	v_min_f32_e32 v13, v23, v3
	v_min_f32_e32 v12, v22, v2
	v_pk_add_f32 v[10:11], v[12:13], v[10:11]
	v_min_f32_e32 v13, v111, v3
	v_add_f32_e32 v9, v10, v11
	v_min_f32_e32 v11, v113, v6
	v_min_f32_e32 v10, v112, v7
	v_pk_add_f32 v[10:11], v[10:11], v[64:65]
	v_min_f32_e32 v12, v110, v2
	v_pk_add_f32 v[10:11], v[12:13], v[10:11]
	v_add_f32_e32 v12, v9, v8
	v_lshl_add_u64 v[8:9], v[24:25], 2, v[0:1]
	global_store_dword v[8:9], v12, off
	v_add_f32_e32 v8, v10, v11
	s_mov_b64 vcc, s[6:7]
	s_cbranch_vccz .LBB92_96
; %bb.94:
	v_add_f32_e32 v9, 0, v8
	v_lshl_add_u64 v[10:11], v[20:21], 2, v[0:1]
	s_mov_b32 s2, 0
	global_store_dword v[10:11], v9, off
	s_cbranch_execz .LBB92_97
; %bb.95:
	v_mov_b32_e32 v4, s2
	s_branch .LBB92_98
.LBB92_96:
                                        ; implicit-def: $sgpr2
.LBB92_97:
	v_lshlrev_b64 v[10:11], 2, v[20:21]
	v_lshl_add_u64 v[12:13], v[4:5], 0, v[10:11]
	flat_load_dword v9, v[12:13]
	v_lshl_add_u64 v[10:11], v[0:1], 0, v[10:11]
	v_lshl_add_u64 v[4:5], v[16:17], 2, v[4:5]
	s_waitcnt vmcnt(0) lgkmcnt(0)
	v_fmac_f32_e32 v8, s12, v9
	global_store_dword v[10:11], v8, off
	flat_load_dword v4, v[4:5]
	s_waitcnt vmcnt(0) lgkmcnt(0)
	v_mul_f32_e32 v4, s12, v4
.LBB92_98:
	v_min_f32_e32 v9, v18, v6
	v_min_f32_e32 v8, v19, v7
	;; [unrolled: 1-line block ×4, first 2 shown]
	v_pk_add_f32 v[6:7], v[8:9], v[48:49]
	v_lshl_add_u64 v[0:1], v[16:17], 2, v[0:1]
	v_pk_add_f32 v[2:3], v[2:3], v[6:7]
	s_nop 0
	v_add_f32_e32 v2, v2, v3
	v_add_f32_e32 v2, v2, v4
	global_store_dword v[0:1], v2, off
	s_endpgm
	.section	.rodata,"a",@progbits
	.p2align	6, 0x0
	.amdhsa_kernel _ZN12_GLOBAL__N_120geam_min_plus_kernelIf15HIP_vector_typeIfLj2EES2_Li8ELi32ELi64ELi128ELi4ELi64ELi4ELi64ELi4ELc78ELc84ELb0ELb0ELb0EfKffEEviiiT16_PT17_ilS6_ilS4_S6_ilPT18_ili26rocblas_geam_ex_operation_
		.amdhsa_group_segment_fixed_size 6144
		.amdhsa_private_segment_fixed_size 0
		.amdhsa_kernarg_size 128
		.amdhsa_user_sgpr_count 2
		.amdhsa_user_sgpr_dispatch_ptr 0
		.amdhsa_user_sgpr_queue_ptr 0
		.amdhsa_user_sgpr_kernarg_segment_ptr 1
		.amdhsa_user_sgpr_dispatch_id 0
		.amdhsa_user_sgpr_kernarg_preload_length 0
		.amdhsa_user_sgpr_kernarg_preload_offset 0
		.amdhsa_user_sgpr_private_segment_size 0
		.amdhsa_uses_dynamic_stack 0
		.amdhsa_enable_private_segment 0
		.amdhsa_system_sgpr_workgroup_id_x 1
		.amdhsa_system_sgpr_workgroup_id_y 0
		.amdhsa_system_sgpr_workgroup_id_z 1
		.amdhsa_system_sgpr_workgroup_info 0
		.amdhsa_system_vgpr_workitem_id 1
		.amdhsa_next_free_vgpr 223
		.amdhsa_next_free_sgpr 30
		.amdhsa_accum_offset 224
		.amdhsa_reserve_vcc 1
		.amdhsa_float_round_mode_32 0
		.amdhsa_float_round_mode_16_64 0
		.amdhsa_float_denorm_mode_32 3
		.amdhsa_float_denorm_mode_16_64 3
		.amdhsa_dx10_clamp 1
		.amdhsa_ieee_mode 1
		.amdhsa_fp16_overflow 0
		.amdhsa_tg_split 0
		.amdhsa_exception_fp_ieee_invalid_op 0
		.amdhsa_exception_fp_denorm_src 0
		.amdhsa_exception_fp_ieee_div_zero 0
		.amdhsa_exception_fp_ieee_overflow 0
		.amdhsa_exception_fp_ieee_underflow 0
		.amdhsa_exception_fp_ieee_inexact 0
		.amdhsa_exception_int_div_zero 0
	.end_amdhsa_kernel
	.section	.text._ZN12_GLOBAL__N_120geam_min_plus_kernelIf15HIP_vector_typeIfLj2EES2_Li8ELi32ELi64ELi128ELi4ELi64ELi4ELi64ELi4ELc78ELc84ELb0ELb0ELb0EfKffEEviiiT16_PT17_ilS6_ilS4_S6_ilPT18_ili26rocblas_geam_ex_operation_,"axG",@progbits,_ZN12_GLOBAL__N_120geam_min_plus_kernelIf15HIP_vector_typeIfLj2EES2_Li8ELi32ELi64ELi128ELi4ELi64ELi4ELi64ELi4ELc78ELc84ELb0ELb0ELb0EfKffEEviiiT16_PT17_ilS6_ilS4_S6_ilPT18_ili26rocblas_geam_ex_operation_,comdat
.Lfunc_end92:
	.size	_ZN12_GLOBAL__N_120geam_min_plus_kernelIf15HIP_vector_typeIfLj2EES2_Li8ELi32ELi64ELi128ELi4ELi64ELi4ELi64ELi4ELc78ELc84ELb0ELb0ELb0EfKffEEviiiT16_PT17_ilS6_ilS4_S6_ilPT18_ili26rocblas_geam_ex_operation_, .Lfunc_end92-_ZN12_GLOBAL__N_120geam_min_plus_kernelIf15HIP_vector_typeIfLj2EES2_Li8ELi32ELi64ELi128ELi4ELi64ELi4ELi64ELi4ELc78ELc84ELb0ELb0ELb0EfKffEEviiiT16_PT17_ilS6_ilS4_S6_ilPT18_ili26rocblas_geam_ex_operation_
                                        ; -- End function
	.section	.AMDGPU.csdata,"",@progbits
; Kernel info:
; codeLenInByte = 8932
; NumSgprs: 36
; NumVgprs: 223
; NumAgprs: 0
; TotalNumVgprs: 223
; ScratchSize: 0
; MemoryBound: 0
; FloatMode: 240
; IeeeMode: 1
; LDSByteSize: 6144 bytes/workgroup (compile time only)
; SGPRBlocks: 4
; VGPRBlocks: 27
; NumSGPRsForWavesPerEU: 36
; NumVGPRsForWavesPerEU: 223
; AccumOffset: 224
; Occupancy: 2
; WaveLimiterHint : 1
; COMPUTE_PGM_RSRC2:SCRATCH_EN: 0
; COMPUTE_PGM_RSRC2:USER_SGPR: 2
; COMPUTE_PGM_RSRC2:TRAP_HANDLER: 0
; COMPUTE_PGM_RSRC2:TGID_X_EN: 1
; COMPUTE_PGM_RSRC2:TGID_Y_EN: 0
; COMPUTE_PGM_RSRC2:TGID_Z_EN: 1
; COMPUTE_PGM_RSRC2:TIDIG_COMP_CNT: 1
; COMPUTE_PGM_RSRC3_GFX90A:ACCUM_OFFSET: 55
; COMPUTE_PGM_RSRC3_GFX90A:TG_SPLIT: 0
	.section	.text._ZN12_GLOBAL__N_120geam_min_plus_kernelIf15HIP_vector_typeIfLj2EES2_Li8ELi32ELi64ELi128ELi4ELi64ELi4ELi64ELi4ELc78ELc84ELb0ELb1ELb0EPKfS3_fEEviiiT16_PT17_ilS7_ilS5_S7_ilPT18_ili26rocblas_geam_ex_operation_,"axG",@progbits,_ZN12_GLOBAL__N_120geam_min_plus_kernelIf15HIP_vector_typeIfLj2EES2_Li8ELi32ELi64ELi128ELi4ELi64ELi4ELi64ELi4ELc78ELc84ELb0ELb1ELb0EPKfS3_fEEviiiT16_PT17_ilS7_ilS5_S7_ilPT18_ili26rocblas_geam_ex_operation_,comdat
	.globl	_ZN12_GLOBAL__N_120geam_min_plus_kernelIf15HIP_vector_typeIfLj2EES2_Li8ELi32ELi64ELi128ELi4ELi64ELi4ELi64ELi4ELc78ELc84ELb0ELb1ELb0EPKfS3_fEEviiiT16_PT17_ilS7_ilS5_S7_ilPT18_ili26rocblas_geam_ex_operation_ ; -- Begin function _ZN12_GLOBAL__N_120geam_min_plus_kernelIf15HIP_vector_typeIfLj2EES2_Li8ELi32ELi64ELi128ELi4ELi64ELi4ELi64ELi4ELc78ELc84ELb0ELb1ELb0EPKfS3_fEEviiiT16_PT17_ilS7_ilS5_S7_ilPT18_ili26rocblas_geam_ex_operation_
	.p2align	8
	.type	_ZN12_GLOBAL__N_120geam_min_plus_kernelIf15HIP_vector_typeIfLj2EES2_Li8ELi32ELi64ELi128ELi4ELi64ELi4ELi64ELi4ELc78ELc84ELb0ELb1ELb0EPKfS3_fEEviiiT16_PT17_ilS7_ilS5_S7_ilPT18_ili26rocblas_geam_ex_operation_,@function
_ZN12_GLOBAL__N_120geam_min_plus_kernelIf15HIP_vector_typeIfLj2EES2_Li8ELi32ELi64ELi128ELi4ELi64ELi4ELi64ELi4ELc78ELc84ELb0ELb1ELb0EPKfS3_fEEviiiT16_PT17_ilS7_ilS5_S7_ilPT18_ili26rocblas_geam_ex_operation_: ; @_ZN12_GLOBAL__N_120geam_min_plus_kernelIf15HIP_vector_typeIfLj2EES2_Li8ELi32ELi64ELi128ELi4ELi64ELi4ELi64ELi4ELc78ELc84ELb0ELb1ELb0EPKfS3_fEEviiiT16_PT17_ilS7_ilS5_S7_ilPT18_ili26rocblas_geam_ex_operation_
; %bb.0:
	s_load_dwordx4 s[12:15], s[0:1], 0x10
	s_load_dwordx4 s[4:7], s[0:1], 0x28
	s_mov_b32 s16, s3
	s_mov_b32 s17, 0
	s_lshl_b64 s[18:19], s[16:17], 2
	s_waitcnt lgkmcnt(0)
	s_add_u32 s12, s12, s18
	s_load_dwordx4 s[8:11], s[0:1], 0x40
	s_addc_u32 s13, s13, s19
	s_load_dword s17, s[12:13], 0x0
	s_load_dwordx2 s[20:21], s[0:1], 0x50
	s_mov_b64 s[26:27], 0
	s_mov_b64 s[28:29], 0
	s_waitcnt lgkmcnt(0)
	s_add_u32 s10, s10, s18
	v_cmp_eq_f32_e64 s[12:13], s17, 0
	s_addc_u32 s11, s11, s19
	v_cmp_neq_f32_e64 s[18:19], s17, 0
	s_and_b64 vcc, exec, s[12:13]
	s_cbranch_vccnz .LBB93_2
; %bb.1:
	s_mul_i32 s3, s16, s5
	s_mul_hi_u32 s5, s16, s4
	s_add_i32 s5, s5, s3
	s_mul_i32 s4, s16, s4
	s_lshl_b64 s[4:5], s[4:5], 2
	s_add_u32 s28, s14, s4
	s_addc_u32 s29, s15, s5
.LBB93_2:
	s_load_dword s33, s[10:11], 0x0
	s_andn2_b64 vcc, exec, s[18:19]
	s_cbranch_vccnz .LBB93_4
; %bb.3:
	s_mul_i32 s3, s16, s9
	s_mul_hi_u32 s4, s16, s8
	s_add_i32 s5, s4, s3
	s_mul_i32 s4, s16, s8
	s_lshl_b64 s[4:5], s[4:5], 2
	s_add_u32 s26, s6, s4
	s_addc_u32 s27, s7, s5
.LBB93_4:
	s_load_dwordx4 s[8:11], s[0:1], 0x60
	s_waitcnt lgkmcnt(0)
	v_cmp_eq_f32_e64 s[4:5], s33, 0
	v_cmp_neq_f32_e64 s[12:13], s33, 0
	s_and_b64 vcc, exec, s[4:5]
	s_cbranch_vccnz .LBB93_6
; %bb.5:
	s_mul_i32 s3, s16, s9
	s_mul_hi_u32 s4, s16, s8
	s_add_i32 s5, s4, s3
	s_mul_i32 s4, s16, s8
	s_lshl_b64 s[4:5], s[4:5], 2
	s_add_u32 s24, s20, s4
	s_addc_u32 s25, s21, s5
	s_branch .LBB93_7
.LBB93_6:
	s_mov_b64 s[24:25], 0
.LBB93_7:
	s_load_dwordx4 s[20:23], s[0:1], 0x0
	s_load_dword s30, s[0:1], 0x20
	v_and_b32_e32 v202, 0x3ff, v0
	v_bfe_u32 v203, v0, 10, 10
	v_mov_b32_e32 v8, 0
	s_waitcnt lgkmcnt(0)
	s_add_i32 s3, s20, -1
	s_ashr_i32 s4, s3, 31
	s_lshr_b32 s4, s4, 26
	s_add_i32 s3, s3, s4
	s_ashr_i32 s3, s3, 6
	s_add_i32 s7, s3, 1
	v_cvt_f32_u32_e32 v1, s7
	s_not_b32 s3, s3
	s_ashr_i32 s31, s30, 31
	v_mov_b32_e32 v9, 0
	v_rcp_iflag_f32_e32 v0, v1
	v_lshl_add_u32 v1, v203, 3, v202
	v_and_b32_e32 v7, 63, v1
	v_lshrrev_b32_e32 v204, 6, v1
	v_mul_f32_e32 v0, 0x4f7ffffe, v0
	v_cvt_u32_f32_e32 v0, v0
	v_cmp_gt_i32_e64 s[4:5], s22, v204
	v_readfirstlane_b32 s6, v0
	s_mul_i32 s3, s3, s6
	s_mul_hi_u32 s3, s6, s3
	s_add_i32 s6, s6, s3
	s_mul_hi_u32 s3, s2, s6
	s_mul_i32 s6, s3, s7
	s_sub_i32 s6, s2, s6
	s_add_i32 s8, s3, 1
	s_sub_i32 s9, s6, s7
	s_cmp_ge_u32 s6, s7
	s_cselect_b32 s3, s8, s3
	s_cselect_b32 s6, s9, s6
	s_add_i32 s8, s3, 1
	s_cmp_ge_u32 s6, s7
	s_cselect_b32 s6, s8, s3
	s_mul_i32 s3, s6, s7
	s_sub_i32 s2, s2, s3
	s_lshl_b32 s34, s2, 6
	v_or_b32_e32 v0, s34, v7
	v_cmp_gt_i32_e32 vcc, s20, v0
	s_and_b64 s[2:3], s[4:5], vcc
	v_ashrrev_i32_e32 v1, 31, v0
	s_and_b64 s[4:5], s[18:19], s[2:3]
	s_and_saveexec_b64 s[2:3], s[4:5]
	s_cbranch_execz .LBB93_9
; %bb.8:
	v_mad_i64_i32 v[2:3], s[4:5], s30, v204, 0
	v_lshl_add_u64 v[2:3], v[2:3], 2, s[28:29]
	v_lshl_add_u64 v[2:3], v[0:1], 2, v[2:3]
	flat_load_dword v2, v[2:3]
	s_waitcnt vmcnt(0) lgkmcnt(0)
	v_mul_f32_e32 v9, s17, v2
.LBB93_9:
	s_or_b64 exec, exec, s[2:3]
	s_load_dword s23, s[0:1], 0x38
	s_add_i32 s36, s22, -1
	s_lshl_b32 s35, s6, 7
	v_min_i32_e32 v2, s36, v204
	v_or_b32_e32 v72, s35, v7
	s_waitcnt lgkmcnt(0)
	v_mad_i64_i32 v[2:3], s[2:3], s23, v2, 0
	v_cmp_le_i32_e64 s[6:7], s22, v204
	v_cmp_le_i32_e64 s[2:3], s21, v72
	s_or_b64 s[4:5], s[6:7], s[2:3]
	s_xor_b64 s[8:9], s[18:19], -1
	s_or_b64 s[4:5], s[4:5], s[8:9]
	v_lshl_add_u64 v[2:3], v[2:3], 2, s[26:27]
	s_xor_b64 s[14:15], s[4:5], -1
	v_ashrrev_i32_e32 v73, 31, v72
	s_and_saveexec_b64 s[4:5], s[14:15]
	s_cbranch_execz .LBB93_11
; %bb.10:
	v_lshl_add_u64 v[4:5], v[72:73], 2, v[2:3]
	flat_load_dword v4, v[4:5]
	s_waitcnt vmcnt(0) lgkmcnt(0)
	v_mul_f32_e32 v8, s17, v4
.LBB93_11:
	s_or_b64 exec, exec, s[4:5]
	v_or_b32_e32 v4, 64, v72
	v_cmp_le_i32_e64 s[4:5], s21, v4
	s_or_b64 s[6:7], s[6:7], s[4:5]
	s_or_b64 s[6:7], s[6:7], s[8:9]
	s_xor_b64 s[14:15], s[6:7], -1
	v_mov_b32_e32 v4, 0
	v_mov_b32_e32 v10, 0
	s_and_saveexec_b64 s[6:7], s[14:15]
	s_cbranch_execz .LBB93_13
; %bb.12:
	v_lshl_add_u64 v[2:3], v[72:73], 2, v[2:3]
	flat_load_dword v2, v[2:3] offset:256
	s_waitcnt vmcnt(0) lgkmcnt(0)
	v_mul_f32_e32 v10, s17, v2
.LBB93_13:
	s_or_b64 exec, exec, s[6:7]
	v_add_u32_e32 v2, 4, v204
	v_cmp_gt_i32_e64 s[6:7], s22, v2
	s_and_b64 s[6:7], vcc, s[6:7]
	s_and_b64 s[14:15], s[18:19], s[6:7]
	s_and_saveexec_b64 s[6:7], s[14:15]
	s_cbranch_execz .LBB93_15
; %bb.14:
	v_mad_u64_u32 v[4:5], s[14:15], s30, v2, 0
	v_mov_b32_e32 v6, v5
	v_mad_u64_u32 v[12:13], s[14:15], s31, v2, v[6:7]
	v_mov_b32_e32 v5, v12
	v_lshl_add_u64 v[4:5], v[4:5], 2, s[28:29]
	v_lshl_add_u64 v[4:5], v[0:1], 2, v[4:5]
	flat_load_dword v3, v[4:5]
	s_waitcnt vmcnt(0) lgkmcnt(0)
	v_mul_f32_e32 v4, s17, v3
.LBB93_15:
	s_or_b64 exec, exec, s[6:7]
	v_cmp_le_i32_e64 s[6:7], s22, v2
	v_min_i32_e32 v2, s36, v2
	v_mad_i64_i32 v[2:3], s[14:15], s23, v2, 0
	s_or_b64 s[14:15], s[2:3], s[6:7]
	s_or_b64 s[14:15], s[14:15], s[8:9]
	v_lshl_add_u64 v[2:3], v[2:3], 2, s[26:27]
	s_xor_b64 s[38:39], s[14:15], -1
	v_mov_b32_e32 v5, 0
	v_mov_b32_e32 v6, 0
	s_and_saveexec_b64 s[14:15], s[38:39]
	s_cbranch_execz .LBB93_17
; %bb.16:
	v_lshl_add_u64 v[12:13], v[72:73], 2, v[2:3]
	flat_load_dword v6, v[12:13]
	s_waitcnt vmcnt(0) lgkmcnt(0)
	v_mul_f32_e32 v6, s17, v6
.LBB93_17:
	s_or_b64 exec, exec, s[14:15]
	s_or_b64 s[6:7], s[4:5], s[6:7]
	s_or_b64 s[6:7], s[6:7], s[8:9]
	s_xor_b64 s[14:15], s[6:7], -1
	s_and_saveexec_b64 s[6:7], s[14:15]
	s_cbranch_execz .LBB93_19
; %bb.18:
	v_lshl_add_u64 v[2:3], v[72:73], 2, v[2:3]
	flat_load_dword v2, v[2:3] offset:256
	s_waitcnt vmcnt(0) lgkmcnt(0)
	v_mul_f32_e32 v5, s17, v2
.LBB93_19:
	s_or_b64 exec, exec, s[6:7]
	v_lshlrev_b32_e32 v2, 2, v204
	v_lshl_add_u32 v207, v7, 4, v2
	v_lshlrev_b32_e32 v206, 4, v203
	ds_write_b32 v207, v9 offset:4096
	ds_write2st64_b32 v207, v8, v10 offset1:4
	s_waitcnt lgkmcnt(0)
	s_barrier
	ds_read_b128 v[8:11], v206
	v_lshlrev_b32_e32 v205, 4, v202
	ds_read_b128 v[12:15], v205 offset:4992
	ds_read_b128 v[16:19], v206 offset:512
	ds_read_b128 v[20:23], v205 offset:4864
	ds_read_b128 v[24:27], v206 offset:1536
	ds_read_b128 v[28:31], v206 offset:1024
	s_waitcnt lgkmcnt(5)
	v_max_f32_e32 v7, v9, v9
	v_max_f32_e32 v56, v8, v8
	ds_read_b128 v[32:35], v205 offset:4096
	ds_read_b128 v[36:39], v205 offset:4224
	v_max_f32_e32 v112, v11, v11
	v_max_f32_e32 v113, v10, v10
	ds_read_b128 v[8:11], v205 offset:4352
	s_waitcnt lgkmcnt(7)
	v_max_f32_e32 v60, v13, v13
	v_max_f32_e32 v61, v12, v12
	s_waitcnt lgkmcnt(6)
	v_max_f32_e32 v58, v17, v17
	v_max_f32_e32 v59, v16, v16
	;; [unrolled: 3-line block ×4, first 2 shown]
	v_max_f32_e32 v120, v15, v15
	v_max_f32_e32 v121, v14, v14
	ds_read_b128 v[12:15], v205 offset:4480
	v_max_f32_e32 v122, v19, v19
	v_max_f32_e32 v123, v18, v18
	s_waitcnt lgkmcnt(1)
	v_max_f32_e32 v32, v8, v8
	v_max_f32_e32 v33, v9, v9
	;; [unrolled: 1-line block ×3, first 2 shown]
	ds_read_b128 v[16:19], v205 offset:4608
	v_max_f32_e32 v75, v11, v11
	ds_read_b128 v[8:11], v205 offset:4736
	v_max_f32_e32 v64, v25, v25
	v_max_f32_e32 v65, v24, v24
	;; [unrolled: 1-line block ×4, first 2 shown]
	s_waitcnt lgkmcnt(2)
	v_max_f32_e32 v36, v12, v12
	v_max_f32_e32 v37, v13, v13
	s_waitcnt lgkmcnt(1)
	v_max_f32_e32 v44, v16, v16
	v_max_f32_e32 v45, v17, v17
	;; [unrolled: 3-line block ×3, first 2 shown]
	v_max_f32_e32 v76, v20, v20
	v_max_f32_e32 v77, v21, v21
	v_min_f32_e32 v55, v60, v7
	v_min_f32_e32 v54, v61, v56
	v_max_f32_e32 v125, v30, v30
	v_max_f32_e32 v126, v27, v27
	;; [unrolled: 1-line block ×12, first 2 shown]
	v_min_f32_e32 v2, v28, v56
	v_min_f32_e32 v3, v29, v7
	;; [unrolled: 1-line block ×42, first 2 shown]
	v_pk_add_f32 v[54:55], v[54:55], 0 op_sel_hi:[1,0]
	v_min_f32_e32 v61, v120, v112
	v_min_f32_e32 v60, v121, v113
	v_max_f32_e32 v124, v31, v31
	v_pk_add_f32 v[98:99], v[54:55], v[60:61]
	v_pk_add_f32 v[54:55], v[56:57], 0 op_sel_hi:[1,0]
	v_min_f32_e32 v57, v120, v122
	v_min_f32_e32 v56, v121, v123
	v_max_f32_e32 v68, v34, v34
	v_max_f32_e32 v69, v35, v35
	v_pk_add_f32 v[82:83], v[54:55], v[56:57]
	v_pk_add_f32 v[54:55], v[58:59], 0 op_sel_hi:[1,0]
	v_min_f32_e32 v57, v120, v124
	v_min_f32_e32 v56, v121, v125
	v_max_f32_e32 v71, v39, v39
	v_min_f32_e32 v31, v37, v7
	v_min_f32_e32 v34, v36, v63
	;; [unrolled: 1-line block ×17, first 2 shown]
	v_pk_add_f32 v[64:65], v[54:55], v[56:57]
	v_pk_add_f32 v[2:3], v[2:3], 0 op_sel_hi:[1,0]
	v_min_f32_e32 v54, v68, v113
	v_min_f32_e32 v55, v69, v112
	v_pk_add_f32 v[118:119], v[2:3], v[54:55]
	v_pk_add_f32 v[2:3], v[8:9], 0 op_sel_hi:[1,0]
	v_min_f32_e32 v8, v68, v123
	v_min_f32_e32 v9, v69, v122
	;; [unrolled: 4-line block ×3, first 2 shown]
	v_pk_add_f32 v[80:81], v[2:3], v[8:9]
	v_min_f32_e32 v3, v69, v126
	v_min_f32_e32 v2, v68, v127
	v_pk_add_f32 v[8:9], v[12:13], 0 op_sel_hi:[1,0]
	v_min_f32_e32 v100, v76, v63
	v_min_f32_e32 v101, v77, v62
	v_pk_add_f32 v[62:63], v[8:9], v[2:3]
	v_pk_add_f32 v[2:3], v[14:15], 0 op_sel_hi:[1,0]
	v_min_f32_e32 v8, v70, v113
	v_min_f32_e32 v9, v71, v112
	v_pk_add_f32 v[116:117], v[2:3], v[8:9]
	;; [unrolled: 4-line block ×4, first 2 shown]
	v_min_f32_e32 v3, v71, v126
	v_min_f32_e32 v2, v70, v127
	v_pk_add_f32 v[8:9], v[20:21], 0 op_sel_hi:[1,0]
	v_min_f32_e32 v67, v77, v7
	v_pk_add_f32 v[60:61], v[8:9], v[2:3]
	v_pk_add_f32 v[2:3], v[22:23], 0 op_sel_hi:[1,0]
	v_min_f32_e32 v8, v74, v113
	v_min_f32_e32 v9, v75, v112
	v_pk_add_f32 v[114:115], v[2:3], v[8:9]
	v_pk_add_f32 v[2:3], v[24:25], 0 op_sel_hi:[1,0]
	v_min_f32_e32 v8, v74, v123
	;; [unrolled: 4-line block ×3, first 2 shown]
	v_min_f32_e32 v9, v75, v124
	v_pk_add_f32 v[76:77], v[2:3], v[8:9]
	v_min_f32_e32 v3, v75, v126
	v_min_f32_e32 v2, v74, v127
	v_pk_add_f32 v[8:9], v[28:29], 0 op_sel_hi:[1,0]
	s_cmp_lt_i32 s22, 9
	v_pk_add_f32 v[58:59], v[8:9], v[2:3]
	v_pk_add_f32 v[2:3], v[30:31], 0 op_sel_hi:[1,0]
	v_min_f32_e32 v8, v86, v113
	v_min_f32_e32 v9, v87, v112
	v_pk_add_f32 v[106:107], v[2:3], v[8:9]
	v_pk_add_f32 v[2:3], v[32:33], 0 op_sel_hi:[1,0]
	v_min_f32_e32 v8, v86, v123
	v_min_f32_e32 v9, v87, v122
	;; [unrolled: 4-line block ×3, first 2 shown]
	v_pk_add_f32 v[74:75], v[2:3], v[8:9]
	v_min_f32_e32 v3, v87, v126
	v_min_f32_e32 v2, v86, v127
	v_pk_add_f32 v[8:9], v[36:37], 0 op_sel_hi:[1,0]
	ds_write2st64_b32 v207, v6, v5 offset0:8 offset1:12
	ds_write_b32 v207, v4 offset:5120
	v_pk_add_f32 v[56:57], v[8:9], v[2:3]
	v_pk_add_f32 v[2:3], v[38:39], 0 op_sel_hi:[1,0]
	v_min_f32_e32 v8, v110, v113
	v_min_f32_e32 v9, v111, v112
	v_pk_add_f32 v[108:109], v[2:3], v[8:9]
	v_pk_add_f32 v[2:3], v[40:41], 0 op_sel_hi:[1,0]
	v_min_f32_e32 v8, v110, v123
	v_min_f32_e32 v9, v111, v122
	;; [unrolled: 4-line block ×3, first 2 shown]
	v_pk_add_f32 v[70:71], v[2:3], v[8:9]
	v_min_f32_e32 v3, v111, v126
	v_min_f32_e32 v2, v110, v127
	v_pk_add_f32 v[8:9], v[44:45], 0 op_sel_hi:[1,0]
	s_waitcnt lgkmcnt(0)
	v_pk_add_f32 v[54:55], v[8:9], v[2:3]
	v_pk_add_f32 v[2:3], v[46:47], 0 op_sel_hi:[1,0]
	v_min_f32_e32 v8, v128, v113
	v_min_f32_e32 v9, v129, v112
	v_pk_add_f32 v[110:111], v[2:3], v[8:9]
	v_pk_add_f32 v[2:3], v[48:49], 0 op_sel_hi:[1,0]
	v_min_f32_e32 v8, v128, v123
	v_min_f32_e32 v9, v129, v122
	;; [unrolled: 4-line block ×3, first 2 shown]
	v_pk_add_f32 v[68:69], v[2:3], v[8:9]
	v_min_f32_e32 v3, v129, v126
	v_min_f32_e32 v2, v128, v127
	v_pk_add_f32 v[8:9], v[52:53], 0 op_sel_hi:[1,0]
	s_barrier
	v_pk_add_f32 v[52:53], v[8:9], v[2:3]
	v_min_f32_e32 v2, v130, v113
	v_min_f32_e32 v3, v131, v112
	v_pk_add_f32 v[8:9], v[66:67], 0 op_sel_hi:[1,0]
	s_nop 0
	v_pk_add_f32 v[112:113], v[8:9], v[2:3]
	v_min_f32_e32 v2, v130, v123
	v_min_f32_e32 v3, v131, v122
	v_pk_add_f32 v[8:9], v[84:85], 0 op_sel_hi:[1,0]
	s_nop 0
	;; [unrolled: 5-line block ×5, first 2 shown]
	v_pk_add_f32 v[48:49], v[8:9], v[2:3]
	s_cbranch_scc1 .LBB93_34
; %bb.20:
	v_lshl_add_u64 v[100:101], v[0:1], 2, s[28:29]
	v_mov_b32_e32 v0, 0x1400
	v_lshl_add_u32 v212, v202, 4, v0
	v_mov_b32_e32 v0, 0x800
	v_lshl_add_u32 v213, v203, 4, v0
	v_add_u32_e32 v0, 12, v204
	v_mad_i64_i32 v[0:1], s[6:7], v0, s30, 0
	v_lshlrev_b64 v[102:103], 2, v[0:1]
	v_add_u32_e32 v0, 8, v204
	v_mad_i64_i32 v[0:1], s[6:7], v0, s30, 0
	v_or_b32_e32 v208, 0x1000, v207
	v_add_u32_e32 v209, 0x1000, v205
	v_add_u32_e32 v210, 0x1400, v207
	v_or_b32_e32 v211, 0x800, v207
	s_add_i32 s37, s22, -8
	s_lshl_b64 s[14:15], s[30:31], 5
	v_lshlrev_b64 v[104:105], 2, v[0:1]
	s_mov_b32 s30, 0
	s_branch .LBB93_22
.LBB93_21:                              ;   in Loop: Header=BB93_22 Depth=1
	s_or_b64 exec, exec, s[6:7]
	v_pk_add_f32 v[40:41], v[98:99], v[40:41]
	v_pk_add_f32 v[32:33], v[64:65], v[32:33]
	;; [unrolled: 1-line block ×19, first 2 shown]
	ds_read_b128 v[0:3], v206
	ds_read_b128 v[8:11], v206 offset:512
	v_pk_add_f32 v[20:21], v[118:119], v[6:7]
	ds_read_b128 v[4:7], v209 offset:896
	v_pk_add_f32 v[44:45], v[96:97], v[44:45]
	v_pk_add_f32 v[28:29], v[80:81], v[28:29]
	;; [unrolled: 1-line block ×20, first 2 shown]
	ds_read_b128 v[12:15], v209 offset:768
	s_waitcnt lgkmcnt(1)
	v_max_f32_e32 v95, v5, v5
	v_max_f32_e32 v97, v4, v4
	;; [unrolled: 1-line block ×4, first 2 shown]
	v_pk_add_f32 v[78:79], v[36:37], v[38:39]
	v_pk_add_f32 v[74:75], v[28:29], v[30:31]
	;; [unrolled: 1-line block ×6, first 2 shown]
	ds_read_b128 v[82:85], v206 offset:1536
	ds_read_b128 v[86:89], v206 offset:1024
	v_min_f32_e32 v5, v95, v98
	v_min_f32_e32 v4, v97, v99
	v_pk_add_f32 v[60:61], v[62:63], v[166:167]
	v_pk_add_f32 v[62:63], v[80:81], v[164:165]
	;; [unrolled: 1-line block ×3, first 2 shown]
	ds_read_b128 v[78:81], v209
	v_pk_add_f32 v[114:115], v[54:55], v[146:147]
	v_pk_add_f32 v[92:93], v[92:93], v[130:131]
	;; [unrolled: 1-line block ×4, first 2 shown]
	s_waitcnt lgkmcnt(1)
	v_max_f32_e32 v114, v87, v87
	v_max_f32_e32 v115, v86, v86
	v_pk_add_f32 v[54:55], v[92:93], v[170:171]
	v_pk_add_f32 v[46:47], v[90:91], v[176:177]
	ds_read_b128 v[90:93], v209 offset:128
	v_max_f32_e32 v94, v1, v1
	v_max_f32_e32 v96, v0, v0
	v_min_f32_e32 v9, v95, v114
	v_min_f32_e32 v8, v97, v115
	s_waitcnt lgkmcnt(1)
	v_max_f32_e32 v86, v78, v78
	v_max_f32_e32 v87, v79, v79
	v_pk_add_f32 v[8:9], v[76:77], v[8:9]
	v_min_f32_e32 v76, v86, v96
	v_min_f32_e32 v77, v87, v94
	v_pk_add_f32 v[76:77], v[68:69], v[76:77]
	v_min_f32_e32 v68, v86, v99
	v_min_f32_e32 v69, v87, v98
	;; [unrolled: 3-line block ×3, first 2 shown]
	v_max_f32_e32 v83, v83, v83
	v_max_f32_e32 v82, v82, v82
	v_pk_add_f32 v[66:67], v[24:25], v[26:27]
	v_pk_add_f32 v[74:75], v[74:75], v[68:69]
	v_min_f32_e32 v69, v87, v83
	v_min_f32_e32 v68, v86, v82
	v_pk_add_f32 v[86:87], v[66:67], v[68:69]
	s_waitcnt lgkmcnt(0)
	v_max_f32_e32 v68, v90, v90
	v_max_f32_e32 v69, v91, v91
	v_min_f32_e32 v66, v68, v96
	v_min_f32_e32 v67, v69, v94
	v_pk_add_f32 v[60:61], v[60:61], v[66:67]
	v_min_f32_e32 v66, v68, v99
	v_min_f32_e32 v67, v69, v98
	v_pk_add_f32 v[90:91], v[62:63], v[66:67]
	v_min_f32_e32 v62, v68, v115
	v_min_f32_e32 v63, v69, v114
	v_pk_add_f32 v[42:43], v[106:107], v[180:181]
	v_pk_add_f32 v[106:107], v[64:65], v[62:63]
	ds_read_b128 v[64:67], v209 offset:256
	v_min_f32_e32 v63, v69, v83
	v_min_f32_e32 v62, v68, v82
	ds_read_b128 v[68:71], v209 offset:384
	v_pk_add_f32 v[58:59], v[58:59], v[62:63]
	s_waitcnt lgkmcnt(1)
	v_max_f32_e32 v64, v64, v64
	v_max_f32_e32 v65, v65, v65
	v_min_f32_e32 v62, v64, v96
	v_min_f32_e32 v63, v65, v94
	v_pk_add_f32 v[52:53], v[52:53], v[62:63]
	v_min_f32_e32 v62, v64, v99
	v_min_f32_e32 v63, v65, v98
	v_pk_add_f32 v[54:55], v[54:55], v[62:63]
	;; [unrolled: 3-line block ×3, first 2 shown]
	v_pk_add_f32 v[56:57], v[56:57], v[62:63]
	v_min_f32_e32 v63, v65, v83
	v_min_f32_e32 v62, v64, v82
	v_pk_add_f32 v[36:37], v[108:109], v[184:185]
	v_pk_add_f32 v[108:109], v[50:51], v[62:63]
	s_waitcnt lgkmcnt(0)
	v_max_f32_e32 v62, v68, v68
	v_max_f32_e32 v63, v69, v69
	v_min_f32_e32 v50, v62, v96
	v_min_f32_e32 v51, v63, v94
	v_pk_add_f32 v[110:111], v[110:111], v[150:151]
	v_pk_add_f32 v[68:69], v[44:45], v[50:51]
	v_min_f32_e32 v44, v62, v99
	v_min_f32_e32 v45, v63, v98
	v_pk_add_f32 v[112:113], v[112:113], v[156:157]
	v_pk_add_f32 v[28:29], v[110:111], v[194:195]
	;; [unrolled: 1-line block ×3, first 2 shown]
	v_min_f32_e32 v44, v62, v115
	v_min_f32_e32 v45, v63, v114
	v_pk_add_f32 v[24:25], v[112:113], v[200:201]
	v_pk_add_f32 v[112:113], v[48:49], v[44:45]
	ds_read_b128 v[44:47], v209 offset:512
	v_min_f32_e32 v49, v63, v83
	v_min_f32_e32 v48, v62, v82
	v_pk_add_f32 v[42:43], v[42:43], v[48:49]
	ds_read_b128 v[48:51], v209 offset:640
	s_waitcnt lgkmcnt(1)
	v_max_f32_e32 v62, v44, v44
	v_max_f32_e32 v63, v45, v45
	v_min_f32_e32 v44, v62, v96
	v_min_f32_e32 v45, v63, v94
	v_pk_add_f32 v[36:37], v[36:37], v[44:45]
	v_min_f32_e32 v44, v62, v99
	v_min_f32_e32 v45, v63, v98
	v_pk_add_f32 v[38:39], v[38:39], v[44:45]
	;; [unrolled: 3-line block ×3, first 2 shown]
	v_min_f32_e32 v45, v63, v83
	v_min_f32_e32 v44, v62, v82
	s_waitcnt lgkmcnt(0)
	v_max_f32_e32 v48, v48, v48
	v_max_f32_e32 v49, v49, v49
	v_pk_add_f32 v[34:35], v[34:35], v[44:45]
	v_min_f32_e32 v44, v48, v96
	v_min_f32_e32 v45, v49, v94
	v_pk_add_f32 v[28:29], v[28:29], v[44:45]
	v_min_f32_e32 v44, v48, v99
	v_min_f32_e32 v45, v49, v98
	v_pk_add_f32 v[30:31], v[30:31], v[44:45]
	v_min_f32_e32 v44, v48, v115
	v_min_f32_e32 v45, v49, v114
	v_pk_add_f32 v[26:27], v[116:117], v[196:197]
	v_pk_add_f32 v[32:33], v[32:33], v[44:45]
	v_min_f32_e32 v45, v49, v83
	v_min_f32_e32 v44, v48, v82
	v_pk_add_f32 v[26:27], v[26:27], v[44:45]
	v_max_f32_e32 v44, v12, v12
	v_max_f32_e32 v45, v13, v13
	v_min_f32_e32 v12, v44, v96
	v_min_f32_e32 v13, v45, v94
	v_pk_add_f32 v[12:13], v[24:25], v[12:13]
	v_min_f32_e32 v24, v44, v99
	v_min_f32_e32 v25, v45, v98
	v_pk_add_f32 v[22:23], v[22:23], v[24:25]
	;; [unrolled: 3-line block ×4, first 2 shown]
	v_pk_add_f32 v[20:21], v[20:21], v[24:25]
	v_min_f32_e32 v25, v95, v83
	v_min_f32_e32 v24, v97, v82
	;; [unrolled: 1-line block ×4, first 2 shown]
	v_pk_add_f32 v[16:17], v[16:17], v[24:25]
	v_max_f32_e32 v24, v3, v3
	v_max_f32_e32 v7, v7, v7
	;; [unrolled: 1-line block ×4, first 2 shown]
	v_pk_add_f32 v[0:1], v[122:123], v[0:1]
	v_min_f32_e32 v3, v7, v24
	v_min_f32_e32 v2, v6, v25
	v_pk_add_f32 v[98:99], v[0:1], v[2:3]
	v_max_f32_e32 v2, v11, v11
	v_max_f32_e32 v3, v10, v10
	v_min_f32_e32 v1, v7, v2
	v_min_f32_e32 v0, v6, v3
	v_pk_add_f32 v[82:83], v[4:5], v[0:1]
	v_max_f32_e32 v4, v89, v89
	v_max_f32_e32 v5, v88, v88
	;; [unrolled: 5-line block ×3, first 2 shown]
	v_min_f32_e32 v0, v8, v25
	v_min_f32_e32 v1, v9, v24
	v_pk_add_f32 v[118:119], v[76:77], v[0:1]
	v_min_f32_e32 v0, v8, v3
	v_min_f32_e32 v1, v9, v2
	v_pk_add_f32 v[96:97], v[78:79], v[0:1]
	v_min_f32_e32 v0, v8, v5
	v_min_f32_e32 v1, v9, v4
	v_max_f32_e32 v10, v85, v85
	v_pk_add_f32 v[80:81], v[74:75], v[0:1]
	v_min_f32_e32 v1, v9, v10
	v_max_f32_e32 v9, v84, v84
	v_min_f32_e32 v0, v8, v9
	v_max_f32_e32 v8, v92, v92
	v_max_f32_e32 v11, v93, v93
	v_pk_add_f32 v[62:63], v[86:87], v[0:1]
	v_min_f32_e32 v0, v8, v25
	v_min_f32_e32 v1, v11, v24
	v_pk_add_f32 v[116:117], v[60:61], v[0:1]
	v_min_f32_e32 v0, v8, v3
	v_min_f32_e32 v1, v11, v2
	v_pk_add_f32 v[94:95], v[90:91], v[0:1]
	v_min_f32_e32 v0, v8, v5
	v_min_f32_e32 v1, v11, v4
	v_pk_add_f32 v[78:79], v[106:107], v[0:1]
	v_min_f32_e32 v1, v11, v10
	v_min_f32_e32 v0, v8, v9
	v_max_f32_e32 v8, v66, v66
	v_max_f32_e32 v11, v67, v67
	v_pk_add_f32 v[60:61], v[58:59], v[0:1]
	v_min_f32_e32 v0, v8, v25
	v_min_f32_e32 v1, v11, v24
	v_pk_add_f32 v[114:115], v[52:53], v[0:1]
	v_min_f32_e32 v0, v8, v3
	v_min_f32_e32 v1, v11, v2
	v_pk_add_f32 v[92:93], v[54:55], v[0:1]
	v_min_f32_e32 v0, v8, v5
	v_min_f32_e32 v1, v11, v4
	v_pk_add_f32 v[76:77], v[56:57], v[0:1]
	v_min_f32_e32 v1, v11, v10
	;; [unrolled: 14-line block ×6, first 2 shown]
	v_min_f32_e32 v0, v8, v9
	v_pk_add_f32 v[50:51], v[20:21], v[0:1]
	v_min_f32_e32 v1, v7, v10
	v_min_f32_e32 v0, v6, v9
	s_add_i32 s30, s30, 8
	v_pk_add_f32 v[48:49], v[16:17], v[0:1]
	s_cmp_ge_i32 s30, s37
	v_lshl_add_u64 v[100:101], v[100:101], 0, s[14:15]
	ds_write_b32 v210, v214
	ds_write2st64_b32 v211, v216, v215 offset1:4
	s_waitcnt lgkmcnt(0)
	s_barrier
	s_cbranch_scc1 .LBB93_34
.LBB93_22:                              ; =>This Inner Loop Header: Depth=1
	v_add_u32_e32 v120, s30, v204
	v_add_u32_e32 v0, 8, v120
	v_cmp_gt_i32_e64 s[6:7], s22, v0
	s_and_b64 s[6:7], vcc, s[6:7]
	s_and_b64 s[28:29], s[18:19], s[6:7]
	v_mov_b32_e32 v121, 0
	v_mov_b32_e32 v122, 0
	s_and_saveexec_b64 s[6:7], s[28:29]
	s_cbranch_execz .LBB93_24
; %bb.23:                               ;   in Loop: Header=BB93_22 Depth=1
	v_lshl_add_u64 v[2:3], v[100:101], 0, v[104:105]
	flat_load_dword v1, v[2:3]
	s_waitcnt vmcnt(0) lgkmcnt(0)
	v_mul_f32_e32 v122, s17, v1
.LBB93_24:                              ;   in Loop: Header=BB93_22 Depth=1
	s_or_b64 exec, exec, s[6:7]
	v_cmp_le_i32_e64 s[6:7], s22, v0
	v_min_i32_e32 v0, s36, v0
	v_mad_i64_i32 v[0:1], s[28:29], v0, s23, 0
	s_or_b64 s[28:29], s[2:3], s[6:7]
	v_lshl_add_u64 v[0:1], v[0:1], 2, s[26:27]
	s_or_b64 s[28:29], s[28:29], s[8:9]
	s_xor_b64 s[38:39], s[28:29], -1
	v_lshl_add_u64 v[0:1], v[72:73], 2, v[0:1]
	s_and_saveexec_b64 s[28:29], s[38:39]
	s_cbranch_execz .LBB93_26
; %bb.25:                               ;   in Loop: Header=BB93_22 Depth=1
	flat_load_dword v2, v[0:1]
	s_waitcnt vmcnt(0) lgkmcnt(0)
	v_mul_f32_e32 v121, s17, v2
.LBB93_26:                              ;   in Loop: Header=BB93_22 Depth=1
	s_or_b64 exec, exec, s[28:29]
	s_or_b64 s[6:7], s[4:5], s[6:7]
	s_or_b64 s[6:7], s[6:7], s[8:9]
	s_xor_b64 s[28:29], s[6:7], -1
	v_mov_b32_e32 v214, 0
	v_mov_b32_e32 v123, 0
	s_and_saveexec_b64 s[6:7], s[28:29]
	s_cbranch_execz .LBB93_28
; %bb.27:                               ;   in Loop: Header=BB93_22 Depth=1
	flat_load_dword v0, v[0:1] offset:256
	s_waitcnt vmcnt(0) lgkmcnt(0)
	v_mul_f32_e32 v123, s17, v0
.LBB93_28:                              ;   in Loop: Header=BB93_22 Depth=1
	s_or_b64 exec, exec, s[6:7]
	ds_read_b128 v[40:43], v213
	ds_read_b128 v[36:39], v213 offset:512
	ds_read_b128 v[24:27], v213 offset:1536
	;; [unrolled: 1-line block ×3, first 2 shown]
	ds_read_b128 v[28:31], v212
	ds_read_b128 v[20:23], v212 offset:128
	ds_read_b128 v[16:19], v212 offset:256
	;; [unrolled: 1-line block ×7, first 2 shown]
	v_add_u32_e32 v120, 12, v120
	v_cmp_gt_i32_e64 s[6:7], s22, v120
	s_and_b64 s[6:7], vcc, s[6:7]
	s_and_b64 s[28:29], s[18:19], s[6:7]
	ds_write_b32 v208, v122
	ds_write2st64_b32 v207, v121, v123 offset1:4
	s_waitcnt lgkmcnt(0)
	s_barrier
	s_and_saveexec_b64 s[6:7], s[28:29]
	s_cbranch_execz .LBB93_30
; %bb.29:                               ;   in Loop: Header=BB93_22 Depth=1
	v_lshl_add_u64 v[122:123], v[100:101], 0, v[102:103]
	flat_load_dword v121, v[122:123]
	s_waitcnt vmcnt(0) lgkmcnt(0)
	v_mul_f32_e32 v214, s17, v121
.LBB93_30:                              ;   in Loop: Header=BB93_22 Depth=1
	s_or_b64 exec, exec, s[6:7]
	v_cmp_le_i32_e64 s[6:7], s22, v120
	v_min_i32_e32 v120, s36, v120
	v_mad_i64_i32 v[120:121], s[28:29], v120, s23, 0
	s_or_b64 s[28:29], s[2:3], s[6:7]
	v_lshl_add_u64 v[120:121], v[120:121], 2, s[26:27]
	s_or_b64 s[28:29], s[28:29], s[8:9]
	s_xor_b64 s[38:39], s[28:29], -1
	v_mov_b32_e32 v215, 0
	v_lshl_add_u64 v[120:121], v[72:73], 2, v[120:121]
	v_mov_b32_e32 v216, 0
	s_and_saveexec_b64 s[28:29], s[38:39]
	s_cbranch_execz .LBB93_32
; %bb.31:                               ;   in Loop: Header=BB93_22 Depth=1
	flat_load_dword v122, v[120:121]
	s_waitcnt vmcnt(0) lgkmcnt(0)
	v_mul_f32_e32 v216, s17, v122
.LBB93_32:                              ;   in Loop: Header=BB93_22 Depth=1
	s_or_b64 exec, exec, s[28:29]
	v_max_f32_e32 v154, v41, v41
	v_max_f32_e32 v160, v45, v45
	;; [unrolled: 1-line block ×34, first 2 shown]
	s_or_b64 s[6:7], s[4:5], s[6:7]
	v_min_f32_e32 v41, v160, v154
	v_min_f32_e32 v40, v162, v155
	;; [unrolled: 1-line block ×62, first 2 shown]
	v_max_f32_e32 v191, v47, v47
	v_max_f32_e32 v217, v46, v46
	v_max_f32_e32 v164, v30, v30
	v_max_f32_e32 v165, v31, v31
	v_max_f32_e32 v168, v22, v22
	v_max_f32_e32 v169, v23, v23
	v_max_f32_e32 v174, v18, v18
	v_max_f32_e32 v175, v19, v19
	v_max_f32_e32 v180, v14, v14
	v_max_f32_e32 v181, v15, v15
	v_max_f32_e32 v186, v10, v10
	v_max_f32_e32 v187, v11, v11
	v_min_f32_e32 v194, v6, v198
	v_min_f32_e32 v195, v7, v190
	;; [unrolled: 1-line block ×8, first 2 shown]
	v_max_f32_e32 v6, v2, v2
	v_max_f32_e32 v7, v3, v3
	s_or_b64 s[6:7], s[6:7], s[8:9]
	v_min_f32_e32 v32, v162, v163
	v_min_f32_e32 v0, v166, v163
	;; [unrolled: 1-line block ×58, first 2 shown]
	s_xor_b64 s[28:29], s[6:7], -1
	s_and_saveexec_b64 s[6:7], s[28:29]
	s_cbranch_execz .LBB93_21
; %bb.33:                               ;   in Loop: Header=BB93_22 Depth=1
	flat_load_dword v120, v[120:121] offset:256
	s_waitcnt vmcnt(0) lgkmcnt(0)
	v_mul_f32_e32 v215, s17, v120
	s_branch .LBB93_21
.LBB93_34:
	s_load_dwordx2 s[2:3], s[0:1], 0x78
	s_load_dword s29, s[0:1], 0x58
	s_load_dword s28, s[0:1], 0x70
	ds_read_b128 v[44:47], v206 offset:2048
	ds_read_b128 v[40:43], v206 offset:2560
	;; [unrolled: 1-line block ×12, first 2 shown]
	v_add_u32_e32 v124, s35, v203
	s_waitcnt lgkmcnt(0)
	s_mul_i32 s1, s16, s3
	s_mul_hi_u32 s3, s16, s2
	s_mul_i32 s0, s16, s2
	s_add_i32 s1, s3, s1
	s_lshl_b64 s[0:1], s[0:1], 2
	s_add_u32 s22, s10, s0
	s_addc_u32 s23, s11, s1
	v_mad_i64_i32 v[100:101], s[0:1], v124, s29, 0
	v_add_u32_e32 v72, s34, v202
	v_lshl_add_u64 v[122:123], v[100:101], 2, s[24:25]
	v_mad_i64_i32 v[100:101], s[0:1], v124, s28, 0
	v_cmp_gt_i32_e64 s[18:19], s21, v124
	v_lshl_add_u64 v[120:121], v[100:101], 2, s[22:23]
	v_cmp_gt_i32_e64 s[2:3], s20, v72
	v_cndmask_b32_e64 v100, 0, 1, s[12:13]
	s_and_b64 s[6:7], s[2:3], s[18:19]
	v_ashrrev_i32_e32 v73, 31, v72
	v_cmp_ne_u32_e64 s[0:1], 1, v100
	s_and_saveexec_b64 s[4:5], s[6:7]
	s_cbranch_execz .LBB93_39
; %bb.35:
	s_and_b64 vcc, exec, s[0:1]
	s_cbranch_vccnz .LBB93_37
; %bb.36:
	v_lshl_add_u64 v[100:101], v[72:73], 2, v[122:123]
	flat_load_dword v100, v[100:101]
	s_waitcnt vmcnt(0) lgkmcnt(0)
	v_mul_f32_e32 v100, s33, v100
	s_branch .LBB93_38
.LBB93_37:
	v_mov_b32_e32 v100, 0
.LBB93_38:
	v_max_f32_e32 v101, v44, v44
	v_max_f32_e32 v102, v32, v32
	v_min_f32_e32 v102, v102, v101
	v_max_f32_e32 v101, v45, v45
	v_max_f32_e32 v103, v33, v33
	v_min_f32_e32 v103, v103, v101
	v_max_f32_e32 v101, v46, v46
	v_max_f32_e32 v104, v34, v34
	v_min_f32_e32 v104, v104, v101
	v_max_f32_e32 v101, v47, v47
	v_max_f32_e32 v105, v35, v35
	v_pk_add_f32 v[102:103], v[118:119], v[102:103]
	v_min_f32_e32 v105, v105, v101
	v_pk_add_f32 v[102:103], v[102:103], v[104:105]
	s_nop 0
	v_add_f32_e32 v101, v102, v103
	v_add_f32_e32 v102, v101, v100
	v_lshl_add_u64 v[100:101], v[72:73], 2, v[120:121]
	global_store_dword v[100:101], v102, off
.LBB93_39:
	s_or_b64 exec, exec, s[4:5]
	v_add_u32_e32 v100, 8, v72
	v_cmp_gt_i32_e64 s[4:5], s20, v100
	s_and_b64 s[8:9], s[4:5], s[18:19]
	v_ashrrev_i32_e32 v101, 31, v100
	s_and_saveexec_b64 s[6:7], s[8:9]
	s_cbranch_execz .LBB93_44
; %bb.40:
	s_and_b64 vcc, exec, s[0:1]
	s_cbranch_vccnz .LBB93_42
; %bb.41:
	v_lshl_add_u64 v[102:103], v[100:101], 2, v[122:123]
	flat_load_dword v102, v[102:103]
	s_waitcnt vmcnt(0) lgkmcnt(0)
	v_mul_f32_e32 v102, s33, v102
	s_branch .LBB93_43
.LBB93_42:
	v_mov_b32_e32 v102, 0
.LBB93_43:
	v_max_f32_e32 v103, v44, v44
	v_max_f32_e32 v104, v28, v28
	v_min_f32_e32 v104, v104, v103
	v_max_f32_e32 v103, v45, v45
	v_max_f32_e32 v105, v29, v29
	v_min_f32_e32 v105, v105, v103
	v_pk_add_f32 v[104:105], v[116:117], v[104:105]
	v_max_f32_e32 v103, v46, v46
	v_max_f32_e32 v116, v30, v30
	v_min_f32_e32 v116, v116, v103
	v_max_f32_e32 v103, v47, v47
	v_max_f32_e32 v117, v31, v31
	v_min_f32_e32 v117, v117, v103
	v_pk_add_f32 v[104:105], v[104:105], v[116:117]
	s_nop 0
	v_add_f32_e32 v103, v104, v105
	v_add_f32_e32 v104, v103, v102
	v_lshl_add_u64 v[102:103], v[100:101], 2, v[120:121]
	global_store_dword v[102:103], v104, off
.LBB93_44:
	s_or_b64 exec, exec, s[6:7]
	v_add_u32_e32 v102, 16, v72
	v_cmp_gt_i32_e64 s[6:7], s20, v102
	s_and_b64 s[10:11], s[6:7], s[18:19]
	v_ashrrev_i32_e32 v103, 31, v102
	s_and_saveexec_b64 s[8:9], s[10:11]
	s_cbranch_execz .LBB93_49
; %bb.45:
	s_and_b64 vcc, exec, s[0:1]
	s_cbranch_vccnz .LBB93_47
; %bb.46:
	v_lshl_add_u64 v[104:105], v[102:103], 2, v[122:123]
	flat_load_dword v104, v[104:105]
	s_waitcnt vmcnt(0) lgkmcnt(0)
	v_mul_f32_e32 v104, s33, v104
	s_branch .LBB93_48
.LBB93_47:
	v_mov_b32_e32 v104, 0
.LBB93_48:
	v_max_f32_e32 v105, v44, v44
	v_max_f32_e32 v116, v24, v24
	v_min_f32_e32 v116, v116, v105
	v_max_f32_e32 v105, v45, v45
	v_max_f32_e32 v117, v25, v25
	v_min_f32_e32 v117, v117, v105
	v_pk_add_f32 v[114:115], v[114:115], v[116:117]
	v_max_f32_e32 v105, v46, v46
	v_max_f32_e32 v116, v26, v26
	v_min_f32_e32 v116, v116, v105
	v_max_f32_e32 v105, v47, v47
	v_max_f32_e32 v117, v27, v27
	v_min_f32_e32 v117, v117, v105
	v_pk_add_f32 v[114:115], v[114:115], v[116:117]
	s_nop 0
	v_add_f32_e32 v105, v114, v115
	v_add_f32_e32 v114, v105, v104
	v_lshl_add_u64 v[104:105], v[102:103], 2, v[120:121]
	global_store_dword v[104:105], v114, off
.LBB93_49:
	;; [unrolled: 39-line block ×7, first 2 shown]
	s_or_b64 exec, exec, s[18:19]
	v_add_u32_e32 v98, 32, v124
	v_mad_i64_i32 v[44:45], s[26:27], v98, s29, 0
	v_cmp_gt_i32_e64 s[18:19], s21, v98
	v_lshl_add_u64 v[46:47], v[44:45], 2, s[24:25]
	v_mad_i64_i32 v[44:45], s[26:27], v98, s28, 0
	v_lshl_add_u64 v[44:45], v[44:45], 2, s[22:23]
	s_and_b64 s[30:31], s[2:3], s[18:19]
	s_and_saveexec_b64 s[26:27], s[30:31]
	s_cbranch_execnz .LBB93_82
; %bb.75:
	s_or_b64 exec, exec, s[26:27]
	s_and_b64 s[30:31], s[4:5], s[18:19]
	s_and_saveexec_b64 s[26:27], s[30:31]
	s_cbranch_execnz .LBB93_86
.LBB93_76:
	s_or_b64 exec, exec, s[26:27]
	s_and_b64 s[30:31], s[6:7], s[18:19]
	s_and_saveexec_b64 s[26:27], s[30:31]
	s_cbranch_execnz .LBB93_90
.LBB93_77:
	s_or_b64 exec, exec, s[26:27]
	s_and_b64 s[30:31], s[8:9], s[18:19]
	s_and_saveexec_b64 s[26:27], s[30:31]
	s_cbranch_execnz .LBB93_94
.LBB93_78:
	s_or_b64 exec, exec, s[26:27]
	s_and_b64 s[30:31], s[10:11], s[18:19]
	s_and_saveexec_b64 s[26:27], s[30:31]
	s_cbranch_execnz .LBB93_98
.LBB93_79:
	s_or_b64 exec, exec, s[26:27]
	s_and_b64 s[30:31], s[12:13], s[18:19]
	s_and_saveexec_b64 s[26:27], s[30:31]
	s_cbranch_execnz .LBB93_102
.LBB93_80:
	s_or_b64 exec, exec, s[26:27]
	s_and_b64 s[30:31], s[14:15], s[18:19]
	s_and_saveexec_b64 s[26:27], s[30:31]
	s_cbranch_execnz .LBB93_106
.LBB93_81:
	s_or_b64 exec, exec, s[26:27]
	s_and_b64 s[26:27], s[16:17], s[18:19]
	s_and_saveexec_b64 s[18:19], s[26:27]
	s_cbranch_execnz .LBB93_110
	s_branch .LBB93_114
.LBB93_82:
	s_and_b64 vcc, exec, s[0:1]
	s_cbranch_vccnz .LBB93_84
; %bb.83:
	v_lshl_add_u64 v[98:99], v[72:73], 2, v[46:47]
	flat_load_dword v98, v[98:99]
	s_waitcnt vmcnt(0) lgkmcnt(0)
	v_mul_f32_e32 v98, s33, v98
	s_branch .LBB93_85
.LBB93_84:
	v_mov_b32_e32 v98, 0
.LBB93_85:
	v_max_f32_e32 v99, v40, v40
	v_max_f32_e32 v114, v32, v32
	v_min_f32_e32 v114, v114, v99
	v_max_f32_e32 v99, v41, v41
	v_max_f32_e32 v115, v33, v33
	v_min_f32_e32 v115, v115, v99
	v_pk_add_f32 v[96:97], v[96:97], v[114:115]
	v_max_f32_e32 v99, v42, v42
	v_max_f32_e32 v114, v34, v34
	v_min_f32_e32 v114, v114, v99
	v_max_f32_e32 v99, v43, v43
	v_max_f32_e32 v115, v35, v35
	v_min_f32_e32 v115, v115, v99
	v_pk_add_f32 v[96:97], v[96:97], v[114:115]
	s_nop 0
	v_add_f32_e32 v96, v96, v97
	v_add_f32_e32 v98, v96, v98
	v_lshl_add_u64 v[96:97], v[72:73], 2, v[44:45]
	global_store_dword v[96:97], v98, off
	s_or_b64 exec, exec, s[26:27]
	s_and_b64 s[30:31], s[4:5], s[18:19]
	s_and_saveexec_b64 s[26:27], s[30:31]
	s_cbranch_execz .LBB93_76
.LBB93_86:
	s_and_b64 vcc, exec, s[0:1]
	s_cbranch_vccnz .LBB93_88
; %bb.87:
	v_lshl_add_u64 v[96:97], v[100:101], 2, v[46:47]
	flat_load_dword v96, v[96:97]
	s_waitcnt vmcnt(0) lgkmcnt(0)
	v_mul_f32_e32 v96, s33, v96
	s_branch .LBB93_89
.LBB93_88:
	v_mov_b32_e32 v96, 0
.LBB93_89:
	v_max_f32_e32 v97, v40, v40
	v_max_f32_e32 v98, v28, v28
	v_min_f32_e32 v98, v98, v97
	v_max_f32_e32 v97, v41, v41
	v_max_f32_e32 v99, v29, v29
	v_min_f32_e32 v99, v99, v97
	v_pk_add_f32 v[94:95], v[94:95], v[98:99]
	v_max_f32_e32 v97, v42, v42
	v_max_f32_e32 v98, v30, v30
	v_min_f32_e32 v98, v98, v97
	v_max_f32_e32 v97, v43, v43
	v_max_f32_e32 v99, v31, v31
	v_min_f32_e32 v99, v99, v97
	v_pk_add_f32 v[94:95], v[94:95], v[98:99]
	s_nop 0
	v_add_f32_e32 v94, v94, v95
	v_add_f32_e32 v96, v94, v96
	v_lshl_add_u64 v[94:95], v[100:101], 2, v[44:45]
	global_store_dword v[94:95], v96, off
	s_or_b64 exec, exec, s[26:27]
	s_and_b64 s[30:31], s[6:7], s[18:19]
	s_and_saveexec_b64 s[26:27], s[30:31]
	s_cbranch_execz .LBB93_77
.LBB93_90:
	s_and_b64 vcc, exec, s[0:1]
	s_cbranch_vccnz .LBB93_92
; %bb.91:
	v_lshl_add_u64 v[94:95], v[102:103], 2, v[46:47]
	flat_load_dword v94, v[94:95]
	s_waitcnt vmcnt(0) lgkmcnt(0)
	v_mul_f32_e32 v94, s33, v94
	s_branch .LBB93_93
.LBB93_92:
	v_mov_b32_e32 v94, 0
.LBB93_93:
	v_max_f32_e32 v95, v40, v40
	v_max_f32_e32 v96, v24, v24
	v_min_f32_e32 v96, v96, v95
	v_max_f32_e32 v95, v41, v41
	v_max_f32_e32 v97, v25, v25
	v_min_f32_e32 v97, v97, v95
	v_pk_add_f32 v[92:93], v[92:93], v[96:97]
	v_max_f32_e32 v95, v42, v42
	v_max_f32_e32 v96, v26, v26
	v_min_f32_e32 v96, v96, v95
	v_max_f32_e32 v95, v43, v43
	v_max_f32_e32 v97, v27, v27
	v_min_f32_e32 v97, v97, v95
	v_pk_add_f32 v[92:93], v[92:93], v[96:97]
	s_nop 0
	v_add_f32_e32 v92, v92, v93
	v_add_f32_e32 v94, v92, v94
	v_lshl_add_u64 v[92:93], v[102:103], 2, v[44:45]
	global_store_dword v[92:93], v94, off
	s_or_b64 exec, exec, s[26:27]
	s_and_b64 s[30:31], s[8:9], s[18:19]
	s_and_saveexec_b64 s[26:27], s[30:31]
	s_cbranch_execz .LBB93_78
.LBB93_94:
	s_and_b64 vcc, exec, s[0:1]
	s_cbranch_vccnz .LBB93_96
; %bb.95:
	v_lshl_add_u64 v[92:93], v[104:105], 2, v[46:47]
	flat_load_dword v92, v[92:93]
	s_waitcnt vmcnt(0) lgkmcnt(0)
	v_mul_f32_e32 v92, s33, v92
	s_branch .LBB93_97
.LBB93_96:
	v_mov_b32_e32 v92, 0
.LBB93_97:
	v_max_f32_e32 v93, v40, v40
	v_max_f32_e32 v94, v20, v20
	v_min_f32_e32 v94, v94, v93
	v_max_f32_e32 v93, v41, v41
	v_max_f32_e32 v95, v21, v21
	v_min_f32_e32 v95, v95, v93
	v_pk_add_f32 v[90:91], v[90:91], v[94:95]
	v_max_f32_e32 v93, v42, v42
	v_max_f32_e32 v94, v22, v22
	v_min_f32_e32 v94, v94, v93
	v_max_f32_e32 v93, v43, v43
	v_max_f32_e32 v95, v23, v23
	v_min_f32_e32 v95, v95, v93
	v_pk_add_f32 v[90:91], v[90:91], v[94:95]
	s_nop 0
	v_add_f32_e32 v90, v90, v91
	v_add_f32_e32 v92, v90, v92
	v_lshl_add_u64 v[90:91], v[104:105], 2, v[44:45]
	global_store_dword v[90:91], v92, off
	s_or_b64 exec, exec, s[26:27]
	s_and_b64 s[30:31], s[10:11], s[18:19]
	s_and_saveexec_b64 s[26:27], s[30:31]
	s_cbranch_execz .LBB93_79
.LBB93_98:
	s_and_b64 vcc, exec, s[0:1]
	s_cbranch_vccnz .LBB93_100
; %bb.99:
	v_lshl_add_u64 v[90:91], v[106:107], 2, v[46:47]
	flat_load_dword v90, v[90:91]
	s_waitcnt vmcnt(0) lgkmcnt(0)
	v_mul_f32_e32 v90, s33, v90
	s_branch .LBB93_101
.LBB93_100:
	v_mov_b32_e32 v90, 0
.LBB93_101:
	v_max_f32_e32 v91, v40, v40
	v_max_f32_e32 v92, v16, v16
	v_min_f32_e32 v92, v92, v91
	v_max_f32_e32 v91, v41, v41
	v_max_f32_e32 v93, v17, v17
	v_min_f32_e32 v93, v93, v91
	v_pk_add_f32 v[88:89], v[88:89], v[92:93]
	v_max_f32_e32 v91, v42, v42
	v_max_f32_e32 v92, v18, v18
	v_min_f32_e32 v92, v92, v91
	v_max_f32_e32 v91, v43, v43
	v_max_f32_e32 v93, v19, v19
	v_min_f32_e32 v93, v93, v91
	v_pk_add_f32 v[88:89], v[88:89], v[92:93]
	s_nop 0
	v_add_f32_e32 v88, v88, v89
	v_add_f32_e32 v90, v88, v90
	v_lshl_add_u64 v[88:89], v[106:107], 2, v[44:45]
	global_store_dword v[88:89], v90, off
	s_or_b64 exec, exec, s[26:27]
	s_and_b64 s[30:31], s[12:13], s[18:19]
	s_and_saveexec_b64 s[26:27], s[30:31]
	s_cbranch_execz .LBB93_80
.LBB93_102:
	s_and_b64 vcc, exec, s[0:1]
	s_cbranch_vccnz .LBB93_104
; %bb.103:
	v_lshl_add_u64 v[88:89], v[108:109], 2, v[46:47]
	flat_load_dword v88, v[88:89]
	s_waitcnt vmcnt(0) lgkmcnt(0)
	v_mul_f32_e32 v88, s33, v88
	s_branch .LBB93_105
.LBB93_104:
	v_mov_b32_e32 v88, 0
.LBB93_105:
	v_max_f32_e32 v89, v40, v40
	v_max_f32_e32 v90, v12, v12
	v_min_f32_e32 v90, v90, v89
	v_max_f32_e32 v89, v41, v41
	v_max_f32_e32 v91, v13, v13
	v_min_f32_e32 v91, v91, v89
	v_pk_add_f32 v[86:87], v[86:87], v[90:91]
	v_max_f32_e32 v89, v42, v42
	v_max_f32_e32 v90, v14, v14
	v_min_f32_e32 v90, v90, v89
	v_max_f32_e32 v89, v43, v43
	v_max_f32_e32 v91, v15, v15
	v_min_f32_e32 v91, v91, v89
	v_pk_add_f32 v[86:87], v[86:87], v[90:91]
	s_nop 0
	v_add_f32_e32 v86, v86, v87
	v_add_f32_e32 v88, v86, v88
	v_lshl_add_u64 v[86:87], v[108:109], 2, v[44:45]
	global_store_dword v[86:87], v88, off
	s_or_b64 exec, exec, s[26:27]
	s_and_b64 s[30:31], s[14:15], s[18:19]
	s_and_saveexec_b64 s[26:27], s[30:31]
	s_cbranch_execz .LBB93_81
.LBB93_106:
	s_and_b64 vcc, exec, s[0:1]
	s_cbranch_vccnz .LBB93_108
; %bb.107:
	v_lshl_add_u64 v[86:87], v[110:111], 2, v[46:47]
	flat_load_dword v86, v[86:87]
	s_waitcnt vmcnt(0) lgkmcnt(0)
	v_mul_f32_e32 v86, s33, v86
	s_branch .LBB93_109
.LBB93_108:
	v_mov_b32_e32 v86, 0
.LBB93_109:
	v_max_f32_e32 v87, v40, v40
	v_max_f32_e32 v88, v8, v8
	v_min_f32_e32 v88, v88, v87
	v_max_f32_e32 v87, v41, v41
	v_max_f32_e32 v89, v9, v9
	v_min_f32_e32 v89, v89, v87
	v_pk_add_f32 v[84:85], v[84:85], v[88:89]
	v_max_f32_e32 v87, v42, v42
	v_max_f32_e32 v88, v10, v10
	v_min_f32_e32 v88, v88, v87
	v_max_f32_e32 v87, v43, v43
	v_max_f32_e32 v89, v11, v11
	v_min_f32_e32 v89, v89, v87
	v_pk_add_f32 v[84:85], v[84:85], v[88:89]
	s_nop 0
	v_add_f32_e32 v84, v84, v85
	v_add_f32_e32 v86, v84, v86
	v_lshl_add_u64 v[84:85], v[110:111], 2, v[44:45]
	global_store_dword v[84:85], v86, off
	s_or_b64 exec, exec, s[26:27]
	s_and_b64 s[26:27], s[16:17], s[18:19]
	s_and_saveexec_b64 s[18:19], s[26:27]
	s_cbranch_execz .LBB93_114
.LBB93_110:
	s_and_b64 vcc, exec, s[0:1]
	s_cbranch_vccnz .LBB93_112
; %bb.111:
	v_lshl_add_u64 v[46:47], v[112:113], 2, v[46:47]
	flat_load_dword v46, v[46:47]
	s_waitcnt vmcnt(0) lgkmcnt(0)
	v_mul_f32_e32 v46, s33, v46
	s_branch .LBB93_113
.LBB93_112:
	v_mov_b32_e32 v46, 0
.LBB93_113:
	v_max_f32_e32 v41, v41, v41
	v_max_f32_e32 v47, v5, v5
	v_min_f32_e32 v41, v47, v41
	v_max_f32_e32 v40, v40, v40
	v_max_f32_e32 v47, v4, v4
	v_min_f32_e32 v40, v47, v40
	;; [unrolled: 3-line block ×3, first 2 shown]
	v_max_f32_e32 v42, v42, v42
	v_max_f32_e32 v47, v6, v6
	v_pk_add_f32 v[40:41], v[82:83], v[40:41]
	v_min_f32_e32 v42, v47, v42
	v_pk_add_f32 v[40:41], v[40:41], v[42:43]
	s_nop 0
	v_add_f32_e32 v40, v40, v41
	v_add_f32_e32 v42, v40, v46
	v_lshl_add_u64 v[40:41], v[112:113], 2, v[44:45]
	global_store_dword v[40:41], v42, off
.LBB93_114:
	s_or_b64 exec, exec, s[18:19]
	v_add_u32_e32 v44, 64, v124
	v_mad_i64_i32 v[40:41], s[26:27], v44, s29, 0
	v_cmp_gt_i32_e64 s[18:19], s21, v44
	v_lshl_add_u64 v[42:43], v[40:41], 2, s[24:25]
	v_mad_i64_i32 v[40:41], s[26:27], v44, s28, 0
	v_lshl_add_u64 v[40:41], v[40:41], 2, s[22:23]
	s_and_b64 s[30:31], s[2:3], s[18:19]
	s_and_saveexec_b64 s[26:27], s[30:31]
	s_cbranch_execnz .LBB93_122
; %bb.115:
	s_or_b64 exec, exec, s[26:27]
	s_and_b64 s[30:31], s[4:5], s[18:19]
	s_and_saveexec_b64 s[26:27], s[30:31]
	s_cbranch_execnz .LBB93_126
.LBB93_116:
	s_or_b64 exec, exec, s[26:27]
	s_and_b64 s[30:31], s[6:7], s[18:19]
	s_and_saveexec_b64 s[26:27], s[30:31]
	s_cbranch_execnz .LBB93_130
.LBB93_117:
	s_or_b64 exec, exec, s[26:27]
	s_and_b64 s[30:31], s[8:9], s[18:19]
	s_and_saveexec_b64 s[26:27], s[30:31]
	s_cbranch_execnz .LBB93_134
.LBB93_118:
	s_or_b64 exec, exec, s[26:27]
	s_and_b64 s[30:31], s[10:11], s[18:19]
	s_and_saveexec_b64 s[26:27], s[30:31]
	s_cbranch_execnz .LBB93_138
.LBB93_119:
	s_or_b64 exec, exec, s[26:27]
	s_and_b64 s[30:31], s[12:13], s[18:19]
	s_and_saveexec_b64 s[26:27], s[30:31]
	s_cbranch_execnz .LBB93_142
.LBB93_120:
	s_or_b64 exec, exec, s[26:27]
	s_and_b64 s[30:31], s[14:15], s[18:19]
	s_and_saveexec_b64 s[26:27], s[30:31]
	s_cbranch_execnz .LBB93_146
.LBB93_121:
	s_or_b64 exec, exec, s[26:27]
	s_and_b64 s[26:27], s[16:17], s[18:19]
	s_and_saveexec_b64 s[18:19], s[26:27]
	s_cbranch_execnz .LBB93_150
	s_branch .LBB93_154
.LBB93_122:
	s_and_b64 vcc, exec, s[0:1]
	s_cbranch_vccnz .LBB93_124
; %bb.123:
	v_lshl_add_u64 v[44:45], v[72:73], 2, v[42:43]
	flat_load_dword v44, v[44:45]
	s_waitcnt vmcnt(0) lgkmcnt(0)
	v_mul_f32_e32 v44, s33, v44
	s_branch .LBB93_125
.LBB93_124:
	v_mov_b32_e32 v44, 0
.LBB93_125:
	v_max_f32_e32 v45, v36, v36
	v_max_f32_e32 v46, v32, v32
	v_min_f32_e32 v46, v46, v45
	v_max_f32_e32 v45, v37, v37
	v_max_f32_e32 v47, v33, v33
	v_min_f32_e32 v47, v47, v45
	v_pk_add_f32 v[46:47], v[80:81], v[46:47]
	v_max_f32_e32 v45, v38, v38
	v_max_f32_e32 v80, v34, v34
	v_min_f32_e32 v80, v80, v45
	v_max_f32_e32 v45, v39, v39
	v_max_f32_e32 v81, v35, v35
	v_min_f32_e32 v81, v81, v45
	v_pk_add_f32 v[46:47], v[46:47], v[80:81]
	s_nop 0
	v_add_f32_e32 v45, v46, v47
	v_add_f32_e32 v46, v45, v44
	v_lshl_add_u64 v[44:45], v[72:73], 2, v[40:41]
	global_store_dword v[44:45], v46, off
	s_or_b64 exec, exec, s[26:27]
	s_and_b64 s[30:31], s[4:5], s[18:19]
	s_and_saveexec_b64 s[26:27], s[30:31]
	s_cbranch_execz .LBB93_116
.LBB93_126:
	s_and_b64 vcc, exec, s[0:1]
	s_cbranch_vccnz .LBB93_128
; %bb.127:
	v_lshl_add_u64 v[44:45], v[100:101], 2, v[42:43]
	flat_load_dword v44, v[44:45]
	s_waitcnt vmcnt(0) lgkmcnt(0)
	v_mul_f32_e32 v44, s33, v44
	s_branch .LBB93_129
.LBB93_128:
	v_mov_b32_e32 v44, 0
.LBB93_129:
	v_max_f32_e32 v45, v36, v36
	v_max_f32_e32 v46, v28, v28
	v_min_f32_e32 v46, v46, v45
	v_max_f32_e32 v45, v37, v37
	v_max_f32_e32 v47, v29, v29
	v_min_f32_e32 v47, v47, v45
	v_pk_add_f32 v[46:47], v[78:79], v[46:47]
	v_max_f32_e32 v45, v38, v38
	v_max_f32_e32 v78, v30, v30
	v_min_f32_e32 v78, v78, v45
	v_max_f32_e32 v45, v39, v39
	v_max_f32_e32 v79, v31, v31
	v_min_f32_e32 v79, v79, v45
	v_pk_add_f32 v[46:47], v[46:47], v[78:79]
	s_nop 0
	v_add_f32_e32 v45, v46, v47
	v_add_f32_e32 v46, v45, v44
	v_lshl_add_u64 v[44:45], v[100:101], 2, v[40:41]
	global_store_dword v[44:45], v46, off
	s_or_b64 exec, exec, s[26:27]
	s_and_b64 s[30:31], s[6:7], s[18:19]
	s_and_saveexec_b64 s[26:27], s[30:31]
	s_cbranch_execz .LBB93_117
.LBB93_130:
	s_and_b64 vcc, exec, s[0:1]
	s_cbranch_vccnz .LBB93_132
; %bb.131:
	v_lshl_add_u64 v[44:45], v[102:103], 2, v[42:43]
	flat_load_dword v44, v[44:45]
	s_waitcnt vmcnt(0) lgkmcnt(0)
	v_mul_f32_e32 v44, s33, v44
	s_branch .LBB93_133
.LBB93_132:
	v_mov_b32_e32 v44, 0
.LBB93_133:
	v_max_f32_e32 v45, v36, v36
	v_max_f32_e32 v46, v24, v24
	v_min_f32_e32 v46, v46, v45
	v_max_f32_e32 v45, v37, v37
	v_max_f32_e32 v47, v25, v25
	v_min_f32_e32 v47, v47, v45
	v_pk_add_f32 v[46:47], v[76:77], v[46:47]
	v_max_f32_e32 v45, v38, v38
	v_max_f32_e32 v76, v26, v26
	v_min_f32_e32 v76, v76, v45
	v_max_f32_e32 v45, v39, v39
	v_max_f32_e32 v77, v27, v27
	v_min_f32_e32 v77, v77, v45
	v_pk_add_f32 v[46:47], v[46:47], v[76:77]
	s_nop 0
	v_add_f32_e32 v45, v46, v47
	v_add_f32_e32 v46, v45, v44
	v_lshl_add_u64 v[44:45], v[102:103], 2, v[40:41]
	global_store_dword v[44:45], v46, off
	s_or_b64 exec, exec, s[26:27]
	s_and_b64 s[30:31], s[8:9], s[18:19]
	s_and_saveexec_b64 s[26:27], s[30:31]
	s_cbranch_execz .LBB93_118
.LBB93_134:
	s_and_b64 vcc, exec, s[0:1]
	s_cbranch_vccnz .LBB93_136
; %bb.135:
	v_lshl_add_u64 v[44:45], v[104:105], 2, v[42:43]
	flat_load_dword v44, v[44:45]
	s_waitcnt vmcnt(0) lgkmcnt(0)
	v_mul_f32_e32 v44, s33, v44
	s_branch .LBB93_137
.LBB93_136:
	v_mov_b32_e32 v44, 0
.LBB93_137:
	v_max_f32_e32 v45, v36, v36
	v_max_f32_e32 v46, v20, v20
	v_min_f32_e32 v46, v46, v45
	v_max_f32_e32 v45, v37, v37
	v_max_f32_e32 v47, v21, v21
	v_min_f32_e32 v47, v47, v45
	v_pk_add_f32 v[46:47], v[74:75], v[46:47]
	v_max_f32_e32 v45, v38, v38
	v_max_f32_e32 v74, v22, v22
	v_min_f32_e32 v74, v74, v45
	v_max_f32_e32 v45, v39, v39
	v_max_f32_e32 v75, v23, v23
	v_min_f32_e32 v75, v75, v45
	v_pk_add_f32 v[46:47], v[46:47], v[74:75]
	s_nop 0
	v_add_f32_e32 v45, v46, v47
	v_add_f32_e32 v46, v45, v44
	v_lshl_add_u64 v[44:45], v[104:105], 2, v[40:41]
	global_store_dword v[44:45], v46, off
	s_or_b64 exec, exec, s[26:27]
	s_and_b64 s[30:31], s[10:11], s[18:19]
	s_and_saveexec_b64 s[26:27], s[30:31]
	s_cbranch_execz .LBB93_119
.LBB93_138:
	s_and_b64 vcc, exec, s[0:1]
	s_cbranch_vccnz .LBB93_140
; %bb.139:
	v_lshl_add_u64 v[44:45], v[106:107], 2, v[42:43]
	flat_load_dword v44, v[44:45]
	s_waitcnt vmcnt(0) lgkmcnt(0)
	v_mul_f32_e32 v44, s33, v44
	s_branch .LBB93_141
.LBB93_140:
	v_mov_b32_e32 v44, 0
.LBB93_141:
	v_max_f32_e32 v45, v36, v36
	v_max_f32_e32 v46, v16, v16
	v_min_f32_e32 v46, v46, v45
	v_max_f32_e32 v45, v37, v37
	v_max_f32_e32 v47, v17, v17
	v_min_f32_e32 v47, v47, v45
	v_pk_add_f32 v[46:47], v[70:71], v[46:47]
	v_max_f32_e32 v45, v38, v38
	v_max_f32_e32 v70, v18, v18
	v_min_f32_e32 v70, v70, v45
	v_max_f32_e32 v45, v39, v39
	v_max_f32_e32 v71, v19, v19
	v_min_f32_e32 v71, v71, v45
	v_pk_add_f32 v[46:47], v[46:47], v[70:71]
	s_nop 0
	v_add_f32_e32 v45, v46, v47
	v_add_f32_e32 v46, v45, v44
	v_lshl_add_u64 v[44:45], v[106:107], 2, v[40:41]
	global_store_dword v[44:45], v46, off
	s_or_b64 exec, exec, s[26:27]
	s_and_b64 s[30:31], s[12:13], s[18:19]
	s_and_saveexec_b64 s[26:27], s[30:31]
	s_cbranch_execz .LBB93_120
.LBB93_142:
	s_and_b64 vcc, exec, s[0:1]
	s_cbranch_vccnz .LBB93_144
; %bb.143:
	v_lshl_add_u64 v[44:45], v[108:109], 2, v[42:43]
	flat_load_dword v44, v[44:45]
	s_waitcnt vmcnt(0) lgkmcnt(0)
	v_mul_f32_e32 v44, s33, v44
	s_branch .LBB93_145
.LBB93_144:
	v_mov_b32_e32 v44, 0
.LBB93_145:
	v_max_f32_e32 v45, v36, v36
	v_max_f32_e32 v46, v12, v12
	v_min_f32_e32 v46, v46, v45
	v_max_f32_e32 v45, v37, v37
	v_max_f32_e32 v47, v13, v13
	v_min_f32_e32 v47, v47, v45
	v_pk_add_f32 v[46:47], v[68:69], v[46:47]
	v_max_f32_e32 v45, v38, v38
	v_max_f32_e32 v68, v14, v14
	v_min_f32_e32 v68, v68, v45
	v_max_f32_e32 v45, v39, v39
	v_max_f32_e32 v69, v15, v15
	v_min_f32_e32 v69, v69, v45
	v_pk_add_f32 v[46:47], v[46:47], v[68:69]
	s_nop 0
	v_add_f32_e32 v45, v46, v47
	v_add_f32_e32 v46, v45, v44
	v_lshl_add_u64 v[44:45], v[108:109], 2, v[40:41]
	global_store_dword v[44:45], v46, off
	s_or_b64 exec, exec, s[26:27]
	s_and_b64 s[30:31], s[14:15], s[18:19]
	s_and_saveexec_b64 s[26:27], s[30:31]
	s_cbranch_execz .LBB93_121
.LBB93_146:
	s_and_b64 vcc, exec, s[0:1]
	s_cbranch_vccnz .LBB93_148
; %bb.147:
	v_lshl_add_u64 v[44:45], v[110:111], 2, v[42:43]
	flat_load_dword v44, v[44:45]
	s_waitcnt vmcnt(0) lgkmcnt(0)
	v_mul_f32_e32 v44, s33, v44
	s_branch .LBB93_149
.LBB93_148:
	v_mov_b32_e32 v44, 0
.LBB93_149:
	v_max_f32_e32 v45, v36, v36
	v_max_f32_e32 v46, v8, v8
	v_min_f32_e32 v46, v46, v45
	v_max_f32_e32 v45, v37, v37
	v_max_f32_e32 v47, v9, v9
	v_min_f32_e32 v47, v47, v45
	v_pk_add_f32 v[46:47], v[66:67], v[46:47]
	v_max_f32_e32 v45, v38, v38
	v_max_f32_e32 v66, v10, v10
	v_min_f32_e32 v66, v66, v45
	v_max_f32_e32 v45, v39, v39
	v_max_f32_e32 v67, v11, v11
	v_min_f32_e32 v67, v67, v45
	v_pk_add_f32 v[46:47], v[46:47], v[66:67]
	s_nop 0
	v_add_f32_e32 v45, v46, v47
	v_add_f32_e32 v46, v45, v44
	v_lshl_add_u64 v[44:45], v[110:111], 2, v[40:41]
	global_store_dword v[44:45], v46, off
	s_or_b64 exec, exec, s[26:27]
	s_and_b64 s[26:27], s[16:17], s[18:19]
	s_and_saveexec_b64 s[18:19], s[26:27]
	s_cbranch_execz .LBB93_154
.LBB93_150:
	s_and_b64 vcc, exec, s[0:1]
	s_cbranch_vccnz .LBB93_152
; %bb.151:
	v_lshl_add_u64 v[42:43], v[112:113], 2, v[42:43]
	flat_load_dword v42, v[42:43]
	s_waitcnt vmcnt(0) lgkmcnt(0)
	v_mul_f32_e32 v42, s33, v42
	s_branch .LBB93_153
.LBB93_152:
	v_mov_b32_e32 v42, 0
.LBB93_153:
	v_max_f32_e32 v37, v37, v37
	v_max_f32_e32 v43, v5, v5
	v_min_f32_e32 v37, v43, v37
	v_max_f32_e32 v36, v36, v36
	v_max_f32_e32 v43, v4, v4
	v_min_f32_e32 v36, v43, v36
	;; [unrolled: 3-line block ×3, first 2 shown]
	v_max_f32_e32 v38, v38, v38
	v_max_f32_e32 v43, v6, v6
	v_pk_add_f32 v[36:37], v[64:65], v[36:37]
	v_min_f32_e32 v38, v43, v38
	v_pk_add_f32 v[36:37], v[36:37], v[38:39]
	s_nop 0
	v_add_f32_e32 v36, v36, v37
	v_add_f32_e32 v38, v36, v42
	v_lshl_add_u64 v[36:37], v[112:113], 2, v[40:41]
	global_store_dword v[36:37], v38, off
.LBB93_154:
	s_or_b64 exec, exec, s[18:19]
	v_add_u32_e32 v40, 0x60, v124
	v_cmp_gt_i32_e64 s[18:19], s21, v40
	v_mad_i64_i32 v[36:37], s[20:21], v40, s29, 0
	v_lshl_add_u64 v[38:39], v[36:37], 2, s[24:25]
	v_mad_i64_i32 v[36:37], s[20:21], v40, s28, 0
	v_lshl_add_u64 v[36:37], v[36:37], 2, s[22:23]
	s_and_b64 s[20:21], s[2:3], s[18:19]
	s_and_saveexec_b64 s[2:3], s[20:21]
	s_cbranch_execnz .LBB93_163
; %bb.155:
	s_or_b64 exec, exec, s[2:3]
	s_and_b64 s[4:5], s[4:5], s[18:19]
	s_and_saveexec_b64 s[2:3], s[4:5]
	s_cbranch_execnz .LBB93_167
.LBB93_156:
	s_or_b64 exec, exec, s[2:3]
	s_and_b64 s[4:5], s[6:7], s[18:19]
	s_and_saveexec_b64 s[2:3], s[4:5]
	s_cbranch_execnz .LBB93_171
.LBB93_157:
	s_or_b64 exec, exec, s[2:3]
	s_and_b64 s[4:5], s[8:9], s[18:19]
	s_and_saveexec_b64 s[2:3], s[4:5]
	s_cbranch_execnz .LBB93_175
.LBB93_158:
	s_or_b64 exec, exec, s[2:3]
	s_and_b64 s[4:5], s[10:11], s[18:19]
	s_and_saveexec_b64 s[2:3], s[4:5]
	s_cbranch_execnz .LBB93_179
.LBB93_159:
	s_or_b64 exec, exec, s[2:3]
	s_and_b64 s[4:5], s[12:13], s[18:19]
	s_and_saveexec_b64 s[2:3], s[4:5]
	s_cbranch_execnz .LBB93_183
.LBB93_160:
	s_or_b64 exec, exec, s[2:3]
	s_and_b64 s[4:5], s[14:15], s[18:19]
	s_and_saveexec_b64 s[2:3], s[4:5]
	s_cbranch_execnz .LBB93_187
.LBB93_161:
	s_or_b64 exec, exec, s[2:3]
	s_and_b64 s[2:3], s[16:17], s[18:19]
	s_and_saveexec_b64 s[4:5], s[2:3]
	s_cbranch_execnz .LBB93_191
.LBB93_162:
	s_endpgm
.LBB93_163:
	s_and_b64 vcc, exec, s[0:1]
	s_cbranch_vccnz .LBB93_165
; %bb.164:
	v_lshl_add_u64 v[40:41], v[72:73], 2, v[38:39]
	flat_load_dword v40, v[40:41]
	s_waitcnt vmcnt(0) lgkmcnt(0)
	v_mul_f32_e32 v40, s33, v40
	s_branch .LBB93_166
.LBB93_165:
	v_mov_b32_e32 v40, 0
.LBB93_166:
	v_max_f32_e32 v41, v1, v1
	v_max_f32_e32 v33, v33, v33
	v_min_f32_e32 v33, v33, v41
	v_max_f32_e32 v41, v0, v0
	v_max_f32_e32 v32, v32, v32
	v_min_f32_e32 v32, v32, v41
	;; [unrolled: 3-line block ×3, first 2 shown]
	v_max_f32_e32 v41, v2, v2
	v_max_f32_e32 v34, v34, v34
	v_pk_add_f32 v[32:33], v[62:63], v[32:33]
	v_min_f32_e32 v34, v34, v41
	v_pk_add_f32 v[32:33], v[32:33], v[34:35]
	s_nop 0
	v_add_f32_e32 v32, v32, v33
	v_add_f32_e32 v34, v32, v40
	v_lshl_add_u64 v[32:33], v[72:73], 2, v[36:37]
	global_store_dword v[32:33], v34, off
	s_or_b64 exec, exec, s[2:3]
	s_and_b64 s[4:5], s[4:5], s[18:19]
	s_and_saveexec_b64 s[2:3], s[4:5]
	s_cbranch_execz .LBB93_156
.LBB93_167:
	s_and_b64 vcc, exec, s[0:1]
	s_cbranch_vccnz .LBB93_169
; %bb.168:
	v_lshl_add_u64 v[32:33], v[100:101], 2, v[38:39]
	flat_load_dword v32, v[32:33]
	s_waitcnt vmcnt(0) lgkmcnt(0)
	v_mul_f32_e32 v32, s33, v32
	s_branch .LBB93_170
.LBB93_169:
	v_mov_b32_e32 v32, 0
.LBB93_170:
	v_max_f32_e32 v33, v1, v1
	v_max_f32_e32 v29, v29, v29
	v_min_f32_e32 v29, v29, v33
	v_max_f32_e32 v33, v0, v0
	v_max_f32_e32 v28, v28, v28
	v_min_f32_e32 v28, v28, v33
	;; [unrolled: 3-line block ×3, first 2 shown]
	v_max_f32_e32 v33, v2, v2
	v_max_f32_e32 v30, v30, v30
	v_pk_add_f32 v[28:29], v[60:61], v[28:29]
	v_min_f32_e32 v30, v30, v33
	v_pk_add_f32 v[28:29], v[28:29], v[30:31]
	s_nop 0
	v_add_f32_e32 v28, v28, v29
	v_add_f32_e32 v30, v28, v32
	v_lshl_add_u64 v[28:29], v[100:101], 2, v[36:37]
	global_store_dword v[28:29], v30, off
	s_or_b64 exec, exec, s[2:3]
	s_and_b64 s[4:5], s[6:7], s[18:19]
	s_and_saveexec_b64 s[2:3], s[4:5]
	s_cbranch_execz .LBB93_157
.LBB93_171:
	s_and_b64 vcc, exec, s[0:1]
	s_cbranch_vccnz .LBB93_173
; %bb.172:
	v_lshl_add_u64 v[28:29], v[102:103], 2, v[38:39]
	flat_load_dword v28, v[28:29]
	s_waitcnt vmcnt(0) lgkmcnt(0)
	v_mul_f32_e32 v28, s33, v28
	s_branch .LBB93_174
.LBB93_173:
	v_mov_b32_e32 v28, 0
.LBB93_174:
	v_max_f32_e32 v29, v1, v1
	v_max_f32_e32 v25, v25, v25
	v_min_f32_e32 v25, v25, v29
	v_max_f32_e32 v29, v0, v0
	v_max_f32_e32 v24, v24, v24
	v_min_f32_e32 v24, v24, v29
	;; [unrolled: 3-line block ×3, first 2 shown]
	v_max_f32_e32 v29, v2, v2
	v_max_f32_e32 v26, v26, v26
	v_pk_add_f32 v[24:25], v[58:59], v[24:25]
	v_min_f32_e32 v26, v26, v29
	v_pk_add_f32 v[24:25], v[24:25], v[26:27]
	s_nop 0
	v_add_f32_e32 v24, v24, v25
	v_add_f32_e32 v26, v24, v28
	v_lshl_add_u64 v[24:25], v[102:103], 2, v[36:37]
	global_store_dword v[24:25], v26, off
	s_or_b64 exec, exec, s[2:3]
	s_and_b64 s[4:5], s[8:9], s[18:19]
	s_and_saveexec_b64 s[2:3], s[4:5]
	s_cbranch_execz .LBB93_158
.LBB93_175:
	s_and_b64 vcc, exec, s[0:1]
	s_cbranch_vccnz .LBB93_177
; %bb.176:
	v_lshl_add_u64 v[24:25], v[104:105], 2, v[38:39]
	flat_load_dword v24, v[24:25]
	s_waitcnt vmcnt(0) lgkmcnt(0)
	v_mul_f32_e32 v24, s33, v24
	s_branch .LBB93_178
.LBB93_177:
	v_mov_b32_e32 v24, 0
.LBB93_178:
	v_max_f32_e32 v25, v1, v1
	v_max_f32_e32 v21, v21, v21
	v_min_f32_e32 v21, v21, v25
	v_max_f32_e32 v25, v0, v0
	v_max_f32_e32 v20, v20, v20
	v_min_f32_e32 v20, v20, v25
	;; [unrolled: 3-line block ×3, first 2 shown]
	v_max_f32_e32 v25, v2, v2
	v_max_f32_e32 v22, v22, v22
	v_pk_add_f32 v[20:21], v[56:57], v[20:21]
	v_min_f32_e32 v22, v22, v25
	v_pk_add_f32 v[20:21], v[20:21], v[22:23]
	s_nop 0
	v_add_f32_e32 v20, v20, v21
	v_add_f32_e32 v22, v20, v24
	v_lshl_add_u64 v[20:21], v[104:105], 2, v[36:37]
	global_store_dword v[20:21], v22, off
	s_or_b64 exec, exec, s[2:3]
	s_and_b64 s[4:5], s[10:11], s[18:19]
	s_and_saveexec_b64 s[2:3], s[4:5]
	s_cbranch_execz .LBB93_159
.LBB93_179:
	s_and_b64 vcc, exec, s[0:1]
	s_cbranch_vccnz .LBB93_181
; %bb.180:
	v_lshl_add_u64 v[20:21], v[106:107], 2, v[38:39]
	flat_load_dword v20, v[20:21]
	s_waitcnt vmcnt(0) lgkmcnt(0)
	v_mul_f32_e32 v20, s33, v20
	s_branch .LBB93_182
.LBB93_181:
	v_mov_b32_e32 v20, 0
.LBB93_182:
	v_max_f32_e32 v21, v1, v1
	v_max_f32_e32 v17, v17, v17
	v_min_f32_e32 v17, v17, v21
	v_max_f32_e32 v21, v0, v0
	v_max_f32_e32 v16, v16, v16
	v_min_f32_e32 v16, v16, v21
	;; [unrolled: 3-line block ×3, first 2 shown]
	v_max_f32_e32 v21, v2, v2
	v_max_f32_e32 v18, v18, v18
	v_pk_add_f32 v[16:17], v[54:55], v[16:17]
	v_min_f32_e32 v18, v18, v21
	v_pk_add_f32 v[16:17], v[16:17], v[18:19]
	s_nop 0
	v_add_f32_e32 v16, v16, v17
	v_add_f32_e32 v18, v16, v20
	v_lshl_add_u64 v[16:17], v[106:107], 2, v[36:37]
	global_store_dword v[16:17], v18, off
	s_or_b64 exec, exec, s[2:3]
	s_and_b64 s[4:5], s[12:13], s[18:19]
	s_and_saveexec_b64 s[2:3], s[4:5]
	s_cbranch_execz .LBB93_160
.LBB93_183:
	s_and_b64 vcc, exec, s[0:1]
	s_cbranch_vccnz .LBB93_185
; %bb.184:
	v_lshl_add_u64 v[16:17], v[108:109], 2, v[38:39]
	flat_load_dword v16, v[16:17]
	s_waitcnt vmcnt(0) lgkmcnt(0)
	v_mul_f32_e32 v16, s33, v16
	s_branch .LBB93_186
.LBB93_185:
	v_mov_b32_e32 v16, 0
.LBB93_186:
	v_max_f32_e32 v17, v1, v1
	v_max_f32_e32 v13, v13, v13
	v_min_f32_e32 v13, v13, v17
	v_max_f32_e32 v17, v0, v0
	v_max_f32_e32 v12, v12, v12
	v_min_f32_e32 v12, v12, v17
	;; [unrolled: 3-line block ×3, first 2 shown]
	v_max_f32_e32 v17, v2, v2
	v_max_f32_e32 v14, v14, v14
	v_pk_add_f32 v[12:13], v[52:53], v[12:13]
	v_min_f32_e32 v14, v14, v17
	v_pk_add_f32 v[12:13], v[12:13], v[14:15]
	s_nop 0
	v_add_f32_e32 v12, v12, v13
	v_add_f32_e32 v14, v12, v16
	v_lshl_add_u64 v[12:13], v[108:109], 2, v[36:37]
	global_store_dword v[12:13], v14, off
	s_or_b64 exec, exec, s[2:3]
	s_and_b64 s[4:5], s[14:15], s[18:19]
	s_and_saveexec_b64 s[2:3], s[4:5]
	s_cbranch_execz .LBB93_161
.LBB93_187:
	s_and_b64 vcc, exec, s[0:1]
	s_cbranch_vccnz .LBB93_189
; %bb.188:
	v_lshl_add_u64 v[12:13], v[110:111], 2, v[38:39]
	flat_load_dword v12, v[12:13]
	s_waitcnt vmcnt(0) lgkmcnt(0)
	v_mul_f32_e32 v12, s33, v12
	s_branch .LBB93_190
.LBB93_189:
	v_mov_b32_e32 v12, 0
.LBB93_190:
	v_max_f32_e32 v13, v1, v1
	v_max_f32_e32 v9, v9, v9
	v_min_f32_e32 v9, v9, v13
	v_max_f32_e32 v13, v0, v0
	v_max_f32_e32 v8, v8, v8
	v_min_f32_e32 v8, v8, v13
	;; [unrolled: 3-line block ×3, first 2 shown]
	v_max_f32_e32 v13, v2, v2
	v_max_f32_e32 v10, v10, v10
	v_pk_add_f32 v[8:9], v[50:51], v[8:9]
	v_min_f32_e32 v10, v10, v13
	v_pk_add_f32 v[8:9], v[8:9], v[10:11]
	s_nop 0
	v_add_f32_e32 v8, v8, v9
	v_add_f32_e32 v10, v8, v12
	v_lshl_add_u64 v[8:9], v[110:111], 2, v[36:37]
	global_store_dword v[8:9], v10, off
	s_or_b64 exec, exec, s[2:3]
	s_and_b64 s[2:3], s[16:17], s[18:19]
	s_and_saveexec_b64 s[4:5], s[2:3]
	s_cbranch_execz .LBB93_162
.LBB93_191:
	s_and_b64 vcc, exec, s[0:1]
	s_cbranch_vccnz .LBB93_193
; %bb.192:
	v_lshl_add_u64 v[8:9], v[112:113], 2, v[38:39]
	flat_load_dword v8, v[8:9]
	s_waitcnt vmcnt(0) lgkmcnt(0)
	v_mul_f32_e32 v8, s33, v8
	s_branch .LBB93_194
.LBB93_193:
	v_mov_b32_e32 v8, 0
.LBB93_194:
	v_max_f32_e32 v0, v0, v0
	v_max_f32_e32 v4, v4, v4
	;; [unrolled: 1-line block ×4, first 2 shown]
	v_min_f32_e32 v0, v4, v0
	v_max_f32_e32 v3, v3, v3
	v_max_f32_e32 v4, v7, v7
	v_min_f32_e32 v1, v5, v1
	v_min_f32_e32 v3, v4, v3
	v_max_f32_e32 v2, v2, v2
	v_max_f32_e32 v4, v6, v6
	v_pk_add_f32 v[0:1], v[48:49], v[0:1]
	v_min_f32_e32 v2, v4, v2
	v_pk_add_f32 v[0:1], v[0:1], v[2:3]
	s_nop 0
	v_add_f32_e32 v0, v0, v1
	v_add_f32_e32 v2, v0, v8
	v_lshl_add_u64 v[0:1], v[112:113], 2, v[36:37]
	global_store_dword v[0:1], v2, off
	s_endpgm
	.section	.rodata,"a",@progbits
	.p2align	6, 0x0
	.amdhsa_kernel _ZN12_GLOBAL__N_120geam_min_plus_kernelIf15HIP_vector_typeIfLj2EES2_Li8ELi32ELi64ELi128ELi4ELi64ELi4ELi64ELi4ELc78ELc84ELb0ELb1ELb0EPKfS3_fEEviiiT16_PT17_ilS7_ilS5_S7_ilPT18_ili26rocblas_geam_ex_operation_
		.amdhsa_group_segment_fixed_size 6144
		.amdhsa_private_segment_fixed_size 0
		.amdhsa_kernarg_size 136
		.amdhsa_user_sgpr_count 2
		.amdhsa_user_sgpr_dispatch_ptr 0
		.amdhsa_user_sgpr_queue_ptr 0
		.amdhsa_user_sgpr_kernarg_segment_ptr 1
		.amdhsa_user_sgpr_dispatch_id 0
		.amdhsa_user_sgpr_kernarg_preload_length 0
		.amdhsa_user_sgpr_kernarg_preload_offset 0
		.amdhsa_user_sgpr_private_segment_size 0
		.amdhsa_uses_dynamic_stack 0
		.amdhsa_enable_private_segment 0
		.amdhsa_system_sgpr_workgroup_id_x 1
		.amdhsa_system_sgpr_workgroup_id_y 0
		.amdhsa_system_sgpr_workgroup_id_z 1
		.amdhsa_system_sgpr_workgroup_info 0
		.amdhsa_system_vgpr_workitem_id 1
		.amdhsa_next_free_vgpr 223
		.amdhsa_next_free_sgpr 40
		.amdhsa_accum_offset 224
		.amdhsa_reserve_vcc 1
		.amdhsa_float_round_mode_32 0
		.amdhsa_float_round_mode_16_64 0
		.amdhsa_float_denorm_mode_32 3
		.amdhsa_float_denorm_mode_16_64 3
		.amdhsa_dx10_clamp 1
		.amdhsa_ieee_mode 1
		.amdhsa_fp16_overflow 0
		.amdhsa_tg_split 0
		.amdhsa_exception_fp_ieee_invalid_op 0
		.amdhsa_exception_fp_denorm_src 0
		.amdhsa_exception_fp_ieee_div_zero 0
		.amdhsa_exception_fp_ieee_overflow 0
		.amdhsa_exception_fp_ieee_underflow 0
		.amdhsa_exception_fp_ieee_inexact 0
		.amdhsa_exception_int_div_zero 0
	.end_amdhsa_kernel
	.section	.text._ZN12_GLOBAL__N_120geam_min_plus_kernelIf15HIP_vector_typeIfLj2EES2_Li8ELi32ELi64ELi128ELi4ELi64ELi4ELi64ELi4ELc78ELc84ELb0ELb1ELb0EPKfS3_fEEviiiT16_PT17_ilS7_ilS5_S7_ilPT18_ili26rocblas_geam_ex_operation_,"axG",@progbits,_ZN12_GLOBAL__N_120geam_min_plus_kernelIf15HIP_vector_typeIfLj2EES2_Li8ELi32ELi64ELi128ELi4ELi64ELi4ELi64ELi4ELc78ELc84ELb0ELb1ELb0EPKfS3_fEEviiiT16_PT17_ilS7_ilS5_S7_ilPT18_ili26rocblas_geam_ex_operation_,comdat
.Lfunc_end93:
	.size	_ZN12_GLOBAL__N_120geam_min_plus_kernelIf15HIP_vector_typeIfLj2EES2_Li8ELi32ELi64ELi128ELi4ELi64ELi4ELi64ELi4ELc78ELc84ELb0ELb1ELb0EPKfS3_fEEviiiT16_PT17_ilS7_ilS5_S7_ilPT18_ili26rocblas_geam_ex_operation_, .Lfunc_end93-_ZN12_GLOBAL__N_120geam_min_plus_kernelIf15HIP_vector_typeIfLj2EES2_Li8ELi32ELi64ELi128ELi4ELi64ELi4ELi64ELi4ELc78ELc84ELb0ELb1ELb0EPKfS3_fEEviiiT16_PT17_ilS7_ilS5_S7_ilPT18_ili26rocblas_geam_ex_operation_
                                        ; -- End function
	.section	.AMDGPU.csdata,"",@progbits
; Kernel info:
; codeLenInByte = 11152
; NumSgprs: 46
; NumVgprs: 223
; NumAgprs: 0
; TotalNumVgprs: 223
; ScratchSize: 0
; MemoryBound: 0
; FloatMode: 240
; IeeeMode: 1
; LDSByteSize: 6144 bytes/workgroup (compile time only)
; SGPRBlocks: 5
; VGPRBlocks: 27
; NumSGPRsForWavesPerEU: 46
; NumVGPRsForWavesPerEU: 223
; AccumOffset: 224
; Occupancy: 2
; WaveLimiterHint : 0
; COMPUTE_PGM_RSRC2:SCRATCH_EN: 0
; COMPUTE_PGM_RSRC2:USER_SGPR: 2
; COMPUTE_PGM_RSRC2:TRAP_HANDLER: 0
; COMPUTE_PGM_RSRC2:TGID_X_EN: 1
; COMPUTE_PGM_RSRC2:TGID_Y_EN: 0
; COMPUTE_PGM_RSRC2:TGID_Z_EN: 1
; COMPUTE_PGM_RSRC2:TIDIG_COMP_CNT: 1
; COMPUTE_PGM_RSRC3_GFX90A:ACCUM_OFFSET: 55
; COMPUTE_PGM_RSRC3_GFX90A:TG_SPLIT: 0
	.section	.text._ZN12_GLOBAL__N_120geam_min_plus_kernelIf15HIP_vector_typeIfLj2EES2_Li8ELi32ELi64ELi128ELi4ELi64ELi4ELi64ELi4ELc78ELc84ELb1ELb1ELb0EfKffEEviiiT16_PT17_ilS6_ilS4_S6_ilPT18_ili26rocblas_geam_ex_operation_,"axG",@progbits,_ZN12_GLOBAL__N_120geam_min_plus_kernelIf15HIP_vector_typeIfLj2EES2_Li8ELi32ELi64ELi128ELi4ELi64ELi4ELi64ELi4ELc78ELc84ELb1ELb1ELb0EfKffEEviiiT16_PT17_ilS6_ilS4_S6_ilPT18_ili26rocblas_geam_ex_operation_,comdat
	.globl	_ZN12_GLOBAL__N_120geam_min_plus_kernelIf15HIP_vector_typeIfLj2EES2_Li8ELi32ELi64ELi128ELi4ELi64ELi4ELi64ELi4ELc78ELc84ELb1ELb1ELb0EfKffEEviiiT16_PT17_ilS6_ilS4_S6_ilPT18_ili26rocblas_geam_ex_operation_ ; -- Begin function _ZN12_GLOBAL__N_120geam_min_plus_kernelIf15HIP_vector_typeIfLj2EES2_Li8ELi32ELi64ELi128ELi4ELi64ELi4ELi64ELi4ELc78ELc84ELb1ELb1ELb0EfKffEEviiiT16_PT17_ilS6_ilS4_S6_ilPT18_ili26rocblas_geam_ex_operation_
	.p2align	8
	.type	_ZN12_GLOBAL__N_120geam_min_plus_kernelIf15HIP_vector_typeIfLj2EES2_Li8ELi32ELi64ELi128ELi4ELi64ELi4ELi64ELi4ELc78ELc84ELb1ELb1ELb0EfKffEEviiiT16_PT17_ilS6_ilS4_S6_ilPT18_ili26rocblas_geam_ex_operation_,@function
_ZN12_GLOBAL__N_120geam_min_plus_kernelIf15HIP_vector_typeIfLj2EES2_Li8ELi32ELi64ELi128ELi4ELi64ELi4ELi64ELi4ELc78ELc84ELb1ELb1ELb0EfKffEEviiiT16_PT17_ilS6_ilS4_S6_ilPT18_ili26rocblas_geam_ex_operation_: ; @_ZN12_GLOBAL__N_120geam_min_plus_kernelIf15HIP_vector_typeIfLj2EES2_Li8ELi32ELi64ELi128ELi4ELi64ELi4ELi64ELi4ELc78ELc84ELb1ELb1ELb0EfKffEEviiiT16_PT17_ilS6_ilS4_S6_ilPT18_ili26rocblas_geam_ex_operation_
; %bb.0:
	s_load_dwordx4 s[20:23], s[0:1], 0x0
	s_load_dwordx4 s[4:7], s[0:1], 0x20
	s_waitcnt lgkmcnt(0)
	v_cmp_eq_f32_e64 s[8:9], s23, 0
	s_and_b64 vcc, exec, s[8:9]
	s_cbranch_vccnz .LBB94_3
; %bb.1:
	s_load_dwordx2 s[10:11], s[0:1], 0x10
	s_mul_i32 s5, s3, s5
	s_mul_hi_u32 s12, s3, s4
	s_add_i32 s5, s12, s5
	s_mul_i32 s4, s3, s4
	s_lshl_b64 s[4:5], s[4:5], 2
	s_waitcnt lgkmcnt(0)
	s_add_u32 s16, s10, s4
	s_addc_u32 s17, s11, s5
	s_andn2_b64 vcc, exec, s[8:9]
	s_cbranch_vccnz .LBB94_4
.LBB94_2:
	s_mov_b32 s13, 0
	s_mov_b64 s[18:19], 0
	s_cbranch_execz .LBB94_5
	s_branch .LBB94_6
.LBB94_3:
	s_mov_b64 s[16:17], 0
	s_andn2_b64 vcc, exec, s[8:9]
	s_cbranch_vccz .LBB94_2
.LBB94_4:
                                        ; implicit-def: $sgpr18_sgpr19
                                        ; implicit-def: $sgpr12_sgpr13
.LBB94_5:
	s_load_dwordx2 s[4:5], s[0:1], 0x38
	s_mov_b32 s13, 0
	s_waitcnt lgkmcnt(0)
	s_mul_i32 s5, s3, s5
	s_mul_hi_u32 s8, s3, s4
	s_add_i32 s5, s8, s5
	s_mul_i32 s4, s3, s4
	s_lshl_b64 s[4:5], s[4:5], 2
	s_add_u32 s18, s6, s4
	s_addc_u32 s19, s7, s5
.LBB94_6:
	s_load_dword s33, s[0:1], 0x40
	s_load_dwordx4 s[8:11], s[0:1], 0x58
	s_waitcnt lgkmcnt(0)
	v_cmp_eq_f32_e64 s[4:5], s33, 0
	v_cmp_neq_f32_e64 s[14:15], s33, 0
	s_and_b64 vcc, exec, s[4:5]
	s_cbranch_vccnz .LBB94_8
; %bb.7:
	s_load_dwordx2 s[4:5], s[0:1], 0x48
	s_mul_i32 s6, s3, s9
	s_mul_hi_u32 s7, s3, s8
	s_add_i32 s6, s7, s6
	s_mul_i32 s7, s13, s8
	s_add_i32 s7, s6, s7
	s_mul_i32 s6, s3, s8
	s_lshl_b64 s[6:7], s[6:7], 2
	s_waitcnt lgkmcnt(0)
	s_add_u32 s24, s4, s6
	s_addc_u32 s25, s5, s7
	s_branch .LBB94_9
.LBB94_8:
	s_mov_b64 s[24:25], 0
.LBB94_9:
	s_add_i32 s4, s20, -1
	s_ashr_i32 s5, s4, 31
	s_lshr_b32 s5, s5, 26
	s_add_i32 s4, s4, s5
	s_ashr_i32 s4, s4, 6
	s_add_i32 s5, s4, 1
	v_cvt_f32_u32_e32 v1, s5
	s_not_b32 s4, s4
	s_load_dword s26, s[0:1], 0x18
	v_and_b32_e32 v206, 0x3ff, v0
	v_rcp_iflag_f32_e32 v1, v1
	v_bfe_u32 v207, v0, 10, 10
	v_lshl_add_u32 v0, v207, 3, v206
	s_waitcnt lgkmcnt(0)
	s_ashr_i32 s27, s26, 31
	v_mul_f32_e32 v1, 0x4f7ffffe, v1
	v_cvt_u32_f32_e32 v1, v1
	v_and_b32_e32 v9, 63, v0
	v_lshrrev_b32_e32 v208, 6, v0
	v_mov_b32_e32 v10, 0
	v_readfirstlane_b32 s6, v1
	s_mul_i32 s4, s4, s6
	s_mul_hi_u32 s4, s6, s4
	s_add_i32 s6, s6, s4
	s_mul_hi_u32 s4, s2, s6
	s_mul_i32 s6, s4, s5
	s_sub_i32 s6, s2, s6
	s_add_i32 s7, s4, 1
	s_sub_i32 s8, s6, s5
	s_cmp_ge_u32 s6, s5
	s_cselect_b32 s4, s7, s4
	s_cselect_b32 s6, s8, s6
	s_add_i32 s7, s4, 1
	s_cmp_ge_u32 s6, s5
	s_cselect_b32 s8, s7, s4
	s_mul_i32 s4, s8, s5
	s_sub_i32 s2, s2, s4
	s_lshl_b32 s2, s2, 6
	v_or_b32_e32 v0, s2, v9
	v_cmp_le_i32_e32 vcc, s20, v0
	v_cmp_le_i32_e64 s[6:7], s22, v208
	s_or_b64 s[4:5], s[6:7], vcc
	s_xor_b64 s[28:29], s[4:5], -1
	v_ashrrev_i32_e32 v1, 31, v0
	v_mov_b32_e32 v11, 0
	s_and_saveexec_b64 s[4:5], s[28:29]
	s_cbranch_execz .LBB94_11
; %bb.10:
	v_mad_i64_i32 v[2:3], s[28:29], s26, v208, 0
	v_lshl_add_u64 v[2:3], v[2:3], 2, s[16:17]
	v_lshl_add_u64 v[2:3], v[0:1], 2, v[2:3]
	flat_load_dword v11, v[2:3]
.LBB94_11:
	s_or_b64 exec, exec, s[4:5]
	s_load_dword s28, s[0:1], 0x30
	s_lshl_b32 s12, s8, 7
	v_or_b32_e32 v2, s12, v9
	v_cmp_le_i32_e64 s[8:9], s21, v2
	v_ashrrev_i32_e32 v3, 31, v2
	s_waitcnt lgkmcnt(0)
	v_mad_i64_i32 v[4:5], s[4:5], v208, s28, 0
	s_or_b64 s[4:5], s[6:7], s[8:9]
	s_ashr_i32 s29, s28, 31
	v_lshl_add_u64 v[4:5], v[4:5], 2, s[18:19]
	s_xor_b64 s[30:31], s[4:5], -1
	s_and_saveexec_b64 s[4:5], s[30:31]
	s_cbranch_execz .LBB94_13
; %bb.12:
	v_lshl_add_u64 v[6:7], v[2:3], 2, v[4:5]
	flat_load_dword v10, v[6:7]
.LBB94_13:
	s_or_b64 exec, exec, s[4:5]
	v_or_b32_e32 v6, 64, v2
	v_cmp_le_i32_e64 s[4:5], s21, v6
	s_or_b64 s[6:7], s[6:7], s[4:5]
	s_xor_b64 s[30:31], s[6:7], -1
	v_mov_b32_e32 v6, 0
	v_mov_b32_e32 v12, 0
	s_and_saveexec_b64 s[6:7], s[30:31]
	s_cbranch_execz .LBB94_15
; %bb.14:
	v_lshl_add_u64 v[4:5], v[2:3], 2, v[4:5]
	flat_load_dword v12, v[4:5] offset:256
.LBB94_15:
	s_or_b64 exec, exec, s[6:7]
	v_add_u32_e32 v4, 4, v208
	v_cmp_le_i32_e64 s[6:7], s22, v4
	s_or_b64 s[30:31], vcc, s[6:7]
	s_xor_b64 s[34:35], s[30:31], -1
	s_and_saveexec_b64 s[30:31], s[34:35]
	s_cbranch_execz .LBB94_17
; %bb.16:
	v_mad_i64_i32 v[6:7], s[34:35], s26, v4, 0
	v_lshl_add_u64 v[6:7], v[6:7], 2, s[16:17]
	v_lshl_add_u64 v[6:7], v[0:1], 2, v[6:7]
	flat_load_dword v6, v[6:7]
.LBB94_17:
	s_or_b64 exec, exec, s[30:31]
	v_mad_i64_i32 v[4:5], s[30:31], v4, s28, 0
	s_or_b64 s[30:31], s[8:9], s[6:7]
	v_lshl_add_u64 v[4:5], v[4:5], 2, s[18:19]
	s_xor_b64 s[34:35], s[30:31], -1
	v_mov_b32_e32 v7, 0
	v_mov_b32_e32 v8, 0
	s_and_saveexec_b64 s[30:31], s[34:35]
	s_cbranch_execz .LBB94_19
; %bb.18:
	v_lshl_add_u64 v[14:15], v[2:3], 2, v[4:5]
	flat_load_dword v8, v[14:15]
.LBB94_19:
	s_or_b64 exec, exec, s[30:31]
	s_or_b64 s[6:7], s[4:5], s[6:7]
	s_xor_b64 s[30:31], s[6:7], -1
	s_and_saveexec_b64 s[6:7], s[30:31]
	s_cbranch_execz .LBB94_21
; %bb.20:
	v_lshl_add_u64 v[4:5], v[2:3], 2, v[4:5]
	flat_load_dword v7, v[4:5] offset:256
.LBB94_21:
	s_or_b64 exec, exec, s[6:7]
	v_lshlrev_b32_e32 v4, 2, v208
	v_lshl_add_u32 v211, v9, 4, v4
	v_lshlrev_b32_e32 v210, 4, v207
	s_waitcnt vmcnt(0)
	ds_write_b32 v211, v11 offset:4096
	s_waitcnt lgkmcnt(0)
	ds_write2st64_b32 v211, v10, v12 offset1:4
	s_waitcnt lgkmcnt(0)
	s_barrier
	ds_read_b128 v[10:13], v210
	v_lshlrev_b32_e32 v209, 4, v206
	ds_read_b128 v[14:17], v209 offset:4992
	ds_read_b128 v[18:21], v210 offset:512
	;; [unrolled: 1-line block ×5, first 2 shown]
	s_waitcnt lgkmcnt(5)
	v_max_f32_e32 v9, v11, v11
	v_max_f32_e32 v56, v10, v10
	ds_read_b128 v[34:37], v209 offset:4096
	ds_read_b128 v[38:41], v209 offset:4224
	v_max_f32_e32 v106, v13, v13
	v_max_f32_e32 v108, v12, v12
	ds_read_b128 v[10:13], v209 offset:4352
	s_waitcnt lgkmcnt(7)
	v_max_f32_e32 v60, v15, v15
	v_max_f32_e32 v61, v14, v14
	s_waitcnt lgkmcnt(6)
	v_max_f32_e32 v58, v19, v19
	v_max_f32_e32 v59, v18, v18
	;; [unrolled: 3-line block ×4, first 2 shown]
	v_max_f32_e32 v107, v17, v17
	v_max_f32_e32 v109, v16, v16
	ds_read_b128 v[14:17], v209 offset:4480
	v_max_f32_e32 v124, v21, v21
	v_max_f32_e32 v125, v20, v20
	s_waitcnt lgkmcnt(1)
	v_max_f32_e32 v34, v10, v10
	v_max_f32_e32 v35, v11, v11
	;; [unrolled: 1-line block ×3, first 2 shown]
	ds_read_b128 v[18:21], v209 offset:4608
	v_max_f32_e32 v73, v13, v13
	ds_read_b128 v[10:13], v209 offset:4736
	v_max_f32_e32 v64, v27, v27
	v_max_f32_e32 v65, v26, v26
	;; [unrolled: 1-line block ×4, first 2 shown]
	s_waitcnt lgkmcnt(0)
	v_max_f32_e32 v54, v10, v10
	v_max_f32_e32 v55, v11, v11
	;; [unrolled: 1-line block ×8, first 2 shown]
	v_min_f32_e32 v48, v54, v56
	v_min_f32_e32 v49, v55, v9
	;; [unrolled: 1-line block ×10, first 2 shown]
	v_max_f32_e32 v127, v32, v32
	v_max_f32_e32 v128, v29, v29
	;; [unrolled: 1-line block ×12, first 2 shown]
	v_min_f32_e32 v4, v30, v56
	v_min_f32_e32 v5, v31, v9
	;; [unrolled: 1-line block ×39, first 2 shown]
	v_pk_add_f32 v[54:55], v[54:55], 0 op_sel_hi:[1,0]
	v_min_f32_e32 v61, v107, v106
	v_min_f32_e32 v60, v109, v108
	v_max_f32_e32 v126, v33, v33
	v_pk_add_f32 v[96:97], v[54:55], v[60:61]
	v_pk_add_f32 v[54:55], v[56:57], 0 op_sel_hi:[1,0]
	v_min_f32_e32 v57, v107, v124
	v_min_f32_e32 v56, v109, v125
	v_max_f32_e32 v68, v36, v36
	v_max_f32_e32 v69, v37, v37
	v_pk_add_f32 v[80:81], v[54:55], v[56:57]
	v_pk_add_f32 v[54:55], v[58:59], 0 op_sel_hi:[1,0]
	v_min_f32_e32 v57, v107, v126
	v_min_f32_e32 v56, v109, v127
	v_max_f32_e32 v71, v41, v41
	v_min_f32_e32 v33, v39, v9
	v_min_f32_e32 v36, v38, v63
	;; [unrolled: 1-line block ×12, first 2 shown]
	v_pk_add_f32 v[64:65], v[54:55], v[56:57]
	v_pk_add_f32 v[4:5], v[4:5], 0 op_sel_hi:[1,0]
	v_min_f32_e32 v54, v68, v108
	v_min_f32_e32 v55, v69, v106
	v_pk_add_f32 v[122:123], v[4:5], v[54:55]
	v_pk_add_f32 v[4:5], v[10:11], 0 op_sel_hi:[1,0]
	v_min_f32_e32 v10, v68, v125
	v_min_f32_e32 v11, v69, v124
	;; [unrolled: 4-line block ×3, first 2 shown]
	v_pk_add_f32 v[78:79], v[4:5], v[10:11]
	v_min_f32_e32 v5, v69, v128
	v_min_f32_e32 v4, v68, v129
	v_pk_add_f32 v[10:11], v[14:15], 0 op_sel_hi:[1,0]
	v_min_f32_e32 v100, v74, v63
	v_min_f32_e32 v101, v75, v62
	v_pk_add_f32 v[62:63], v[10:11], v[4:5]
	v_pk_add_f32 v[4:5], v[16:17], 0 op_sel_hi:[1,0]
	v_min_f32_e32 v10, v70, v108
	v_min_f32_e32 v11, v71, v106
	v_pk_add_f32 v[120:121], v[4:5], v[10:11]
	;; [unrolled: 4-line block ×4, first 2 shown]
	v_min_f32_e32 v5, v71, v128
	v_min_f32_e32 v4, v70, v129
	v_pk_add_f32 v[10:11], v[22:23], 0 op_sel_hi:[1,0]
	v_min_f32_e32 v83, v75, v9
	v_pk_add_f32 v[60:61], v[10:11], v[4:5]
	v_pk_add_f32 v[4:5], v[24:25], 0 op_sel_hi:[1,0]
	v_min_f32_e32 v10, v72, v108
	v_min_f32_e32 v11, v73, v106
	v_pk_add_f32 v[118:119], v[4:5], v[10:11]
	v_pk_add_f32 v[4:5], v[26:27], 0 op_sel_hi:[1,0]
	v_min_f32_e32 v10, v72, v125
	;; [unrolled: 4-line block ×3, first 2 shown]
	v_min_f32_e32 v11, v73, v126
	v_pk_add_f32 v[74:75], v[4:5], v[10:11]
	v_min_f32_e32 v5, v73, v128
	v_min_f32_e32 v4, v72, v129
	v_pk_add_f32 v[10:11], v[30:31], 0 op_sel_hi:[1,0]
	s_cmp_lt_i32 s22, 9
	v_pk_add_f32 v[58:59], v[10:11], v[4:5]
	v_pk_add_f32 v[4:5], v[32:33], 0 op_sel_hi:[1,0]
	v_min_f32_e32 v10, v84, v108
	v_min_f32_e32 v11, v85, v106
	v_pk_add_f32 v[116:117], v[4:5], v[10:11]
	v_pk_add_f32 v[4:5], v[34:35], 0 op_sel_hi:[1,0]
	v_min_f32_e32 v10, v84, v125
	v_min_f32_e32 v11, v85, v124
	;; [unrolled: 4-line block ×3, first 2 shown]
	v_pk_add_f32 v[72:73], v[4:5], v[10:11]
	v_min_f32_e32 v5, v85, v128
	v_min_f32_e32 v4, v84, v129
	v_pk_add_f32 v[10:11], v[38:39], 0 op_sel_hi:[1,0]
	ds_write2st64_b32 v211, v8, v7 offset0:8 offset1:12
	ds_write_b32 v211, v6 offset:5120
	v_pk_add_f32 v[56:57], v[10:11], v[4:5]
	v_pk_add_f32 v[4:5], v[40:41], 0 op_sel_hi:[1,0]
	v_min_f32_e32 v10, v110, v108
	v_min_f32_e32 v11, v111, v106
	v_pk_add_f32 v[114:115], v[4:5], v[10:11]
	v_pk_add_f32 v[4:5], v[42:43], 0 op_sel_hi:[1,0]
	v_min_f32_e32 v10, v110, v125
	v_min_f32_e32 v11, v111, v124
	v_pk_add_f32 v[86:87], v[4:5], v[10:11]
	v_pk_add_f32 v[4:5], v[44:45], 0 op_sel_hi:[1,0]
	v_min_f32_e32 v10, v110, v127
	v_min_f32_e32 v11, v111, v126
	v_pk_add_f32 v[70:71], v[4:5], v[10:11]
	v_min_f32_e32 v5, v111, v128
	v_min_f32_e32 v4, v110, v129
	v_pk_add_f32 v[10:11], v[46:47], 0 op_sel_hi:[1,0]
	s_waitcnt lgkmcnt(0)
	v_pk_add_f32 v[54:55], v[10:11], v[4:5]
	v_pk_add_f32 v[4:5], v[48:49], 0 op_sel_hi:[1,0]
	v_min_f32_e32 v10, v112, v108
	v_min_f32_e32 v11, v113, v106
	v_pk_add_f32 v[110:111], v[4:5], v[10:11]
	v_pk_add_f32 v[4:5], v[50:51], 0 op_sel_hi:[1,0]
	v_min_f32_e32 v10, v112, v125
	v_min_f32_e32 v11, v113, v124
	;; [unrolled: 4-line block ×3, first 2 shown]
	v_pk_add_f32 v[68:69], v[4:5], v[10:11]
	v_min_f32_e32 v5, v113, v128
	v_min_f32_e32 v4, v112, v129
	v_pk_add_f32 v[10:11], v[66:67], 0 op_sel_hi:[1,0]
	s_barrier
	v_pk_add_f32 v[52:53], v[10:11], v[4:5]
	v_min_f32_e32 v4, v130, v108
	v_min_f32_e32 v5, v131, v106
	v_pk_add_f32 v[10:11], v[82:83], 0 op_sel_hi:[1,0]
	s_nop 0
	v_pk_add_f32 v[112:113], v[10:11], v[4:5]
	v_min_f32_e32 v4, v130, v125
	v_min_f32_e32 v5, v131, v124
	v_pk_add_f32 v[10:11], v[98:99], 0 op_sel_hi:[1,0]
	s_nop 0
	;; [unrolled: 5-line block ×5, first 2 shown]
	v_pk_add_f32 v[48:49], v[10:11], v[4:5]
	s_cbranch_scc1 .LBB94_36
; %bb.22:
	v_lshl_add_u64 v[98:99], v[0:1], 2, s[16:17]
	v_mov_b32_e32 v0, 0x1400
	v_lshl_add_u32 v216, v206, 4, v0
	v_mov_b32_e32 v0, 0x800
	v_add_u32_e32 v4, 12, v208
	v_lshl_add_u32 v217, v207, 4, v0
	v_mad_i64_i32 v[0:1], s[6:7], v4, s28, 0
	v_lshlrev_b64 v[100:101], 2, v[0:1]
	v_lshl_add_u64 v[102:103], v[2:3], 2, s[18:19]
	v_mad_i64_i32 v[0:1], s[6:7], v4, s26, 0
	v_add_u32_e32 v2, 8, v208
	v_lshlrev_b64 v[104:105], 2, v[0:1]
	v_mad_i64_i32 v[0:1], s[6:7], v2, s26, 0
	v_lshlrev_b64 v[106:107], 2, v[0:1]
	v_mad_i64_i32 v[0:1], s[6:7], v2, s28, 0
	v_or_b32_e32 v212, 0x1000, v211
	v_add_u32_e32 v213, 0x1000, v209
	v_add_u32_e32 v214, 0x1400, v211
	v_or_b32_e32 v215, 0x800, v211
	s_add_i32 s23, s22, -8
	s_lshl_b64 s[16:17], s[28:29], 5
	s_lshl_b64 s[18:19], s[26:27], 5
	v_lshlrev_b64 v[108:109], 2, v[0:1]
	s_mov_b32 s28, 0
	s_branch .LBB94_24
.LBB94_23:                              ;   in Loop: Header=BB94_24 Depth=1
	s_or_b64 exec, exec, s[6:7]
	v_pk_add_f32 v[40:41], v[96:97], v[40:41]
	v_pk_add_f32 v[32:33], v[64:65], v[32:33]
	v_pk_add_f32 v[64:65], v[122:123], v[126:127]
	v_pk_add_f32 v[20:21], v[76:77], v[20:21]
	v_pk_add_f32 v[16:17], v[74:75], v[16:17]
	v_pk_add_f32 v[8:9], v[70:71], v[8:9]
	v_pk_add_f32 v[4:5], v[68:69], v[4:5]
	v_pk_add_f32 v[0:1], v[66:67], v[0:1]
	v_pk_add_f32 v[122:123], v[50:51], v[162:163]
	v_pk_add_f32 v[96:97], v[116:117], v[142:143]
	v_pk_add_f32 v[116:117], v[56:57], v[144:145]
	v_pk_add_f32 v[126:127], v[40:41], v[42:43]
	v_pk_add_f32 v[74:75], v[32:33], v[34:35]
	v_pk_add_f32 v[68:69], v[64:65], v[166:167]
	v_pk_add_f32 v[64:65], v[20:21], v[22:23]
	v_pk_add_f32 v[56:57], v[16:17], v[18:19]
	v_pk_add_f32 v[40:41], v[8:9], v[10:11]
	v_pk_add_f32 v[32:33], v[4:5], v[192:193]
	v_pk_add_f32 v[18:19], v[0:1], v[2:3]
	ds_read_b128 v[0:3], v210
	ds_read_b128 v[8:11], v210 offset:512
	v_pk_add_f32 v[20:21], v[122:123], v[6:7]
	ds_read_b128 v[4:7], v213 offset:896
	v_pk_add_f32 v[44:45], v[94:95], v[44:45]
	v_pk_add_f32 v[28:29], v[78:79], v[28:29]
	;; [unrolled: 1-line block ×20, first 2 shown]
	ds_read_b128 v[12:15], v213 offset:768
	s_waitcnt lgkmcnt(0)
	v_max_f32_e32 v93, v5, v5
	v_max_f32_e32 v95, v4, v4
	;; [unrolled: 1-line block ×4, first 2 shown]
	v_pk_add_f32 v[76:77], v[36:37], v[38:39]
	v_pk_add_f32 v[72:73], v[28:29], v[30:31]
	;; [unrolled: 1-line block ×6, first 2 shown]
	ds_read_b128 v[80:83], v210 offset:1536
	ds_read_b128 v[84:87], v210 offset:1024
	v_min_f32_e32 v5, v93, v96
	v_min_f32_e32 v4, v95, v97
	v_pk_add_f32 v[60:61], v[62:63], v[170:171]
	v_pk_add_f32 v[62:63], v[78:79], v[168:169]
	v_pk_add_f32 v[4:5], v[76:77], v[4:5]
	ds_read_b128 v[76:79], v213
	v_pk_add_f32 v[90:91], v[90:91], v[134:135]
	v_pk_add_f32 v[88:89], v[88:89], v[140:141]
	;; [unrolled: 1-line block ×3, first 2 shown]
	s_waitcnt lgkmcnt(0)
	v_max_f32_e32 v116, v85, v85
	v_max_f32_e32 v117, v84, v84
	v_pk_add_f32 v[118:119], v[54:55], v[150:151]
	v_pk_add_f32 v[54:55], v[90:91], v[174:175]
	;; [unrolled: 1-line block ×3, first 2 shown]
	ds_read_b128 v[88:91], v213 offset:128
	v_max_f32_e32 v92, v1, v1
	v_max_f32_e32 v94, v0, v0
	v_min_f32_e32 v9, v93, v116
	v_min_f32_e32 v8, v95, v117
	v_max_f32_e32 v84, v76, v76
	v_max_f32_e32 v85, v77, v77
	v_pk_add_f32 v[8:9], v[74:75], v[8:9]
	v_min_f32_e32 v74, v84, v94
	v_min_f32_e32 v75, v85, v92
	v_pk_add_f32 v[74:75], v[68:69], v[74:75]
	v_min_f32_e32 v68, v84, v97
	v_min_f32_e32 v69, v85, v96
	;; [unrolled: 3-line block ×3, first 2 shown]
	v_max_f32_e32 v81, v81, v81
	v_max_f32_e32 v80, v80, v80
	v_pk_add_f32 v[66:67], v[24:25], v[26:27]
	v_pk_add_f32 v[72:73], v[72:73], v[68:69]
	v_min_f32_e32 v69, v85, v81
	v_min_f32_e32 v68, v84, v80
	v_pk_add_f32 v[84:85], v[66:67], v[68:69]
	s_waitcnt lgkmcnt(0)
	v_max_f32_e32 v68, v88, v88
	v_max_f32_e32 v69, v89, v89
	v_min_f32_e32 v66, v68, v94
	v_min_f32_e32 v67, v69, v92
	v_pk_add_f32 v[60:61], v[60:61], v[66:67]
	v_min_f32_e32 v66, v68, v97
	v_min_f32_e32 v67, v69, v96
	v_pk_add_f32 v[110:111], v[110:111], v[154:155]
	v_pk_add_f32 v[88:89], v[62:63], v[66:67]
	v_min_f32_e32 v62, v68, v117
	v_min_f32_e32 v63, v69, v116
	v_pk_add_f32 v[28:29], v[110:111], v[198:199]
	v_pk_add_f32 v[110:111], v[64:65], v[62:63]
	ds_read_b128 v[64:67], v213 offset:256
	v_min_f32_e32 v63, v69, v81
	v_min_f32_e32 v62, v68, v80
	ds_read_b128 v[68:71], v213 offset:384
	v_pk_add_f32 v[58:59], v[58:59], v[62:63]
	s_waitcnt lgkmcnt(0)
	v_max_f32_e32 v64, v64, v64
	v_max_f32_e32 v65, v65, v65
	v_min_f32_e32 v62, v64, v94
	v_min_f32_e32 v63, v65, v92
	v_pk_add_f32 v[52:53], v[52:53], v[62:63]
	v_min_f32_e32 v62, v64, v97
	v_min_f32_e32 v63, v65, v96
	v_pk_add_f32 v[54:55], v[54:55], v[62:63]
	;; [unrolled: 3-line block ×3, first 2 shown]
	v_pk_add_f32 v[56:57], v[56:57], v[62:63]
	v_min_f32_e32 v63, v65, v81
	v_min_f32_e32 v62, v64, v80
	v_pk_add_f32 v[24:25], v[112:113], v[204:205]
	v_pk_add_f32 v[112:113], v[50:51], v[62:63]
	v_max_f32_e32 v62, v68, v68
	v_max_f32_e32 v63, v69, v69
	v_min_f32_e32 v50, v62, v94
	v_min_f32_e32 v51, v63, v92
	v_pk_add_f32 v[114:115], v[114:115], v[148:149]
	v_pk_add_f32 v[68:69], v[44:45], v[50:51]
	v_min_f32_e32 v44, v62, v97
	v_min_f32_e32 v45, v63, v96
	v_pk_add_f32 v[36:37], v[114:115], v[188:189]
	v_pk_add_f32 v[114:115], v[46:47], v[44:45]
	;; [unrolled: 4-line block ×3, first 2 shown]
	ds_read_b128 v[44:47], v213 offset:512
	v_min_f32_e32 v49, v63, v81
	v_min_f32_e32 v48, v62, v80
	v_pk_add_f32 v[42:43], v[42:43], v[48:49]
	ds_read_b128 v[48:51], v213 offset:640
	s_waitcnt lgkmcnt(0)
	v_max_f32_e32 v62, v44, v44
	v_max_f32_e32 v63, v45, v45
	v_min_f32_e32 v44, v62, v94
	v_min_f32_e32 v45, v63, v92
	v_pk_add_f32 v[36:37], v[36:37], v[44:45]
	v_min_f32_e32 v44, v62, v97
	v_min_f32_e32 v45, v63, v96
	v_pk_add_f32 v[38:39], v[38:39], v[44:45]
	;; [unrolled: 3-line block ×3, first 2 shown]
	v_pk_add_f32 v[40:41], v[40:41], v[44:45]
	v_min_f32_e32 v45, v63, v81
	v_min_f32_e32 v44, v62, v80
	v_max_f32_e32 v48, v48, v48
	v_max_f32_e32 v49, v49, v49
	v_pk_add_f32 v[34:35], v[34:35], v[44:45]
	v_min_f32_e32 v44, v48, v94
	v_min_f32_e32 v45, v49, v92
	v_pk_add_f32 v[28:29], v[28:29], v[44:45]
	v_min_f32_e32 v44, v48, v97
	v_min_f32_e32 v45, v49, v96
	;; [unrolled: 3-line block ×3, first 2 shown]
	v_pk_add_f32 v[26:27], v[120:121], v[200:201]
	v_pk_add_f32 v[32:33], v[32:33], v[44:45]
	v_min_f32_e32 v45, v49, v81
	v_min_f32_e32 v44, v48, v80
	v_pk_add_f32 v[26:27], v[26:27], v[44:45]
	v_max_f32_e32 v44, v12, v12
	v_max_f32_e32 v45, v13, v13
	v_min_f32_e32 v12, v44, v94
	v_min_f32_e32 v13, v45, v92
	v_pk_add_f32 v[12:13], v[24:25], v[12:13]
	v_min_f32_e32 v24, v44, v97
	v_min_f32_e32 v25, v45, v96
	v_pk_add_f32 v[22:23], v[22:23], v[24:25]
	;; [unrolled: 3-line block ×4, first 2 shown]
	v_min_f32_e32 v25, v93, v81
	v_min_f32_e32 v24, v95, v80
	;; [unrolled: 1-line block ×4, first 2 shown]
	v_pk_add_f32 v[16:17], v[16:17], v[24:25]
	v_max_f32_e32 v24, v3, v3
	v_max_f32_e32 v7, v7, v7
	;; [unrolled: 1-line block ×4, first 2 shown]
	v_pk_add_f32 v[0:1], v[126:127], v[0:1]
	v_min_f32_e32 v3, v7, v24
	v_min_f32_e32 v2, v6, v25
	v_pk_add_f32 v[96:97], v[0:1], v[2:3]
	v_max_f32_e32 v2, v11, v11
	v_max_f32_e32 v3, v10, v10
	v_min_f32_e32 v1, v7, v2
	v_min_f32_e32 v0, v6, v3
	v_pk_add_f32 v[80:81], v[4:5], v[0:1]
	v_max_f32_e32 v4, v87, v87
	v_max_f32_e32 v5, v86, v86
	;; [unrolled: 5-line block ×3, first 2 shown]
	v_min_f32_e32 v0, v8, v25
	v_min_f32_e32 v1, v9, v24
	v_pk_add_f32 v[122:123], v[74:75], v[0:1]
	v_min_f32_e32 v0, v8, v3
	v_min_f32_e32 v1, v9, v2
	v_pk_add_f32 v[94:95], v[76:77], v[0:1]
	v_min_f32_e32 v0, v8, v5
	v_min_f32_e32 v1, v9, v4
	v_max_f32_e32 v10, v83, v83
	v_pk_add_f32 v[78:79], v[72:73], v[0:1]
	v_min_f32_e32 v1, v9, v10
	v_max_f32_e32 v9, v82, v82
	v_min_f32_e32 v0, v8, v9
	v_max_f32_e32 v8, v90, v90
	v_max_f32_e32 v11, v91, v91
	v_pk_add_f32 v[62:63], v[84:85], v[0:1]
	v_min_f32_e32 v0, v8, v25
	v_min_f32_e32 v1, v11, v24
	v_pk_add_f32 v[120:121], v[60:61], v[0:1]
	v_min_f32_e32 v0, v8, v3
	v_min_f32_e32 v1, v11, v2
	v_pk_add_f32 v[92:93], v[88:89], v[0:1]
	v_min_f32_e32 v0, v8, v5
	v_min_f32_e32 v1, v11, v4
	v_pk_add_f32 v[76:77], v[110:111], v[0:1]
	v_min_f32_e32 v1, v11, v10
	v_min_f32_e32 v0, v8, v9
	v_max_f32_e32 v8, v66, v66
	v_max_f32_e32 v11, v67, v67
	v_pk_add_f32 v[60:61], v[58:59], v[0:1]
	v_min_f32_e32 v0, v8, v25
	v_min_f32_e32 v1, v11, v24
	v_pk_add_f32 v[118:119], v[52:53], v[0:1]
	v_min_f32_e32 v0, v8, v3
	v_min_f32_e32 v1, v11, v2
	v_pk_add_f32 v[90:91], v[54:55], v[0:1]
	v_min_f32_e32 v0, v8, v5
	v_min_f32_e32 v1, v11, v4
	v_pk_add_f32 v[74:75], v[56:57], v[0:1]
	v_min_f32_e32 v1, v11, v10
	;; [unrolled: 14-line block ×6, first 2 shown]
	v_min_f32_e32 v0, v8, v9
	v_pk_add_f32 v[50:51], v[20:21], v[0:1]
	v_min_f32_e32 v1, v7, v10
	v_min_f32_e32 v0, v6, v9
	s_add_i32 s28, s28, 8
	v_pk_add_f32 v[48:49], v[16:17], v[0:1]
	v_lshl_add_u64 v[102:103], v[102:103], 0, s[16:17]
	s_cmp_ge_i32 s28, s23
	v_lshl_add_u64 v[98:99], v[98:99], 0, s[18:19]
	s_waitcnt vmcnt(0)
	ds_write_b32 v214, v218
	ds_write2st64_b32 v215, v220, v219 offset1:4
	s_waitcnt lgkmcnt(0)
	s_barrier
	s_cbranch_scc1 .LBB94_36
.LBB94_24:                              ; =>This Inner Loop Header: Depth=1
	v_add_u32_e32 v124, s28, v208
	v_add_u32_e32 v0, 8, v124
	v_cmp_le_i32_e64 s[6:7], s22, v0
	s_or_b64 s[26:27], vcc, s[6:7]
	s_xor_b64 s[30:31], s[26:27], -1
	v_mov_b32_e32 v125, 0
	v_mov_b32_e32 v126, 0
	s_and_saveexec_b64 s[26:27], s[30:31]
	s_cbranch_execz .LBB94_26
; %bb.25:                               ;   in Loop: Header=BB94_24 Depth=1
	v_lshl_add_u64 v[0:1], v[98:99], 0, v[106:107]
	flat_load_dword v126, v[0:1]
.LBB94_26:                              ;   in Loop: Header=BB94_24 Depth=1
	s_or_b64 exec, exec, s[26:27]
	s_or_b64 s[26:27], s[8:9], s[6:7]
	s_xor_b64 s[30:31], s[26:27], -1
	v_lshl_add_u64 v[0:1], v[102:103], 0, v[108:109]
	s_and_saveexec_b64 s[26:27], s[30:31]
	s_cbranch_execz .LBB94_28
; %bb.27:                               ;   in Loop: Header=BB94_24 Depth=1
	flat_load_dword v125, v[0:1]
.LBB94_28:                              ;   in Loop: Header=BB94_24 Depth=1
	s_or_b64 exec, exec, s[26:27]
	s_or_b64 s[6:7], s[4:5], s[6:7]
	s_xor_b64 s[26:27], s[6:7], -1
	v_mov_b32_e32 v218, 0
	v_mov_b32_e32 v127, 0
	s_and_saveexec_b64 s[6:7], s[26:27]
	s_cbranch_execz .LBB94_30
; %bb.29:                               ;   in Loop: Header=BB94_24 Depth=1
	flat_load_dword v127, v[0:1] offset:256
.LBB94_30:                              ;   in Loop: Header=BB94_24 Depth=1
	s_or_b64 exec, exec, s[6:7]
	ds_read_b128 v[40:43], v217
	ds_read_b128 v[36:39], v217 offset:512
	ds_read_b128 v[24:27], v217 offset:1536
	;; [unrolled: 1-line block ×3, first 2 shown]
	ds_read_b128 v[28:31], v216
	ds_read_b128 v[20:23], v216 offset:128
	ds_read_b128 v[16:19], v216 offset:256
	;; [unrolled: 1-line block ×7, first 2 shown]
	v_add_u32_e32 v124, 12, v124
	v_cmp_le_i32_e64 s[6:7], s22, v124
	s_or_b64 s[26:27], vcc, s[6:7]
	s_xor_b64 s[30:31], s[26:27], -1
	s_waitcnt vmcnt(0) lgkmcnt(0)
	ds_write_b32 v212, v126
	ds_write2st64_b32 v211, v125, v127 offset1:4
	s_waitcnt lgkmcnt(0)
	s_barrier
	s_and_saveexec_b64 s[26:27], s[30:31]
	s_cbranch_execz .LBB94_32
; %bb.31:                               ;   in Loop: Header=BB94_24 Depth=1
	v_lshl_add_u64 v[124:125], v[98:99], 0, v[104:105]
	flat_load_dword v218, v[124:125]
.LBB94_32:                              ;   in Loop: Header=BB94_24 Depth=1
	s_or_b64 exec, exec, s[26:27]
	s_or_b64 s[26:27], s[8:9], s[6:7]
	s_xor_b64 s[30:31], s[26:27], -1
	v_mov_b32_e32 v219, 0
	v_lshl_add_u64 v[124:125], v[102:103], 0, v[100:101]
	v_mov_b32_e32 v220, 0
	s_and_saveexec_b64 s[26:27], s[30:31]
	s_cbranch_execz .LBB94_34
; %bb.33:                               ;   in Loop: Header=BB94_24 Depth=1
	flat_load_dword v220, v[124:125]
.LBB94_34:                              ;   in Loop: Header=BB94_24 Depth=1
	s_or_b64 exec, exec, s[26:27]
	v_max_f32_e32 v158, v41, v41
	v_max_f32_e32 v164, v45, v45
	;; [unrolled: 1-line block ×34, first 2 shown]
	v_min_f32_e32 v41, v164, v158
	v_min_f32_e32 v40, v166, v159
	v_min_f32_e32 v37, v164, v162
	v_min_f32_e32 v36, v166, v163
	v_min_f32_e32 v33, v164, v165
	v_min_f32_e32 v126, v128, v159
	v_min_f32_e32 v127, v129, v158
	v_min_f32_e32 v44, v128, v163
	v_min_f32_e32 v45, v129, v162
	v_min_f32_e32 v28, v128, v167
	v_min_f32_e32 v29, v129, v165
	v_min_f32_e32 v25, v129, v168
	v_min_f32_e32 v24, v128, v169
	v_min_f32_e32 v130, v132, v159
	v_min_f32_e32 v131, v133, v158
	v_min_f32_e32 v128, v132, v163
	v_min_f32_e32 v129, v133, v162
	v_min_f32_e32 v20, v132, v167
	v_min_f32_e32 v21, v133, v165
	v_min_f32_e32 v133, v133, v168
	v_min_f32_e32 v132, v132, v169
	v_min_f32_e32 v136, v138, v159
	v_min_f32_e32 v137, v139, v158
	v_min_f32_e32 v134, v138, v163
	v_min_f32_e32 v135, v139, v162
	v_min_f32_e32 v16, v138, v167
	v_min_f32_e32 v17, v139, v165
	v_min_f32_e32 v139, v139, v168
	v_min_f32_e32 v138, v138, v169
	v_min_f32_e32 v142, v144, v159
	v_min_f32_e32 v143, v145, v158
	v_min_f32_e32 v140, v144, v163
	v_min_f32_e32 v141, v145, v162
	v_min_f32_e32 v12, v144, v167
	v_min_f32_e32 v13, v145, v165
	v_min_f32_e32 v145, v145, v168
	v_min_f32_e32 v144, v144, v169
	v_min_f32_e32 v148, v150, v159
	v_min_f32_e32 v149, v151, v158
	v_min_f32_e32 v146, v150, v163
	v_min_f32_e32 v147, v151, v162
	v_min_f32_e32 v8, v150, v167
	v_min_f32_e32 v9, v151, v165
	v_min_f32_e32 v151, v151, v168
	v_min_f32_e32 v150, v150, v169
	v_min_f32_e32 v154, v156, v159
	v_min_f32_e32 v155, v157, v158
	v_min_f32_e32 v152, v156, v163
	v_min_f32_e32 v153, v157, v162
	v_min_f32_e32 v4, v156, v167
	v_min_f32_e32 v5, v157, v165
	v_min_f32_e32 v157, v157, v168
	v_min_f32_e32 v156, v156, v169
	v_min_f32_e32 v160, v170, v159
	v_min_f32_e32 v161, v171, v158
	v_min_f32_e32 v158, v170, v163
	v_min_f32_e32 v159, v171, v162
	v_min_f32_e32 v1, v171, v165
	v_min_f32_e32 v163, v171, v168
	v_min_f32_e32 v162, v170, v169
	v_min_f32_e32 v165, v164, v168
	v_min_f32_e32 v164, v166, v169
	v_max_f32_e32 v195, v47, v47
	v_max_f32_e32 v221, v46, v46
	;; [unrolled: 1-line block ×12, first 2 shown]
	v_min_f32_e32 v198, v6, v202
	v_min_f32_e32 v199, v7, v194
	;; [unrolled: 1-line block ×8, first 2 shown]
	v_max_f32_e32 v6, v2, v2
	v_max_f32_e32 v7, v3, v3
	s_or_b64 s[6:7], s[4:5], s[6:7]
	v_min_f32_e32 v32, v166, v167
	v_min_f32_e32 v0, v170, v167
	;; [unrolled: 1-line block ×58, first 2 shown]
	s_xor_b64 s[26:27], s[6:7], -1
	s_and_saveexec_b64 s[6:7], s[26:27]
	s_cbranch_execz .LBB94_23
; %bb.35:                               ;   in Loop: Header=BB94_24 Depth=1
	flat_load_dword v219, v[124:125] offset:256
	s_branch .LBB94_23
.LBB94_36:
	s_load_dwordx2 s[4:5], s[0:1], 0x70
	s_load_dword s29, s[0:1], 0x50
	s_load_dword s28, s[0:1], 0x68
	ds_read_b128 v[44:47], v210 offset:2048
	ds_read_b128 v[40:43], v210 offset:2560
	;; [unrolled: 1-line block ×12, first 2 shown]
	v_add_u32_e32 v128, s12, v207
	s_waitcnt lgkmcnt(0)
	s_mul_i32 s0, s3, s5
	s_mul_hi_u32 s1, s3, s4
	s_mul_i32 s5, s13, s4
	s_add_i32 s0, s1, s0
	s_add_i32 s1, s0, s5
	s_mul_i32 s0, s3, s4
	s_lshl_b64 s[0:1], s[0:1], 2
	s_add_u32 s22, s10, s0
	s_addc_u32 s23, s11, s1
	v_mad_i64_i32 v[100:101], s[0:1], v128, s29, 0
	v_add_u32_e32 v98, s2, v206
	v_lshl_add_u64 v[126:127], v[100:101], 2, s[24:25]
	v_mad_i64_i32 v[100:101], s[0:1], v128, s28, 0
	v_cmp_gt_i32_e64 s[18:19], s21, v128
	v_lshl_add_u64 v[124:125], v[100:101], 2, s[22:23]
	v_cmp_gt_i32_e64 s[2:3], s20, v98
	v_cndmask_b32_e64 v100, 0, 1, s[14:15]
	s_and_b64 s[6:7], s[2:3], s[18:19]
	v_ashrrev_i32_e32 v99, 31, v98
	v_cmp_ne_u32_e64 s[0:1], 1, v100
	s_and_saveexec_b64 s[4:5], s[6:7]
	s_cbranch_execz .LBB94_41
; %bb.37:
	s_and_b64 vcc, exec, s[0:1]
	s_cbranch_vccnz .LBB94_39
; %bb.38:
	v_lshl_add_u64 v[100:101], v[98:99], 2, v[126:127]
	flat_load_dword v100, v[100:101]
	s_waitcnt vmcnt(0) lgkmcnt(0)
	v_mul_f32_e32 v100, s33, v100
	s_branch .LBB94_40
.LBB94_39:
	v_mov_b32_e32 v100, 0
.LBB94_40:
	v_max_f32_e32 v101, v44, v44
	v_max_f32_e32 v102, v32, v32
	v_min_f32_e32 v102, v102, v101
	v_max_f32_e32 v101, v45, v45
	v_max_f32_e32 v103, v33, v33
	v_min_f32_e32 v103, v103, v101
	v_max_f32_e32 v101, v46, v46
	v_max_f32_e32 v104, v34, v34
	v_min_f32_e32 v104, v104, v101
	v_max_f32_e32 v101, v47, v47
	v_max_f32_e32 v105, v35, v35
	v_pk_add_f32 v[102:103], v[122:123], v[102:103]
	v_min_f32_e32 v105, v105, v101
	v_pk_add_f32 v[102:103], v[102:103], v[104:105]
	s_nop 0
	v_add_f32_e32 v101, v102, v103
	v_add_f32_e32 v102, v101, v100
	v_lshl_add_u64 v[100:101], v[98:99], 2, v[124:125]
	global_store_dword v[100:101], v102, off
.LBB94_41:
	s_or_b64 exec, exec, s[4:5]
	v_add_u32_e32 v100, 8, v98
	v_cmp_gt_i32_e64 s[4:5], s20, v100
	s_and_b64 s[8:9], s[4:5], s[18:19]
	v_ashrrev_i32_e32 v101, 31, v100
	s_and_saveexec_b64 s[6:7], s[8:9]
	s_cbranch_execz .LBB94_46
; %bb.42:
	s_and_b64 vcc, exec, s[0:1]
	s_cbranch_vccnz .LBB94_44
; %bb.43:
	v_lshl_add_u64 v[102:103], v[100:101], 2, v[126:127]
	flat_load_dword v102, v[102:103]
	s_waitcnt vmcnt(0) lgkmcnt(0)
	v_mul_f32_e32 v102, s33, v102
	s_branch .LBB94_45
.LBB94_44:
	v_mov_b32_e32 v102, 0
.LBB94_45:
	v_max_f32_e32 v103, v44, v44
	v_max_f32_e32 v104, v28, v28
	v_min_f32_e32 v104, v104, v103
	v_max_f32_e32 v103, v45, v45
	v_max_f32_e32 v105, v29, v29
	v_min_f32_e32 v105, v105, v103
	v_max_f32_e32 v103, v46, v46
	v_max_f32_e32 v106, v30, v30
	v_min_f32_e32 v106, v106, v103
	v_max_f32_e32 v103, v47, v47
	v_max_f32_e32 v107, v31, v31
	v_pk_add_f32 v[104:105], v[120:121], v[104:105]
	v_min_f32_e32 v107, v107, v103
	v_pk_add_f32 v[104:105], v[104:105], v[106:107]
	s_nop 0
	v_add_f32_e32 v103, v104, v105
	v_add_f32_e32 v104, v103, v102
	v_lshl_add_u64 v[102:103], v[100:101], 2, v[124:125]
	global_store_dword v[102:103], v104, off
.LBB94_46:
	s_or_b64 exec, exec, s[6:7]
	v_add_u32_e32 v102, 16, v98
	v_cmp_gt_i32_e64 s[6:7], s20, v102
	s_and_b64 s[10:11], s[6:7], s[18:19]
	v_ashrrev_i32_e32 v103, 31, v102
	;; [unrolled: 39-line block ×3, first 2 shown]
	s_and_saveexec_b64 s[10:11], s[12:13]
	s_cbranch_execz .LBB94_56
; %bb.52:
	s_and_b64 vcc, exec, s[0:1]
	s_cbranch_vccnz .LBB94_54
; %bb.53:
	v_lshl_add_u64 v[106:107], v[104:105], 2, v[126:127]
	flat_load_dword v106, v[106:107]
	s_waitcnt vmcnt(0) lgkmcnt(0)
	v_mul_f32_e32 v106, s33, v106
	s_branch .LBB94_55
.LBB94_54:
	v_mov_b32_e32 v106, 0
.LBB94_55:
	v_max_f32_e32 v107, v44, v44
	v_max_f32_e32 v108, v20, v20
	v_min_f32_e32 v108, v108, v107
	v_max_f32_e32 v107, v45, v45
	v_max_f32_e32 v109, v21, v21
	v_min_f32_e32 v109, v109, v107
	v_pk_add_f32 v[108:109], v[116:117], v[108:109]
	v_max_f32_e32 v107, v46, v46
	v_max_f32_e32 v116, v22, v22
	v_min_f32_e32 v116, v116, v107
	v_max_f32_e32 v107, v47, v47
	v_max_f32_e32 v117, v23, v23
	v_min_f32_e32 v117, v117, v107
	v_pk_add_f32 v[108:109], v[108:109], v[116:117]
	s_nop 0
	v_add_f32_e32 v107, v108, v109
	v_add_f32_e32 v108, v107, v106
	v_lshl_add_u64 v[106:107], v[104:105], 2, v[124:125]
	global_store_dword v[106:107], v108, off
.LBB94_56:
	s_or_b64 exec, exec, s[10:11]
	v_add_u32_e32 v106, 32, v98
	v_cmp_gt_i32_e64 s[10:11], s20, v106
	s_and_b64 s[14:15], s[10:11], s[18:19]
	v_ashrrev_i32_e32 v107, 31, v106
	s_and_saveexec_b64 s[12:13], s[14:15]
	s_cbranch_execz .LBB94_61
; %bb.57:
	s_and_b64 vcc, exec, s[0:1]
	s_cbranch_vccnz .LBB94_59
; %bb.58:
	v_lshl_add_u64 v[108:109], v[106:107], 2, v[126:127]
	flat_load_dword v108, v[108:109]
	s_waitcnt vmcnt(0) lgkmcnt(0)
	v_mul_f32_e32 v108, s33, v108
	s_branch .LBB94_60
.LBB94_59:
	v_mov_b32_e32 v108, 0
.LBB94_60:
	v_max_f32_e32 v109, v44, v44
	v_max_f32_e32 v116, v16, v16
	v_min_f32_e32 v116, v116, v109
	v_max_f32_e32 v109, v45, v45
	v_max_f32_e32 v117, v17, v17
	v_min_f32_e32 v117, v117, v109
	v_pk_add_f32 v[114:115], v[114:115], v[116:117]
	v_max_f32_e32 v109, v46, v46
	v_max_f32_e32 v116, v18, v18
	v_min_f32_e32 v116, v116, v109
	v_max_f32_e32 v109, v47, v47
	v_max_f32_e32 v117, v19, v19
	v_min_f32_e32 v117, v117, v109
	v_pk_add_f32 v[114:115], v[114:115], v[116:117]
	s_nop 0
	v_add_f32_e32 v109, v114, v115
	v_add_f32_e32 v114, v109, v108
	v_lshl_add_u64 v[108:109], v[106:107], 2, v[124:125]
	global_store_dword v[108:109], v114, off
.LBB94_61:
	s_or_b64 exec, exec, s[12:13]
	v_add_u32_e32 v108, 40, v98
	v_cmp_gt_i32_e64 s[12:13], s20, v108
	s_and_b64 s[16:17], s[12:13], s[18:19]
	v_ashrrev_i32_e32 v109, 31, v108
	;; [unrolled: 39-line block ×4, first 2 shown]
	s_and_saveexec_b64 s[18:19], s[26:27]
	s_cbranch_execz .LBB94_76
; %bb.72:
	s_and_b64 vcc, exec, s[0:1]
	s_cbranch_vccnz .LBB94_74
; %bb.73:
	v_lshl_add_u64 v[114:115], v[112:113], 2, v[126:127]
	flat_load_dword v114, v[114:115]
	s_waitcnt vmcnt(0) lgkmcnt(0)
	v_mul_f32_e32 v114, s33, v114
	s_branch .LBB94_75
.LBB94_74:
	v_mov_b32_e32 v114, 0
.LBB94_75:
	v_max_f32_e32 v45, v45, v45
	v_max_f32_e32 v115, v5, v5
	v_min_f32_e32 v45, v115, v45
	v_max_f32_e32 v44, v44, v44
	v_max_f32_e32 v115, v4, v4
	v_min_f32_e32 v44, v115, v44
	v_pk_add_f32 v[44:45], v[96:97], v[44:45]
	v_max_f32_e32 v47, v47, v47
	v_max_f32_e32 v96, v7, v7
	v_min_f32_e32 v47, v96, v47
	v_max_f32_e32 v46, v46, v46
	v_max_f32_e32 v96, v6, v6
	v_min_f32_e32 v46, v96, v46
	v_pk_add_f32 v[44:45], v[44:45], v[46:47]
	s_nop 0
	v_add_f32_e32 v44, v44, v45
	v_add_f32_e32 v46, v44, v114
	v_lshl_add_u64 v[44:45], v[112:113], 2, v[124:125]
	global_store_dword v[44:45], v46, off
.LBB94_76:
	s_or_b64 exec, exec, s[18:19]
	v_add_u32_e32 v96, 32, v128
	v_mad_i64_i32 v[44:45], s[26:27], v96, s29, 0
	v_cmp_gt_i32_e64 s[18:19], s21, v96
	v_lshl_add_u64 v[46:47], v[44:45], 2, s[24:25]
	v_mad_i64_i32 v[44:45], s[26:27], v96, s28, 0
	v_lshl_add_u64 v[44:45], v[44:45], 2, s[22:23]
	s_and_b64 s[30:31], s[2:3], s[18:19]
	s_and_saveexec_b64 s[26:27], s[30:31]
	s_cbranch_execnz .LBB94_84
; %bb.77:
	s_or_b64 exec, exec, s[26:27]
	s_and_b64 s[30:31], s[4:5], s[18:19]
	s_and_saveexec_b64 s[26:27], s[30:31]
	s_cbranch_execnz .LBB94_88
.LBB94_78:
	s_or_b64 exec, exec, s[26:27]
	s_and_b64 s[30:31], s[6:7], s[18:19]
	s_and_saveexec_b64 s[26:27], s[30:31]
	s_cbranch_execnz .LBB94_92
.LBB94_79:
	s_or_b64 exec, exec, s[26:27]
	s_and_b64 s[30:31], s[8:9], s[18:19]
	s_and_saveexec_b64 s[26:27], s[30:31]
	s_cbranch_execnz .LBB94_96
.LBB94_80:
	s_or_b64 exec, exec, s[26:27]
	s_and_b64 s[30:31], s[10:11], s[18:19]
	s_and_saveexec_b64 s[26:27], s[30:31]
	s_cbranch_execnz .LBB94_100
.LBB94_81:
	s_or_b64 exec, exec, s[26:27]
	s_and_b64 s[30:31], s[12:13], s[18:19]
	s_and_saveexec_b64 s[26:27], s[30:31]
	s_cbranch_execnz .LBB94_104
.LBB94_82:
	s_or_b64 exec, exec, s[26:27]
	s_and_b64 s[30:31], s[14:15], s[18:19]
	s_and_saveexec_b64 s[26:27], s[30:31]
	s_cbranch_execnz .LBB94_108
.LBB94_83:
	s_or_b64 exec, exec, s[26:27]
	s_and_b64 s[26:27], s[16:17], s[18:19]
	s_and_saveexec_b64 s[18:19], s[26:27]
	s_cbranch_execnz .LBB94_112
	s_branch .LBB94_116
.LBB94_84:
	s_and_b64 vcc, exec, s[0:1]
	s_cbranch_vccnz .LBB94_86
; %bb.85:
	v_lshl_add_u64 v[96:97], v[98:99], 2, v[46:47]
	flat_load_dword v96, v[96:97]
	s_waitcnt vmcnt(0) lgkmcnt(0)
	v_mul_f32_e32 v96, s33, v96
	s_branch .LBB94_87
.LBB94_86:
	v_mov_b32_e32 v96, 0
.LBB94_87:
	v_max_f32_e32 v97, v40, v40
	v_max_f32_e32 v114, v32, v32
	v_min_f32_e32 v114, v114, v97
	v_max_f32_e32 v97, v41, v41
	v_max_f32_e32 v115, v33, v33
	v_min_f32_e32 v115, v115, v97
	v_pk_add_f32 v[94:95], v[94:95], v[114:115]
	v_max_f32_e32 v97, v42, v42
	v_max_f32_e32 v114, v34, v34
	v_min_f32_e32 v114, v114, v97
	v_max_f32_e32 v97, v43, v43
	v_max_f32_e32 v115, v35, v35
	v_min_f32_e32 v115, v115, v97
	v_pk_add_f32 v[94:95], v[94:95], v[114:115]
	s_nop 0
	v_add_f32_e32 v94, v94, v95
	v_add_f32_e32 v96, v94, v96
	v_lshl_add_u64 v[94:95], v[98:99], 2, v[44:45]
	global_store_dword v[94:95], v96, off
	s_or_b64 exec, exec, s[26:27]
	s_and_b64 s[30:31], s[4:5], s[18:19]
	s_and_saveexec_b64 s[26:27], s[30:31]
	s_cbranch_execz .LBB94_78
.LBB94_88:
	s_and_b64 vcc, exec, s[0:1]
	s_cbranch_vccnz .LBB94_90
; %bb.89:
	v_lshl_add_u64 v[94:95], v[100:101], 2, v[46:47]
	flat_load_dword v94, v[94:95]
	s_waitcnt vmcnt(0) lgkmcnt(0)
	v_mul_f32_e32 v94, s33, v94
	s_branch .LBB94_91
.LBB94_90:
	v_mov_b32_e32 v94, 0
.LBB94_91:
	v_max_f32_e32 v95, v40, v40
	v_max_f32_e32 v96, v28, v28
	v_min_f32_e32 v96, v96, v95
	v_max_f32_e32 v95, v41, v41
	v_max_f32_e32 v97, v29, v29
	v_min_f32_e32 v97, v97, v95
	v_pk_add_f32 v[92:93], v[92:93], v[96:97]
	v_max_f32_e32 v95, v42, v42
	v_max_f32_e32 v96, v30, v30
	v_min_f32_e32 v96, v96, v95
	v_max_f32_e32 v95, v43, v43
	v_max_f32_e32 v97, v31, v31
	v_min_f32_e32 v97, v97, v95
	v_pk_add_f32 v[92:93], v[92:93], v[96:97]
	s_nop 0
	v_add_f32_e32 v92, v92, v93
	v_add_f32_e32 v94, v92, v94
	v_lshl_add_u64 v[92:93], v[100:101], 2, v[44:45]
	global_store_dword v[92:93], v94, off
	s_or_b64 exec, exec, s[26:27]
	s_and_b64 s[30:31], s[6:7], s[18:19]
	s_and_saveexec_b64 s[26:27], s[30:31]
	s_cbranch_execz .LBB94_79
.LBB94_92:
	s_and_b64 vcc, exec, s[0:1]
	s_cbranch_vccnz .LBB94_94
; %bb.93:
	v_lshl_add_u64 v[92:93], v[102:103], 2, v[46:47]
	flat_load_dword v92, v[92:93]
	s_waitcnt vmcnt(0) lgkmcnt(0)
	v_mul_f32_e32 v92, s33, v92
	s_branch .LBB94_95
.LBB94_94:
	v_mov_b32_e32 v92, 0
.LBB94_95:
	v_max_f32_e32 v93, v40, v40
	v_max_f32_e32 v94, v24, v24
	v_min_f32_e32 v94, v94, v93
	v_max_f32_e32 v93, v41, v41
	v_max_f32_e32 v95, v25, v25
	v_min_f32_e32 v95, v95, v93
	v_pk_add_f32 v[90:91], v[90:91], v[94:95]
	v_max_f32_e32 v93, v42, v42
	v_max_f32_e32 v94, v26, v26
	v_min_f32_e32 v94, v94, v93
	v_max_f32_e32 v93, v43, v43
	v_max_f32_e32 v95, v27, v27
	v_min_f32_e32 v95, v95, v93
	v_pk_add_f32 v[90:91], v[90:91], v[94:95]
	s_nop 0
	v_add_f32_e32 v90, v90, v91
	v_add_f32_e32 v92, v90, v92
	v_lshl_add_u64 v[90:91], v[102:103], 2, v[44:45]
	global_store_dword v[90:91], v92, off
	s_or_b64 exec, exec, s[26:27]
	s_and_b64 s[30:31], s[8:9], s[18:19]
	s_and_saveexec_b64 s[26:27], s[30:31]
	s_cbranch_execz .LBB94_80
.LBB94_96:
	s_and_b64 vcc, exec, s[0:1]
	s_cbranch_vccnz .LBB94_98
; %bb.97:
	v_lshl_add_u64 v[90:91], v[104:105], 2, v[46:47]
	flat_load_dword v90, v[90:91]
	s_waitcnt vmcnt(0) lgkmcnt(0)
	v_mul_f32_e32 v90, s33, v90
	s_branch .LBB94_99
.LBB94_98:
	v_mov_b32_e32 v90, 0
.LBB94_99:
	v_max_f32_e32 v91, v40, v40
	v_max_f32_e32 v92, v20, v20
	v_min_f32_e32 v92, v92, v91
	v_max_f32_e32 v91, v41, v41
	v_max_f32_e32 v93, v21, v21
	v_min_f32_e32 v93, v93, v91
	v_pk_add_f32 v[88:89], v[88:89], v[92:93]
	v_max_f32_e32 v91, v42, v42
	v_max_f32_e32 v92, v22, v22
	v_min_f32_e32 v92, v92, v91
	v_max_f32_e32 v91, v43, v43
	v_max_f32_e32 v93, v23, v23
	v_min_f32_e32 v93, v93, v91
	v_pk_add_f32 v[88:89], v[88:89], v[92:93]
	s_nop 0
	v_add_f32_e32 v88, v88, v89
	v_add_f32_e32 v90, v88, v90
	v_lshl_add_u64 v[88:89], v[104:105], 2, v[44:45]
	global_store_dword v[88:89], v90, off
	s_or_b64 exec, exec, s[26:27]
	s_and_b64 s[30:31], s[10:11], s[18:19]
	s_and_saveexec_b64 s[26:27], s[30:31]
	s_cbranch_execz .LBB94_81
.LBB94_100:
	s_and_b64 vcc, exec, s[0:1]
	s_cbranch_vccnz .LBB94_102
; %bb.101:
	v_lshl_add_u64 v[88:89], v[106:107], 2, v[46:47]
	flat_load_dword v88, v[88:89]
	s_waitcnt vmcnt(0) lgkmcnt(0)
	v_mul_f32_e32 v88, s33, v88
	s_branch .LBB94_103
.LBB94_102:
	v_mov_b32_e32 v88, 0
.LBB94_103:
	v_max_f32_e32 v89, v40, v40
	v_max_f32_e32 v90, v16, v16
	v_min_f32_e32 v90, v90, v89
	v_max_f32_e32 v89, v41, v41
	v_max_f32_e32 v91, v17, v17
	v_min_f32_e32 v91, v91, v89
	v_pk_add_f32 v[86:87], v[86:87], v[90:91]
	v_max_f32_e32 v89, v42, v42
	v_max_f32_e32 v90, v18, v18
	v_min_f32_e32 v90, v90, v89
	v_max_f32_e32 v89, v43, v43
	v_max_f32_e32 v91, v19, v19
	v_min_f32_e32 v91, v91, v89
	v_pk_add_f32 v[86:87], v[86:87], v[90:91]
	s_nop 0
	v_add_f32_e32 v86, v86, v87
	v_add_f32_e32 v88, v86, v88
	v_lshl_add_u64 v[86:87], v[106:107], 2, v[44:45]
	global_store_dword v[86:87], v88, off
	s_or_b64 exec, exec, s[26:27]
	s_and_b64 s[30:31], s[12:13], s[18:19]
	s_and_saveexec_b64 s[26:27], s[30:31]
	s_cbranch_execz .LBB94_82
.LBB94_104:
	s_and_b64 vcc, exec, s[0:1]
	s_cbranch_vccnz .LBB94_106
; %bb.105:
	v_lshl_add_u64 v[86:87], v[108:109], 2, v[46:47]
	flat_load_dword v86, v[86:87]
	s_waitcnt vmcnt(0) lgkmcnt(0)
	v_mul_f32_e32 v86, s33, v86
	s_branch .LBB94_107
.LBB94_106:
	v_mov_b32_e32 v86, 0
.LBB94_107:
	v_max_f32_e32 v87, v40, v40
	v_max_f32_e32 v88, v12, v12
	v_min_f32_e32 v88, v88, v87
	v_max_f32_e32 v87, v41, v41
	v_max_f32_e32 v89, v13, v13
	v_min_f32_e32 v89, v89, v87
	v_pk_add_f32 v[84:85], v[84:85], v[88:89]
	v_max_f32_e32 v87, v42, v42
	v_max_f32_e32 v88, v14, v14
	v_min_f32_e32 v88, v88, v87
	v_max_f32_e32 v87, v43, v43
	v_max_f32_e32 v89, v15, v15
	v_min_f32_e32 v89, v89, v87
	v_pk_add_f32 v[84:85], v[84:85], v[88:89]
	s_nop 0
	v_add_f32_e32 v84, v84, v85
	v_add_f32_e32 v86, v84, v86
	v_lshl_add_u64 v[84:85], v[108:109], 2, v[44:45]
	global_store_dword v[84:85], v86, off
	s_or_b64 exec, exec, s[26:27]
	s_and_b64 s[30:31], s[14:15], s[18:19]
	s_and_saveexec_b64 s[26:27], s[30:31]
	s_cbranch_execz .LBB94_83
.LBB94_108:
	s_and_b64 vcc, exec, s[0:1]
	s_cbranch_vccnz .LBB94_110
; %bb.109:
	v_lshl_add_u64 v[84:85], v[110:111], 2, v[46:47]
	flat_load_dword v84, v[84:85]
	s_waitcnt vmcnt(0) lgkmcnt(0)
	v_mul_f32_e32 v84, s33, v84
	s_branch .LBB94_111
.LBB94_110:
	v_mov_b32_e32 v84, 0
.LBB94_111:
	v_max_f32_e32 v85, v40, v40
	v_max_f32_e32 v86, v8, v8
	v_min_f32_e32 v86, v86, v85
	v_max_f32_e32 v85, v41, v41
	v_max_f32_e32 v87, v9, v9
	v_min_f32_e32 v87, v87, v85
	v_pk_add_f32 v[82:83], v[82:83], v[86:87]
	v_max_f32_e32 v85, v42, v42
	v_max_f32_e32 v86, v10, v10
	v_min_f32_e32 v86, v86, v85
	v_max_f32_e32 v85, v43, v43
	v_max_f32_e32 v87, v11, v11
	v_min_f32_e32 v87, v87, v85
	v_pk_add_f32 v[82:83], v[82:83], v[86:87]
	s_nop 0
	v_add_f32_e32 v82, v82, v83
	v_add_f32_e32 v84, v82, v84
	v_lshl_add_u64 v[82:83], v[110:111], 2, v[44:45]
	global_store_dword v[82:83], v84, off
	s_or_b64 exec, exec, s[26:27]
	s_and_b64 s[26:27], s[16:17], s[18:19]
	s_and_saveexec_b64 s[18:19], s[26:27]
	s_cbranch_execz .LBB94_116
.LBB94_112:
	s_and_b64 vcc, exec, s[0:1]
	s_cbranch_vccnz .LBB94_114
; %bb.113:
	v_lshl_add_u64 v[46:47], v[112:113], 2, v[46:47]
	flat_load_dword v46, v[46:47]
	s_waitcnt vmcnt(0) lgkmcnt(0)
	v_mul_f32_e32 v46, s33, v46
	s_branch .LBB94_115
.LBB94_114:
	v_mov_b32_e32 v46, 0
.LBB94_115:
	v_max_f32_e32 v41, v41, v41
	v_max_f32_e32 v47, v5, v5
	v_min_f32_e32 v41, v47, v41
	v_max_f32_e32 v40, v40, v40
	v_max_f32_e32 v47, v4, v4
	v_min_f32_e32 v40, v47, v40
	;; [unrolled: 3-line block ×3, first 2 shown]
	v_max_f32_e32 v42, v42, v42
	v_max_f32_e32 v47, v6, v6
	v_pk_add_f32 v[40:41], v[80:81], v[40:41]
	v_min_f32_e32 v42, v47, v42
	v_pk_add_f32 v[40:41], v[40:41], v[42:43]
	s_nop 0
	v_add_f32_e32 v40, v40, v41
	v_add_f32_e32 v42, v40, v46
	v_lshl_add_u64 v[40:41], v[112:113], 2, v[44:45]
	global_store_dword v[40:41], v42, off
.LBB94_116:
	s_or_b64 exec, exec, s[18:19]
	v_add_u32_e32 v44, 64, v128
	v_mad_i64_i32 v[40:41], s[26:27], v44, s29, 0
	v_cmp_gt_i32_e64 s[18:19], s21, v44
	v_lshl_add_u64 v[42:43], v[40:41], 2, s[24:25]
	v_mad_i64_i32 v[40:41], s[26:27], v44, s28, 0
	v_lshl_add_u64 v[40:41], v[40:41], 2, s[22:23]
	s_and_b64 s[30:31], s[2:3], s[18:19]
	s_and_saveexec_b64 s[26:27], s[30:31]
	s_cbranch_execnz .LBB94_124
; %bb.117:
	s_or_b64 exec, exec, s[26:27]
	s_and_b64 s[30:31], s[4:5], s[18:19]
	s_and_saveexec_b64 s[26:27], s[30:31]
	s_cbranch_execnz .LBB94_128
.LBB94_118:
	s_or_b64 exec, exec, s[26:27]
	s_and_b64 s[30:31], s[6:7], s[18:19]
	s_and_saveexec_b64 s[26:27], s[30:31]
	s_cbranch_execnz .LBB94_132
.LBB94_119:
	s_or_b64 exec, exec, s[26:27]
	s_and_b64 s[30:31], s[8:9], s[18:19]
	s_and_saveexec_b64 s[26:27], s[30:31]
	s_cbranch_execnz .LBB94_136
.LBB94_120:
	s_or_b64 exec, exec, s[26:27]
	s_and_b64 s[30:31], s[10:11], s[18:19]
	s_and_saveexec_b64 s[26:27], s[30:31]
	s_cbranch_execnz .LBB94_140
.LBB94_121:
	s_or_b64 exec, exec, s[26:27]
	s_and_b64 s[30:31], s[12:13], s[18:19]
	s_and_saveexec_b64 s[26:27], s[30:31]
	s_cbranch_execnz .LBB94_144
.LBB94_122:
	s_or_b64 exec, exec, s[26:27]
	s_and_b64 s[30:31], s[14:15], s[18:19]
	s_and_saveexec_b64 s[26:27], s[30:31]
	s_cbranch_execnz .LBB94_148
.LBB94_123:
	s_or_b64 exec, exec, s[26:27]
	s_and_b64 s[26:27], s[16:17], s[18:19]
	s_and_saveexec_b64 s[18:19], s[26:27]
	s_cbranch_execnz .LBB94_152
	s_branch .LBB94_156
.LBB94_124:
	s_and_b64 vcc, exec, s[0:1]
	s_cbranch_vccnz .LBB94_126
; %bb.125:
	v_lshl_add_u64 v[44:45], v[98:99], 2, v[42:43]
	flat_load_dword v44, v[44:45]
	s_waitcnt vmcnt(0) lgkmcnt(0)
	v_mul_f32_e32 v44, s33, v44
	s_branch .LBB94_127
.LBB94_126:
	v_mov_b32_e32 v44, 0
.LBB94_127:
	v_max_f32_e32 v45, v36, v36
	v_max_f32_e32 v46, v32, v32
	v_min_f32_e32 v46, v46, v45
	v_max_f32_e32 v45, v37, v37
	v_max_f32_e32 v47, v33, v33
	v_min_f32_e32 v47, v47, v45
	v_pk_add_f32 v[46:47], v[78:79], v[46:47]
	v_max_f32_e32 v45, v38, v38
	v_max_f32_e32 v78, v34, v34
	v_min_f32_e32 v78, v78, v45
	v_max_f32_e32 v45, v39, v39
	v_max_f32_e32 v79, v35, v35
	v_min_f32_e32 v79, v79, v45
	v_pk_add_f32 v[46:47], v[46:47], v[78:79]
	s_nop 0
	v_add_f32_e32 v45, v46, v47
	v_add_f32_e32 v46, v45, v44
	v_lshl_add_u64 v[44:45], v[98:99], 2, v[40:41]
	global_store_dword v[44:45], v46, off
	s_or_b64 exec, exec, s[26:27]
	s_and_b64 s[30:31], s[4:5], s[18:19]
	s_and_saveexec_b64 s[26:27], s[30:31]
	s_cbranch_execz .LBB94_118
.LBB94_128:
	s_and_b64 vcc, exec, s[0:1]
	s_cbranch_vccnz .LBB94_130
; %bb.129:
	v_lshl_add_u64 v[44:45], v[100:101], 2, v[42:43]
	flat_load_dword v44, v[44:45]
	s_waitcnt vmcnt(0) lgkmcnt(0)
	v_mul_f32_e32 v44, s33, v44
	s_branch .LBB94_131
.LBB94_130:
	v_mov_b32_e32 v44, 0
.LBB94_131:
	v_max_f32_e32 v45, v36, v36
	v_max_f32_e32 v46, v28, v28
	v_min_f32_e32 v46, v46, v45
	v_max_f32_e32 v45, v37, v37
	v_max_f32_e32 v47, v29, v29
	v_min_f32_e32 v47, v47, v45
	v_pk_add_f32 v[46:47], v[76:77], v[46:47]
	v_max_f32_e32 v45, v38, v38
	v_max_f32_e32 v76, v30, v30
	v_min_f32_e32 v76, v76, v45
	v_max_f32_e32 v45, v39, v39
	v_max_f32_e32 v77, v31, v31
	v_min_f32_e32 v77, v77, v45
	v_pk_add_f32 v[46:47], v[46:47], v[76:77]
	s_nop 0
	v_add_f32_e32 v45, v46, v47
	v_add_f32_e32 v46, v45, v44
	v_lshl_add_u64 v[44:45], v[100:101], 2, v[40:41]
	global_store_dword v[44:45], v46, off
	s_or_b64 exec, exec, s[26:27]
	s_and_b64 s[30:31], s[6:7], s[18:19]
	s_and_saveexec_b64 s[26:27], s[30:31]
	s_cbranch_execz .LBB94_119
.LBB94_132:
	s_and_b64 vcc, exec, s[0:1]
	s_cbranch_vccnz .LBB94_134
; %bb.133:
	v_lshl_add_u64 v[44:45], v[102:103], 2, v[42:43]
	flat_load_dword v44, v[44:45]
	s_waitcnt vmcnt(0) lgkmcnt(0)
	v_mul_f32_e32 v44, s33, v44
	s_branch .LBB94_135
.LBB94_134:
	v_mov_b32_e32 v44, 0
.LBB94_135:
	v_max_f32_e32 v45, v36, v36
	v_max_f32_e32 v46, v24, v24
	v_min_f32_e32 v46, v46, v45
	v_max_f32_e32 v45, v37, v37
	v_max_f32_e32 v47, v25, v25
	v_min_f32_e32 v47, v47, v45
	v_pk_add_f32 v[46:47], v[74:75], v[46:47]
	v_max_f32_e32 v45, v38, v38
	v_max_f32_e32 v74, v26, v26
	v_min_f32_e32 v74, v74, v45
	v_max_f32_e32 v45, v39, v39
	v_max_f32_e32 v75, v27, v27
	v_min_f32_e32 v75, v75, v45
	v_pk_add_f32 v[46:47], v[46:47], v[74:75]
	s_nop 0
	v_add_f32_e32 v45, v46, v47
	v_add_f32_e32 v46, v45, v44
	v_lshl_add_u64 v[44:45], v[102:103], 2, v[40:41]
	global_store_dword v[44:45], v46, off
	s_or_b64 exec, exec, s[26:27]
	s_and_b64 s[30:31], s[8:9], s[18:19]
	s_and_saveexec_b64 s[26:27], s[30:31]
	s_cbranch_execz .LBB94_120
.LBB94_136:
	s_and_b64 vcc, exec, s[0:1]
	s_cbranch_vccnz .LBB94_138
; %bb.137:
	v_lshl_add_u64 v[44:45], v[104:105], 2, v[42:43]
	flat_load_dword v44, v[44:45]
	s_waitcnt vmcnt(0) lgkmcnt(0)
	v_mul_f32_e32 v44, s33, v44
	s_branch .LBB94_139
.LBB94_138:
	v_mov_b32_e32 v44, 0
.LBB94_139:
	v_max_f32_e32 v45, v36, v36
	v_max_f32_e32 v46, v20, v20
	v_min_f32_e32 v46, v46, v45
	v_max_f32_e32 v45, v37, v37
	v_max_f32_e32 v47, v21, v21
	v_min_f32_e32 v47, v47, v45
	v_pk_add_f32 v[46:47], v[72:73], v[46:47]
	v_max_f32_e32 v45, v38, v38
	v_max_f32_e32 v72, v22, v22
	v_min_f32_e32 v72, v72, v45
	v_max_f32_e32 v45, v39, v39
	v_max_f32_e32 v73, v23, v23
	v_min_f32_e32 v73, v73, v45
	v_pk_add_f32 v[46:47], v[46:47], v[72:73]
	s_nop 0
	v_add_f32_e32 v45, v46, v47
	v_add_f32_e32 v46, v45, v44
	v_lshl_add_u64 v[44:45], v[104:105], 2, v[40:41]
	global_store_dword v[44:45], v46, off
	s_or_b64 exec, exec, s[26:27]
	s_and_b64 s[30:31], s[10:11], s[18:19]
	s_and_saveexec_b64 s[26:27], s[30:31]
	s_cbranch_execz .LBB94_121
.LBB94_140:
	s_and_b64 vcc, exec, s[0:1]
	s_cbranch_vccnz .LBB94_142
; %bb.141:
	v_lshl_add_u64 v[44:45], v[106:107], 2, v[42:43]
	flat_load_dword v44, v[44:45]
	s_waitcnt vmcnt(0) lgkmcnt(0)
	v_mul_f32_e32 v44, s33, v44
	s_branch .LBB94_143
.LBB94_142:
	v_mov_b32_e32 v44, 0
.LBB94_143:
	v_max_f32_e32 v45, v36, v36
	v_max_f32_e32 v46, v16, v16
	v_min_f32_e32 v46, v46, v45
	v_max_f32_e32 v45, v37, v37
	v_max_f32_e32 v47, v17, v17
	v_min_f32_e32 v47, v47, v45
	v_pk_add_f32 v[46:47], v[70:71], v[46:47]
	v_max_f32_e32 v45, v38, v38
	v_max_f32_e32 v70, v18, v18
	v_min_f32_e32 v70, v70, v45
	v_max_f32_e32 v45, v39, v39
	v_max_f32_e32 v71, v19, v19
	v_min_f32_e32 v71, v71, v45
	v_pk_add_f32 v[46:47], v[46:47], v[70:71]
	s_nop 0
	v_add_f32_e32 v45, v46, v47
	v_add_f32_e32 v46, v45, v44
	v_lshl_add_u64 v[44:45], v[106:107], 2, v[40:41]
	global_store_dword v[44:45], v46, off
	s_or_b64 exec, exec, s[26:27]
	s_and_b64 s[30:31], s[12:13], s[18:19]
	s_and_saveexec_b64 s[26:27], s[30:31]
	s_cbranch_execz .LBB94_122
.LBB94_144:
	s_and_b64 vcc, exec, s[0:1]
	s_cbranch_vccnz .LBB94_146
; %bb.145:
	v_lshl_add_u64 v[44:45], v[108:109], 2, v[42:43]
	flat_load_dword v44, v[44:45]
	s_waitcnt vmcnt(0) lgkmcnt(0)
	v_mul_f32_e32 v44, s33, v44
	s_branch .LBB94_147
.LBB94_146:
	v_mov_b32_e32 v44, 0
.LBB94_147:
	v_max_f32_e32 v45, v36, v36
	v_max_f32_e32 v46, v12, v12
	v_min_f32_e32 v46, v46, v45
	v_max_f32_e32 v45, v37, v37
	v_max_f32_e32 v47, v13, v13
	v_min_f32_e32 v47, v47, v45
	v_pk_add_f32 v[46:47], v[68:69], v[46:47]
	v_max_f32_e32 v45, v38, v38
	v_max_f32_e32 v68, v14, v14
	v_min_f32_e32 v68, v68, v45
	v_max_f32_e32 v45, v39, v39
	v_max_f32_e32 v69, v15, v15
	v_min_f32_e32 v69, v69, v45
	v_pk_add_f32 v[46:47], v[46:47], v[68:69]
	s_nop 0
	v_add_f32_e32 v45, v46, v47
	v_add_f32_e32 v46, v45, v44
	v_lshl_add_u64 v[44:45], v[108:109], 2, v[40:41]
	global_store_dword v[44:45], v46, off
	s_or_b64 exec, exec, s[26:27]
	s_and_b64 s[30:31], s[14:15], s[18:19]
	s_and_saveexec_b64 s[26:27], s[30:31]
	s_cbranch_execz .LBB94_123
.LBB94_148:
	s_and_b64 vcc, exec, s[0:1]
	s_cbranch_vccnz .LBB94_150
; %bb.149:
	v_lshl_add_u64 v[44:45], v[110:111], 2, v[42:43]
	flat_load_dword v44, v[44:45]
	s_waitcnt vmcnt(0) lgkmcnt(0)
	v_mul_f32_e32 v44, s33, v44
	s_branch .LBB94_151
.LBB94_150:
	v_mov_b32_e32 v44, 0
.LBB94_151:
	v_max_f32_e32 v45, v36, v36
	v_max_f32_e32 v46, v8, v8
	v_min_f32_e32 v46, v46, v45
	v_max_f32_e32 v45, v37, v37
	v_max_f32_e32 v47, v9, v9
	v_min_f32_e32 v47, v47, v45
	v_pk_add_f32 v[46:47], v[66:67], v[46:47]
	v_max_f32_e32 v45, v38, v38
	v_max_f32_e32 v66, v10, v10
	v_min_f32_e32 v66, v66, v45
	v_max_f32_e32 v45, v39, v39
	v_max_f32_e32 v67, v11, v11
	v_min_f32_e32 v67, v67, v45
	v_pk_add_f32 v[46:47], v[46:47], v[66:67]
	s_nop 0
	v_add_f32_e32 v45, v46, v47
	v_add_f32_e32 v46, v45, v44
	v_lshl_add_u64 v[44:45], v[110:111], 2, v[40:41]
	global_store_dword v[44:45], v46, off
	s_or_b64 exec, exec, s[26:27]
	s_and_b64 s[26:27], s[16:17], s[18:19]
	s_and_saveexec_b64 s[18:19], s[26:27]
	s_cbranch_execz .LBB94_156
.LBB94_152:
	s_and_b64 vcc, exec, s[0:1]
	s_cbranch_vccnz .LBB94_154
; %bb.153:
	v_lshl_add_u64 v[42:43], v[112:113], 2, v[42:43]
	flat_load_dword v42, v[42:43]
	s_waitcnt vmcnt(0) lgkmcnt(0)
	v_mul_f32_e32 v42, s33, v42
	s_branch .LBB94_155
.LBB94_154:
	v_mov_b32_e32 v42, 0
.LBB94_155:
	v_max_f32_e32 v37, v37, v37
	v_max_f32_e32 v43, v5, v5
	v_min_f32_e32 v37, v43, v37
	v_max_f32_e32 v36, v36, v36
	v_max_f32_e32 v43, v4, v4
	v_min_f32_e32 v36, v43, v36
	;; [unrolled: 3-line block ×3, first 2 shown]
	v_max_f32_e32 v38, v38, v38
	v_max_f32_e32 v43, v6, v6
	v_pk_add_f32 v[36:37], v[64:65], v[36:37]
	v_min_f32_e32 v38, v43, v38
	v_pk_add_f32 v[36:37], v[36:37], v[38:39]
	s_nop 0
	v_add_f32_e32 v36, v36, v37
	v_add_f32_e32 v38, v36, v42
	v_lshl_add_u64 v[36:37], v[112:113], 2, v[40:41]
	global_store_dword v[36:37], v38, off
.LBB94_156:
	s_or_b64 exec, exec, s[18:19]
	v_add_u32_e32 v40, 0x60, v128
	v_cmp_gt_i32_e64 s[18:19], s21, v40
	v_mad_i64_i32 v[36:37], s[20:21], v40, s29, 0
	v_lshl_add_u64 v[38:39], v[36:37], 2, s[24:25]
	v_mad_i64_i32 v[36:37], s[20:21], v40, s28, 0
	v_lshl_add_u64 v[36:37], v[36:37], 2, s[22:23]
	s_and_b64 s[20:21], s[2:3], s[18:19]
	s_and_saveexec_b64 s[2:3], s[20:21]
	s_cbranch_execnz .LBB94_165
; %bb.157:
	s_or_b64 exec, exec, s[2:3]
	s_and_b64 s[4:5], s[4:5], s[18:19]
	s_and_saveexec_b64 s[2:3], s[4:5]
	s_cbranch_execnz .LBB94_169
.LBB94_158:
	s_or_b64 exec, exec, s[2:3]
	s_and_b64 s[4:5], s[6:7], s[18:19]
	s_and_saveexec_b64 s[2:3], s[4:5]
	s_cbranch_execnz .LBB94_173
.LBB94_159:
	s_or_b64 exec, exec, s[2:3]
	s_and_b64 s[4:5], s[8:9], s[18:19]
	s_and_saveexec_b64 s[2:3], s[4:5]
	s_cbranch_execnz .LBB94_177
.LBB94_160:
	s_or_b64 exec, exec, s[2:3]
	s_and_b64 s[4:5], s[10:11], s[18:19]
	s_and_saveexec_b64 s[2:3], s[4:5]
	s_cbranch_execnz .LBB94_181
.LBB94_161:
	s_or_b64 exec, exec, s[2:3]
	s_and_b64 s[4:5], s[12:13], s[18:19]
	s_and_saveexec_b64 s[2:3], s[4:5]
	s_cbranch_execnz .LBB94_185
.LBB94_162:
	s_or_b64 exec, exec, s[2:3]
	s_and_b64 s[4:5], s[14:15], s[18:19]
	s_and_saveexec_b64 s[2:3], s[4:5]
	s_cbranch_execnz .LBB94_189
.LBB94_163:
	s_or_b64 exec, exec, s[2:3]
	s_and_b64 s[2:3], s[16:17], s[18:19]
	s_and_saveexec_b64 s[4:5], s[2:3]
	s_cbranch_execnz .LBB94_193
.LBB94_164:
	s_endpgm
.LBB94_165:
	s_and_b64 vcc, exec, s[0:1]
	s_cbranch_vccnz .LBB94_167
; %bb.166:
	v_lshl_add_u64 v[40:41], v[98:99], 2, v[38:39]
	flat_load_dword v40, v[40:41]
	s_waitcnt vmcnt(0) lgkmcnt(0)
	v_mul_f32_e32 v40, s33, v40
	s_branch .LBB94_168
.LBB94_167:
	v_mov_b32_e32 v40, 0
.LBB94_168:
	v_max_f32_e32 v41, v1, v1
	v_max_f32_e32 v33, v33, v33
	v_min_f32_e32 v33, v33, v41
	v_max_f32_e32 v41, v0, v0
	v_max_f32_e32 v32, v32, v32
	v_min_f32_e32 v32, v32, v41
	;; [unrolled: 3-line block ×3, first 2 shown]
	v_max_f32_e32 v41, v2, v2
	v_max_f32_e32 v34, v34, v34
	v_pk_add_f32 v[32:33], v[62:63], v[32:33]
	v_min_f32_e32 v34, v34, v41
	v_pk_add_f32 v[32:33], v[32:33], v[34:35]
	s_nop 0
	v_add_f32_e32 v32, v32, v33
	v_add_f32_e32 v34, v32, v40
	v_lshl_add_u64 v[32:33], v[98:99], 2, v[36:37]
	global_store_dword v[32:33], v34, off
	s_or_b64 exec, exec, s[2:3]
	s_and_b64 s[4:5], s[4:5], s[18:19]
	s_and_saveexec_b64 s[2:3], s[4:5]
	s_cbranch_execz .LBB94_158
.LBB94_169:
	s_and_b64 vcc, exec, s[0:1]
	s_cbranch_vccnz .LBB94_171
; %bb.170:
	v_lshl_add_u64 v[32:33], v[100:101], 2, v[38:39]
	flat_load_dword v32, v[32:33]
	s_waitcnt vmcnt(0) lgkmcnt(0)
	v_mul_f32_e32 v32, s33, v32
	s_branch .LBB94_172
.LBB94_171:
	v_mov_b32_e32 v32, 0
.LBB94_172:
	v_max_f32_e32 v33, v1, v1
	v_max_f32_e32 v29, v29, v29
	v_min_f32_e32 v29, v29, v33
	v_max_f32_e32 v33, v0, v0
	v_max_f32_e32 v28, v28, v28
	v_min_f32_e32 v28, v28, v33
	;; [unrolled: 3-line block ×3, first 2 shown]
	v_max_f32_e32 v33, v2, v2
	v_max_f32_e32 v30, v30, v30
	v_pk_add_f32 v[28:29], v[60:61], v[28:29]
	v_min_f32_e32 v30, v30, v33
	v_pk_add_f32 v[28:29], v[28:29], v[30:31]
	s_nop 0
	v_add_f32_e32 v28, v28, v29
	v_add_f32_e32 v30, v28, v32
	v_lshl_add_u64 v[28:29], v[100:101], 2, v[36:37]
	global_store_dword v[28:29], v30, off
	s_or_b64 exec, exec, s[2:3]
	s_and_b64 s[4:5], s[6:7], s[18:19]
	s_and_saveexec_b64 s[2:3], s[4:5]
	s_cbranch_execz .LBB94_159
.LBB94_173:
	s_and_b64 vcc, exec, s[0:1]
	s_cbranch_vccnz .LBB94_175
; %bb.174:
	v_lshl_add_u64 v[28:29], v[102:103], 2, v[38:39]
	flat_load_dword v28, v[28:29]
	s_waitcnt vmcnt(0) lgkmcnt(0)
	v_mul_f32_e32 v28, s33, v28
	s_branch .LBB94_176
.LBB94_175:
	v_mov_b32_e32 v28, 0
.LBB94_176:
	v_max_f32_e32 v29, v1, v1
	v_max_f32_e32 v25, v25, v25
	v_min_f32_e32 v25, v25, v29
	v_max_f32_e32 v29, v0, v0
	v_max_f32_e32 v24, v24, v24
	v_min_f32_e32 v24, v24, v29
	;; [unrolled: 3-line block ×3, first 2 shown]
	v_max_f32_e32 v29, v2, v2
	v_max_f32_e32 v26, v26, v26
	v_pk_add_f32 v[24:25], v[58:59], v[24:25]
	v_min_f32_e32 v26, v26, v29
	v_pk_add_f32 v[24:25], v[24:25], v[26:27]
	s_nop 0
	v_add_f32_e32 v24, v24, v25
	v_add_f32_e32 v26, v24, v28
	v_lshl_add_u64 v[24:25], v[102:103], 2, v[36:37]
	global_store_dword v[24:25], v26, off
	s_or_b64 exec, exec, s[2:3]
	s_and_b64 s[4:5], s[8:9], s[18:19]
	s_and_saveexec_b64 s[2:3], s[4:5]
	s_cbranch_execz .LBB94_160
.LBB94_177:
	s_and_b64 vcc, exec, s[0:1]
	s_cbranch_vccnz .LBB94_179
; %bb.178:
	v_lshl_add_u64 v[24:25], v[104:105], 2, v[38:39]
	flat_load_dword v24, v[24:25]
	s_waitcnt vmcnt(0) lgkmcnt(0)
	v_mul_f32_e32 v24, s33, v24
	s_branch .LBB94_180
.LBB94_179:
	v_mov_b32_e32 v24, 0
.LBB94_180:
	v_max_f32_e32 v25, v1, v1
	v_max_f32_e32 v21, v21, v21
	v_min_f32_e32 v21, v21, v25
	v_max_f32_e32 v25, v0, v0
	v_max_f32_e32 v20, v20, v20
	v_min_f32_e32 v20, v20, v25
	;; [unrolled: 3-line block ×3, first 2 shown]
	v_max_f32_e32 v25, v2, v2
	v_max_f32_e32 v22, v22, v22
	v_pk_add_f32 v[20:21], v[56:57], v[20:21]
	v_min_f32_e32 v22, v22, v25
	v_pk_add_f32 v[20:21], v[20:21], v[22:23]
	s_nop 0
	v_add_f32_e32 v20, v20, v21
	v_add_f32_e32 v22, v20, v24
	v_lshl_add_u64 v[20:21], v[104:105], 2, v[36:37]
	global_store_dword v[20:21], v22, off
	s_or_b64 exec, exec, s[2:3]
	s_and_b64 s[4:5], s[10:11], s[18:19]
	s_and_saveexec_b64 s[2:3], s[4:5]
	s_cbranch_execz .LBB94_161
.LBB94_181:
	s_and_b64 vcc, exec, s[0:1]
	s_cbranch_vccnz .LBB94_183
; %bb.182:
	v_lshl_add_u64 v[20:21], v[106:107], 2, v[38:39]
	flat_load_dword v20, v[20:21]
	s_waitcnt vmcnt(0) lgkmcnt(0)
	v_mul_f32_e32 v20, s33, v20
	s_branch .LBB94_184
.LBB94_183:
	v_mov_b32_e32 v20, 0
.LBB94_184:
	v_max_f32_e32 v21, v1, v1
	v_max_f32_e32 v17, v17, v17
	v_min_f32_e32 v17, v17, v21
	v_max_f32_e32 v21, v0, v0
	v_max_f32_e32 v16, v16, v16
	v_min_f32_e32 v16, v16, v21
	;; [unrolled: 3-line block ×3, first 2 shown]
	v_max_f32_e32 v21, v2, v2
	v_max_f32_e32 v18, v18, v18
	v_pk_add_f32 v[16:17], v[54:55], v[16:17]
	v_min_f32_e32 v18, v18, v21
	v_pk_add_f32 v[16:17], v[16:17], v[18:19]
	s_nop 0
	v_add_f32_e32 v16, v16, v17
	v_add_f32_e32 v18, v16, v20
	v_lshl_add_u64 v[16:17], v[106:107], 2, v[36:37]
	global_store_dword v[16:17], v18, off
	s_or_b64 exec, exec, s[2:3]
	s_and_b64 s[4:5], s[12:13], s[18:19]
	s_and_saveexec_b64 s[2:3], s[4:5]
	s_cbranch_execz .LBB94_162
.LBB94_185:
	s_and_b64 vcc, exec, s[0:1]
	s_cbranch_vccnz .LBB94_187
; %bb.186:
	v_lshl_add_u64 v[16:17], v[108:109], 2, v[38:39]
	flat_load_dword v16, v[16:17]
	s_waitcnt vmcnt(0) lgkmcnt(0)
	v_mul_f32_e32 v16, s33, v16
	s_branch .LBB94_188
.LBB94_187:
	v_mov_b32_e32 v16, 0
.LBB94_188:
	v_max_f32_e32 v17, v1, v1
	v_max_f32_e32 v13, v13, v13
	v_min_f32_e32 v13, v13, v17
	v_max_f32_e32 v17, v0, v0
	v_max_f32_e32 v12, v12, v12
	v_min_f32_e32 v12, v12, v17
	;; [unrolled: 3-line block ×3, first 2 shown]
	v_max_f32_e32 v17, v2, v2
	v_max_f32_e32 v14, v14, v14
	v_pk_add_f32 v[12:13], v[52:53], v[12:13]
	v_min_f32_e32 v14, v14, v17
	v_pk_add_f32 v[12:13], v[12:13], v[14:15]
	s_nop 0
	v_add_f32_e32 v12, v12, v13
	v_add_f32_e32 v14, v12, v16
	v_lshl_add_u64 v[12:13], v[108:109], 2, v[36:37]
	global_store_dword v[12:13], v14, off
	s_or_b64 exec, exec, s[2:3]
	s_and_b64 s[4:5], s[14:15], s[18:19]
	s_and_saveexec_b64 s[2:3], s[4:5]
	s_cbranch_execz .LBB94_163
.LBB94_189:
	s_and_b64 vcc, exec, s[0:1]
	s_cbranch_vccnz .LBB94_191
; %bb.190:
	v_lshl_add_u64 v[12:13], v[110:111], 2, v[38:39]
	flat_load_dword v12, v[12:13]
	s_waitcnt vmcnt(0) lgkmcnt(0)
	v_mul_f32_e32 v12, s33, v12
	s_branch .LBB94_192
.LBB94_191:
	v_mov_b32_e32 v12, 0
.LBB94_192:
	v_max_f32_e32 v13, v1, v1
	v_max_f32_e32 v9, v9, v9
	v_min_f32_e32 v9, v9, v13
	v_max_f32_e32 v13, v0, v0
	v_max_f32_e32 v8, v8, v8
	v_min_f32_e32 v8, v8, v13
	;; [unrolled: 3-line block ×3, first 2 shown]
	v_max_f32_e32 v13, v2, v2
	v_max_f32_e32 v10, v10, v10
	v_pk_add_f32 v[8:9], v[50:51], v[8:9]
	v_min_f32_e32 v10, v10, v13
	v_pk_add_f32 v[8:9], v[8:9], v[10:11]
	s_nop 0
	v_add_f32_e32 v8, v8, v9
	v_add_f32_e32 v10, v8, v12
	v_lshl_add_u64 v[8:9], v[110:111], 2, v[36:37]
	global_store_dword v[8:9], v10, off
	s_or_b64 exec, exec, s[2:3]
	s_and_b64 s[2:3], s[16:17], s[18:19]
	s_and_saveexec_b64 s[4:5], s[2:3]
	s_cbranch_execz .LBB94_164
.LBB94_193:
	s_and_b64 vcc, exec, s[0:1]
	s_cbranch_vccnz .LBB94_195
; %bb.194:
	v_lshl_add_u64 v[8:9], v[112:113], 2, v[38:39]
	flat_load_dword v8, v[8:9]
	s_waitcnt vmcnt(0) lgkmcnt(0)
	v_mul_f32_e32 v8, s33, v8
	s_branch .LBB94_196
.LBB94_195:
	v_mov_b32_e32 v8, 0
.LBB94_196:
	v_max_f32_e32 v0, v0, v0
	v_max_f32_e32 v4, v4, v4
	;; [unrolled: 1-line block ×4, first 2 shown]
	v_min_f32_e32 v0, v4, v0
	v_max_f32_e32 v3, v3, v3
	v_max_f32_e32 v4, v7, v7
	v_min_f32_e32 v1, v5, v1
	v_min_f32_e32 v3, v4, v3
	v_max_f32_e32 v2, v2, v2
	v_max_f32_e32 v4, v6, v6
	v_pk_add_f32 v[0:1], v[48:49], v[0:1]
	v_min_f32_e32 v2, v4, v2
	v_pk_add_f32 v[0:1], v[0:1], v[2:3]
	s_nop 0
	v_add_f32_e32 v0, v0, v1
	v_add_f32_e32 v2, v0, v8
	v_lshl_add_u64 v[0:1], v[112:113], 2, v[36:37]
	global_store_dword v[0:1], v2, off
	s_endpgm
	.section	.rodata,"a",@progbits
	.p2align	6, 0x0
	.amdhsa_kernel _ZN12_GLOBAL__N_120geam_min_plus_kernelIf15HIP_vector_typeIfLj2EES2_Li8ELi32ELi64ELi128ELi4ELi64ELi4ELi64ELi4ELc78ELc84ELb1ELb1ELb0EfKffEEviiiT16_PT17_ilS6_ilS4_S6_ilPT18_ili26rocblas_geam_ex_operation_
		.amdhsa_group_segment_fixed_size 6144
		.amdhsa_private_segment_fixed_size 0
		.amdhsa_kernarg_size 128
		.amdhsa_user_sgpr_count 2
		.amdhsa_user_sgpr_dispatch_ptr 0
		.amdhsa_user_sgpr_queue_ptr 0
		.amdhsa_user_sgpr_kernarg_segment_ptr 1
		.amdhsa_user_sgpr_dispatch_id 0
		.amdhsa_user_sgpr_kernarg_preload_length 0
		.amdhsa_user_sgpr_kernarg_preload_offset 0
		.amdhsa_user_sgpr_private_segment_size 0
		.amdhsa_uses_dynamic_stack 0
		.amdhsa_enable_private_segment 0
		.amdhsa_system_sgpr_workgroup_id_x 1
		.amdhsa_system_sgpr_workgroup_id_y 0
		.amdhsa_system_sgpr_workgroup_id_z 1
		.amdhsa_system_sgpr_workgroup_info 0
		.amdhsa_system_vgpr_workitem_id 1
		.amdhsa_next_free_vgpr 227
		.amdhsa_next_free_sgpr 36
		.amdhsa_accum_offset 228
		.amdhsa_reserve_vcc 1
		.amdhsa_float_round_mode_32 0
		.amdhsa_float_round_mode_16_64 0
		.amdhsa_float_denorm_mode_32 3
		.amdhsa_float_denorm_mode_16_64 3
		.amdhsa_dx10_clamp 1
		.amdhsa_ieee_mode 1
		.amdhsa_fp16_overflow 0
		.amdhsa_tg_split 0
		.amdhsa_exception_fp_ieee_invalid_op 0
		.amdhsa_exception_fp_denorm_src 0
		.amdhsa_exception_fp_ieee_div_zero 0
		.amdhsa_exception_fp_ieee_overflow 0
		.amdhsa_exception_fp_ieee_underflow 0
		.amdhsa_exception_fp_ieee_inexact 0
		.amdhsa_exception_int_div_zero 0
	.end_amdhsa_kernel
	.section	.text._ZN12_GLOBAL__N_120geam_min_plus_kernelIf15HIP_vector_typeIfLj2EES2_Li8ELi32ELi64ELi128ELi4ELi64ELi4ELi64ELi4ELc78ELc84ELb1ELb1ELb0EfKffEEviiiT16_PT17_ilS6_ilS4_S6_ilPT18_ili26rocblas_geam_ex_operation_,"axG",@progbits,_ZN12_GLOBAL__N_120geam_min_plus_kernelIf15HIP_vector_typeIfLj2EES2_Li8ELi32ELi64ELi128ELi4ELi64ELi4ELi64ELi4ELc78ELc84ELb1ELb1ELb0EfKffEEviiiT16_PT17_ilS6_ilS4_S6_ilPT18_ili26rocblas_geam_ex_operation_,comdat
.Lfunc_end94:
	.size	_ZN12_GLOBAL__N_120geam_min_plus_kernelIf15HIP_vector_typeIfLj2EES2_Li8ELi32ELi64ELi128ELi4ELi64ELi4ELi64ELi4ELc78ELc84ELb1ELb1ELb0EfKffEEviiiT16_PT17_ilS6_ilS4_S6_ilPT18_ili26rocblas_geam_ex_operation_, .Lfunc_end94-_ZN12_GLOBAL__N_120geam_min_plus_kernelIf15HIP_vector_typeIfLj2EES2_Li8ELi32ELi64ELi128ELi4ELi64ELi4ELi64ELi4ELc78ELc84ELb1ELb1ELb0EfKffEEviiiT16_PT17_ilS6_ilS4_S6_ilPT18_ili26rocblas_geam_ex_operation_
                                        ; -- End function
	.section	.AMDGPU.csdata,"",@progbits
; Kernel info:
; codeLenInByte = 10976
; NumSgprs: 42
; NumVgprs: 227
; NumAgprs: 0
; TotalNumVgprs: 227
; ScratchSize: 0
; MemoryBound: 0
; FloatMode: 240
; IeeeMode: 1
; LDSByteSize: 6144 bytes/workgroup (compile time only)
; SGPRBlocks: 5
; VGPRBlocks: 28
; NumSGPRsForWavesPerEU: 42
; NumVGPRsForWavesPerEU: 227
; AccumOffset: 228
; Occupancy: 2
; WaveLimiterHint : 0
; COMPUTE_PGM_RSRC2:SCRATCH_EN: 0
; COMPUTE_PGM_RSRC2:USER_SGPR: 2
; COMPUTE_PGM_RSRC2:TRAP_HANDLER: 0
; COMPUTE_PGM_RSRC2:TGID_X_EN: 1
; COMPUTE_PGM_RSRC2:TGID_Y_EN: 0
; COMPUTE_PGM_RSRC2:TGID_Z_EN: 1
; COMPUTE_PGM_RSRC2:TIDIG_COMP_CNT: 1
; COMPUTE_PGM_RSRC3_GFX90A:ACCUM_OFFSET: 56
; COMPUTE_PGM_RSRC3_GFX90A:TG_SPLIT: 0
	.section	.text._ZN12_GLOBAL__N_120geam_min_plus_kernelIf15HIP_vector_typeIfLj2EES2_Li8ELi32ELi64ELi128ELi4ELi64ELi4ELi64ELi4ELc78ELc84ELb0ELb1ELb0EfKffEEviiiT16_PT17_ilS6_ilS4_S6_ilPT18_ili26rocblas_geam_ex_operation_,"axG",@progbits,_ZN12_GLOBAL__N_120geam_min_plus_kernelIf15HIP_vector_typeIfLj2EES2_Li8ELi32ELi64ELi128ELi4ELi64ELi4ELi64ELi4ELc78ELc84ELb0ELb1ELb0EfKffEEviiiT16_PT17_ilS6_ilS4_S6_ilPT18_ili26rocblas_geam_ex_operation_,comdat
	.globl	_ZN12_GLOBAL__N_120geam_min_plus_kernelIf15HIP_vector_typeIfLj2EES2_Li8ELi32ELi64ELi128ELi4ELi64ELi4ELi64ELi4ELc78ELc84ELb0ELb1ELb0EfKffEEviiiT16_PT17_ilS6_ilS4_S6_ilPT18_ili26rocblas_geam_ex_operation_ ; -- Begin function _ZN12_GLOBAL__N_120geam_min_plus_kernelIf15HIP_vector_typeIfLj2EES2_Li8ELi32ELi64ELi128ELi4ELi64ELi4ELi64ELi4ELc78ELc84ELb0ELb1ELb0EfKffEEviiiT16_PT17_ilS6_ilS4_S6_ilPT18_ili26rocblas_geam_ex_operation_
	.p2align	8
	.type	_ZN12_GLOBAL__N_120geam_min_plus_kernelIf15HIP_vector_typeIfLj2EES2_Li8ELi32ELi64ELi128ELi4ELi64ELi4ELi64ELi4ELc78ELc84ELb0ELb1ELb0EfKffEEviiiT16_PT17_ilS6_ilS4_S6_ilPT18_ili26rocblas_geam_ex_operation_,@function
_ZN12_GLOBAL__N_120geam_min_plus_kernelIf15HIP_vector_typeIfLj2EES2_Li8ELi32ELi64ELi128ELi4ELi64ELi4ELi64ELi4ELc78ELc84ELb0ELb1ELb0EfKffEEviiiT16_PT17_ilS6_ilS4_S6_ilPT18_ili26rocblas_geam_ex_operation_: ; @_ZN12_GLOBAL__N_120geam_min_plus_kernelIf15HIP_vector_typeIfLj2EES2_Li8ELi32ELi64ELi128ELi4ELi64ELi4ELi64ELi4ELc78ELc84ELb0ELb1ELb0EfKffEEviiiT16_PT17_ilS6_ilS4_S6_ilPT18_ili26rocblas_geam_ex_operation_
; %bb.0:
	s_load_dwordx4 s[20:23], s[0:1], 0x0
	s_load_dwordx4 s[4:7], s[0:1], 0x20
	s_waitcnt lgkmcnt(0)
	v_cmp_eq_f32_e64 s[8:9], s23, 0
	v_cmp_neq_f32_e64 s[16:17], s23, 0
	s_and_b64 vcc, exec, s[8:9]
	s_cbranch_vccnz .LBB95_3
; %bb.1:
	s_load_dwordx2 s[10:11], s[0:1], 0x10
	s_mul_i32 s5, s3, s5
	s_mul_hi_u32 s12, s3, s4
	s_add_i32 s5, s12, s5
	s_mul_i32 s4, s3, s4
	s_lshl_b64 s[4:5], s[4:5], 2
	s_waitcnt lgkmcnt(0)
	s_add_u32 s28, s10, s4
	s_addc_u32 s29, s11, s5
	s_andn2_b64 vcc, exec, s[8:9]
	s_cbranch_vccnz .LBB95_4
.LBB95_2:
	s_mov_b32 s13, 0
	s_mov_b64 s[18:19], 0
	s_cbranch_execz .LBB95_5
	s_branch .LBB95_6
.LBB95_3:
	s_mov_b64 s[28:29], 0
	s_andn2_b64 vcc, exec, s[8:9]
	s_cbranch_vccz .LBB95_2
.LBB95_4:
                                        ; implicit-def: $sgpr18_sgpr19
                                        ; implicit-def: $sgpr12_sgpr13
.LBB95_5:
	s_load_dwordx2 s[4:5], s[0:1], 0x38
	s_mov_b32 s13, 0
	s_waitcnt lgkmcnt(0)
	s_mul_i32 s5, s3, s5
	s_mul_hi_u32 s8, s3, s4
	s_add_i32 s5, s8, s5
	s_mul_i32 s4, s3, s4
	s_lshl_b64 s[4:5], s[4:5], 2
	s_add_u32 s18, s6, s4
	s_addc_u32 s19, s7, s5
.LBB95_6:
	s_load_dword s33, s[0:1], 0x40
	s_load_dwordx4 s[8:11], s[0:1], 0x58
	s_waitcnt lgkmcnt(0)
	v_cmp_eq_f32_e64 s[4:5], s33, 0
	v_cmp_neq_f32_e64 s[14:15], s33, 0
	s_and_b64 vcc, exec, s[4:5]
	s_cbranch_vccnz .LBB95_8
; %bb.7:
	s_load_dwordx2 s[4:5], s[0:1], 0x48
	s_mul_i32 s6, s3, s9
	s_mul_hi_u32 s7, s3, s8
	s_add_i32 s6, s7, s6
	s_mul_i32 s7, s13, s8
	s_add_i32 s7, s6, s7
	s_mul_i32 s6, s3, s8
	s_lshl_b64 s[6:7], s[6:7], 2
	s_waitcnt lgkmcnt(0)
	s_add_u32 s24, s4, s6
	s_addc_u32 s25, s5, s7
	s_branch .LBB95_9
.LBB95_8:
	s_mov_b64 s[24:25], 0
.LBB95_9:
	s_add_i32 s4, s20, -1
	s_ashr_i32 s5, s4, 31
	s_lshr_b32 s5, s5, 26
	s_add_i32 s4, s4, s5
	s_ashr_i32 s4, s4, 6
	s_add_i32 s5, s4, 1
	v_cvt_f32_u32_e32 v1, s5
	s_not_b32 s4, s4
	s_load_dword s30, s[0:1], 0x18
	v_and_b32_e32 v202, 0x3ff, v0
	v_rcp_iflag_f32_e32 v1, v1
	v_bfe_u32 v203, v0, 10, 10
	v_lshl_add_u32 v0, v203, 3, v202
	s_waitcnt lgkmcnt(0)
	s_ashr_i32 s31, s30, 31
	v_mul_f32_e32 v1, 0x4f7ffffe, v1
	v_cvt_u32_f32_e32 v1, v1
	v_and_b32_e32 v7, 63, v0
	v_lshrrev_b32_e32 v204, 6, v0
	v_mov_b32_e32 v8, 0
	v_readfirstlane_b32 s6, v1
	s_mul_i32 s4, s4, s6
	s_mul_hi_u32 s4, s6, s4
	s_add_i32 s6, s6, s4
	s_mul_hi_u32 s4, s2, s6
	s_mul_i32 s6, s4, s5
	s_sub_i32 s6, s2, s6
	s_add_i32 s7, s4, 1
	s_sub_i32 s8, s6, s5
	s_cmp_ge_u32 s6, s5
	s_cselect_b32 s4, s7, s4
	s_cselect_b32 s6, s8, s6
	s_add_i32 s7, s4, 1
	s_cmp_ge_u32 s6, s5
	s_cselect_b32 s6, s7, s4
	s_mul_i32 s4, s6, s5
	s_sub_i32 s2, s2, s4
	s_lshl_b32 s2, s2, 6
	v_or_b32_e32 v0, s2, v7
	v_cmp_gt_i32_e32 vcc, s20, v0
	v_cmp_gt_i32_e64 s[4:5], s22, v204
	s_and_b64 s[4:5], s[4:5], vcc
	s_and_b64 s[8:9], s[16:17], s[4:5]
	v_ashrrev_i32_e32 v1, 31, v0
	v_mov_b32_e32 v9, 0
	s_and_saveexec_b64 s[4:5], s[8:9]
	s_cbranch_execz .LBB95_11
; %bb.10:
	v_mad_i64_i32 v[2:3], s[8:9], s30, v204, 0
	v_lshl_add_u64 v[2:3], v[2:3], 2, s[28:29]
	v_lshl_add_u64 v[2:3], v[0:1], 2, v[2:3]
	flat_load_dword v2, v[2:3]
	s_waitcnt vmcnt(0) lgkmcnt(0)
	v_mul_f32_e32 v9, s23, v2
.LBB95_11:
	s_or_b64 exec, exec, s[4:5]
	s_load_dword s36, s[0:1], 0x30
	s_lshl_b32 s12, s6, 7
	s_add_i32 s37, s22, -1
	v_or_b32_e32 v72, s12, v7
	v_min_i32_e32 v2, s37, v204
	v_cmp_le_i32_e64 s[6:7], s22, v204
	s_waitcnt lgkmcnt(0)
	v_mad_i64_i32 v[2:3], s[4:5], s36, v2, 0
	v_cmp_le_i32_e64 s[8:9], s21, v72
	s_or_b64 s[4:5], s[6:7], s[8:9]
	s_xor_b64 s[26:27], s[16:17], -1
	s_or_b64 s[4:5], s[4:5], s[26:27]
	v_lshl_add_u64 v[2:3], v[2:3], 2, s[18:19]
	s_xor_b64 s[34:35], s[4:5], -1
	v_ashrrev_i32_e32 v73, 31, v72
	s_and_saveexec_b64 s[4:5], s[34:35]
	s_cbranch_execz .LBB95_13
; %bb.12:
	v_lshl_add_u64 v[4:5], v[72:73], 2, v[2:3]
	flat_load_dword v4, v[4:5]
	s_waitcnt vmcnt(0) lgkmcnt(0)
	v_mul_f32_e32 v8, s23, v4
.LBB95_13:
	s_or_b64 exec, exec, s[4:5]
	v_or_b32_e32 v4, 64, v72
	v_cmp_le_i32_e64 s[4:5], s21, v4
	s_or_b64 s[6:7], s[6:7], s[4:5]
	s_or_b64 s[6:7], s[6:7], s[26:27]
	s_xor_b64 s[34:35], s[6:7], -1
	v_mov_b32_e32 v4, 0
	v_mov_b32_e32 v10, 0
	s_and_saveexec_b64 s[6:7], s[34:35]
	s_cbranch_execz .LBB95_15
; %bb.14:
	v_lshl_add_u64 v[2:3], v[72:73], 2, v[2:3]
	flat_load_dword v2, v[2:3] offset:256
	s_waitcnt vmcnt(0) lgkmcnt(0)
	v_mul_f32_e32 v10, s23, v2
.LBB95_15:
	s_or_b64 exec, exec, s[6:7]
	v_add_u32_e32 v2, 4, v204
	v_cmp_gt_i32_e64 s[6:7], s22, v2
	s_and_b64 s[6:7], vcc, s[6:7]
	s_and_b64 s[34:35], s[16:17], s[6:7]
	s_and_saveexec_b64 s[6:7], s[34:35]
	s_cbranch_execz .LBB95_17
; %bb.16:
	v_mad_u64_u32 v[4:5], s[34:35], s30, v2, 0
	v_mov_b32_e32 v6, v5
	v_mad_u64_u32 v[12:13], s[34:35], s31, v2, v[6:7]
	v_mov_b32_e32 v5, v12
	v_lshl_add_u64 v[4:5], v[4:5], 2, s[28:29]
	v_lshl_add_u64 v[4:5], v[0:1], 2, v[4:5]
	flat_load_dword v3, v[4:5]
	s_waitcnt vmcnt(0) lgkmcnt(0)
	v_mul_f32_e32 v4, s23, v3
.LBB95_17:
	s_or_b64 exec, exec, s[6:7]
	v_cmp_le_i32_e64 s[6:7], s22, v2
	v_min_i32_e32 v2, s37, v2
	v_mad_i64_i32 v[2:3], s[34:35], s36, v2, 0
	s_or_b64 s[34:35], s[8:9], s[6:7]
	s_or_b64 s[34:35], s[34:35], s[26:27]
	v_lshl_add_u64 v[2:3], v[2:3], 2, s[18:19]
	s_xor_b64 s[38:39], s[34:35], -1
	v_mov_b32_e32 v5, 0
	v_mov_b32_e32 v6, 0
	s_and_saveexec_b64 s[34:35], s[38:39]
	s_cbranch_execz .LBB95_19
; %bb.18:
	v_lshl_add_u64 v[12:13], v[72:73], 2, v[2:3]
	flat_load_dword v6, v[12:13]
	s_waitcnt vmcnt(0) lgkmcnt(0)
	v_mul_f32_e32 v6, s23, v6
.LBB95_19:
	s_or_b64 exec, exec, s[34:35]
	s_or_b64 s[6:7], s[4:5], s[6:7]
	s_or_b64 s[6:7], s[6:7], s[26:27]
	s_xor_b64 s[34:35], s[6:7], -1
	s_and_saveexec_b64 s[6:7], s[34:35]
	s_cbranch_execz .LBB95_21
; %bb.20:
	v_lshl_add_u64 v[2:3], v[72:73], 2, v[2:3]
	flat_load_dword v2, v[2:3] offset:256
	s_waitcnt vmcnt(0) lgkmcnt(0)
	v_mul_f32_e32 v5, s23, v2
.LBB95_21:
	s_or_b64 exec, exec, s[6:7]
	v_lshlrev_b32_e32 v2, 2, v204
	v_lshl_add_u32 v207, v7, 4, v2
	v_lshlrev_b32_e32 v206, 4, v203
	ds_write_b32 v207, v9 offset:4096
	ds_write2st64_b32 v207, v8, v10 offset1:4
	s_waitcnt lgkmcnt(0)
	s_barrier
	ds_read_b128 v[8:11], v206
	v_lshlrev_b32_e32 v205, 4, v202
	ds_read_b128 v[12:15], v205 offset:4992
	ds_read_b128 v[16:19], v206 offset:512
	;; [unrolled: 1-line block ×5, first 2 shown]
	s_waitcnt lgkmcnt(5)
	v_max_f32_e32 v7, v9, v9
	v_max_f32_e32 v56, v8, v8
	ds_read_b128 v[32:35], v205 offset:4096
	ds_read_b128 v[36:39], v205 offset:4224
	v_max_f32_e32 v112, v11, v11
	v_max_f32_e32 v113, v10, v10
	ds_read_b128 v[8:11], v205 offset:4352
	s_waitcnt lgkmcnt(7)
	v_max_f32_e32 v60, v13, v13
	v_max_f32_e32 v61, v12, v12
	s_waitcnt lgkmcnt(6)
	v_max_f32_e32 v58, v17, v17
	v_max_f32_e32 v59, v16, v16
	;; [unrolled: 3-line block ×4, first 2 shown]
	v_max_f32_e32 v120, v15, v15
	v_max_f32_e32 v121, v14, v14
	ds_read_b128 v[12:15], v205 offset:4480
	v_max_f32_e32 v122, v19, v19
	v_max_f32_e32 v123, v18, v18
	s_waitcnt lgkmcnt(1)
	v_max_f32_e32 v32, v8, v8
	v_max_f32_e32 v33, v9, v9
	;; [unrolled: 1-line block ×3, first 2 shown]
	ds_read_b128 v[16:19], v205 offset:4608
	v_max_f32_e32 v75, v11, v11
	ds_read_b128 v[8:11], v205 offset:4736
	v_max_f32_e32 v64, v25, v25
	v_max_f32_e32 v65, v24, v24
	;; [unrolled: 1-line block ×4, first 2 shown]
	s_waitcnt lgkmcnt(2)
	v_max_f32_e32 v36, v12, v12
	v_max_f32_e32 v37, v13, v13
	s_waitcnt lgkmcnt(1)
	v_max_f32_e32 v44, v16, v16
	v_max_f32_e32 v45, v17, v17
	;; [unrolled: 3-line block ×3, first 2 shown]
	v_max_f32_e32 v76, v20, v20
	v_max_f32_e32 v77, v21, v21
	v_min_f32_e32 v55, v60, v7
	v_min_f32_e32 v54, v61, v56
	v_max_f32_e32 v125, v30, v30
	v_max_f32_e32 v126, v27, v27
	;; [unrolled: 1-line block ×12, first 2 shown]
	v_min_f32_e32 v2, v28, v56
	v_min_f32_e32 v3, v29, v7
	;; [unrolled: 1-line block ×42, first 2 shown]
	v_pk_add_f32 v[54:55], v[54:55], 0 op_sel_hi:[1,0]
	v_min_f32_e32 v61, v120, v112
	v_min_f32_e32 v60, v121, v113
	v_max_f32_e32 v124, v31, v31
	v_pk_add_f32 v[98:99], v[54:55], v[60:61]
	v_pk_add_f32 v[54:55], v[56:57], 0 op_sel_hi:[1,0]
	v_min_f32_e32 v57, v120, v122
	v_min_f32_e32 v56, v121, v123
	v_max_f32_e32 v68, v34, v34
	v_max_f32_e32 v69, v35, v35
	v_pk_add_f32 v[82:83], v[54:55], v[56:57]
	v_pk_add_f32 v[54:55], v[58:59], 0 op_sel_hi:[1,0]
	v_min_f32_e32 v57, v120, v124
	v_min_f32_e32 v56, v121, v125
	v_max_f32_e32 v71, v39, v39
	v_min_f32_e32 v31, v37, v7
	v_min_f32_e32 v34, v36, v63
	;; [unrolled: 1-line block ×17, first 2 shown]
	v_pk_add_f32 v[64:65], v[54:55], v[56:57]
	v_pk_add_f32 v[2:3], v[2:3], 0 op_sel_hi:[1,0]
	v_min_f32_e32 v54, v68, v113
	v_min_f32_e32 v55, v69, v112
	v_pk_add_f32 v[118:119], v[2:3], v[54:55]
	v_pk_add_f32 v[2:3], v[8:9], 0 op_sel_hi:[1,0]
	v_min_f32_e32 v8, v68, v123
	v_min_f32_e32 v9, v69, v122
	;; [unrolled: 4-line block ×3, first 2 shown]
	v_pk_add_f32 v[80:81], v[2:3], v[8:9]
	v_min_f32_e32 v3, v69, v126
	v_min_f32_e32 v2, v68, v127
	v_pk_add_f32 v[8:9], v[12:13], 0 op_sel_hi:[1,0]
	v_min_f32_e32 v100, v76, v63
	v_min_f32_e32 v101, v77, v62
	v_pk_add_f32 v[62:63], v[8:9], v[2:3]
	v_pk_add_f32 v[2:3], v[14:15], 0 op_sel_hi:[1,0]
	v_min_f32_e32 v8, v70, v113
	v_min_f32_e32 v9, v71, v112
	v_pk_add_f32 v[116:117], v[2:3], v[8:9]
	;; [unrolled: 4-line block ×4, first 2 shown]
	v_min_f32_e32 v3, v71, v126
	v_min_f32_e32 v2, v70, v127
	v_pk_add_f32 v[8:9], v[20:21], 0 op_sel_hi:[1,0]
	v_min_f32_e32 v67, v77, v7
	v_pk_add_f32 v[60:61], v[8:9], v[2:3]
	v_pk_add_f32 v[2:3], v[22:23], 0 op_sel_hi:[1,0]
	v_min_f32_e32 v8, v74, v113
	v_min_f32_e32 v9, v75, v112
	v_pk_add_f32 v[114:115], v[2:3], v[8:9]
	v_pk_add_f32 v[2:3], v[24:25], 0 op_sel_hi:[1,0]
	v_min_f32_e32 v8, v74, v123
	;; [unrolled: 4-line block ×3, first 2 shown]
	v_min_f32_e32 v9, v75, v124
	v_pk_add_f32 v[76:77], v[2:3], v[8:9]
	v_min_f32_e32 v3, v75, v126
	v_min_f32_e32 v2, v74, v127
	v_pk_add_f32 v[8:9], v[28:29], 0 op_sel_hi:[1,0]
	s_cmp_lt_i32 s22, 9
	v_pk_add_f32 v[58:59], v[8:9], v[2:3]
	v_pk_add_f32 v[2:3], v[30:31], 0 op_sel_hi:[1,0]
	v_min_f32_e32 v8, v86, v113
	v_min_f32_e32 v9, v87, v112
	v_pk_add_f32 v[106:107], v[2:3], v[8:9]
	v_pk_add_f32 v[2:3], v[32:33], 0 op_sel_hi:[1,0]
	v_min_f32_e32 v8, v86, v123
	v_min_f32_e32 v9, v87, v122
	;; [unrolled: 4-line block ×3, first 2 shown]
	v_pk_add_f32 v[74:75], v[2:3], v[8:9]
	v_min_f32_e32 v3, v87, v126
	v_min_f32_e32 v2, v86, v127
	v_pk_add_f32 v[8:9], v[36:37], 0 op_sel_hi:[1,0]
	ds_write2st64_b32 v207, v6, v5 offset0:8 offset1:12
	ds_write_b32 v207, v4 offset:5120
	v_pk_add_f32 v[56:57], v[8:9], v[2:3]
	v_pk_add_f32 v[2:3], v[38:39], 0 op_sel_hi:[1,0]
	v_min_f32_e32 v8, v110, v113
	v_min_f32_e32 v9, v111, v112
	v_pk_add_f32 v[108:109], v[2:3], v[8:9]
	v_pk_add_f32 v[2:3], v[40:41], 0 op_sel_hi:[1,0]
	v_min_f32_e32 v8, v110, v123
	v_min_f32_e32 v9, v111, v122
	;; [unrolled: 4-line block ×3, first 2 shown]
	v_pk_add_f32 v[70:71], v[2:3], v[8:9]
	v_min_f32_e32 v3, v111, v126
	v_min_f32_e32 v2, v110, v127
	v_pk_add_f32 v[8:9], v[44:45], 0 op_sel_hi:[1,0]
	s_waitcnt lgkmcnt(0)
	v_pk_add_f32 v[54:55], v[8:9], v[2:3]
	v_pk_add_f32 v[2:3], v[46:47], 0 op_sel_hi:[1,0]
	v_min_f32_e32 v8, v128, v113
	v_min_f32_e32 v9, v129, v112
	v_pk_add_f32 v[110:111], v[2:3], v[8:9]
	v_pk_add_f32 v[2:3], v[48:49], 0 op_sel_hi:[1,0]
	v_min_f32_e32 v8, v128, v123
	v_min_f32_e32 v9, v129, v122
	;; [unrolled: 4-line block ×3, first 2 shown]
	v_pk_add_f32 v[68:69], v[2:3], v[8:9]
	v_min_f32_e32 v3, v129, v126
	v_min_f32_e32 v2, v128, v127
	v_pk_add_f32 v[8:9], v[52:53], 0 op_sel_hi:[1,0]
	s_barrier
	v_pk_add_f32 v[52:53], v[8:9], v[2:3]
	v_min_f32_e32 v2, v130, v113
	v_min_f32_e32 v3, v131, v112
	v_pk_add_f32 v[8:9], v[66:67], 0 op_sel_hi:[1,0]
	s_nop 0
	v_pk_add_f32 v[112:113], v[8:9], v[2:3]
	v_min_f32_e32 v2, v130, v123
	v_min_f32_e32 v3, v131, v122
	v_pk_add_f32 v[8:9], v[84:85], 0 op_sel_hi:[1,0]
	s_nop 0
	;; [unrolled: 5-line block ×5, first 2 shown]
	v_pk_add_f32 v[48:49], v[8:9], v[2:3]
	s_cbranch_scc1 .LBB95_36
; %bb.22:
	v_lshl_add_u64 v[100:101], v[0:1], 2, s[28:29]
	v_mov_b32_e32 v0, 0x1400
	v_lshl_add_u32 v212, v202, 4, v0
	v_mov_b32_e32 v0, 0x800
	v_lshl_add_u32 v213, v203, 4, v0
	v_add_u32_e32 v0, 12, v204
	v_mad_i64_i32 v[0:1], s[6:7], v0, s30, 0
	v_lshlrev_b64 v[102:103], 2, v[0:1]
	v_add_u32_e32 v0, 8, v204
	v_mad_i64_i32 v[0:1], s[6:7], v0, s30, 0
	v_or_b32_e32 v208, 0x1000, v207
	v_add_u32_e32 v209, 0x1000, v205
	v_add_u32_e32 v210, 0x1400, v207
	v_or_b32_e32 v211, 0x800, v207
	s_add_i32 s34, s22, -8
	s_lshl_b64 s[28:29], s[30:31], 5
	v_lshlrev_b64 v[104:105], 2, v[0:1]
	s_mov_b32 s35, 0
	s_branch .LBB95_24
.LBB95_23:                              ;   in Loop: Header=BB95_24 Depth=1
	s_or_b64 exec, exec, s[6:7]
	v_pk_add_f32 v[40:41], v[98:99], v[40:41]
	v_pk_add_f32 v[32:33], v[64:65], v[32:33]
	;; [unrolled: 1-line block ×19, first 2 shown]
	ds_read_b128 v[0:3], v206
	ds_read_b128 v[8:11], v206 offset:512
	v_pk_add_f32 v[20:21], v[118:119], v[6:7]
	ds_read_b128 v[4:7], v209 offset:896
	v_pk_add_f32 v[44:45], v[96:97], v[44:45]
	v_pk_add_f32 v[28:29], v[80:81], v[28:29]
	;; [unrolled: 1-line block ×20, first 2 shown]
	ds_read_b128 v[12:15], v209 offset:768
	s_waitcnt lgkmcnt(1)
	v_max_f32_e32 v95, v5, v5
	v_max_f32_e32 v97, v4, v4
	;; [unrolled: 1-line block ×4, first 2 shown]
	v_pk_add_f32 v[78:79], v[36:37], v[38:39]
	v_pk_add_f32 v[74:75], v[28:29], v[30:31]
	;; [unrolled: 1-line block ×6, first 2 shown]
	ds_read_b128 v[82:85], v206 offset:1536
	ds_read_b128 v[86:89], v206 offset:1024
	v_min_f32_e32 v5, v95, v98
	v_min_f32_e32 v4, v97, v99
	v_pk_add_f32 v[60:61], v[62:63], v[166:167]
	v_pk_add_f32 v[62:63], v[80:81], v[164:165]
	;; [unrolled: 1-line block ×3, first 2 shown]
	ds_read_b128 v[78:81], v209
	v_pk_add_f32 v[114:115], v[54:55], v[146:147]
	v_pk_add_f32 v[92:93], v[92:93], v[130:131]
	;; [unrolled: 1-line block ×4, first 2 shown]
	s_waitcnt lgkmcnt(1)
	v_max_f32_e32 v114, v87, v87
	v_max_f32_e32 v115, v86, v86
	v_pk_add_f32 v[54:55], v[92:93], v[170:171]
	v_pk_add_f32 v[46:47], v[90:91], v[176:177]
	ds_read_b128 v[90:93], v209 offset:128
	v_max_f32_e32 v94, v1, v1
	v_max_f32_e32 v96, v0, v0
	v_min_f32_e32 v9, v95, v114
	v_min_f32_e32 v8, v97, v115
	s_waitcnt lgkmcnt(1)
	v_max_f32_e32 v86, v78, v78
	v_max_f32_e32 v87, v79, v79
	v_pk_add_f32 v[8:9], v[76:77], v[8:9]
	v_min_f32_e32 v76, v86, v96
	v_min_f32_e32 v77, v87, v94
	v_pk_add_f32 v[76:77], v[68:69], v[76:77]
	v_min_f32_e32 v68, v86, v99
	v_min_f32_e32 v69, v87, v98
	;; [unrolled: 3-line block ×3, first 2 shown]
	v_max_f32_e32 v83, v83, v83
	v_max_f32_e32 v82, v82, v82
	v_pk_add_f32 v[66:67], v[24:25], v[26:27]
	v_pk_add_f32 v[74:75], v[74:75], v[68:69]
	v_min_f32_e32 v69, v87, v83
	v_min_f32_e32 v68, v86, v82
	v_pk_add_f32 v[86:87], v[66:67], v[68:69]
	s_waitcnt lgkmcnt(0)
	v_max_f32_e32 v68, v90, v90
	v_max_f32_e32 v69, v91, v91
	v_min_f32_e32 v66, v68, v96
	v_min_f32_e32 v67, v69, v94
	v_pk_add_f32 v[60:61], v[60:61], v[66:67]
	v_min_f32_e32 v66, v68, v99
	v_min_f32_e32 v67, v69, v98
	v_pk_add_f32 v[90:91], v[62:63], v[66:67]
	;; [unrolled: 3-line block ×3, first 2 shown]
	v_pk_add_f32 v[106:107], v[64:65], v[62:63]
	ds_read_b128 v[64:67], v209 offset:256
	v_min_f32_e32 v63, v69, v83
	v_min_f32_e32 v62, v68, v82
	ds_read_b128 v[68:71], v209 offset:384
	v_pk_add_f32 v[58:59], v[58:59], v[62:63]
	s_waitcnt lgkmcnt(1)
	v_max_f32_e32 v64, v64, v64
	v_max_f32_e32 v65, v65, v65
	v_min_f32_e32 v62, v64, v96
	v_min_f32_e32 v63, v65, v94
	v_pk_add_f32 v[52:53], v[52:53], v[62:63]
	v_min_f32_e32 v62, v64, v99
	v_min_f32_e32 v63, v65, v98
	v_pk_add_f32 v[54:55], v[54:55], v[62:63]
	;; [unrolled: 3-line block ×3, first 2 shown]
	v_pk_add_f32 v[56:57], v[56:57], v[62:63]
	v_min_f32_e32 v63, v65, v83
	v_min_f32_e32 v62, v64, v82
	v_pk_add_f32 v[36:37], v[108:109], v[184:185]
	v_pk_add_f32 v[108:109], v[50:51], v[62:63]
	s_waitcnt lgkmcnt(0)
	v_max_f32_e32 v62, v68, v68
	v_max_f32_e32 v63, v69, v69
	v_min_f32_e32 v50, v62, v96
	v_min_f32_e32 v51, v63, v94
	v_pk_add_f32 v[110:111], v[110:111], v[150:151]
	v_pk_add_f32 v[68:69], v[44:45], v[50:51]
	v_min_f32_e32 v44, v62, v99
	v_min_f32_e32 v45, v63, v98
	v_pk_add_f32 v[112:113], v[112:113], v[156:157]
	v_pk_add_f32 v[28:29], v[110:111], v[194:195]
	;; [unrolled: 1-line block ×3, first 2 shown]
	v_min_f32_e32 v44, v62, v115
	v_min_f32_e32 v45, v63, v114
	v_pk_add_f32 v[24:25], v[112:113], v[200:201]
	v_pk_add_f32 v[112:113], v[48:49], v[44:45]
	ds_read_b128 v[44:47], v209 offset:512
	v_min_f32_e32 v49, v63, v83
	v_min_f32_e32 v48, v62, v82
	v_pk_add_f32 v[42:43], v[42:43], v[48:49]
	ds_read_b128 v[48:51], v209 offset:640
	s_waitcnt lgkmcnt(1)
	v_max_f32_e32 v62, v44, v44
	v_max_f32_e32 v63, v45, v45
	v_min_f32_e32 v44, v62, v96
	v_min_f32_e32 v45, v63, v94
	v_pk_add_f32 v[36:37], v[36:37], v[44:45]
	v_min_f32_e32 v44, v62, v99
	v_min_f32_e32 v45, v63, v98
	v_pk_add_f32 v[38:39], v[38:39], v[44:45]
	;; [unrolled: 3-line block ×3, first 2 shown]
	v_min_f32_e32 v45, v63, v83
	v_min_f32_e32 v44, v62, v82
	s_waitcnt lgkmcnt(0)
	v_max_f32_e32 v48, v48, v48
	v_max_f32_e32 v49, v49, v49
	v_pk_add_f32 v[34:35], v[34:35], v[44:45]
	v_min_f32_e32 v44, v48, v96
	v_min_f32_e32 v45, v49, v94
	v_pk_add_f32 v[28:29], v[28:29], v[44:45]
	v_min_f32_e32 v44, v48, v99
	v_min_f32_e32 v45, v49, v98
	;; [unrolled: 3-line block ×3, first 2 shown]
	v_pk_add_f32 v[26:27], v[116:117], v[196:197]
	v_pk_add_f32 v[32:33], v[32:33], v[44:45]
	v_min_f32_e32 v45, v49, v83
	v_min_f32_e32 v44, v48, v82
	v_pk_add_f32 v[26:27], v[26:27], v[44:45]
	v_max_f32_e32 v44, v12, v12
	v_max_f32_e32 v45, v13, v13
	v_min_f32_e32 v12, v44, v96
	v_min_f32_e32 v13, v45, v94
	v_pk_add_f32 v[12:13], v[24:25], v[12:13]
	v_min_f32_e32 v24, v44, v99
	v_min_f32_e32 v25, v45, v98
	v_pk_add_f32 v[22:23], v[22:23], v[24:25]
	;; [unrolled: 3-line block ×4, first 2 shown]
	v_pk_add_f32 v[20:21], v[20:21], v[24:25]
	v_min_f32_e32 v25, v95, v83
	v_min_f32_e32 v24, v97, v82
	;; [unrolled: 1-line block ×4, first 2 shown]
	v_pk_add_f32 v[16:17], v[16:17], v[24:25]
	v_max_f32_e32 v24, v3, v3
	v_max_f32_e32 v7, v7, v7
	;; [unrolled: 1-line block ×4, first 2 shown]
	v_pk_add_f32 v[0:1], v[122:123], v[0:1]
	v_min_f32_e32 v3, v7, v24
	v_min_f32_e32 v2, v6, v25
	v_pk_add_f32 v[98:99], v[0:1], v[2:3]
	v_max_f32_e32 v2, v11, v11
	v_max_f32_e32 v3, v10, v10
	v_min_f32_e32 v1, v7, v2
	v_min_f32_e32 v0, v6, v3
	v_pk_add_f32 v[82:83], v[4:5], v[0:1]
	v_max_f32_e32 v4, v89, v89
	v_max_f32_e32 v5, v88, v88
	;; [unrolled: 5-line block ×3, first 2 shown]
	v_min_f32_e32 v0, v8, v25
	v_min_f32_e32 v1, v9, v24
	v_pk_add_f32 v[118:119], v[76:77], v[0:1]
	v_min_f32_e32 v0, v8, v3
	v_min_f32_e32 v1, v9, v2
	v_pk_add_f32 v[96:97], v[78:79], v[0:1]
	v_min_f32_e32 v0, v8, v5
	v_min_f32_e32 v1, v9, v4
	v_max_f32_e32 v10, v85, v85
	v_pk_add_f32 v[80:81], v[74:75], v[0:1]
	v_min_f32_e32 v1, v9, v10
	v_max_f32_e32 v9, v84, v84
	v_min_f32_e32 v0, v8, v9
	v_max_f32_e32 v8, v92, v92
	v_max_f32_e32 v11, v93, v93
	v_pk_add_f32 v[62:63], v[86:87], v[0:1]
	v_min_f32_e32 v0, v8, v25
	v_min_f32_e32 v1, v11, v24
	v_pk_add_f32 v[116:117], v[60:61], v[0:1]
	v_min_f32_e32 v0, v8, v3
	v_min_f32_e32 v1, v11, v2
	v_pk_add_f32 v[94:95], v[90:91], v[0:1]
	v_min_f32_e32 v0, v8, v5
	v_min_f32_e32 v1, v11, v4
	v_pk_add_f32 v[78:79], v[106:107], v[0:1]
	v_min_f32_e32 v1, v11, v10
	v_min_f32_e32 v0, v8, v9
	v_max_f32_e32 v8, v66, v66
	v_max_f32_e32 v11, v67, v67
	v_pk_add_f32 v[60:61], v[58:59], v[0:1]
	v_min_f32_e32 v0, v8, v25
	v_min_f32_e32 v1, v11, v24
	v_pk_add_f32 v[114:115], v[52:53], v[0:1]
	v_min_f32_e32 v0, v8, v3
	v_min_f32_e32 v1, v11, v2
	v_pk_add_f32 v[92:93], v[54:55], v[0:1]
	v_min_f32_e32 v0, v8, v5
	v_min_f32_e32 v1, v11, v4
	v_pk_add_f32 v[76:77], v[56:57], v[0:1]
	v_min_f32_e32 v1, v11, v10
	;; [unrolled: 14-line block ×6, first 2 shown]
	v_min_f32_e32 v0, v8, v9
	v_pk_add_f32 v[50:51], v[20:21], v[0:1]
	v_min_f32_e32 v1, v7, v10
	v_min_f32_e32 v0, v6, v9
	s_add_i32 s35, s35, 8
	v_pk_add_f32 v[48:49], v[16:17], v[0:1]
	s_cmp_ge_i32 s35, s34
	v_lshl_add_u64 v[100:101], v[100:101], 0, s[28:29]
	ds_write_b32 v210, v214
	ds_write2st64_b32 v211, v216, v215 offset1:4
	s_waitcnt lgkmcnt(0)
	s_barrier
	s_cbranch_scc1 .LBB95_36
.LBB95_24:                              ; =>This Inner Loop Header: Depth=1
	v_add_u32_e32 v120, s35, v204
	v_add_u32_e32 v0, 8, v120
	v_cmp_gt_i32_e64 s[6:7], s22, v0
	s_and_b64 s[6:7], vcc, s[6:7]
	s_and_b64 s[30:31], s[16:17], s[6:7]
	v_mov_b32_e32 v121, 0
	v_mov_b32_e32 v122, 0
	s_and_saveexec_b64 s[6:7], s[30:31]
	s_cbranch_execz .LBB95_26
; %bb.25:                               ;   in Loop: Header=BB95_24 Depth=1
	v_lshl_add_u64 v[2:3], v[100:101], 0, v[104:105]
	flat_load_dword v1, v[2:3]
	s_waitcnt vmcnt(0) lgkmcnt(0)
	v_mul_f32_e32 v122, s23, v1
.LBB95_26:                              ;   in Loop: Header=BB95_24 Depth=1
	s_or_b64 exec, exec, s[6:7]
	v_cmp_le_i32_e64 s[6:7], s22, v0
	v_min_i32_e32 v0, s37, v0
	v_mad_i64_i32 v[0:1], s[30:31], v0, s36, 0
	s_or_b64 s[30:31], s[8:9], s[6:7]
	v_lshl_add_u64 v[0:1], v[0:1], 2, s[18:19]
	s_or_b64 s[30:31], s[30:31], s[26:27]
	s_xor_b64 s[38:39], s[30:31], -1
	v_lshl_add_u64 v[0:1], v[72:73], 2, v[0:1]
	s_and_saveexec_b64 s[30:31], s[38:39]
	s_cbranch_execz .LBB95_28
; %bb.27:                               ;   in Loop: Header=BB95_24 Depth=1
	flat_load_dword v2, v[0:1]
	s_waitcnt vmcnt(0) lgkmcnt(0)
	v_mul_f32_e32 v121, s23, v2
.LBB95_28:                              ;   in Loop: Header=BB95_24 Depth=1
	s_or_b64 exec, exec, s[30:31]
	s_or_b64 s[6:7], s[4:5], s[6:7]
	s_or_b64 s[6:7], s[6:7], s[26:27]
	s_xor_b64 s[30:31], s[6:7], -1
	v_mov_b32_e32 v214, 0
	v_mov_b32_e32 v123, 0
	s_and_saveexec_b64 s[6:7], s[30:31]
	s_cbranch_execz .LBB95_30
; %bb.29:                               ;   in Loop: Header=BB95_24 Depth=1
	flat_load_dword v0, v[0:1] offset:256
	s_waitcnt vmcnt(0) lgkmcnt(0)
	v_mul_f32_e32 v123, s23, v0
.LBB95_30:                              ;   in Loop: Header=BB95_24 Depth=1
	s_or_b64 exec, exec, s[6:7]
	ds_read_b128 v[40:43], v213
	ds_read_b128 v[36:39], v213 offset:512
	ds_read_b128 v[24:27], v213 offset:1536
	;; [unrolled: 1-line block ×3, first 2 shown]
	ds_read_b128 v[28:31], v212
	ds_read_b128 v[20:23], v212 offset:128
	ds_read_b128 v[16:19], v212 offset:256
	;; [unrolled: 1-line block ×7, first 2 shown]
	v_add_u32_e32 v120, 12, v120
	v_cmp_gt_i32_e64 s[6:7], s22, v120
	s_and_b64 s[6:7], vcc, s[6:7]
	s_and_b64 s[30:31], s[16:17], s[6:7]
	ds_write_b32 v208, v122
	ds_write2st64_b32 v207, v121, v123 offset1:4
	s_waitcnt lgkmcnt(0)
	s_barrier
	s_and_saveexec_b64 s[6:7], s[30:31]
	s_cbranch_execz .LBB95_32
; %bb.31:                               ;   in Loop: Header=BB95_24 Depth=1
	v_lshl_add_u64 v[122:123], v[100:101], 0, v[102:103]
	flat_load_dword v121, v[122:123]
	s_waitcnt vmcnt(0) lgkmcnt(0)
	v_mul_f32_e32 v214, s23, v121
.LBB95_32:                              ;   in Loop: Header=BB95_24 Depth=1
	s_or_b64 exec, exec, s[6:7]
	v_cmp_le_i32_e64 s[6:7], s22, v120
	v_min_i32_e32 v120, s37, v120
	v_mad_i64_i32 v[120:121], s[30:31], v120, s36, 0
	s_or_b64 s[30:31], s[8:9], s[6:7]
	v_lshl_add_u64 v[120:121], v[120:121], 2, s[18:19]
	s_or_b64 s[30:31], s[30:31], s[26:27]
	s_xor_b64 s[38:39], s[30:31], -1
	v_mov_b32_e32 v215, 0
	v_lshl_add_u64 v[120:121], v[72:73], 2, v[120:121]
	v_mov_b32_e32 v216, 0
	s_and_saveexec_b64 s[30:31], s[38:39]
	s_cbranch_execz .LBB95_34
; %bb.33:                               ;   in Loop: Header=BB95_24 Depth=1
	flat_load_dword v122, v[120:121]
	s_waitcnt vmcnt(0) lgkmcnt(0)
	v_mul_f32_e32 v216, s23, v122
.LBB95_34:                              ;   in Loop: Header=BB95_24 Depth=1
	s_or_b64 exec, exec, s[30:31]
	v_max_f32_e32 v154, v41, v41
	v_max_f32_e32 v160, v45, v45
	;; [unrolled: 1-line block ×34, first 2 shown]
	s_or_b64 s[6:7], s[4:5], s[6:7]
	v_min_f32_e32 v41, v160, v154
	v_min_f32_e32 v40, v162, v155
	;; [unrolled: 1-line block ×62, first 2 shown]
	v_max_f32_e32 v191, v47, v47
	v_max_f32_e32 v217, v46, v46
	v_max_f32_e32 v164, v30, v30
	v_max_f32_e32 v165, v31, v31
	v_max_f32_e32 v168, v22, v22
	v_max_f32_e32 v169, v23, v23
	v_max_f32_e32 v174, v18, v18
	v_max_f32_e32 v175, v19, v19
	v_max_f32_e32 v180, v14, v14
	v_max_f32_e32 v181, v15, v15
	v_max_f32_e32 v186, v10, v10
	v_max_f32_e32 v187, v11, v11
	v_min_f32_e32 v194, v6, v198
	v_min_f32_e32 v195, v7, v190
	v_min_f32_e32 v192, v6, v218
	v_min_f32_e32 v193, v7, v199
	v_min_f32_e32 v188, v6, v220
	v_min_f32_e32 v189, v7, v219
	v_min_f32_e32 v197, v7, v221
	v_min_f32_e32 v196, v6, v222
	v_max_f32_e32 v6, v2, v2
	v_max_f32_e32 v7, v3, v3
	s_or_b64 s[6:7], s[6:7], s[26:27]
	v_min_f32_e32 v32, v162, v163
	v_min_f32_e32 v0, v166, v163
	;; [unrolled: 1-line block ×58, first 2 shown]
	s_xor_b64 s[30:31], s[6:7], -1
	s_and_saveexec_b64 s[6:7], s[30:31]
	s_cbranch_execz .LBB95_23
; %bb.35:                               ;   in Loop: Header=BB95_24 Depth=1
	flat_load_dword v120, v[120:121] offset:256
	s_waitcnt vmcnt(0) lgkmcnt(0)
	v_mul_f32_e32 v215, s23, v120
	s_branch .LBB95_23
.LBB95_36:
	s_load_dwordx2 s[4:5], s[0:1], 0x70
	s_load_dword s29, s[0:1], 0x50
	s_load_dword s28, s[0:1], 0x68
	ds_read_b128 v[44:47], v206 offset:2048
	ds_read_b128 v[40:43], v206 offset:2560
	;; [unrolled: 1-line block ×12, first 2 shown]
	v_add_u32_e32 v124, s12, v203
	s_waitcnt lgkmcnt(0)
	s_mul_i32 s0, s3, s5
	s_mul_hi_u32 s1, s3, s4
	s_mul_i32 s5, s13, s4
	s_add_i32 s0, s1, s0
	s_add_i32 s1, s0, s5
	s_mul_i32 s0, s3, s4
	s_lshl_b64 s[0:1], s[0:1], 2
	s_add_u32 s22, s10, s0
	s_addc_u32 s23, s11, s1
	v_mad_i64_i32 v[100:101], s[0:1], v124, s29, 0
	v_add_u32_e32 v72, s2, v202
	v_lshl_add_u64 v[122:123], v[100:101], 2, s[24:25]
	v_mad_i64_i32 v[100:101], s[0:1], v124, s28, 0
	v_cmp_gt_i32_e64 s[18:19], s21, v124
	v_lshl_add_u64 v[120:121], v[100:101], 2, s[22:23]
	v_cmp_gt_i32_e64 s[2:3], s20, v72
	v_cndmask_b32_e64 v100, 0, 1, s[14:15]
	s_and_b64 s[6:7], s[2:3], s[18:19]
	v_ashrrev_i32_e32 v73, 31, v72
	v_cmp_ne_u32_e64 s[0:1], 1, v100
	s_and_saveexec_b64 s[4:5], s[6:7]
	s_cbranch_execz .LBB95_41
; %bb.37:
	s_and_b64 vcc, exec, s[0:1]
	s_cbranch_vccnz .LBB95_39
; %bb.38:
	v_lshl_add_u64 v[100:101], v[72:73], 2, v[122:123]
	flat_load_dword v100, v[100:101]
	s_waitcnt vmcnt(0) lgkmcnt(0)
	v_mul_f32_e32 v100, s33, v100
	s_branch .LBB95_40
.LBB95_39:
	v_mov_b32_e32 v100, 0
.LBB95_40:
	v_max_f32_e32 v101, v44, v44
	v_max_f32_e32 v102, v32, v32
	v_min_f32_e32 v102, v102, v101
	v_max_f32_e32 v101, v45, v45
	v_max_f32_e32 v103, v33, v33
	v_min_f32_e32 v103, v103, v101
	;; [unrolled: 3-line block ×3, first 2 shown]
	v_max_f32_e32 v101, v47, v47
	v_max_f32_e32 v105, v35, v35
	v_pk_add_f32 v[102:103], v[118:119], v[102:103]
	v_min_f32_e32 v105, v105, v101
	v_pk_add_f32 v[102:103], v[102:103], v[104:105]
	s_nop 0
	v_add_f32_e32 v101, v102, v103
	v_add_f32_e32 v102, v101, v100
	v_lshl_add_u64 v[100:101], v[72:73], 2, v[120:121]
	global_store_dword v[100:101], v102, off
.LBB95_41:
	s_or_b64 exec, exec, s[4:5]
	v_add_u32_e32 v100, 8, v72
	v_cmp_gt_i32_e64 s[4:5], s20, v100
	s_and_b64 s[8:9], s[4:5], s[18:19]
	v_ashrrev_i32_e32 v101, 31, v100
	s_and_saveexec_b64 s[6:7], s[8:9]
	s_cbranch_execz .LBB95_46
; %bb.42:
	s_and_b64 vcc, exec, s[0:1]
	s_cbranch_vccnz .LBB95_44
; %bb.43:
	v_lshl_add_u64 v[102:103], v[100:101], 2, v[122:123]
	flat_load_dword v102, v[102:103]
	s_waitcnt vmcnt(0) lgkmcnt(0)
	v_mul_f32_e32 v102, s33, v102
	s_branch .LBB95_45
.LBB95_44:
	v_mov_b32_e32 v102, 0
.LBB95_45:
	v_max_f32_e32 v103, v44, v44
	v_max_f32_e32 v104, v28, v28
	v_min_f32_e32 v104, v104, v103
	v_max_f32_e32 v103, v45, v45
	v_max_f32_e32 v105, v29, v29
	v_min_f32_e32 v105, v105, v103
	v_pk_add_f32 v[104:105], v[116:117], v[104:105]
	v_max_f32_e32 v103, v46, v46
	v_max_f32_e32 v116, v30, v30
	v_min_f32_e32 v116, v116, v103
	v_max_f32_e32 v103, v47, v47
	v_max_f32_e32 v117, v31, v31
	v_min_f32_e32 v117, v117, v103
	v_pk_add_f32 v[104:105], v[104:105], v[116:117]
	s_nop 0
	v_add_f32_e32 v103, v104, v105
	v_add_f32_e32 v104, v103, v102
	v_lshl_add_u64 v[102:103], v[100:101], 2, v[120:121]
	global_store_dword v[102:103], v104, off
.LBB95_46:
	s_or_b64 exec, exec, s[6:7]
	v_add_u32_e32 v102, 16, v72
	v_cmp_gt_i32_e64 s[6:7], s20, v102
	s_and_b64 s[10:11], s[6:7], s[18:19]
	v_ashrrev_i32_e32 v103, 31, v102
	s_and_saveexec_b64 s[8:9], s[10:11]
	s_cbranch_execz .LBB95_51
; %bb.47:
	s_and_b64 vcc, exec, s[0:1]
	s_cbranch_vccnz .LBB95_49
; %bb.48:
	v_lshl_add_u64 v[104:105], v[102:103], 2, v[122:123]
	flat_load_dword v104, v[104:105]
	s_waitcnt vmcnt(0) lgkmcnt(0)
	v_mul_f32_e32 v104, s33, v104
	s_branch .LBB95_50
.LBB95_49:
	v_mov_b32_e32 v104, 0
.LBB95_50:
	v_max_f32_e32 v105, v44, v44
	v_max_f32_e32 v116, v24, v24
	v_min_f32_e32 v116, v116, v105
	v_max_f32_e32 v105, v45, v45
	v_max_f32_e32 v117, v25, v25
	v_min_f32_e32 v117, v117, v105
	v_pk_add_f32 v[114:115], v[114:115], v[116:117]
	v_max_f32_e32 v105, v46, v46
	v_max_f32_e32 v116, v26, v26
	v_min_f32_e32 v116, v116, v105
	v_max_f32_e32 v105, v47, v47
	v_max_f32_e32 v117, v27, v27
	v_min_f32_e32 v117, v117, v105
	v_pk_add_f32 v[114:115], v[114:115], v[116:117]
	s_nop 0
	v_add_f32_e32 v105, v114, v115
	v_add_f32_e32 v114, v105, v104
	v_lshl_add_u64 v[104:105], v[102:103], 2, v[120:121]
	global_store_dword v[104:105], v114, off
.LBB95_51:
	;; [unrolled: 39-line block ×7, first 2 shown]
	s_or_b64 exec, exec, s[18:19]
	v_add_u32_e32 v98, 32, v124
	v_mad_i64_i32 v[44:45], s[26:27], v98, s29, 0
	v_cmp_gt_i32_e64 s[18:19], s21, v98
	v_lshl_add_u64 v[46:47], v[44:45], 2, s[24:25]
	v_mad_i64_i32 v[44:45], s[26:27], v98, s28, 0
	v_lshl_add_u64 v[44:45], v[44:45], 2, s[22:23]
	s_and_b64 s[30:31], s[2:3], s[18:19]
	s_and_saveexec_b64 s[26:27], s[30:31]
	s_cbranch_execnz .LBB95_84
; %bb.77:
	s_or_b64 exec, exec, s[26:27]
	s_and_b64 s[30:31], s[4:5], s[18:19]
	s_and_saveexec_b64 s[26:27], s[30:31]
	s_cbranch_execnz .LBB95_88
.LBB95_78:
	s_or_b64 exec, exec, s[26:27]
	s_and_b64 s[30:31], s[6:7], s[18:19]
	s_and_saveexec_b64 s[26:27], s[30:31]
	s_cbranch_execnz .LBB95_92
.LBB95_79:
	s_or_b64 exec, exec, s[26:27]
	s_and_b64 s[30:31], s[8:9], s[18:19]
	s_and_saveexec_b64 s[26:27], s[30:31]
	s_cbranch_execnz .LBB95_96
.LBB95_80:
	s_or_b64 exec, exec, s[26:27]
	s_and_b64 s[30:31], s[10:11], s[18:19]
	s_and_saveexec_b64 s[26:27], s[30:31]
	s_cbranch_execnz .LBB95_100
.LBB95_81:
	s_or_b64 exec, exec, s[26:27]
	s_and_b64 s[30:31], s[12:13], s[18:19]
	s_and_saveexec_b64 s[26:27], s[30:31]
	s_cbranch_execnz .LBB95_104
.LBB95_82:
	s_or_b64 exec, exec, s[26:27]
	s_and_b64 s[30:31], s[14:15], s[18:19]
	s_and_saveexec_b64 s[26:27], s[30:31]
	s_cbranch_execnz .LBB95_108
.LBB95_83:
	s_or_b64 exec, exec, s[26:27]
	s_and_b64 s[26:27], s[16:17], s[18:19]
	s_and_saveexec_b64 s[18:19], s[26:27]
	s_cbranch_execnz .LBB95_112
	s_branch .LBB95_116
.LBB95_84:
	s_and_b64 vcc, exec, s[0:1]
	s_cbranch_vccnz .LBB95_86
; %bb.85:
	v_lshl_add_u64 v[98:99], v[72:73], 2, v[46:47]
	flat_load_dword v98, v[98:99]
	s_waitcnt vmcnt(0) lgkmcnt(0)
	v_mul_f32_e32 v98, s33, v98
	s_branch .LBB95_87
.LBB95_86:
	v_mov_b32_e32 v98, 0
.LBB95_87:
	v_max_f32_e32 v99, v40, v40
	v_max_f32_e32 v114, v32, v32
	v_min_f32_e32 v114, v114, v99
	v_max_f32_e32 v99, v41, v41
	v_max_f32_e32 v115, v33, v33
	v_min_f32_e32 v115, v115, v99
	v_pk_add_f32 v[96:97], v[96:97], v[114:115]
	v_max_f32_e32 v99, v42, v42
	v_max_f32_e32 v114, v34, v34
	v_min_f32_e32 v114, v114, v99
	v_max_f32_e32 v99, v43, v43
	v_max_f32_e32 v115, v35, v35
	v_min_f32_e32 v115, v115, v99
	v_pk_add_f32 v[96:97], v[96:97], v[114:115]
	s_nop 0
	v_add_f32_e32 v96, v96, v97
	v_add_f32_e32 v98, v96, v98
	v_lshl_add_u64 v[96:97], v[72:73], 2, v[44:45]
	global_store_dword v[96:97], v98, off
	s_or_b64 exec, exec, s[26:27]
	s_and_b64 s[30:31], s[4:5], s[18:19]
	s_and_saveexec_b64 s[26:27], s[30:31]
	s_cbranch_execz .LBB95_78
.LBB95_88:
	s_and_b64 vcc, exec, s[0:1]
	s_cbranch_vccnz .LBB95_90
; %bb.89:
	v_lshl_add_u64 v[96:97], v[100:101], 2, v[46:47]
	flat_load_dword v96, v[96:97]
	s_waitcnt vmcnt(0) lgkmcnt(0)
	v_mul_f32_e32 v96, s33, v96
	s_branch .LBB95_91
.LBB95_90:
	v_mov_b32_e32 v96, 0
.LBB95_91:
	v_max_f32_e32 v97, v40, v40
	v_max_f32_e32 v98, v28, v28
	v_min_f32_e32 v98, v98, v97
	v_max_f32_e32 v97, v41, v41
	v_max_f32_e32 v99, v29, v29
	v_min_f32_e32 v99, v99, v97
	v_pk_add_f32 v[94:95], v[94:95], v[98:99]
	v_max_f32_e32 v97, v42, v42
	v_max_f32_e32 v98, v30, v30
	v_min_f32_e32 v98, v98, v97
	v_max_f32_e32 v97, v43, v43
	v_max_f32_e32 v99, v31, v31
	v_min_f32_e32 v99, v99, v97
	v_pk_add_f32 v[94:95], v[94:95], v[98:99]
	s_nop 0
	v_add_f32_e32 v94, v94, v95
	v_add_f32_e32 v96, v94, v96
	v_lshl_add_u64 v[94:95], v[100:101], 2, v[44:45]
	global_store_dword v[94:95], v96, off
	s_or_b64 exec, exec, s[26:27]
	s_and_b64 s[30:31], s[6:7], s[18:19]
	s_and_saveexec_b64 s[26:27], s[30:31]
	s_cbranch_execz .LBB95_79
.LBB95_92:
	s_and_b64 vcc, exec, s[0:1]
	s_cbranch_vccnz .LBB95_94
; %bb.93:
	v_lshl_add_u64 v[94:95], v[102:103], 2, v[46:47]
	flat_load_dword v94, v[94:95]
	s_waitcnt vmcnt(0) lgkmcnt(0)
	v_mul_f32_e32 v94, s33, v94
	s_branch .LBB95_95
.LBB95_94:
	v_mov_b32_e32 v94, 0
.LBB95_95:
	v_max_f32_e32 v95, v40, v40
	v_max_f32_e32 v96, v24, v24
	v_min_f32_e32 v96, v96, v95
	v_max_f32_e32 v95, v41, v41
	v_max_f32_e32 v97, v25, v25
	v_min_f32_e32 v97, v97, v95
	v_pk_add_f32 v[92:93], v[92:93], v[96:97]
	v_max_f32_e32 v95, v42, v42
	v_max_f32_e32 v96, v26, v26
	v_min_f32_e32 v96, v96, v95
	v_max_f32_e32 v95, v43, v43
	v_max_f32_e32 v97, v27, v27
	v_min_f32_e32 v97, v97, v95
	v_pk_add_f32 v[92:93], v[92:93], v[96:97]
	s_nop 0
	v_add_f32_e32 v92, v92, v93
	v_add_f32_e32 v94, v92, v94
	v_lshl_add_u64 v[92:93], v[102:103], 2, v[44:45]
	global_store_dword v[92:93], v94, off
	s_or_b64 exec, exec, s[26:27]
	s_and_b64 s[30:31], s[8:9], s[18:19]
	s_and_saveexec_b64 s[26:27], s[30:31]
	s_cbranch_execz .LBB95_80
.LBB95_96:
	s_and_b64 vcc, exec, s[0:1]
	s_cbranch_vccnz .LBB95_98
; %bb.97:
	v_lshl_add_u64 v[92:93], v[104:105], 2, v[46:47]
	flat_load_dword v92, v[92:93]
	s_waitcnt vmcnt(0) lgkmcnt(0)
	v_mul_f32_e32 v92, s33, v92
	s_branch .LBB95_99
.LBB95_98:
	v_mov_b32_e32 v92, 0
.LBB95_99:
	v_max_f32_e32 v93, v40, v40
	v_max_f32_e32 v94, v20, v20
	v_min_f32_e32 v94, v94, v93
	v_max_f32_e32 v93, v41, v41
	v_max_f32_e32 v95, v21, v21
	v_min_f32_e32 v95, v95, v93
	v_pk_add_f32 v[90:91], v[90:91], v[94:95]
	v_max_f32_e32 v93, v42, v42
	v_max_f32_e32 v94, v22, v22
	v_min_f32_e32 v94, v94, v93
	v_max_f32_e32 v93, v43, v43
	v_max_f32_e32 v95, v23, v23
	v_min_f32_e32 v95, v95, v93
	v_pk_add_f32 v[90:91], v[90:91], v[94:95]
	s_nop 0
	v_add_f32_e32 v90, v90, v91
	v_add_f32_e32 v92, v90, v92
	v_lshl_add_u64 v[90:91], v[104:105], 2, v[44:45]
	global_store_dword v[90:91], v92, off
	s_or_b64 exec, exec, s[26:27]
	s_and_b64 s[30:31], s[10:11], s[18:19]
	s_and_saveexec_b64 s[26:27], s[30:31]
	s_cbranch_execz .LBB95_81
.LBB95_100:
	s_and_b64 vcc, exec, s[0:1]
	s_cbranch_vccnz .LBB95_102
; %bb.101:
	v_lshl_add_u64 v[90:91], v[106:107], 2, v[46:47]
	flat_load_dword v90, v[90:91]
	s_waitcnt vmcnt(0) lgkmcnt(0)
	v_mul_f32_e32 v90, s33, v90
	s_branch .LBB95_103
.LBB95_102:
	v_mov_b32_e32 v90, 0
.LBB95_103:
	v_max_f32_e32 v91, v40, v40
	v_max_f32_e32 v92, v16, v16
	v_min_f32_e32 v92, v92, v91
	v_max_f32_e32 v91, v41, v41
	v_max_f32_e32 v93, v17, v17
	v_min_f32_e32 v93, v93, v91
	v_pk_add_f32 v[88:89], v[88:89], v[92:93]
	v_max_f32_e32 v91, v42, v42
	v_max_f32_e32 v92, v18, v18
	v_min_f32_e32 v92, v92, v91
	v_max_f32_e32 v91, v43, v43
	v_max_f32_e32 v93, v19, v19
	v_min_f32_e32 v93, v93, v91
	v_pk_add_f32 v[88:89], v[88:89], v[92:93]
	s_nop 0
	v_add_f32_e32 v88, v88, v89
	v_add_f32_e32 v90, v88, v90
	v_lshl_add_u64 v[88:89], v[106:107], 2, v[44:45]
	global_store_dword v[88:89], v90, off
	s_or_b64 exec, exec, s[26:27]
	s_and_b64 s[30:31], s[12:13], s[18:19]
	s_and_saveexec_b64 s[26:27], s[30:31]
	s_cbranch_execz .LBB95_82
.LBB95_104:
	s_and_b64 vcc, exec, s[0:1]
	s_cbranch_vccnz .LBB95_106
; %bb.105:
	v_lshl_add_u64 v[88:89], v[108:109], 2, v[46:47]
	flat_load_dword v88, v[88:89]
	s_waitcnt vmcnt(0) lgkmcnt(0)
	v_mul_f32_e32 v88, s33, v88
	s_branch .LBB95_107
.LBB95_106:
	v_mov_b32_e32 v88, 0
.LBB95_107:
	v_max_f32_e32 v89, v40, v40
	v_max_f32_e32 v90, v12, v12
	v_min_f32_e32 v90, v90, v89
	v_max_f32_e32 v89, v41, v41
	v_max_f32_e32 v91, v13, v13
	v_min_f32_e32 v91, v91, v89
	v_pk_add_f32 v[86:87], v[86:87], v[90:91]
	v_max_f32_e32 v89, v42, v42
	v_max_f32_e32 v90, v14, v14
	v_min_f32_e32 v90, v90, v89
	v_max_f32_e32 v89, v43, v43
	v_max_f32_e32 v91, v15, v15
	v_min_f32_e32 v91, v91, v89
	v_pk_add_f32 v[86:87], v[86:87], v[90:91]
	s_nop 0
	v_add_f32_e32 v86, v86, v87
	v_add_f32_e32 v88, v86, v88
	v_lshl_add_u64 v[86:87], v[108:109], 2, v[44:45]
	global_store_dword v[86:87], v88, off
	s_or_b64 exec, exec, s[26:27]
	s_and_b64 s[30:31], s[14:15], s[18:19]
	s_and_saveexec_b64 s[26:27], s[30:31]
	s_cbranch_execz .LBB95_83
.LBB95_108:
	s_and_b64 vcc, exec, s[0:1]
	s_cbranch_vccnz .LBB95_110
; %bb.109:
	v_lshl_add_u64 v[86:87], v[110:111], 2, v[46:47]
	flat_load_dword v86, v[86:87]
	s_waitcnt vmcnt(0) lgkmcnt(0)
	v_mul_f32_e32 v86, s33, v86
	s_branch .LBB95_111
.LBB95_110:
	v_mov_b32_e32 v86, 0
.LBB95_111:
	v_max_f32_e32 v87, v40, v40
	v_max_f32_e32 v88, v8, v8
	v_min_f32_e32 v88, v88, v87
	v_max_f32_e32 v87, v41, v41
	v_max_f32_e32 v89, v9, v9
	v_min_f32_e32 v89, v89, v87
	v_pk_add_f32 v[84:85], v[84:85], v[88:89]
	v_max_f32_e32 v87, v42, v42
	v_max_f32_e32 v88, v10, v10
	v_min_f32_e32 v88, v88, v87
	v_max_f32_e32 v87, v43, v43
	v_max_f32_e32 v89, v11, v11
	v_min_f32_e32 v89, v89, v87
	v_pk_add_f32 v[84:85], v[84:85], v[88:89]
	s_nop 0
	v_add_f32_e32 v84, v84, v85
	v_add_f32_e32 v86, v84, v86
	v_lshl_add_u64 v[84:85], v[110:111], 2, v[44:45]
	global_store_dword v[84:85], v86, off
	s_or_b64 exec, exec, s[26:27]
	s_and_b64 s[26:27], s[16:17], s[18:19]
	s_and_saveexec_b64 s[18:19], s[26:27]
	s_cbranch_execz .LBB95_116
.LBB95_112:
	s_and_b64 vcc, exec, s[0:1]
	s_cbranch_vccnz .LBB95_114
; %bb.113:
	v_lshl_add_u64 v[46:47], v[112:113], 2, v[46:47]
	flat_load_dword v46, v[46:47]
	s_waitcnt vmcnt(0) lgkmcnt(0)
	v_mul_f32_e32 v46, s33, v46
	s_branch .LBB95_115
.LBB95_114:
	v_mov_b32_e32 v46, 0
.LBB95_115:
	v_max_f32_e32 v41, v41, v41
	v_max_f32_e32 v47, v5, v5
	v_min_f32_e32 v41, v47, v41
	v_max_f32_e32 v40, v40, v40
	v_max_f32_e32 v47, v4, v4
	v_min_f32_e32 v40, v47, v40
	;; [unrolled: 3-line block ×3, first 2 shown]
	v_max_f32_e32 v42, v42, v42
	v_max_f32_e32 v47, v6, v6
	v_pk_add_f32 v[40:41], v[82:83], v[40:41]
	v_min_f32_e32 v42, v47, v42
	v_pk_add_f32 v[40:41], v[40:41], v[42:43]
	s_nop 0
	v_add_f32_e32 v40, v40, v41
	v_add_f32_e32 v42, v40, v46
	v_lshl_add_u64 v[40:41], v[112:113], 2, v[44:45]
	global_store_dword v[40:41], v42, off
.LBB95_116:
	s_or_b64 exec, exec, s[18:19]
	v_add_u32_e32 v44, 64, v124
	v_mad_i64_i32 v[40:41], s[26:27], v44, s29, 0
	v_cmp_gt_i32_e64 s[18:19], s21, v44
	v_lshl_add_u64 v[42:43], v[40:41], 2, s[24:25]
	v_mad_i64_i32 v[40:41], s[26:27], v44, s28, 0
	v_lshl_add_u64 v[40:41], v[40:41], 2, s[22:23]
	s_and_b64 s[30:31], s[2:3], s[18:19]
	s_and_saveexec_b64 s[26:27], s[30:31]
	s_cbranch_execnz .LBB95_124
; %bb.117:
	s_or_b64 exec, exec, s[26:27]
	s_and_b64 s[30:31], s[4:5], s[18:19]
	s_and_saveexec_b64 s[26:27], s[30:31]
	s_cbranch_execnz .LBB95_128
.LBB95_118:
	s_or_b64 exec, exec, s[26:27]
	s_and_b64 s[30:31], s[6:7], s[18:19]
	s_and_saveexec_b64 s[26:27], s[30:31]
	s_cbranch_execnz .LBB95_132
.LBB95_119:
	s_or_b64 exec, exec, s[26:27]
	s_and_b64 s[30:31], s[8:9], s[18:19]
	s_and_saveexec_b64 s[26:27], s[30:31]
	s_cbranch_execnz .LBB95_136
.LBB95_120:
	s_or_b64 exec, exec, s[26:27]
	s_and_b64 s[30:31], s[10:11], s[18:19]
	s_and_saveexec_b64 s[26:27], s[30:31]
	s_cbranch_execnz .LBB95_140
.LBB95_121:
	s_or_b64 exec, exec, s[26:27]
	s_and_b64 s[30:31], s[12:13], s[18:19]
	s_and_saveexec_b64 s[26:27], s[30:31]
	s_cbranch_execnz .LBB95_144
.LBB95_122:
	s_or_b64 exec, exec, s[26:27]
	s_and_b64 s[30:31], s[14:15], s[18:19]
	s_and_saveexec_b64 s[26:27], s[30:31]
	s_cbranch_execnz .LBB95_148
.LBB95_123:
	s_or_b64 exec, exec, s[26:27]
	s_and_b64 s[26:27], s[16:17], s[18:19]
	s_and_saveexec_b64 s[18:19], s[26:27]
	s_cbranch_execnz .LBB95_152
	s_branch .LBB95_156
.LBB95_124:
	s_and_b64 vcc, exec, s[0:1]
	s_cbranch_vccnz .LBB95_126
; %bb.125:
	v_lshl_add_u64 v[44:45], v[72:73], 2, v[42:43]
	flat_load_dword v44, v[44:45]
	s_waitcnt vmcnt(0) lgkmcnt(0)
	v_mul_f32_e32 v44, s33, v44
	s_branch .LBB95_127
.LBB95_126:
	v_mov_b32_e32 v44, 0
.LBB95_127:
	v_max_f32_e32 v45, v36, v36
	v_max_f32_e32 v46, v32, v32
	v_min_f32_e32 v46, v46, v45
	v_max_f32_e32 v45, v37, v37
	v_max_f32_e32 v47, v33, v33
	v_min_f32_e32 v47, v47, v45
	v_pk_add_f32 v[46:47], v[80:81], v[46:47]
	v_max_f32_e32 v45, v38, v38
	v_max_f32_e32 v80, v34, v34
	v_min_f32_e32 v80, v80, v45
	v_max_f32_e32 v45, v39, v39
	v_max_f32_e32 v81, v35, v35
	v_min_f32_e32 v81, v81, v45
	v_pk_add_f32 v[46:47], v[46:47], v[80:81]
	s_nop 0
	v_add_f32_e32 v45, v46, v47
	v_add_f32_e32 v46, v45, v44
	v_lshl_add_u64 v[44:45], v[72:73], 2, v[40:41]
	global_store_dword v[44:45], v46, off
	s_or_b64 exec, exec, s[26:27]
	s_and_b64 s[30:31], s[4:5], s[18:19]
	s_and_saveexec_b64 s[26:27], s[30:31]
	s_cbranch_execz .LBB95_118
.LBB95_128:
	s_and_b64 vcc, exec, s[0:1]
	s_cbranch_vccnz .LBB95_130
; %bb.129:
	v_lshl_add_u64 v[44:45], v[100:101], 2, v[42:43]
	flat_load_dword v44, v[44:45]
	s_waitcnt vmcnt(0) lgkmcnt(0)
	v_mul_f32_e32 v44, s33, v44
	s_branch .LBB95_131
.LBB95_130:
	v_mov_b32_e32 v44, 0
.LBB95_131:
	v_max_f32_e32 v45, v36, v36
	v_max_f32_e32 v46, v28, v28
	v_min_f32_e32 v46, v46, v45
	v_max_f32_e32 v45, v37, v37
	v_max_f32_e32 v47, v29, v29
	v_min_f32_e32 v47, v47, v45
	v_pk_add_f32 v[46:47], v[78:79], v[46:47]
	v_max_f32_e32 v45, v38, v38
	v_max_f32_e32 v78, v30, v30
	v_min_f32_e32 v78, v78, v45
	v_max_f32_e32 v45, v39, v39
	v_max_f32_e32 v79, v31, v31
	v_min_f32_e32 v79, v79, v45
	v_pk_add_f32 v[46:47], v[46:47], v[78:79]
	s_nop 0
	v_add_f32_e32 v45, v46, v47
	v_add_f32_e32 v46, v45, v44
	v_lshl_add_u64 v[44:45], v[100:101], 2, v[40:41]
	global_store_dword v[44:45], v46, off
	s_or_b64 exec, exec, s[26:27]
	s_and_b64 s[30:31], s[6:7], s[18:19]
	s_and_saveexec_b64 s[26:27], s[30:31]
	s_cbranch_execz .LBB95_119
.LBB95_132:
	s_and_b64 vcc, exec, s[0:1]
	s_cbranch_vccnz .LBB95_134
; %bb.133:
	v_lshl_add_u64 v[44:45], v[102:103], 2, v[42:43]
	flat_load_dword v44, v[44:45]
	s_waitcnt vmcnt(0) lgkmcnt(0)
	v_mul_f32_e32 v44, s33, v44
	s_branch .LBB95_135
.LBB95_134:
	v_mov_b32_e32 v44, 0
.LBB95_135:
	v_max_f32_e32 v45, v36, v36
	v_max_f32_e32 v46, v24, v24
	v_min_f32_e32 v46, v46, v45
	v_max_f32_e32 v45, v37, v37
	v_max_f32_e32 v47, v25, v25
	v_min_f32_e32 v47, v47, v45
	v_pk_add_f32 v[46:47], v[76:77], v[46:47]
	v_max_f32_e32 v45, v38, v38
	v_max_f32_e32 v76, v26, v26
	v_min_f32_e32 v76, v76, v45
	v_max_f32_e32 v45, v39, v39
	v_max_f32_e32 v77, v27, v27
	v_min_f32_e32 v77, v77, v45
	v_pk_add_f32 v[46:47], v[46:47], v[76:77]
	s_nop 0
	v_add_f32_e32 v45, v46, v47
	v_add_f32_e32 v46, v45, v44
	v_lshl_add_u64 v[44:45], v[102:103], 2, v[40:41]
	global_store_dword v[44:45], v46, off
	s_or_b64 exec, exec, s[26:27]
	s_and_b64 s[30:31], s[8:9], s[18:19]
	s_and_saveexec_b64 s[26:27], s[30:31]
	s_cbranch_execz .LBB95_120
.LBB95_136:
	s_and_b64 vcc, exec, s[0:1]
	s_cbranch_vccnz .LBB95_138
; %bb.137:
	v_lshl_add_u64 v[44:45], v[104:105], 2, v[42:43]
	flat_load_dword v44, v[44:45]
	s_waitcnt vmcnt(0) lgkmcnt(0)
	v_mul_f32_e32 v44, s33, v44
	s_branch .LBB95_139
.LBB95_138:
	v_mov_b32_e32 v44, 0
.LBB95_139:
	v_max_f32_e32 v45, v36, v36
	v_max_f32_e32 v46, v20, v20
	v_min_f32_e32 v46, v46, v45
	v_max_f32_e32 v45, v37, v37
	v_max_f32_e32 v47, v21, v21
	v_min_f32_e32 v47, v47, v45
	v_pk_add_f32 v[46:47], v[74:75], v[46:47]
	v_max_f32_e32 v45, v38, v38
	v_max_f32_e32 v74, v22, v22
	v_min_f32_e32 v74, v74, v45
	v_max_f32_e32 v45, v39, v39
	v_max_f32_e32 v75, v23, v23
	v_min_f32_e32 v75, v75, v45
	v_pk_add_f32 v[46:47], v[46:47], v[74:75]
	s_nop 0
	v_add_f32_e32 v45, v46, v47
	v_add_f32_e32 v46, v45, v44
	v_lshl_add_u64 v[44:45], v[104:105], 2, v[40:41]
	global_store_dword v[44:45], v46, off
	s_or_b64 exec, exec, s[26:27]
	s_and_b64 s[30:31], s[10:11], s[18:19]
	s_and_saveexec_b64 s[26:27], s[30:31]
	s_cbranch_execz .LBB95_121
.LBB95_140:
	s_and_b64 vcc, exec, s[0:1]
	s_cbranch_vccnz .LBB95_142
; %bb.141:
	v_lshl_add_u64 v[44:45], v[106:107], 2, v[42:43]
	flat_load_dword v44, v[44:45]
	s_waitcnt vmcnt(0) lgkmcnt(0)
	v_mul_f32_e32 v44, s33, v44
	s_branch .LBB95_143
.LBB95_142:
	v_mov_b32_e32 v44, 0
.LBB95_143:
	v_max_f32_e32 v45, v36, v36
	v_max_f32_e32 v46, v16, v16
	v_min_f32_e32 v46, v46, v45
	v_max_f32_e32 v45, v37, v37
	v_max_f32_e32 v47, v17, v17
	v_min_f32_e32 v47, v47, v45
	v_pk_add_f32 v[46:47], v[70:71], v[46:47]
	v_max_f32_e32 v45, v38, v38
	v_max_f32_e32 v70, v18, v18
	v_min_f32_e32 v70, v70, v45
	v_max_f32_e32 v45, v39, v39
	v_max_f32_e32 v71, v19, v19
	v_min_f32_e32 v71, v71, v45
	v_pk_add_f32 v[46:47], v[46:47], v[70:71]
	s_nop 0
	v_add_f32_e32 v45, v46, v47
	v_add_f32_e32 v46, v45, v44
	v_lshl_add_u64 v[44:45], v[106:107], 2, v[40:41]
	global_store_dword v[44:45], v46, off
	s_or_b64 exec, exec, s[26:27]
	s_and_b64 s[30:31], s[12:13], s[18:19]
	s_and_saveexec_b64 s[26:27], s[30:31]
	s_cbranch_execz .LBB95_122
.LBB95_144:
	s_and_b64 vcc, exec, s[0:1]
	s_cbranch_vccnz .LBB95_146
; %bb.145:
	v_lshl_add_u64 v[44:45], v[108:109], 2, v[42:43]
	flat_load_dword v44, v[44:45]
	s_waitcnt vmcnt(0) lgkmcnt(0)
	v_mul_f32_e32 v44, s33, v44
	s_branch .LBB95_147
.LBB95_146:
	v_mov_b32_e32 v44, 0
.LBB95_147:
	v_max_f32_e32 v45, v36, v36
	v_max_f32_e32 v46, v12, v12
	v_min_f32_e32 v46, v46, v45
	v_max_f32_e32 v45, v37, v37
	v_max_f32_e32 v47, v13, v13
	v_min_f32_e32 v47, v47, v45
	v_pk_add_f32 v[46:47], v[68:69], v[46:47]
	v_max_f32_e32 v45, v38, v38
	v_max_f32_e32 v68, v14, v14
	v_min_f32_e32 v68, v68, v45
	v_max_f32_e32 v45, v39, v39
	v_max_f32_e32 v69, v15, v15
	v_min_f32_e32 v69, v69, v45
	v_pk_add_f32 v[46:47], v[46:47], v[68:69]
	s_nop 0
	v_add_f32_e32 v45, v46, v47
	v_add_f32_e32 v46, v45, v44
	v_lshl_add_u64 v[44:45], v[108:109], 2, v[40:41]
	global_store_dword v[44:45], v46, off
	s_or_b64 exec, exec, s[26:27]
	s_and_b64 s[30:31], s[14:15], s[18:19]
	s_and_saveexec_b64 s[26:27], s[30:31]
	s_cbranch_execz .LBB95_123
.LBB95_148:
	s_and_b64 vcc, exec, s[0:1]
	s_cbranch_vccnz .LBB95_150
; %bb.149:
	v_lshl_add_u64 v[44:45], v[110:111], 2, v[42:43]
	flat_load_dword v44, v[44:45]
	s_waitcnt vmcnt(0) lgkmcnt(0)
	v_mul_f32_e32 v44, s33, v44
	s_branch .LBB95_151
.LBB95_150:
	v_mov_b32_e32 v44, 0
.LBB95_151:
	v_max_f32_e32 v45, v36, v36
	v_max_f32_e32 v46, v8, v8
	v_min_f32_e32 v46, v46, v45
	v_max_f32_e32 v45, v37, v37
	v_max_f32_e32 v47, v9, v9
	v_min_f32_e32 v47, v47, v45
	v_pk_add_f32 v[46:47], v[66:67], v[46:47]
	v_max_f32_e32 v45, v38, v38
	v_max_f32_e32 v66, v10, v10
	v_min_f32_e32 v66, v66, v45
	v_max_f32_e32 v45, v39, v39
	v_max_f32_e32 v67, v11, v11
	v_min_f32_e32 v67, v67, v45
	v_pk_add_f32 v[46:47], v[46:47], v[66:67]
	s_nop 0
	v_add_f32_e32 v45, v46, v47
	v_add_f32_e32 v46, v45, v44
	v_lshl_add_u64 v[44:45], v[110:111], 2, v[40:41]
	global_store_dword v[44:45], v46, off
	s_or_b64 exec, exec, s[26:27]
	s_and_b64 s[26:27], s[16:17], s[18:19]
	s_and_saveexec_b64 s[18:19], s[26:27]
	s_cbranch_execz .LBB95_156
.LBB95_152:
	s_and_b64 vcc, exec, s[0:1]
	s_cbranch_vccnz .LBB95_154
; %bb.153:
	v_lshl_add_u64 v[42:43], v[112:113], 2, v[42:43]
	flat_load_dword v42, v[42:43]
	s_waitcnt vmcnt(0) lgkmcnt(0)
	v_mul_f32_e32 v42, s33, v42
	s_branch .LBB95_155
.LBB95_154:
	v_mov_b32_e32 v42, 0
.LBB95_155:
	v_max_f32_e32 v37, v37, v37
	v_max_f32_e32 v43, v5, v5
	v_min_f32_e32 v37, v43, v37
	v_max_f32_e32 v36, v36, v36
	v_max_f32_e32 v43, v4, v4
	v_min_f32_e32 v36, v43, v36
	;; [unrolled: 3-line block ×3, first 2 shown]
	v_max_f32_e32 v38, v38, v38
	v_max_f32_e32 v43, v6, v6
	v_pk_add_f32 v[36:37], v[64:65], v[36:37]
	v_min_f32_e32 v38, v43, v38
	v_pk_add_f32 v[36:37], v[36:37], v[38:39]
	s_nop 0
	v_add_f32_e32 v36, v36, v37
	v_add_f32_e32 v38, v36, v42
	v_lshl_add_u64 v[36:37], v[112:113], 2, v[40:41]
	global_store_dword v[36:37], v38, off
.LBB95_156:
	s_or_b64 exec, exec, s[18:19]
	v_add_u32_e32 v40, 0x60, v124
	v_cmp_gt_i32_e64 s[18:19], s21, v40
	v_mad_i64_i32 v[36:37], s[20:21], v40, s29, 0
	v_lshl_add_u64 v[38:39], v[36:37], 2, s[24:25]
	v_mad_i64_i32 v[36:37], s[20:21], v40, s28, 0
	v_lshl_add_u64 v[36:37], v[36:37], 2, s[22:23]
	s_and_b64 s[20:21], s[2:3], s[18:19]
	s_and_saveexec_b64 s[2:3], s[20:21]
	s_cbranch_execnz .LBB95_165
; %bb.157:
	s_or_b64 exec, exec, s[2:3]
	s_and_b64 s[4:5], s[4:5], s[18:19]
	s_and_saveexec_b64 s[2:3], s[4:5]
	s_cbranch_execnz .LBB95_169
.LBB95_158:
	s_or_b64 exec, exec, s[2:3]
	s_and_b64 s[4:5], s[6:7], s[18:19]
	s_and_saveexec_b64 s[2:3], s[4:5]
	s_cbranch_execnz .LBB95_173
.LBB95_159:
	s_or_b64 exec, exec, s[2:3]
	s_and_b64 s[4:5], s[8:9], s[18:19]
	s_and_saveexec_b64 s[2:3], s[4:5]
	s_cbranch_execnz .LBB95_177
.LBB95_160:
	s_or_b64 exec, exec, s[2:3]
	s_and_b64 s[4:5], s[10:11], s[18:19]
	s_and_saveexec_b64 s[2:3], s[4:5]
	s_cbranch_execnz .LBB95_181
.LBB95_161:
	s_or_b64 exec, exec, s[2:3]
	s_and_b64 s[4:5], s[12:13], s[18:19]
	s_and_saveexec_b64 s[2:3], s[4:5]
	s_cbranch_execnz .LBB95_185
.LBB95_162:
	s_or_b64 exec, exec, s[2:3]
	s_and_b64 s[4:5], s[14:15], s[18:19]
	s_and_saveexec_b64 s[2:3], s[4:5]
	s_cbranch_execnz .LBB95_189
.LBB95_163:
	s_or_b64 exec, exec, s[2:3]
	s_and_b64 s[2:3], s[16:17], s[18:19]
	s_and_saveexec_b64 s[4:5], s[2:3]
	s_cbranch_execnz .LBB95_193
.LBB95_164:
	s_endpgm
.LBB95_165:
	s_and_b64 vcc, exec, s[0:1]
	s_cbranch_vccnz .LBB95_167
; %bb.166:
	v_lshl_add_u64 v[40:41], v[72:73], 2, v[38:39]
	flat_load_dword v40, v[40:41]
	s_waitcnt vmcnt(0) lgkmcnt(0)
	v_mul_f32_e32 v40, s33, v40
	s_branch .LBB95_168
.LBB95_167:
	v_mov_b32_e32 v40, 0
.LBB95_168:
	v_max_f32_e32 v41, v1, v1
	v_max_f32_e32 v33, v33, v33
	v_min_f32_e32 v33, v33, v41
	v_max_f32_e32 v41, v0, v0
	v_max_f32_e32 v32, v32, v32
	v_min_f32_e32 v32, v32, v41
	;; [unrolled: 3-line block ×3, first 2 shown]
	v_max_f32_e32 v41, v2, v2
	v_max_f32_e32 v34, v34, v34
	v_pk_add_f32 v[32:33], v[62:63], v[32:33]
	v_min_f32_e32 v34, v34, v41
	v_pk_add_f32 v[32:33], v[32:33], v[34:35]
	s_nop 0
	v_add_f32_e32 v32, v32, v33
	v_add_f32_e32 v34, v32, v40
	v_lshl_add_u64 v[32:33], v[72:73], 2, v[36:37]
	global_store_dword v[32:33], v34, off
	s_or_b64 exec, exec, s[2:3]
	s_and_b64 s[4:5], s[4:5], s[18:19]
	s_and_saveexec_b64 s[2:3], s[4:5]
	s_cbranch_execz .LBB95_158
.LBB95_169:
	s_and_b64 vcc, exec, s[0:1]
	s_cbranch_vccnz .LBB95_171
; %bb.170:
	v_lshl_add_u64 v[32:33], v[100:101], 2, v[38:39]
	flat_load_dword v32, v[32:33]
	s_waitcnt vmcnt(0) lgkmcnt(0)
	v_mul_f32_e32 v32, s33, v32
	s_branch .LBB95_172
.LBB95_171:
	v_mov_b32_e32 v32, 0
.LBB95_172:
	v_max_f32_e32 v33, v1, v1
	v_max_f32_e32 v29, v29, v29
	v_min_f32_e32 v29, v29, v33
	v_max_f32_e32 v33, v0, v0
	v_max_f32_e32 v28, v28, v28
	v_min_f32_e32 v28, v28, v33
	;; [unrolled: 3-line block ×3, first 2 shown]
	v_max_f32_e32 v33, v2, v2
	v_max_f32_e32 v30, v30, v30
	v_pk_add_f32 v[28:29], v[60:61], v[28:29]
	v_min_f32_e32 v30, v30, v33
	v_pk_add_f32 v[28:29], v[28:29], v[30:31]
	s_nop 0
	v_add_f32_e32 v28, v28, v29
	v_add_f32_e32 v30, v28, v32
	v_lshl_add_u64 v[28:29], v[100:101], 2, v[36:37]
	global_store_dword v[28:29], v30, off
	s_or_b64 exec, exec, s[2:3]
	s_and_b64 s[4:5], s[6:7], s[18:19]
	s_and_saveexec_b64 s[2:3], s[4:5]
	s_cbranch_execz .LBB95_159
.LBB95_173:
	s_and_b64 vcc, exec, s[0:1]
	s_cbranch_vccnz .LBB95_175
; %bb.174:
	v_lshl_add_u64 v[28:29], v[102:103], 2, v[38:39]
	flat_load_dword v28, v[28:29]
	s_waitcnt vmcnt(0) lgkmcnt(0)
	v_mul_f32_e32 v28, s33, v28
	s_branch .LBB95_176
.LBB95_175:
	v_mov_b32_e32 v28, 0
.LBB95_176:
	v_max_f32_e32 v29, v1, v1
	v_max_f32_e32 v25, v25, v25
	v_min_f32_e32 v25, v25, v29
	v_max_f32_e32 v29, v0, v0
	v_max_f32_e32 v24, v24, v24
	v_min_f32_e32 v24, v24, v29
	v_max_f32_e32 v29, v3, v3
	v_max_f32_e32 v27, v27, v27
	v_min_f32_e32 v27, v27, v29
	v_max_f32_e32 v29, v2, v2
	v_max_f32_e32 v26, v26, v26
	v_pk_add_f32 v[24:25], v[58:59], v[24:25]
	v_min_f32_e32 v26, v26, v29
	v_pk_add_f32 v[24:25], v[24:25], v[26:27]
	s_nop 0
	v_add_f32_e32 v24, v24, v25
	v_add_f32_e32 v26, v24, v28
	v_lshl_add_u64 v[24:25], v[102:103], 2, v[36:37]
	global_store_dword v[24:25], v26, off
	s_or_b64 exec, exec, s[2:3]
	s_and_b64 s[4:5], s[8:9], s[18:19]
	s_and_saveexec_b64 s[2:3], s[4:5]
	s_cbranch_execz .LBB95_160
.LBB95_177:
	s_and_b64 vcc, exec, s[0:1]
	s_cbranch_vccnz .LBB95_179
; %bb.178:
	v_lshl_add_u64 v[24:25], v[104:105], 2, v[38:39]
	flat_load_dword v24, v[24:25]
	s_waitcnt vmcnt(0) lgkmcnt(0)
	v_mul_f32_e32 v24, s33, v24
	s_branch .LBB95_180
.LBB95_179:
	v_mov_b32_e32 v24, 0
.LBB95_180:
	v_max_f32_e32 v25, v1, v1
	v_max_f32_e32 v21, v21, v21
	v_min_f32_e32 v21, v21, v25
	v_max_f32_e32 v25, v0, v0
	v_max_f32_e32 v20, v20, v20
	v_min_f32_e32 v20, v20, v25
	;; [unrolled: 3-line block ×3, first 2 shown]
	v_max_f32_e32 v25, v2, v2
	v_max_f32_e32 v22, v22, v22
	v_pk_add_f32 v[20:21], v[56:57], v[20:21]
	v_min_f32_e32 v22, v22, v25
	v_pk_add_f32 v[20:21], v[20:21], v[22:23]
	s_nop 0
	v_add_f32_e32 v20, v20, v21
	v_add_f32_e32 v22, v20, v24
	v_lshl_add_u64 v[20:21], v[104:105], 2, v[36:37]
	global_store_dword v[20:21], v22, off
	s_or_b64 exec, exec, s[2:3]
	s_and_b64 s[4:5], s[10:11], s[18:19]
	s_and_saveexec_b64 s[2:3], s[4:5]
	s_cbranch_execz .LBB95_161
.LBB95_181:
	s_and_b64 vcc, exec, s[0:1]
	s_cbranch_vccnz .LBB95_183
; %bb.182:
	v_lshl_add_u64 v[20:21], v[106:107], 2, v[38:39]
	flat_load_dword v20, v[20:21]
	s_waitcnt vmcnt(0) lgkmcnt(0)
	v_mul_f32_e32 v20, s33, v20
	s_branch .LBB95_184
.LBB95_183:
	v_mov_b32_e32 v20, 0
.LBB95_184:
	v_max_f32_e32 v21, v1, v1
	v_max_f32_e32 v17, v17, v17
	v_min_f32_e32 v17, v17, v21
	v_max_f32_e32 v21, v0, v0
	v_max_f32_e32 v16, v16, v16
	v_min_f32_e32 v16, v16, v21
	;; [unrolled: 3-line block ×3, first 2 shown]
	v_max_f32_e32 v21, v2, v2
	v_max_f32_e32 v18, v18, v18
	v_pk_add_f32 v[16:17], v[54:55], v[16:17]
	v_min_f32_e32 v18, v18, v21
	v_pk_add_f32 v[16:17], v[16:17], v[18:19]
	s_nop 0
	v_add_f32_e32 v16, v16, v17
	v_add_f32_e32 v18, v16, v20
	v_lshl_add_u64 v[16:17], v[106:107], 2, v[36:37]
	global_store_dword v[16:17], v18, off
	s_or_b64 exec, exec, s[2:3]
	s_and_b64 s[4:5], s[12:13], s[18:19]
	s_and_saveexec_b64 s[2:3], s[4:5]
	s_cbranch_execz .LBB95_162
.LBB95_185:
	s_and_b64 vcc, exec, s[0:1]
	s_cbranch_vccnz .LBB95_187
; %bb.186:
	v_lshl_add_u64 v[16:17], v[108:109], 2, v[38:39]
	flat_load_dword v16, v[16:17]
	s_waitcnt vmcnt(0) lgkmcnt(0)
	v_mul_f32_e32 v16, s33, v16
	s_branch .LBB95_188
.LBB95_187:
	v_mov_b32_e32 v16, 0
.LBB95_188:
	v_max_f32_e32 v17, v1, v1
	v_max_f32_e32 v13, v13, v13
	v_min_f32_e32 v13, v13, v17
	v_max_f32_e32 v17, v0, v0
	v_max_f32_e32 v12, v12, v12
	v_min_f32_e32 v12, v12, v17
	;; [unrolled: 3-line block ×3, first 2 shown]
	v_max_f32_e32 v17, v2, v2
	v_max_f32_e32 v14, v14, v14
	v_pk_add_f32 v[12:13], v[52:53], v[12:13]
	v_min_f32_e32 v14, v14, v17
	v_pk_add_f32 v[12:13], v[12:13], v[14:15]
	s_nop 0
	v_add_f32_e32 v12, v12, v13
	v_add_f32_e32 v14, v12, v16
	v_lshl_add_u64 v[12:13], v[108:109], 2, v[36:37]
	global_store_dword v[12:13], v14, off
	s_or_b64 exec, exec, s[2:3]
	s_and_b64 s[4:5], s[14:15], s[18:19]
	s_and_saveexec_b64 s[2:3], s[4:5]
	s_cbranch_execz .LBB95_163
.LBB95_189:
	s_and_b64 vcc, exec, s[0:1]
	s_cbranch_vccnz .LBB95_191
; %bb.190:
	v_lshl_add_u64 v[12:13], v[110:111], 2, v[38:39]
	flat_load_dword v12, v[12:13]
	s_waitcnt vmcnt(0) lgkmcnt(0)
	v_mul_f32_e32 v12, s33, v12
	s_branch .LBB95_192
.LBB95_191:
	v_mov_b32_e32 v12, 0
.LBB95_192:
	v_max_f32_e32 v13, v1, v1
	v_max_f32_e32 v9, v9, v9
	v_min_f32_e32 v9, v9, v13
	v_max_f32_e32 v13, v0, v0
	v_max_f32_e32 v8, v8, v8
	v_min_f32_e32 v8, v8, v13
	;; [unrolled: 3-line block ×3, first 2 shown]
	v_max_f32_e32 v13, v2, v2
	v_max_f32_e32 v10, v10, v10
	v_pk_add_f32 v[8:9], v[50:51], v[8:9]
	v_min_f32_e32 v10, v10, v13
	v_pk_add_f32 v[8:9], v[8:9], v[10:11]
	s_nop 0
	v_add_f32_e32 v8, v8, v9
	v_add_f32_e32 v10, v8, v12
	v_lshl_add_u64 v[8:9], v[110:111], 2, v[36:37]
	global_store_dword v[8:9], v10, off
	s_or_b64 exec, exec, s[2:3]
	s_and_b64 s[2:3], s[16:17], s[18:19]
	s_and_saveexec_b64 s[4:5], s[2:3]
	s_cbranch_execz .LBB95_164
.LBB95_193:
	s_and_b64 vcc, exec, s[0:1]
	s_cbranch_vccnz .LBB95_195
; %bb.194:
	v_lshl_add_u64 v[8:9], v[112:113], 2, v[38:39]
	flat_load_dword v8, v[8:9]
	s_waitcnt vmcnt(0) lgkmcnt(0)
	v_mul_f32_e32 v8, s33, v8
	s_branch .LBB95_196
.LBB95_195:
	v_mov_b32_e32 v8, 0
.LBB95_196:
	v_max_f32_e32 v0, v0, v0
	v_max_f32_e32 v4, v4, v4
	;; [unrolled: 1-line block ×4, first 2 shown]
	v_min_f32_e32 v0, v4, v0
	v_max_f32_e32 v3, v3, v3
	v_max_f32_e32 v4, v7, v7
	v_min_f32_e32 v1, v5, v1
	v_min_f32_e32 v3, v4, v3
	v_max_f32_e32 v2, v2, v2
	v_max_f32_e32 v4, v6, v6
	v_pk_add_f32 v[0:1], v[48:49], v[0:1]
	v_min_f32_e32 v2, v4, v2
	v_pk_add_f32 v[0:1], v[0:1], v[2:3]
	s_nop 0
	v_add_f32_e32 v0, v0, v1
	v_add_f32_e32 v2, v0, v8
	v_lshl_add_u64 v[0:1], v[112:113], 2, v[36:37]
	global_store_dword v[0:1], v2, off
	s_endpgm
	.section	.rodata,"a",@progbits
	.p2align	6, 0x0
	.amdhsa_kernel _ZN12_GLOBAL__N_120geam_min_plus_kernelIf15HIP_vector_typeIfLj2EES2_Li8ELi32ELi64ELi128ELi4ELi64ELi4ELi64ELi4ELc78ELc84ELb0ELb1ELb0EfKffEEviiiT16_PT17_ilS6_ilS4_S6_ilPT18_ili26rocblas_geam_ex_operation_
		.amdhsa_group_segment_fixed_size 6144
		.amdhsa_private_segment_fixed_size 0
		.amdhsa_kernarg_size 128
		.amdhsa_user_sgpr_count 2
		.amdhsa_user_sgpr_dispatch_ptr 0
		.amdhsa_user_sgpr_queue_ptr 0
		.amdhsa_user_sgpr_kernarg_segment_ptr 1
		.amdhsa_user_sgpr_dispatch_id 0
		.amdhsa_user_sgpr_kernarg_preload_length 0
		.amdhsa_user_sgpr_kernarg_preload_offset 0
		.amdhsa_user_sgpr_private_segment_size 0
		.amdhsa_uses_dynamic_stack 0
		.amdhsa_enable_private_segment 0
		.amdhsa_system_sgpr_workgroup_id_x 1
		.amdhsa_system_sgpr_workgroup_id_y 0
		.amdhsa_system_sgpr_workgroup_id_z 1
		.amdhsa_system_sgpr_workgroup_info 0
		.amdhsa_system_vgpr_workitem_id 1
		.amdhsa_next_free_vgpr 223
		.amdhsa_next_free_sgpr 40
		.amdhsa_accum_offset 224
		.amdhsa_reserve_vcc 1
		.amdhsa_float_round_mode_32 0
		.amdhsa_float_round_mode_16_64 0
		.amdhsa_float_denorm_mode_32 3
		.amdhsa_float_denorm_mode_16_64 3
		.amdhsa_dx10_clamp 1
		.amdhsa_ieee_mode 1
		.amdhsa_fp16_overflow 0
		.amdhsa_tg_split 0
		.amdhsa_exception_fp_ieee_invalid_op 0
		.amdhsa_exception_fp_denorm_src 0
		.amdhsa_exception_fp_ieee_div_zero 0
		.amdhsa_exception_fp_ieee_overflow 0
		.amdhsa_exception_fp_ieee_underflow 0
		.amdhsa_exception_fp_ieee_inexact 0
		.amdhsa_exception_int_div_zero 0
	.end_amdhsa_kernel
	.section	.text._ZN12_GLOBAL__N_120geam_min_plus_kernelIf15HIP_vector_typeIfLj2EES2_Li8ELi32ELi64ELi128ELi4ELi64ELi4ELi64ELi4ELc78ELc84ELb0ELb1ELb0EfKffEEviiiT16_PT17_ilS6_ilS4_S6_ilPT18_ili26rocblas_geam_ex_operation_,"axG",@progbits,_ZN12_GLOBAL__N_120geam_min_plus_kernelIf15HIP_vector_typeIfLj2EES2_Li8ELi32ELi64ELi128ELi4ELi64ELi4ELi64ELi4ELc78ELc84ELb0ELb1ELb0EfKffEEviiiT16_PT17_ilS6_ilS4_S6_ilPT18_ili26rocblas_geam_ex_operation_,comdat
.Lfunc_end95:
	.size	_ZN12_GLOBAL__N_120geam_min_plus_kernelIf15HIP_vector_typeIfLj2EES2_Li8ELi32ELi64ELi128ELi4ELi64ELi4ELi64ELi4ELc78ELc84ELb0ELb1ELb0EfKffEEviiiT16_PT17_ilS6_ilS4_S6_ilPT18_ili26rocblas_geam_ex_operation_, .Lfunc_end95-_ZN12_GLOBAL__N_120geam_min_plus_kernelIf15HIP_vector_typeIfLj2EES2_Li8ELi32ELi64ELi128ELi4ELi64ELi4ELi64ELi4ELc78ELc84ELb0ELb1ELb0EfKffEEviiiT16_PT17_ilS6_ilS4_S6_ilPT18_ili26rocblas_geam_ex_operation_
                                        ; -- End function
	.section	.AMDGPU.csdata,"",@progbits
; Kernel info:
; codeLenInByte = 11164
; NumSgprs: 46
; NumVgprs: 223
; NumAgprs: 0
; TotalNumVgprs: 223
; ScratchSize: 0
; MemoryBound: 0
; FloatMode: 240
; IeeeMode: 1
; LDSByteSize: 6144 bytes/workgroup (compile time only)
; SGPRBlocks: 5
; VGPRBlocks: 27
; NumSGPRsForWavesPerEU: 46
; NumVGPRsForWavesPerEU: 223
; AccumOffset: 224
; Occupancy: 2
; WaveLimiterHint : 0
; COMPUTE_PGM_RSRC2:SCRATCH_EN: 0
; COMPUTE_PGM_RSRC2:USER_SGPR: 2
; COMPUTE_PGM_RSRC2:TRAP_HANDLER: 0
; COMPUTE_PGM_RSRC2:TGID_X_EN: 1
; COMPUTE_PGM_RSRC2:TGID_Y_EN: 0
; COMPUTE_PGM_RSRC2:TGID_Z_EN: 1
; COMPUTE_PGM_RSRC2:TIDIG_COMP_CNT: 1
; COMPUTE_PGM_RSRC3_GFX90A:ACCUM_OFFSET: 55
; COMPUTE_PGM_RSRC3_GFX90A:TG_SPLIT: 0
	.section	.text._ZN12_GLOBAL__N_120geam_min_plus_kernelIf15HIP_vector_typeIfLj2EES2_Li8ELi32ELi64ELi128ELi4ELi4ELi64ELi64ELi4ELc84ELc84ELb0ELb0ELb0EPKfS3_fEEviiiT16_PT17_ilS7_ilS5_S7_ilPT18_ili26rocblas_geam_ex_operation_,"axG",@progbits,_ZN12_GLOBAL__N_120geam_min_plus_kernelIf15HIP_vector_typeIfLj2EES2_Li8ELi32ELi64ELi128ELi4ELi4ELi64ELi64ELi4ELc84ELc84ELb0ELb0ELb0EPKfS3_fEEviiiT16_PT17_ilS7_ilS5_S7_ilPT18_ili26rocblas_geam_ex_operation_,comdat
	.globl	_ZN12_GLOBAL__N_120geam_min_plus_kernelIf15HIP_vector_typeIfLj2EES2_Li8ELi32ELi64ELi128ELi4ELi4ELi64ELi64ELi4ELc84ELc84ELb0ELb0ELb0EPKfS3_fEEviiiT16_PT17_ilS7_ilS5_S7_ilPT18_ili26rocblas_geam_ex_operation_ ; -- Begin function _ZN12_GLOBAL__N_120geam_min_plus_kernelIf15HIP_vector_typeIfLj2EES2_Li8ELi32ELi64ELi128ELi4ELi4ELi64ELi64ELi4ELc84ELc84ELb0ELb0ELb0EPKfS3_fEEviiiT16_PT17_ilS7_ilS5_S7_ilPT18_ili26rocblas_geam_ex_operation_
	.p2align	8
	.type	_ZN12_GLOBAL__N_120geam_min_plus_kernelIf15HIP_vector_typeIfLj2EES2_Li8ELi32ELi64ELi128ELi4ELi4ELi64ELi64ELi4ELc84ELc84ELb0ELb0ELb0EPKfS3_fEEviiiT16_PT17_ilS7_ilS5_S7_ilPT18_ili26rocblas_geam_ex_operation_,@function
_ZN12_GLOBAL__N_120geam_min_plus_kernelIf15HIP_vector_typeIfLj2EES2_Li8ELi32ELi64ELi128ELi4ELi4ELi64ELi64ELi4ELc84ELc84ELb0ELb0ELb0EPKfS3_fEEviiiT16_PT17_ilS7_ilS5_S7_ilPT18_ili26rocblas_geam_ex_operation_: ; @_ZN12_GLOBAL__N_120geam_min_plus_kernelIf15HIP_vector_typeIfLj2EES2_Li8ELi32ELi64ELi128ELi4ELi4ELi64ELi64ELi4ELc84ELc84ELb0ELb0ELb0EPKfS3_fEEviiiT16_PT17_ilS7_ilS5_S7_ilPT18_ili26rocblas_geam_ex_operation_
; %bb.0:
	s_load_dwordx4 s[12:15], s[0:1], 0x10
	s_load_dwordx4 s[4:7], s[0:1], 0x28
	s_mov_b32 s16, s3
	s_mov_b32 s17, 0
	s_lshl_b64 s[18:19], s[16:17], 2
	s_waitcnt lgkmcnt(0)
	s_add_u32 s20, s12, s18
	s_load_dwordx4 s[8:11], s[0:1], 0x40
	s_addc_u32 s21, s13, s19
	s_load_dword s12, s[20:21], 0x0
	s_load_dwordx2 s[22:23], s[0:1], 0x50
	s_mov_b64 s[20:21], 0
	s_waitcnt lgkmcnt(0)
	s_add_u32 s10, s10, s18
	s_addc_u32 s11, s11, s19
	v_cmp_eq_f32_e64 s[18:19], s12, 0
	v_cmp_neq_f32_e64 s[24:25], s12, 0
	s_and_b64 vcc, exec, s[18:19]
	s_mov_b64 s[18:19], 0
	s_cbranch_vccnz .LBB96_2
; %bb.1:
	s_mul_i32 s3, s16, s5
	s_mul_hi_u32 s5, s16, s4
	s_add_i32 s5, s5, s3
	s_mul_i32 s4, s16, s4
	s_lshl_b64 s[4:5], s[4:5], 2
	s_add_u32 s18, s14, s4
	s_addc_u32 s19, s15, s5
.LBB96_2:
	s_load_dword s17, s[10:11], 0x0
	v_cndmask_b32_e64 v1, 0, 1, s[24:25]
	v_cmp_ne_u32_e64 s[4:5], 1, v1
	s_andn2_b64 vcc, exec, s[24:25]
	s_cbranch_vccnz .LBB96_4
; %bb.3:
	s_mul_i32 s3, s16, s9
	s_mul_hi_u32 s9, s16, s8
	s_add_i32 s9, s9, s3
	s_mul_i32 s8, s16, s8
	s_lshl_b64 s[8:9], s[8:9], 2
	s_add_u32 s20, s6, s8
	s_addc_u32 s21, s7, s9
.LBB96_4:
	s_load_dwordx4 s[8:11], s[0:1], 0x60
	s_waitcnt lgkmcnt(0)
	v_cmp_eq_f32_e64 s[6:7], s17, 0
	s_and_b64 s[6:7], exec, s[6:7]
	s_mov_b64 vcc, s[6:7]
	s_cbranch_vccnz .LBB96_6
; %bb.5:
	s_mul_i32 s3, s16, s9
	s_mul_hi_u32 s9, s16, s8
	s_add_i32 s9, s9, s3
	s_mul_i32 s8, s16, s8
	s_lshl_b64 s[8:9], s[8:9], 2
	s_add_u32 s8, s22, s8
	s_addc_u32 s9, s23, s9
	s_branch .LBB96_7
.LBB96_6:
	s_mov_b64 s[8:9], 0
.LBB96_7:
	s_load_dword s3, s[0:1], 0x0
	s_load_dword s25, s[0:1], 0x20
	v_and_b32_e32 v202, 0x3ff, v0
	v_bfe_u32 v203, v0, 10, 10
	v_lshl_add_u32 v2, v203, 3, v202
	s_waitcnt lgkmcnt(0)
	s_add_i32 s3, s3, -1
	s_ashr_i32 s13, s3, 31
	s_lshr_b32 s13, s13, 26
	s_add_i32 s3, s3, s13
	s_ashr_i32 s3, s3, 6
	s_add_i32 s13, s3, 1
	v_cvt_f32_u32_e32 v1, s13
	s_not_b32 s3, s3
	v_lshrrev_b32_e32 v9, 2, v2
	v_rcp_iflag_f32_e32 v1, v1
	s_nop 0
	v_mul_f32_e32 v0, 0x4f7ffffe, v1
	v_cvt_u32_f32_e32 v0, v0
	v_and_b32_e32 v1, 3, v202
	v_readfirstlane_b32 s14, v0
	s_mul_i32 s3, s3, s14
	s_mul_hi_u32 s3, s14, s3
	s_add_i32 s14, s14, s3
	s_mul_hi_u32 s3, s2, s14
	s_mul_i32 s14, s3, s13
	s_sub_i32 s14, s2, s14
	s_add_i32 s15, s3, 1
	s_sub_i32 s22, s14, s13
	s_cmp_ge_u32 s14, s13
	s_cselect_b32 s3, s15, s3
	s_cselect_b32 s14, s22, s14
	s_add_i32 s15, s3, 1
	s_cmp_ge_u32 s14, s13
	s_cselect_b32 s3, s15, s3
	s_mul_i32 s13, s3, s13
	s_sub_i32 s2, s2, s13
	s_lshl_b32 s22, s2, 6
	s_and_b64 vcc, exec, s[4:5]
	v_add_u32_e32 v6, s22, v9
	v_lshlrev_b32_e32 v0, 2, v1
	s_cbranch_vccnz .LBB96_9
; %bb.8:
	v_mad_i64_i32 v[4:5], s[14:15], v6, s25, 0
	v_lshl_add_u64 v[4:5], v[4:5], 2, s[18:19]
	v_mov_b32_e32 v1, 0
	v_lshl_add_u64 v[4:5], v[4:5], 0, v[0:1]
	flat_load_dword v1, v[4:5]
	s_waitcnt vmcnt(0) lgkmcnt(0)
	v_mul_f32_e32 v10, s12, v1
	s_branch .LBB96_10
.LBB96_9:
	v_mov_b32_e32 v10, 0
.LBB96_10:
	s_load_dword s14, s[0:1], 0x38
	v_and_b32_e32 v8, 63, v2
	s_lshl_b32 s23, s3, 7
	v_lshrrev_b32_e32 v7, 6, v2
	v_or_b32_e32 v2, s23, v8
	s_and_b64 vcc, exec, s[4:5]
	s_waitcnt lgkmcnt(0)
	s_ashr_i32 s15, s14, 31
	v_ashrrev_i32_e32 v3, 31, v2
	s_cbranch_vccnz .LBB96_14
; %bb.11:
	v_mad_i64_i32 v[4:5], s[2:3], s14, v7, 0
	v_lshl_add_u64 v[4:5], v[4:5], 2, s[20:21]
	v_lshl_add_u64 v[4:5], v[2:3], 2, v[4:5]
	flat_load_dword v12, v[4:5]
	flat_load_dword v13, v[4:5] offset:256
	s_waitcnt vmcnt(0) lgkmcnt(0)
	v_pk_mul_f32 v[4:5], s[12:13], v[12:13] op_sel_hi:[0,1]
	s_and_b64 vcc, exec, s[4:5]
	s_cbranch_vccnz .LBB96_15
.LBB96_12:
	v_mad_i64_i32 v[12:13], s[2:3], v6, s25, 0
	v_lshl_add_u64 v[12:13], v[12:13], 2, s[18:19]
	v_mov_b32_e32 v1, 0
	v_lshl_add_u64 v[12:13], v[12:13], 0, v[0:1]
	flat_load_dword v1, v[12:13] offset:16
	s_waitcnt vmcnt(0) lgkmcnt(0)
	v_mul_f32_e32 v1, s12, v1
	s_and_b64 vcc, exec, s[4:5]
	s_cbranch_vccnz .LBB96_16
.LBB96_13:
	v_add_u32_e32 v11, 4, v7
	v_mad_i64_i32 v[12:13], s[2:3], s14, v11, 0
	v_lshl_add_u64 v[12:13], v[12:13], 2, s[20:21]
	v_lshl_add_u64 v[2:3], v[2:3], 2, v[12:13]
	flat_load_dword v12, v[2:3]
	flat_load_dword v13, v[2:3] offset:256
	s_waitcnt vmcnt(0) lgkmcnt(0)
	v_pk_mul_f32 v[2:3], s[12:13], v[12:13] op_sel_hi:[0,1]
	s_branch .LBB96_17
.LBB96_14:
	v_mov_b32_e32 v4, 0
	v_mov_b32_e32 v5, 0
	s_and_b64 vcc, exec, s[4:5]
	s_cbranch_vccz .LBB96_12
.LBB96_15:
	v_mov_b32_e32 v1, 0
	s_and_b64 vcc, exec, s[4:5]
	s_cbranch_vccz .LBB96_13
.LBB96_16:
	v_mov_b32_e32 v2, 0
	v_mov_b32_e32 v3, 0
.LBB96_17:
	v_lshl_or_b32 v9, v9, 4, v0
	ds_write_b32 v9, v10 offset:4096
	v_lshlrev_b32_e32 v10, 2, v7
	v_lshl_add_u32 v206, v8, 4, v10
	v_lshlrev_b32_e32 v205, 4, v203
	ds_write2st64_b32 v206, v4, v5 offset1:4
	s_waitcnt lgkmcnt(0)
	s_barrier
	ds_read_b128 v[10:13], v205
	v_lshlrev_b32_e32 v204, 4, v202
	ds_read_b128 v[14:17], v204 offset:4992
	ds_read_b128 v[18:21], v205 offset:512
	;; [unrolled: 1-line block ×5, first 2 shown]
	s_waitcnt lgkmcnt(5)
	v_max_f32_e32 v52, v11, v11
	s_waitcnt lgkmcnt(4)
	v_max_f32_e32 v56, v15, v15
	v_max_f32_e32 v53, v10, v10
	;; [unrolled: 1-line block ×3, first 2 shown]
	ds_read_b128 v[34:37], v204 offset:4096
	ds_read_b128 v[38:41], v204 offset:4224
	v_max_f32_e32 v106, v13, v13
	v_max_f32_e32 v107, v12, v12
	;; [unrolled: 1-line block ×4, first 2 shown]
	ds_read_b128 v[10:13], v204 offset:4352
	ds_read_b128 v[14:17], v204 offset:4480
	s_waitcnt lgkmcnt(4)
	v_max_f32_e32 v58, v31, v31
	v_max_f32_e32 v59, v30, v30
	;; [unrolled: 1-line block ×4, first 2 shown]
	s_waitcnt lgkmcnt(2)
	v_max_f32_e32 v26, v38, v38
	v_max_f32_e32 v27, v39, v39
	s_waitcnt lgkmcnt(1)
	v_max_f32_e32 v30, v10, v10
	v_max_f32_e32 v31, v11, v11
	;; [unrolled: 3-line block ×3, first 2 shown]
	v_max_f32_e32 v73, v13, v13
	ds_read_b128 v[10:13], v204 offset:4608
	v_max_f32_e32 v39, v15, v15
	v_max_f32_e32 v76, v16, v16
	v_max_f32_e32 v77, v17, v17
	ds_read_b128 v[14:17], v204 offset:4736
	v_max_f32_e32 v54, v19, v19
	v_max_f32_e32 v55, v18, v18
	;; [unrolled: 1-line block ×4, first 2 shown]
	s_waitcnt lgkmcnt(0)
	v_max_f32_e32 v50, v14, v14
	v_max_f32_e32 v51, v15, v15
	;; [unrolled: 1-line block ×6, first 2 shown]
	v_min_f32_e32 v48, v50, v53
	v_min_f32_e32 v49, v51, v52
	;; [unrolled: 1-line block ×10, first 2 shown]
	v_max_f32_e32 v122, v21, v21
	v_max_f32_e32 v123, v20, v20
	;; [unrolled: 1-line block ×12, first 2 shown]
	v_min_f32_e32 v4, v18, v53
	v_min_f32_e32 v5, v19, v52
	;; [unrolled: 1-line block ×38, first 2 shown]
	v_pk_add_f32 v[50:51], v[50:51], 0 op_sel_hi:[1,0]
	v_min_f32_e32 v57, v120, v106
	v_min_f32_e32 v56, v121, v107
	v_pk_add_f32 v[88:89], v[56:57], v[50:51]
	v_pk_add_f32 v[50:51], v[52:53], 0 op_sel_hi:[1,0]
	v_min_f32_e32 v53, v120, v122
	v_min_f32_e32 v52, v121, v123
	v_max_f32_e32 v66, v36, v36
	v_max_f32_e32 v67, v37, v37
	v_pk_add_f32 v[74:75], v[52:53], v[50:51]
	v_pk_add_f32 v[50:51], v[54:55], 0 op_sel_hi:[1,0]
	v_min_f32_e32 v53, v120, v124
	v_min_f32_e32 v52, v121, v125
	v_max_f32_e32 v126, v29, v29
	v_max_f32_e32 v127, v28, v28
	v_min_f32_e32 v28, v30, v59
	v_min_f32_e32 v29, v31, v58
	;; [unrolled: 1-line block ×14, first 2 shown]
	v_pk_add_f32 v[60:61], v[52:53], v[50:51]
	v_pk_add_f32 v[4:5], v[4:5], 0 op_sel_hi:[1,0]
	v_min_f32_e32 v50, v66, v107
	v_min_f32_e32 v51, v67, v106
	v_pk_add_f32 v[118:119], v[50:51], v[4:5]
	v_pk_add_f32 v[4:5], v[10:11], 0 op_sel_hi:[1,0]
	v_min_f32_e32 v10, v66, v123
	v_min_f32_e32 v11, v67, v122
	;; [unrolled: 4-line block ×3, first 2 shown]
	v_min_f32_e32 v100, v70, v59
	v_min_f32_e32 v101, v71, v58
	v_pk_add_f32 v[70:71], v[10:11], v[4:5]
	v_min_f32_e32 v5, v67, v126
	v_min_f32_e32 v4, v66, v127
	v_pk_add_f32 v[10:11], v[14:15], 0 op_sel_hi:[1,0]
	s_load_dword s24, s[0:1], 0x8
	v_pk_add_f32 v[56:57], v[4:5], v[10:11]
	v_pk_add_f32 v[4:5], v[16:17], 0 op_sel_hi:[1,0]
	v_min_f32_e32 v10, v68, v107
	v_min_f32_e32 v11, v69, v106
	v_pk_add_f32 v[116:117], v[10:11], v[4:5]
	v_pk_add_f32 v[4:5], v[18:19], 0 op_sel_hi:[1,0]
	v_min_f32_e32 v10, v68, v123
	v_min_f32_e32 v11, v69, v122
	;; [unrolled: 4-line block ×3, first 2 shown]
	v_pk_add_f32 v[66:67], v[10:11], v[4:5]
	v_min_f32_e32 v5, v69, v126
	v_min_f32_e32 v4, v68, v127
	v_pk_add_f32 v[10:11], v[22:23], 0 op_sel_hi:[1,0]
	s_waitcnt lgkmcnt(0)
	s_cmp_lt_i32 s24, 9
	v_pk_add_f32 v[50:51], v[4:5], v[10:11]
	v_pk_add_f32 v[4:5], v[24:25], 0 op_sel_hi:[1,0]
	v_min_f32_e32 v10, v72, v107
	v_min_f32_e32 v11, v73, v106
	v_pk_add_f32 v[114:115], v[10:11], v[4:5]
	v_pk_add_f32 v[4:5], v[26:27], 0 op_sel_hi:[1,0]
	v_min_f32_e32 v10, v72, v123
	v_min_f32_e32 v11, v73, v122
	;; [unrolled: 4-line block ×3, first 2 shown]
	v_pk_add_f32 v[68:69], v[10:11], v[4:5]
	v_min_f32_e32 v5, v73, v126
	v_min_f32_e32 v4, v72, v127
	v_pk_add_f32 v[10:11], v[30:31], 0 op_sel_hi:[1,0]
	ds_write2st64_b32 v206, v2, v3 offset0:8 offset1:12
	ds_write_b32 v9, v1 offset:5120
	v_pk_add_f32 v[52:53], v[4:5], v[10:11]
	v_pk_add_f32 v[4:5], v[32:33], 0 op_sel_hi:[1,0]
	v_min_f32_e32 v10, v76, v107
	v_min_f32_e32 v11, v77, v106
	v_pk_add_f32 v[112:113], v[10:11], v[4:5]
	v_pk_add_f32 v[4:5], v[34:35], 0 op_sel_hi:[1,0]
	v_min_f32_e32 v10, v76, v123
	v_min_f32_e32 v11, v77, v122
	;; [unrolled: 4-line block ×3, first 2 shown]
	v_pk_add_f32 v[72:73], v[10:11], v[4:5]
	v_min_f32_e32 v5, v77, v126
	v_min_f32_e32 v4, v76, v127
	v_pk_add_f32 v[10:11], v[38:39], 0 op_sel_hi:[1,0]
	s_waitcnt lgkmcnt(0)
	v_pk_add_f32 v[54:55], v[4:5], v[10:11]
	v_pk_add_f32 v[4:5], v[40:41], 0 op_sel_hi:[1,0]
	v_min_f32_e32 v10, v78, v107
	v_min_f32_e32 v11, v79, v106
	v_pk_add_f32 v[110:111], v[10:11], v[4:5]
	v_pk_add_f32 v[4:5], v[42:43], 0 op_sel_hi:[1,0]
	v_min_f32_e32 v10, v78, v123
	v_min_f32_e32 v11, v79, v122
	;; [unrolled: 4-line block ×3, first 2 shown]
	v_pk_add_f32 v[76:77], v[10:11], v[4:5]
	v_min_f32_e32 v5, v79, v126
	v_min_f32_e32 v4, v78, v127
	v_pk_add_f32 v[10:11], v[46:47], 0 op_sel_hi:[1,0]
	s_barrier
	v_pk_add_f32 v[58:59], v[4:5], v[10:11]
	v_pk_add_f32 v[4:5], v[48:49], 0 op_sel_hi:[1,0]
	v_min_f32_e32 v10, v128, v107
	v_min_f32_e32 v11, v129, v106
	v_pk_add_f32 v[108:109], v[10:11], v[4:5]
	v_pk_add_f32 v[4:5], v[62:63], 0 op_sel_hi:[1,0]
	v_min_f32_e32 v10, v128, v123
	v_min_f32_e32 v11, v129, v122
	;; [unrolled: 4-line block ×3, first 2 shown]
	v_pk_add_f32 v[78:79], v[10:11], v[4:5]
	v_min_f32_e32 v5, v129, v126
	v_min_f32_e32 v4, v128, v127
	v_pk_add_f32 v[10:11], v[80:81], 0 op_sel_hi:[1,0]
	s_nop 0
	v_pk_add_f32 v[62:63], v[4:5], v[10:11]
	v_min_f32_e32 v4, v130, v107
	v_min_f32_e32 v5, v131, v106
	v_pk_add_f32 v[10:11], v[96:97], 0 op_sel_hi:[1,0]
	s_nop 0
	;; [unrolled: 5-line block ×6, first 2 shown]
	v_pk_add_f32 v[48:49], v[4:5], v[10:11]
	s_cbranch_scc1 .LBB96_31
; %bb.18:
	v_mov_b32_e32 v1, 0x1400
	v_lshl_add_u32 v211, v202, 4, v1
	v_mov_b32_e32 v1, 0x800
	v_lshl_add_u32 v212, v203, 4, v1
	v_add_u32_e32 v1, 12, v7
	v_mad_i64_i32 v[2:3], s[2:3], v1, s14, 0
	v_lshlrev_b64 v[98:99], 2, v[2:3]
	v_add_u32_e32 v2, s23, v8
	v_ashrrev_i32_e32 v3, 31, v2
	v_lshl_add_u64 v[100:101], v[2:3], 2, s[20:21]
	v_mad_i64_i32 v[2:3], s[20:21], s25, v6, 0
	v_mov_b32_e32 v1, 0
	v_lshl_add_u64 v[0:1], v[2:3], 2, v[0:1]
	v_lshl_add_u64 v[0:1], v[0:1], 0, s[18:19]
	;; [unrolled: 1-line block ×3, first 2 shown]
	v_add_u32_e32 v0, 8, v7
	s_lshl_b64 s[2:3], s[14:15], 5
	v_mad_i64_i32 v[0:1], s[14:15], v0, s14, 0
	v_add_u32_e32 v207, 0x1000, v9
	v_add_u32_e32 v208, 0x1000, v204
	;; [unrolled: 1-line block ×3, first 2 shown]
	v_or_b32_e32 v210, 0x800, v206
	s_add_i32 s24, s24, -8
	s_mov_b32 s13, s12
	v_lshlrev_b64 v[104:105], 2, v[0:1]
	s_mov_b32 s14, 0
	s_branch .LBB96_21
.LBB96_19:                              ;   in Loop: Header=BB96_21 Depth=1
	v_lshl_add_u64 v[16:17], v[100:101], 0, v[98:99]
	flat_load_dword v214, v[16:17]
	flat_load_dword v215, v[16:17] offset:256
	s_waitcnt vmcnt(0) lgkmcnt(0)
	v_pk_mul_f32 v[16:17], s[12:13], v[214:215]
.LBB96_20:                              ;   in Loop: Header=BB96_21 Depth=1
	v_pk_add_f32 v[40:41], v[40:41], v[88:89]
	v_pk_add_f32 v[32:33], v[32:33], v[60:61]
	;; [unrolled: 1-line block ×32, first 2 shown]
	ds_read_b128 v[0:3], v205
	ds_read_b128 v[8:11], v205 offset:512
	v_pk_add_f32 v[22:23], v[6:7], v[80:81]
	ds_read_b128 v[4:7], v208 offset:896
	ds_read_b128 v[12:15], v208 offset:768
	ds_read_b128 v[80:83], v205 offset:1536
	ds_read_b128 v[84:87], v205 offset:1024
	v_pk_add_f32 v[88:89], v[128:129], v[68:69]
	v_pk_add_f32 v[90:91], v[136:137], v[90:91]
	;; [unrolled: 1-line block ×6, first 2 shown]
	ds_read_b128 v[88:91], v208
	v_pk_add_f32 v[36:37], v[36:37], v[74:75]
	v_pk_add_f32 v[112:113], v[138:139], v[112:113]
	;; [unrolled: 1-line block ×9, first 2 shown]
	s_waitcnt lgkmcnt(4)
	v_max_f32_e32 v113, v5, v5
	v_max_f32_e32 v115, v4, v4
	;; [unrolled: 1-line block ×4, first 2 shown]
	s_waitcnt lgkmcnt(1)
	v_max_f32_e32 v118, v85, v85
	v_max_f32_e32 v119, v84, v84
	v_min_f32_e32 v5, v113, v116
	v_min_f32_e32 v4, v115, v117
	;; [unrolled: 1-line block ×4, first 2 shown]
	v_max_f32_e32 v112, v1, v1
	v_max_f32_e32 v114, v0, v0
	v_pk_add_f32 v[4:5], v[4:5], v[78:79]
	v_pk_add_f32 v[8:9], v[8:9], v[76:77]
	ds_read_b128 v[76:79], v208 offset:128
	s_waitcnt lgkmcnt(1)
	v_max_f32_e32 v88, v88, v88
	v_max_f32_e32 v89, v89, v89
	v_min_f32_e32 v84, v88, v114
	v_min_f32_e32 v85, v89, v112
	v_pk_add_f32 v[92:93], v[142:143], v[92:93]
	v_pk_add_f32 v[84:85], v[84:85], v[70:71]
	v_min_f32_e32 v70, v88, v117
	v_min_f32_e32 v71, v89, v116
	v_pk_add_f32 v[94:95], v[148:149], v[94:95]
	v_pk_add_f32 v[40:41], v[182:183], v[92:93]
	;; [unrolled: 1-line block ×3, first 2 shown]
	v_min_f32_e32 v70, v88, v119
	v_min_f32_e32 v71, v89, v118
	v_pk_add_f32 v[32:33], v[192:193], v[94:95]
	v_pk_add_f32 v[94:95], v[70:71], v[74:75]
	v_max_f32_e32 v74, v81, v81
	v_max_f32_e32 v75, v80, v80
	v_pk_add_f32 v[68:69], v[26:27], v[24:25]
	v_min_f32_e32 v71, v89, v74
	v_min_f32_e32 v70, v88, v75
	s_waitcnt lgkmcnt(0)
	v_max_f32_e32 v72, v76, v76
	v_max_f32_e32 v73, v77, v77
	v_pk_add_f32 v[68:69], v[70:71], v[68:69]
	v_min_f32_e32 v70, v72, v114
	v_min_f32_e32 v71, v73, v112
	v_pk_add_f32 v[76:77], v[70:71], v[62:63]
	v_min_f32_e32 v62, v72, v117
	v_min_f32_e32 v63, v73, v116
	;; [unrolled: 3-line block ×3, first 2 shown]
	v_pk_add_f32 v[66:67], v[62:63], v[66:67]
	ds_read_b128 v[62:65], v208 offset:256
	v_pk_add_f32 v[96:97], v[154:155], v[96:97]
	v_min_f32_e32 v71, v73, v74
	v_min_f32_e32 v70, v72, v75
	v_pk_add_f32 v[24:25], v[198:199], v[96:97]
	v_pk_add_f32 v[96:97], v[70:71], v[60:61]
	ds_read_b128 v[70:73], v208 offset:384
	s_waitcnt lgkmcnt(1)
	v_max_f32_e32 v62, v62, v62
	v_max_f32_e32 v63, v63, v63
	v_min_f32_e32 v60, v62, v114
	v_min_f32_e32 v61, v63, v112
	v_pk_add_f32 v[106:107], v[156:157], v[106:107]
	v_pk_add_f32 v[54:55], v[60:61], v[54:55]
	v_min_f32_e32 v60, v62, v117
	v_min_f32_e32 v61, v63, v116
	v_pk_add_f32 v[52:53], v[134:135], v[52:53]
	v_pk_add_f32 v[26:27], v[200:201], v[106:107]
	;; [unrolled: 1-line block ×3, first 2 shown]
	v_min_f32_e32 v56, v62, v119
	v_min_f32_e32 v57, v63, v118
	v_pk_add_f32 v[52:53], v[174:175], v[52:53]
	v_pk_add_f32 v[58:59], v[56:57], v[58:59]
	v_min_f32_e32 v57, v63, v74
	v_min_f32_e32 v56, v62, v75
	s_waitcnt lgkmcnt(0)
	v_max_f32_e32 v60, v70, v70
	v_max_f32_e32 v61, v71, v71
	v_pk_add_f32 v[108:109], v[150:151], v[108:109]
	v_pk_add_f32 v[52:53], v[56:57], v[52:53]
	v_min_f32_e32 v56, v60, v114
	v_min_f32_e32 v57, v61, v112
	v_pk_add_f32 v[110:111], v[144:145], v[110:111]
	v_pk_add_f32 v[30:31], v[194:195], v[108:109]
	;; [unrolled: 1-line block ×3, first 2 shown]
	v_min_f32_e32 v46, v60, v117
	v_min_f32_e32 v47, v61, v116
	v_pk_add_f32 v[38:39], v[184:185], v[110:111]
	v_pk_add_f32 v[110:111], v[46:47], v[48:49]
	v_min_f32_e32 v46, v60, v119
	v_min_f32_e32 v47, v61, v118
	v_pk_add_f32 v[18:19], v[190:191], v[120:121]
	v_pk_add_f32 v[120:121], v[46:47], v[50:51]
	ds_read_b128 v[46:49], v208 offset:512
	v_min_f32_e32 v51, v61, v74
	v_min_f32_e32 v50, v60, v75
	ds_read_b128 v[60:63], v208 offset:640
	v_pk_add_f32 v[44:45], v[50:51], v[44:45]
	s_waitcnt lgkmcnt(1)
	v_max_f32_e32 v50, v46, v46
	v_max_f32_e32 v51, v47, v47
	v_min_f32_e32 v46, v50, v114
	v_min_f32_e32 v47, v51, v112
	v_pk_add_f32 v[38:39], v[46:47], v[38:39]
	v_min_f32_e32 v46, v50, v117
	v_min_f32_e32 v47, v51, v116
	v_pk_add_f32 v[40:41], v[46:47], v[40:41]
	;; [unrolled: 3-line block ×3, first 2 shown]
	v_min_f32_e32 v47, v51, v74
	v_min_f32_e32 v46, v50, v75
	s_waitcnt lgkmcnt(0)
	v_max_f32_e32 v50, v60, v60
	v_max_f32_e32 v51, v61, v61
	v_pk_add_f32 v[36:37], v[46:47], v[36:37]
	v_min_f32_e32 v46, v50, v114
	v_min_f32_e32 v47, v51, v112
	v_pk_add_f32 v[30:31], v[46:47], v[30:31]
	v_min_f32_e32 v46, v50, v117
	v_min_f32_e32 v47, v51, v116
	;; [unrolled: 3-line block ×4, first 2 shown]
	v_pk_add_f32 v[28:29], v[46:47], v[28:29]
	v_max_f32_e32 v46, v12, v12
	v_max_f32_e32 v47, v13, v13
	v_min_f32_e32 v12, v46, v114
	v_min_f32_e32 v13, v47, v112
	v_pk_add_f32 v[12:13], v[12:13], v[26:27]
	v_min_f32_e32 v26, v46, v117
	v_min_f32_e32 v27, v47, v116
	v_pk_add_f32 v[24:25], v[26:27], v[24:25]
	;; [unrolled: 3-line block ×4, first 2 shown]
	v_min_f32_e32 v27, v113, v74
	v_min_f32_e32 v26, v115, v75
	v_min_f32_e32 v1, v113, v112
	v_min_f32_e32 v0, v115, v114
	v_pk_add_f32 v[18:19], v[26:27], v[18:19]
	v_max_f32_e32 v26, v3, v3
	v_max_f32_e32 v7, v7, v7
	;; [unrolled: 1-line block ×4, first 2 shown]
	v_pk_add_f32 v[0:1], v[0:1], v[122:123]
	v_min_f32_e32 v3, v7, v26
	v_min_f32_e32 v2, v6, v27
	v_pk_add_f32 v[88:89], v[2:3], v[0:1]
	v_max_f32_e32 v2, v11, v11
	v_max_f32_e32 v3, v10, v10
	v_min_f32_e32 v1, v7, v2
	v_min_f32_e32 v0, v6, v3
	v_pk_add_f32 v[74:75], v[0:1], v[4:5]
	v_max_f32_e32 v4, v87, v87
	v_max_f32_e32 v5, v86, v86
	;; [unrolled: 5-line block ×3, first 2 shown]
	v_min_f32_e32 v0, v8, v27
	v_min_f32_e32 v1, v9, v26
	v_pk_add_f32 v[118:119], v[0:1], v[84:85]
	v_min_f32_e32 v0, v8, v3
	v_min_f32_e32 v1, v9, v2
	v_pk_add_f32 v[86:87], v[0:1], v[92:93]
	v_min_f32_e32 v0, v8, v5
	v_min_f32_e32 v1, v9, v4
	v_max_f32_e32 v10, v83, v83
	v_pk_add_f32 v[70:71], v[0:1], v[94:95]
	v_min_f32_e32 v1, v9, v10
	v_max_f32_e32 v9, v82, v82
	v_min_f32_e32 v0, v8, v9
	v_max_f32_e32 v8, v78, v78
	v_max_f32_e32 v11, v79, v79
	v_pk_add_f32 v[56:57], v[0:1], v[68:69]
	v_min_f32_e32 v0, v8, v27
	v_min_f32_e32 v1, v11, v26
	v_pk_add_f32 v[116:117], v[0:1], v[76:77]
	v_min_f32_e32 v0, v8, v3
	v_min_f32_e32 v1, v11, v2
	v_pk_add_f32 v[82:83], v[0:1], v[80:81]
	v_min_f32_e32 v0, v8, v5
	v_min_f32_e32 v1, v11, v4
	v_pk_add_f32 v[66:67], v[0:1], v[66:67]
	v_min_f32_e32 v1, v11, v10
	v_min_f32_e32 v0, v8, v9
	v_max_f32_e32 v8, v64, v64
	v_max_f32_e32 v11, v65, v65
	v_pk_add_f32 v[50:51], v[0:1], v[96:97]
	v_min_f32_e32 v0, v8, v27
	v_min_f32_e32 v1, v11, v26
	v_pk_add_f32 v[114:115], v[0:1], v[54:55]
	v_min_f32_e32 v0, v8, v3
	v_min_f32_e32 v1, v11, v2
	v_pk_add_f32 v[84:85], v[0:1], v[106:107]
	v_min_f32_e32 v0, v8, v5
	v_min_f32_e32 v1, v11, v4
	v_pk_add_f32 v[68:69], v[0:1], v[58:59]
	v_min_f32_e32 v1, v11, v10
	;; [unrolled: 14-line block ×6, first 2 shown]
	v_min_f32_e32 v0, v8, v9
	v_pk_add_f32 v[64:65], v[0:1], v[22:23]
	v_min_f32_e32 v1, v7, v10
	v_min_f32_e32 v0, v6, v9
	s_add_i32 s14, s14, 8
	v_pk_add_f32 v[48:49], v[0:1], v[18:19]
	v_lshl_add_u64 v[100:101], v[100:101], 0, s[2:3]
	s_cmp_ge_i32 s14, s24
	v_lshl_add_u64 v[102:103], v[102:103], 0, 32
	ds_write_b32 v209, v213
	ds_write2st64_b32 v210, v16, v17 offset1:4
	s_waitcnt lgkmcnt(0)
	s_barrier
	s_cbranch_scc1 .LBB96_31
.LBB96_21:                              ; =>This Inner Loop Header: Depth=1
	s_and_b64 vcc, exec, s[4:5]
	v_mov_b32_e32 v122, 0
	s_cbranch_vccnz .LBB96_23
; %bb.22:                               ;   in Loop: Header=BB96_21 Depth=1
	flat_load_dword v0, v[102:103]
	s_waitcnt vmcnt(0) lgkmcnt(0)
	v_mul_f32_e32 v122, s12, v0
.LBB96_23:                              ;   in Loop: Header=BB96_21 Depth=1
	s_and_b64 vcc, exec, s[4:5]
	s_cbranch_vccnz .LBB96_25
; %bb.24:                               ;   in Loop: Header=BB96_21 Depth=1
	v_lshl_add_u64 v[0:1], v[100:101], 0, v[104:105]
	flat_load_dword v2, v[0:1]
	flat_load_dword v3, v[0:1] offset:256
	s_waitcnt vmcnt(0) lgkmcnt(0)
	v_pk_mul_f32 v[120:121], s[12:13], v[2:3]
	s_branch .LBB96_26
.LBB96_25:                              ;   in Loop: Header=BB96_21 Depth=1
	v_mov_b32_e32 v120, 0
	v_mov_b32_e32 v121, 0
.LBB96_26:                              ;   in Loop: Header=BB96_21 Depth=1
	ds_read_b128 v[40:43], v212
	ds_read_b128 v[36:39], v212 offset:512
	ds_read_b128 v[24:27], v212 offset:1536
	;; [unrolled: 1-line block ×3, first 2 shown]
	ds_read_b128 v[28:31], v211
	ds_read_b128 v[20:23], v211 offset:128
	ds_read_b128 v[16:19], v211 offset:256
	;; [unrolled: 1-line block ×7, first 2 shown]
	s_and_b64 vcc, exec, s[4:5]
	ds_write_b32 v207, v122
	ds_write2st64_b32 v206, v120, v121 offset1:4
	s_waitcnt lgkmcnt(0)
	s_barrier
	s_cbranch_vccnz .LBB96_28
; %bb.27:                               ;   in Loop: Header=BB96_21 Depth=1
	flat_load_dword v120, v[102:103] offset:16
	s_waitcnt vmcnt(0) lgkmcnt(0)
	v_mul_f32_e32 v213, s12, v120
	s_branch .LBB96_29
.LBB96_28:                              ;   in Loop: Header=BB96_21 Depth=1
	v_mov_b32_e32 v213, 0
.LBB96_29:                              ;   in Loop: Header=BB96_21 Depth=1
	v_max_f32_e32 v154, v41, v41
	v_max_f32_e32 v155, v40, v40
	;; [unrolled: 1-line block ×10, first 2 shown]
	v_min_f32_e32 v132, v16, v155
	v_min_f32_e32 v133, v17, v154
	v_min_f32_e32 v130, v16, v159
	v_min_f32_e32 v131, v17, v158
	v_min_f32_e32 v128, v16, v163
	v_min_f32_e32 v129, v17, v161
	v_min_f32_e32 v135, v17, v164
	v_min_f32_e32 v134, v16, v165
	v_max_f32_e32 v16, v12, v12
	v_max_f32_e32 v17, v13, v13
	v_min_f32_e32 v138, v16, v155
	v_min_f32_e32 v139, v17, v154
	v_min_f32_e32 v136, v16, v159
	v_min_f32_e32 v137, v17, v158
	v_min_f32_e32 v12, v16, v163
	v_min_f32_e32 v13, v17, v161
	v_min_f32_e32 v141, v17, v164
	v_min_f32_e32 v140, v16, v165
	v_max_f32_e32 v16, v8, v8
	v_max_f32_e32 v17, v9, v9
	;; [unrolled: 10-line block ×3, first 2 shown]
	v_max_f32_e32 v160, v45, v45
	v_max_f32_e32 v162, v44, v44
	;; [unrolled: 1-line block ×6, first 2 shown]
	v_min_f32_e32 v150, v16, v155
	v_min_f32_e32 v151, v17, v154
	;; [unrolled: 1-line block ×8, first 2 shown]
	v_max_f32_e32 v16, v0, v0
	v_max_f32_e32 v17, v1, v1
	v_min_f32_e32 v41, v160, v154
	v_min_f32_e32 v40, v162, v155
	;; [unrolled: 1-line block ×17, first 2 shown]
	v_max_f32_e32 v16, v43, v43
	v_max_f32_e32 v190, v42, v42
	;; [unrolled: 1-line block ×10, first 2 shown]
	v_min_f32_e32 v36, v162, v159
	v_min_f32_e32 v33, v160, v161
	;; [unrolled: 1-line block ×14, first 2 shown]
	v_max_f32_e32 v17, v47, v47
	v_max_f32_e32 v214, v46, v46
	;; [unrolled: 1-line block ×12, first 2 shown]
	v_min_f32_e32 v194, v6, v190
	v_min_f32_e32 v195, v7, v16
	;; [unrolled: 1-line block ×8, first 2 shown]
	v_max_f32_e32 v6, v2, v2
	v_max_f32_e32 v7, v3, v3
	v_min_f32_e32 v32, v162, v163
	v_min_f32_e32 v43, v17, v16
	;; [unrolled: 1-line block ×56, first 2 shown]
	s_and_b64 vcc, exec, s[4:5]
	v_min_f32_e32 v190, v214, v218
	s_cbranch_vccz .LBB96_19
; %bb.30:                               ;   in Loop: Header=BB96_21 Depth=1
	v_mov_b32_e32 v16, 0
	v_mov_b32_e32 v17, 0
	s_branch .LBB96_20
.LBB96_31:
	s_load_dword s12, s[0:1], 0x58
	ds_read_b128 v[40:43], v205 offset:2048
	ds_read_b128 v[44:47], v204 offset:5120
	v_add_u32_e32 v102, s23, v203
	v_cmp_neq_f32_e64 s[4:5], s17, 0
	v_add_u32_e32 v98, s22, v202
	s_waitcnt lgkmcnt(0)
	v_mad_i64_i32 v[0:1], s[2:3], v102, s12, 0
	v_ashrrev_i32_e32 v99, 31, v98
	v_lshl_add_u64 v[100:101], v[0:1], 2, s[8:9]
	s_and_b64 vcc, exec, s[4:5]
	v_mov_b32_e32 v105, 0
	v_mov_b32_e32 v104, 0
	s_cbranch_vccz .LBB96_33
; %bb.32:
	v_lshl_add_u64 v[0:1], v[98:99], 2, v[100:101]
	flat_load_dword v0, v[0:1]
	s_waitcnt vmcnt(0) lgkmcnt(0)
	v_mul_f32_e32 v104, s17, v0
.LBB96_33:
	ds_read_b128 v[12:15], v204 offset:6016
	ds_read_b128 v[0:3], v205 offset:3584
	;; [unrolled: 1-line block ×6, first 2 shown]
	s_load_dword s13, s[0:1], 0x70
	s_load_dwordx2 s[2:3], s[0:1], 0x78
	v_max_f32_e32 v120, v40, v40
	v_max_f32_e32 v44, v44, v44
	v_max_f32_e32 v121, v41, v41
	v_max_f32_e32 v103, v45, v45
	ds_read_b128 v[28:31], v204 offset:5504
	ds_read_b128 v[24:27], v204 offset:5632
	;; [unrolled: 1-line block ×4, first 2 shown]
	s_waitcnt lgkmcnt(0)
	s_mul_i32 s0, s16, s3
	s_mul_hi_u32 s1, s16, s2
	v_min_f32_e32 v40, v44, v120
	v_min_f32_e32 v41, v103, v121
	s_add_i32 s1, s1, s0
	s_mul_i32 s0, s16, s2
	v_pk_add_f32 v[40:41], v[40:41], v[118:119]
	v_max_f32_e32 v118, v42, v42
	v_max_f32_e32 v45, v46, v46
	;; [unrolled: 1-line block ×4, first 2 shown]
	s_lshl_b64 s[0:1], s[0:1], 2
	v_min_f32_e32 v42, v45, v118
	v_min_f32_e32 v43, v46, v119
	s_add_u32 s2, s10, s0
	v_pk_add_f32 v[122:123], v[42:43], v[40:41]
	s_addc_u32 s3, s11, s1
	v_mad_i64_i32 v[42:43], s[0:1], v102, s13, 0
	v_add_f32_e32 v47, v122, v123
	v_add_u32_e32 v40, 8, v98
	v_lshl_add_u64 v[42:43], v[42:43], 2, s[2:3]
	v_add_f32_e32 v47, v47, v104
	v_cndmask_b32_e64 v104, 0, 1, s[4:5]
	v_ashrrev_i32_e32 v41, 31, v40
	v_lshl_add_u64 v[122:123], v[98:99], 2, v[42:43]
	v_cmp_ne_u32_e64 s[0:1], 1, v104
	s_andn2_b64 vcc, exec, s[4:5]
	global_store_dword v[122:123], v47, off
	s_cbranch_vccnz .LBB96_35
; %bb.34:
	v_lshl_add_u64 v[104:105], v[40:41], 2, v[100:101]
	flat_load_dword v47, v[104:105]
	s_waitcnt vmcnt(0) lgkmcnt(0)
	v_mul_f32_e32 v105, s17, v47
.LBB96_35:
	v_max_f32_e32 v47, v36, v36
	v_max_f32_e32 v104, v37, v37
	v_min_f32_e32 v36, v47, v120
	v_min_f32_e32 v37, v104, v121
	v_max_f32_e32 v38, v38, v38
	v_max_f32_e32 v39, v39, v39
	v_pk_add_f32 v[36:37], v[36:37], v[116:117]
	v_min_f32_e32 v116, v38, v118
	v_min_f32_e32 v117, v39, v119
	v_pk_add_f32 v[36:37], v[116:117], v[36:37]
	s_and_b64 vcc, exec, s[0:1]
	v_add_f32_e32 v116, v36, v37
	v_add_u32_e32 v36, 16, v98
	v_add_f32_e32 v105, v116, v105
	v_lshl_add_u64 v[116:117], v[40:41], 2, v[42:43]
	v_ashrrev_i32_e32 v37, 31, v36
	global_store_dword v[116:117], v105, off
	v_mov_b32_e32 v117, 0
	v_mov_b32_e32 v122, 0
	s_cbranch_vccnz .LBB96_37
; %bb.36:
	v_lshl_add_u64 v[122:123], v[36:37], 2, v[100:101]
	flat_load_dword v105, v[122:123]
	s_waitcnt vmcnt(0) lgkmcnt(0)
	v_mul_f32_e32 v122, s17, v105
.LBB96_37:
	v_max_f32_e32 v105, v32, v32
	v_max_f32_e32 v116, v33, v33
	v_min_f32_e32 v32, v105, v120
	v_min_f32_e32 v33, v116, v121
	v_max_f32_e32 v34, v34, v34
	v_max_f32_e32 v35, v35, v35
	v_pk_add_f32 v[32:33], v[32:33], v[114:115]
	v_min_f32_e32 v114, v34, v118
	v_min_f32_e32 v115, v35, v119
	v_pk_add_f32 v[32:33], v[114:115], v[32:33]
	s_and_b64 vcc, exec, s[0:1]
	v_add_f32_e32 v114, v32, v33
	v_add_u32_e32 v32, 24, v98
	v_ashrrev_i32_e32 v33, 31, v32
	v_add_f32_e32 v122, v114, v122
	v_lshl_add_u64 v[114:115], v[36:37], 2, v[42:43]
	global_store_dword v[114:115], v122, off
	s_cbranch_vccnz .LBB96_39
; %bb.38:
	v_lshl_add_u64 v[114:115], v[32:33], 2, v[100:101]
	flat_load_dword v114, v[114:115]
	s_waitcnt vmcnt(0) lgkmcnt(0)
	v_mul_f32_e32 v117, s17, v114
.LBB96_39:
	v_max_f32_e32 v114, v28, v28
	v_max_f32_e32 v115, v29, v29
	v_min_f32_e32 v28, v114, v120
	v_min_f32_e32 v29, v115, v121
	v_max_f32_e32 v30, v30, v30
	v_max_f32_e32 v31, v31, v31
	v_pk_add_f32 v[28:29], v[28:29], v[112:113]
	v_min_f32_e32 v112, v30, v118
	v_min_f32_e32 v113, v31, v119
	v_pk_add_f32 v[28:29], v[112:113], v[28:29]
	s_and_b64 vcc, exec, s[0:1]
	v_add_f32_e32 v112, v28, v29
	v_add_u32_e32 v28, 32, v98
	v_add_f32_e32 v117, v112, v117
	v_lshl_add_u64 v[112:113], v[32:33], 2, v[42:43]
	v_ashrrev_i32_e32 v29, 31, v28
	global_store_dword v[112:113], v117, off
	v_mov_b32_e32 v117, 0
	v_mov_b32_e32 v122, 0
	s_cbranch_vccnz .LBB96_41
; %bb.40:
	v_lshl_add_u64 v[112:113], v[28:29], 2, v[100:101]
	flat_load_dword v112, v[112:113]
	s_waitcnt vmcnt(0) lgkmcnt(0)
	v_mul_f32_e32 v122, s17, v112
.LBB96_41:
	v_max_f32_e32 v112, v24, v24
	v_max_f32_e32 v113, v25, v25
	v_min_f32_e32 v24, v112, v120
	v_min_f32_e32 v25, v113, v121
	v_max_f32_e32 v26, v26, v26
	v_max_f32_e32 v27, v27, v27
	v_pk_add_f32 v[24:25], v[24:25], v[110:111]
	v_min_f32_e32 v110, v26, v118
	v_min_f32_e32 v111, v27, v119
	v_pk_add_f32 v[24:25], v[110:111], v[24:25]
	s_and_b64 vcc, exec, s[0:1]
	v_add_f32_e32 v110, v24, v25
	v_add_u32_e32 v24, 40, v98
	v_ashrrev_i32_e32 v25, 31, v24
	v_add_f32_e32 v122, v110, v122
	v_lshl_add_u64 v[110:111], v[28:29], 2, v[42:43]
	global_store_dword v[110:111], v122, off
	s_cbranch_vccnz .LBB96_43
; %bb.42:
	v_lshl_add_u64 v[110:111], v[24:25], 2, v[100:101]
	flat_load_dword v110, v[110:111]
	s_waitcnt vmcnt(0) lgkmcnt(0)
	v_mul_f32_e32 v117, s17, v110
.LBB96_43:
	v_max_f32_e32 v110, v20, v20
	v_max_f32_e32 v111, v21, v21
	v_min_f32_e32 v20, v110, v120
	v_min_f32_e32 v21, v111, v121
	v_max_f32_e32 v22, v22, v22
	v_max_f32_e32 v23, v23, v23
	v_pk_add_f32 v[20:21], v[20:21], v[108:109]
	v_min_f32_e32 v108, v22, v118
	v_min_f32_e32 v109, v23, v119
	v_pk_add_f32 v[20:21], v[108:109], v[20:21]
	s_and_b64 vcc, exec, s[0:1]
	v_add_f32_e32 v108, v20, v21
	v_add_u32_e32 v20, 48, v98
	v_add_f32_e32 v117, v108, v117
	v_lshl_add_u64 v[108:109], v[24:25], 2, v[42:43]
	v_ashrrev_i32_e32 v21, 31, v20
	global_store_dword v[108:109], v117, off
	v_mov_b32_e32 v117, 0
	v_mov_b32_e32 v122, 0
	s_cbranch_vccnz .LBB96_45
; %bb.44:
	v_lshl_add_u64 v[108:109], v[20:21], 2, v[100:101]
	flat_load_dword v108, v[108:109]
	s_waitcnt vmcnt(0) lgkmcnt(0)
	v_mul_f32_e32 v122, s17, v108
.LBB96_45:
	v_max_f32_e32 v108, v16, v16
	v_max_f32_e32 v109, v17, v17
	v_min_f32_e32 v16, v108, v120
	v_min_f32_e32 v17, v109, v121
	v_pk_add_f32 v[16:17], v[16:17], v[106:107]
	v_max_f32_e32 v106, v18, v18
	v_max_f32_e32 v107, v19, v19
	v_min_f32_e32 v18, v106, v118
	v_min_f32_e32 v19, v107, v119
	v_pk_add_f32 v[16:17], v[18:19], v[16:17]
	s_and_b64 vcc, exec, s[0:1]
	v_add_f32_e32 v18, v16, v17
	v_add_u32_e32 v16, 56, v98
	v_ashrrev_i32_e32 v17, 31, v16
	v_add_f32_e32 v122, v18, v122
	v_lshl_add_u64 v[18:19], v[20:21], 2, v[42:43]
	global_store_dword v[18:19], v122, off
	s_cbranch_vccnz .LBB96_47
; %bb.46:
	v_lshl_add_u64 v[18:19], v[16:17], 2, v[100:101]
	flat_load_dword v18, v[18:19]
	s_waitcnt vmcnt(0) lgkmcnt(0)
	v_mul_f32_e32 v117, s17, v18
.LBB96_47:
	v_max_f32_e32 v18, v13, v13
	v_max_f32_e32 v19, v12, v12
	v_min_f32_e32 v13, v18, v121
	v_min_f32_e32 v12, v19, v120
	v_max_f32_e32 v15, v15, v15
	v_max_f32_e32 v14, v14, v14
	v_pk_add_f32 v[12:13], v[12:13], v[88:89]
	v_min_f32_e32 v89, v15, v119
	v_min_f32_e32 v88, v14, v118
	v_pk_add_f32 v[12:13], v[88:89], v[12:13]
	v_add_u32_e32 v89, 32, v102
	v_add_f32_e32 v12, v12, v13
	v_add_f32_e32 v88, v12, v117
	v_lshl_add_u64 v[12:13], v[16:17], 2, v[42:43]
	global_store_dword v[12:13], v88, off
	v_mad_i64_i32 v[12:13], s[4:5], v89, s12, 0
	v_lshl_add_u64 v[12:13], v[12:13], 2, s[8:9]
	s_and_b64 vcc, exec, s[0:1]
	v_mov_b32_e32 v88, 0
	v_mov_b32_e32 v100, 0
	s_cbranch_vccnz .LBB96_49
; %bb.48:
	v_lshl_add_u64 v[42:43], v[98:99], 2, v[12:13]
	flat_load_dword v42, v[42:43]
	s_waitcnt vmcnt(0) lgkmcnt(0)
	v_mul_f32_e32 v100, s17, v42
.LBB96_49:
	v_max_f32_e32 v42, v8, v8
	v_max_f32_e32 v43, v9, v9
	v_min_f32_e32 v8, v44, v42
	v_min_f32_e32 v9, v103, v43
	v_max_f32_e32 v10, v10, v10
	v_max_f32_e32 v11, v11, v11
	v_pk_add_f32 v[8:9], v[8:9], v[86:87]
	v_min_f32_e32 v86, v45, v10
	v_min_f32_e32 v87, v46, v11
	v_pk_add_f32 v[86:87], v[86:87], v[8:9]
	v_mad_i64_i32 v[8:9], s[4:5], v89, s13, 0
	v_lshl_add_u64 v[8:9], v[8:9], 2, s[2:3]
	v_add_f32_e32 v86, v86, v87
	v_add_f32_e32 v89, v86, v100
	v_lshl_add_u64 v[86:87], v[98:99], 2, v[8:9]
	s_and_b64 vcc, exec, s[0:1]
	global_store_dword v[86:87], v89, off
	s_cbranch_vccnz .LBB96_51
; %bb.50:
	v_lshl_add_u64 v[86:87], v[40:41], 2, v[12:13]
	flat_load_dword v86, v[86:87]
	s_waitcnt vmcnt(0) lgkmcnt(0)
	v_mul_f32_e32 v88, s17, v86
.LBB96_51:
	v_min_f32_e32 v86, v47, v42
	v_min_f32_e32 v87, v104, v43
	v_pk_add_f32 v[82:83], v[86:87], v[82:83]
	v_min_f32_e32 v86, v38, v10
	v_min_f32_e32 v87, v39, v11
	v_pk_add_f32 v[82:83], v[86:87], v[82:83]
	s_and_b64 vcc, exec, s[0:1]
	v_add_f32_e32 v82, v82, v83
	v_add_f32_e32 v86, v82, v88
	v_lshl_add_u64 v[82:83], v[40:41], 2, v[8:9]
	global_store_dword v[82:83], v86, off
	v_mov_b32_e32 v82, 0
	v_mov_b32_e32 v83, 0
	s_cbranch_vccnz .LBB96_53
; %bb.52:
	v_lshl_add_u64 v[86:87], v[36:37], 2, v[12:13]
	flat_load_dword v83, v[86:87]
	s_waitcnt vmcnt(0) lgkmcnt(0)
	v_mul_f32_e32 v83, s17, v83
.LBB96_53:
	v_min_f32_e32 v86, v105, v42
	v_min_f32_e32 v87, v116, v43
	v_pk_add_f32 v[84:85], v[86:87], v[84:85]
	v_min_f32_e32 v86, v34, v10
	v_min_f32_e32 v87, v35, v11
	v_pk_add_f32 v[84:85], v[86:87], v[84:85]
	s_and_b64 vcc, exec, s[0:1]
	v_add_f32_e32 v84, v84, v85
	v_add_f32_e32 v83, v84, v83
	v_lshl_add_u64 v[84:85], v[36:37], 2, v[8:9]
	global_store_dword v[84:85], v83, off
	s_cbranch_vccnz .LBB96_55
; %bb.54:
	v_lshl_add_u64 v[82:83], v[32:33], 2, v[12:13]
	flat_load_dword v82, v[82:83]
	s_waitcnt vmcnt(0) lgkmcnt(0)
	v_mul_f32_e32 v82, s17, v82
.LBB96_55:
	v_min_f32_e32 v84, v114, v42
	v_min_f32_e32 v85, v115, v43
	v_pk_add_f32 v[84:85], v[84:85], v[90:91]
	v_min_f32_e32 v86, v30, v10
	v_min_f32_e32 v87, v31, v11
	v_pk_add_f32 v[84:85], v[86:87], v[84:85]
	s_and_b64 vcc, exec, s[0:1]
	v_add_f32_e32 v83, v84, v85
	v_add_f32_e32 v84, v83, v82
	v_lshl_add_u64 v[82:83], v[32:33], 2, v[8:9]
	global_store_dword v[82:83], v84, off
	v_mov_b32_e32 v82, 0
	v_mov_b32_e32 v83, 0
	s_cbranch_vccnz .LBB96_57
; %bb.56:
	v_lshl_add_u64 v[84:85], v[28:29], 2, v[12:13]
	flat_load_dword v83, v[84:85]
	s_waitcnt vmcnt(0) lgkmcnt(0)
	v_mul_f32_e32 v83, s17, v83
.LBB96_57:
	v_min_f32_e32 v84, v112, v42
	v_min_f32_e32 v85, v113, v43
	v_pk_add_f32 v[84:85], v[84:85], v[92:93]
	v_min_f32_e32 v86, v26, v10
	v_min_f32_e32 v87, v27, v11
	v_pk_add_f32 v[84:85], v[86:87], v[84:85]
	s_and_b64 vcc, exec, s[0:1]
	v_add_f32_e32 v84, v84, v85
	v_add_f32_e32 v83, v84, v83
	v_lshl_add_u64 v[84:85], v[28:29], 2, v[8:9]
	global_store_dword v[84:85], v83, off
	s_cbranch_vccnz .LBB96_59
; %bb.58:
	v_lshl_add_u64 v[82:83], v[24:25], 2, v[12:13]
	flat_load_dword v82, v[82:83]
	s_waitcnt vmcnt(0) lgkmcnt(0)
	v_mul_f32_e32 v82, s17, v82
.LBB96_59:
	v_min_f32_e32 v84, v110, v42
	v_min_f32_e32 v85, v111, v43
	v_pk_add_f32 v[84:85], v[84:85], v[94:95]
	v_min_f32_e32 v86, v22, v10
	v_min_f32_e32 v87, v23, v11
	v_pk_add_f32 v[84:85], v[86:87], v[84:85]
	s_and_b64 vcc, exec, s[0:1]
	v_add_f32_e32 v83, v84, v85
	v_add_f32_e32 v84, v83, v82
	v_lshl_add_u64 v[82:83], v[24:25], 2, v[8:9]
	global_store_dword v[82:83], v84, off
	v_mov_b32_e32 v82, 0
	v_mov_b32_e32 v83, 0
	s_cbranch_vccnz .LBB96_61
; %bb.60:
	v_lshl_add_u64 v[84:85], v[20:21], 2, v[12:13]
	flat_load_dword v83, v[84:85]
	s_waitcnt vmcnt(0) lgkmcnt(0)
	v_mul_f32_e32 v83, s17, v83
.LBB96_61:
	v_min_f32_e32 v84, v108, v42
	v_min_f32_e32 v85, v109, v43
	v_pk_add_f32 v[84:85], v[84:85], v[96:97]
	v_min_f32_e32 v86, v106, v10
	v_min_f32_e32 v87, v107, v11
	v_pk_add_f32 v[84:85], v[86:87], v[84:85]
	s_and_b64 vcc, exec, s[0:1]
	v_add_f32_e32 v84, v84, v85
	v_add_f32_e32 v83, v84, v83
	v_lshl_add_u64 v[84:85], v[20:21], 2, v[8:9]
	global_store_dword v[84:85], v83, off
	s_cbranch_vccnz .LBB96_63
; %bb.62:
	v_lshl_add_u64 v[12:13], v[16:17], 2, v[12:13]
	flat_load_dword v12, v[12:13]
	s_waitcnt vmcnt(0) lgkmcnt(0)
	v_mul_f32_e32 v82, s17, v12
.LBB96_63:
	v_min_f32_e32 v13, v18, v43
	v_min_f32_e32 v12, v19, v42
	v_pk_add_f32 v[12:13], v[12:13], v[74:75]
	v_min_f32_e32 v11, v15, v11
	v_min_f32_e32 v10, v14, v10
	v_pk_add_f32 v[10:11], v[10:11], v[12:13]
	v_lshl_add_u64 v[8:9], v[16:17], 2, v[8:9]
	v_add_f32_e32 v10, v10, v11
	v_add_f32_e32 v10, v10, v82
	v_add_u32_e32 v13, 64, v102
	global_store_dword v[8:9], v10, off
	v_mad_i64_i32 v[8:9], s[4:5], v13, s12, 0
	v_lshl_add_u64 v[8:9], v[8:9], 2, s[8:9]
	s_and_b64 vcc, exec, s[0:1]
	v_mov_b32_e32 v12, 0
	v_mov_b32_e32 v42, 0
	s_cbranch_vccnz .LBB96_65
; %bb.64:
	v_lshl_add_u64 v[10:11], v[98:99], 2, v[8:9]
	flat_load_dword v10, v[10:11]
	s_waitcnt vmcnt(0) lgkmcnt(0)
	v_mul_f32_e32 v42, s17, v10
.LBB96_65:
	v_max_f32_e32 v10, v4, v4
	v_max_f32_e32 v11, v5, v5
	v_min_f32_e32 v4, v44, v10
	v_min_f32_e32 v5, v103, v11
	v_max_f32_e32 v6, v6, v6
	v_max_f32_e32 v7, v7, v7
	v_pk_add_f32 v[4:5], v[4:5], v[70:71]
	v_min_f32_e32 v70, v45, v6
	v_min_f32_e32 v71, v46, v7
	v_pk_add_f32 v[70:71], v[70:71], v[4:5]
	v_mad_i64_i32 v[4:5], s[4:5], v13, s13, 0
	v_lshl_add_u64 v[4:5], v[4:5], 2, s[2:3]
	v_add_f32_e32 v13, v70, v71
	v_add_f32_e32 v13, v13, v42
	v_lshl_add_u64 v[42:43], v[98:99], 2, v[4:5]
	s_and_b64 vcc, exec, s[0:1]
	global_store_dword v[42:43], v13, off
	s_cbranch_vccnz .LBB96_67
; %bb.66:
	v_lshl_add_u64 v[12:13], v[40:41], 2, v[8:9]
	flat_load_dword v12, v[12:13]
	s_waitcnt vmcnt(0) lgkmcnt(0)
	v_mul_f32_e32 v12, s17, v12
.LBB96_67:
	v_min_f32_e32 v42, v47, v10
	v_min_f32_e32 v43, v104, v11
	v_pk_add_f32 v[42:43], v[42:43], v[66:67]
	v_min_f32_e32 v66, v38, v6
	v_min_f32_e32 v67, v39, v7
	v_pk_add_f32 v[42:43], v[66:67], v[42:43]
	s_and_b64 vcc, exec, s[0:1]
	v_add_f32_e32 v13, v42, v43
	v_add_f32_e32 v42, v13, v12
	v_lshl_add_u64 v[12:13], v[40:41], 2, v[4:5]
	global_store_dword v[12:13], v42, off
	v_mov_b32_e32 v12, 0
	v_mov_b32_e32 v13, 0
	s_cbranch_vccnz .LBB96_69
; %bb.68:
	v_lshl_add_u64 v[42:43], v[36:37], 2, v[8:9]
	flat_load_dword v13, v[42:43]
	s_waitcnt vmcnt(0) lgkmcnt(0)
	v_mul_f32_e32 v13, s17, v13
.LBB96_69:
	v_min_f32_e32 v42, v105, v10
	v_min_f32_e32 v43, v116, v11
	v_pk_add_f32 v[42:43], v[42:43], v[68:69]
	v_min_f32_e32 v66, v34, v6
	v_min_f32_e32 v67, v35, v7
	v_pk_add_f32 v[42:43], v[66:67], v[42:43]
	s_and_b64 vcc, exec, s[0:1]
	v_add_f32_e32 v42, v42, v43
	v_add_f32_e32 v13, v42, v13
	v_lshl_add_u64 v[42:43], v[36:37], 2, v[4:5]
	global_store_dword v[42:43], v13, off
	s_cbranch_vccnz .LBB96_71
; %bb.70:
	v_lshl_add_u64 v[12:13], v[32:33], 2, v[8:9]
	flat_load_dword v12, v[12:13]
	s_waitcnt vmcnt(0) lgkmcnt(0)
	v_mul_f32_e32 v12, s17, v12
.LBB96_71:
	v_min_f32_e32 v42, v114, v10
	v_min_f32_e32 v43, v115, v11
	v_pk_add_f32 v[42:43], v[42:43], v[72:73]
	v_min_f32_e32 v66, v30, v6
	v_min_f32_e32 v67, v31, v7
	v_pk_add_f32 v[42:43], v[66:67], v[42:43]
	s_and_b64 vcc, exec, s[0:1]
	v_add_f32_e32 v13, v42, v43
	v_add_f32_e32 v42, v13, v12
	v_lshl_add_u64 v[12:13], v[32:33], 2, v[4:5]
	global_store_dword v[12:13], v42, off
	v_mov_b32_e32 v12, 0
	v_mov_b32_e32 v13, 0
	s_cbranch_vccnz .LBB96_73
; %bb.72:
	v_lshl_add_u64 v[42:43], v[28:29], 2, v[8:9]
	flat_load_dword v13, v[42:43]
	s_waitcnt vmcnt(0) lgkmcnt(0)
	v_mul_f32_e32 v13, s17, v13
.LBB96_73:
	v_min_f32_e32 v42, v112, v10
	v_min_f32_e32 v43, v113, v11
	v_pk_add_f32 v[42:43], v[42:43], v[76:77]
	v_min_f32_e32 v66, v26, v6
	v_min_f32_e32 v67, v27, v7
	v_pk_add_f32 v[42:43], v[66:67], v[42:43]
	s_and_b64 vcc, exec, s[0:1]
	v_add_f32_e32 v42, v42, v43
	v_add_f32_e32 v13, v42, v13
	v_lshl_add_u64 v[42:43], v[28:29], 2, v[4:5]
	;; [unrolled: 38-line block ×3, first 2 shown]
	global_store_dword v[42:43], v13, off
	s_cbranch_vccnz .LBB96_79
; %bb.78:
	v_lshl_add_u64 v[8:9], v[16:17], 2, v[8:9]
	flat_load_dword v8, v[8:9]
	s_waitcnt vmcnt(0) lgkmcnt(0)
	v_mul_f32_e32 v12, s17, v8
.LBB96_79:
	v_min_f32_e32 v9, v18, v11
	v_min_f32_e32 v8, v19, v10
	v_pk_add_f32 v[8:9], v[8:9], v[60:61]
	v_min_f32_e32 v7, v15, v7
	v_min_f32_e32 v6, v14, v6
	v_pk_add_f32 v[6:7], v[6:7], v[8:9]
	v_lshl_add_u64 v[4:5], v[16:17], 2, v[4:5]
	v_add_f32_e32 v6, v6, v7
	v_add_f32_e32 v6, v6, v12
	v_add_u32_e32 v9, 0x60, v102
	global_store_dword v[4:5], v6, off
	v_mad_i64_i32 v[4:5], s[4:5], v9, s12, 0
	v_lshl_add_u64 v[4:5], v[4:5], 2, s[8:9]
	s_and_b64 vcc, exec, s[0:1]
	v_mov_b32_e32 v8, 0
	v_mov_b32_e32 v10, 0
	s_cbranch_vccnz .LBB96_81
; %bb.80:
	v_lshl_add_u64 v[6:7], v[98:99], 2, v[4:5]
	flat_load_dword v6, v[6:7]
	s_waitcnt vmcnt(0) lgkmcnt(0)
	v_mul_f32_e32 v10, s17, v6
.LBB96_81:
	v_max_f32_e32 v6, v1, v1
	v_max_f32_e32 v7, v0, v0
	v_min_f32_e32 v1, v103, v6
	v_min_f32_e32 v0, v44, v7
	v_max_f32_e32 v3, v3, v3
	v_max_f32_e32 v2, v2, v2
	v_pk_add_f32 v[0:1], v[0:1], v[56:57]
	v_min_f32_e32 v13, v46, v3
	v_min_f32_e32 v12, v45, v2
	v_pk_add_f32 v[12:13], v[12:13], v[0:1]
	v_mad_i64_i32 v[0:1], s[4:5], v9, s13, 0
	v_lshl_add_u64 v[0:1], v[0:1], 2, s[2:3]
	v_add_f32_e32 v9, v12, v13
	v_add_f32_e32 v9, v9, v10
	v_lshl_add_u64 v[10:11], v[98:99], 2, v[0:1]
	s_and_b64 vcc, exec, s[0:1]
	global_store_dword v[10:11], v9, off
	s_cbranch_vccnz .LBB96_83
; %bb.82:
	v_lshl_add_u64 v[8:9], v[40:41], 2, v[4:5]
	flat_load_dword v8, v[8:9]
	s_waitcnt vmcnt(0) lgkmcnt(0)
	v_mul_f32_e32 v8, s17, v8
.LBB96_83:
	v_min_f32_e32 v11, v104, v6
	v_min_f32_e32 v10, v47, v7
	v_pk_add_f32 v[10:11], v[10:11], v[50:51]
	v_min_f32_e32 v13, v39, v3
	v_min_f32_e32 v12, v38, v2
	v_pk_add_f32 v[10:11], v[12:13], v[10:11]
	s_and_b64 vcc, exec, s[0:1]
	v_add_f32_e32 v9, v10, v11
	v_add_f32_e32 v10, v9, v8
	v_lshl_add_u64 v[8:9], v[40:41], 2, v[0:1]
	global_store_dword v[8:9], v10, off
	v_mov_b32_e32 v8, 0
	v_mov_b32_e32 v9, 0
	s_cbranch_vccnz .LBB96_85
; %bb.84:
	v_lshl_add_u64 v[10:11], v[36:37], 2, v[4:5]
	flat_load_dword v9, v[10:11]
	s_waitcnt vmcnt(0) lgkmcnt(0)
	v_mul_f32_e32 v9, s17, v9
.LBB96_85:
	v_min_f32_e32 v11, v116, v6
	v_min_f32_e32 v10, v105, v7
	v_pk_add_f32 v[10:11], v[10:11], v[52:53]
	v_min_f32_e32 v13, v35, v3
	v_min_f32_e32 v12, v34, v2
	v_pk_add_f32 v[10:11], v[12:13], v[10:11]
	s_and_b64 vcc, exec, s[0:1]
	v_add_f32_e32 v10, v10, v11
	v_add_f32_e32 v9, v10, v9
	v_lshl_add_u64 v[10:11], v[36:37], 2, v[0:1]
	global_store_dword v[10:11], v9, off
	s_cbranch_vccnz .LBB96_87
; %bb.86:
	v_lshl_add_u64 v[8:9], v[32:33], 2, v[4:5]
	flat_load_dword v8, v[8:9]
	s_waitcnt vmcnt(0) lgkmcnt(0)
	v_mul_f32_e32 v8, s17, v8
.LBB96_87:
	v_min_f32_e32 v11, v115, v6
	v_min_f32_e32 v10, v114, v7
	v_pk_add_f32 v[10:11], v[10:11], v[54:55]
	v_min_f32_e32 v13, v31, v3
	v_min_f32_e32 v12, v30, v2
	v_pk_add_f32 v[10:11], v[12:13], v[10:11]
	s_and_b64 vcc, exec, s[0:1]
	v_add_f32_e32 v9, v10, v11
	v_add_f32_e32 v10, v9, v8
	v_lshl_add_u64 v[8:9], v[32:33], 2, v[0:1]
	global_store_dword v[8:9], v10, off
	v_mov_b32_e32 v8, 0
	v_mov_b32_e32 v9, 0
	s_cbranch_vccnz .LBB96_89
; %bb.88:
	v_lshl_add_u64 v[10:11], v[28:29], 2, v[4:5]
	flat_load_dword v9, v[10:11]
	s_waitcnt vmcnt(0) lgkmcnt(0)
	v_mul_f32_e32 v9, s17, v9
.LBB96_89:
	v_min_f32_e32 v11, v113, v6
	v_min_f32_e32 v10, v112, v7
	v_pk_add_f32 v[10:11], v[10:11], v[58:59]
	v_min_f32_e32 v13, v27, v3
	v_min_f32_e32 v12, v26, v2
	v_pk_add_f32 v[10:11], v[12:13], v[10:11]
	s_and_b64 vcc, exec, s[0:1]
	v_add_f32_e32 v10, v10, v11
	v_add_f32_e32 v9, v10, v9
	v_lshl_add_u64 v[10:11], v[28:29], 2, v[0:1]
	global_store_dword v[10:11], v9, off
	s_cbranch_vccnz .LBB96_91
; %bb.90:
	v_lshl_add_u64 v[8:9], v[24:25], 2, v[4:5]
	flat_load_dword v8, v[8:9]
	s_waitcnt vmcnt(0) lgkmcnt(0)
	v_mul_f32_e32 v8, s17, v8
.LBB96_91:
	v_min_f32_e32 v11, v111, v6
	v_min_f32_e32 v10, v110, v7
	v_pk_add_f32 v[10:11], v[10:11], v[62:63]
	v_min_f32_e32 v13, v23, v3
	v_min_f32_e32 v12, v22, v2
	v_pk_add_f32 v[10:11], v[12:13], v[10:11]
	v_min_f32_e32 v13, v107, v3
	v_add_f32_e32 v9, v10, v11
	v_min_f32_e32 v11, v109, v6
	v_min_f32_e32 v10, v108, v7
	v_pk_add_f32 v[10:11], v[10:11], v[64:65]
	v_min_f32_e32 v12, v106, v2
	v_pk_add_f32 v[10:11], v[12:13], v[10:11]
	v_add_f32_e32 v12, v9, v8
	v_lshl_add_u64 v[8:9], v[24:25], 2, v[0:1]
	global_store_dword v[8:9], v12, off
	v_add_f32_e32 v8, v10, v11
	s_mov_b64 vcc, s[6:7]
	s_cbranch_vccz .LBB96_94
; %bb.92:
	v_add_f32_e32 v9, 0, v8
	v_lshl_add_u64 v[10:11], v[20:21], 2, v[0:1]
	s_mov_b32 s2, 0
	global_store_dword v[10:11], v9, off
	s_cbranch_execz .LBB96_95
; %bb.93:
	v_mov_b32_e32 v4, s2
	s_branch .LBB96_96
.LBB96_94:
                                        ; implicit-def: $sgpr2
.LBB96_95:
	v_lshlrev_b64 v[10:11], 2, v[20:21]
	v_lshl_add_u64 v[12:13], v[4:5], 0, v[10:11]
	flat_load_dword v9, v[12:13]
	v_lshl_add_u64 v[10:11], v[0:1], 0, v[10:11]
	v_lshl_add_u64 v[4:5], v[16:17], 2, v[4:5]
	s_waitcnt vmcnt(0) lgkmcnt(0)
	v_fmac_f32_e32 v8, s17, v9
	global_store_dword v[10:11], v8, off
	flat_load_dword v4, v[4:5]
	s_waitcnt vmcnt(0) lgkmcnt(0)
	v_mul_f32_e32 v4, s17, v4
.LBB96_96:
	v_min_f32_e32 v9, v18, v6
	v_min_f32_e32 v8, v19, v7
	;; [unrolled: 1-line block ×4, first 2 shown]
	v_pk_add_f32 v[6:7], v[8:9], v[48:49]
	v_lshl_add_u64 v[0:1], v[16:17], 2, v[0:1]
	v_pk_add_f32 v[2:3], v[2:3], v[6:7]
	s_nop 0
	v_add_f32_e32 v2, v2, v3
	v_add_f32_e32 v2, v2, v4
	global_store_dword v[0:1], v2, off
	s_endpgm
	.section	.rodata,"a",@progbits
	.p2align	6, 0x0
	.amdhsa_kernel _ZN12_GLOBAL__N_120geam_min_plus_kernelIf15HIP_vector_typeIfLj2EES2_Li8ELi32ELi64ELi128ELi4ELi4ELi64ELi64ELi4ELc84ELc84ELb0ELb0ELb0EPKfS3_fEEviiiT16_PT17_ilS7_ilS5_S7_ilPT18_ili26rocblas_geam_ex_operation_
		.amdhsa_group_segment_fixed_size 6144
		.amdhsa_private_segment_fixed_size 0
		.amdhsa_kernarg_size 136
		.amdhsa_user_sgpr_count 2
		.amdhsa_user_sgpr_dispatch_ptr 0
		.amdhsa_user_sgpr_queue_ptr 0
		.amdhsa_user_sgpr_kernarg_segment_ptr 1
		.amdhsa_user_sgpr_dispatch_id 0
		.amdhsa_user_sgpr_kernarg_preload_length 0
		.amdhsa_user_sgpr_kernarg_preload_offset 0
		.amdhsa_user_sgpr_private_segment_size 0
		.amdhsa_uses_dynamic_stack 0
		.amdhsa_enable_private_segment 0
		.amdhsa_system_sgpr_workgroup_id_x 1
		.amdhsa_system_sgpr_workgroup_id_y 0
		.amdhsa_system_sgpr_workgroup_id_z 1
		.amdhsa_system_sgpr_workgroup_info 0
		.amdhsa_system_vgpr_workitem_id 1
		.amdhsa_next_free_vgpr 219
		.amdhsa_next_free_sgpr 26
		.amdhsa_accum_offset 220
		.amdhsa_reserve_vcc 1
		.amdhsa_float_round_mode_32 0
		.amdhsa_float_round_mode_16_64 0
		.amdhsa_float_denorm_mode_32 3
		.amdhsa_float_denorm_mode_16_64 3
		.amdhsa_dx10_clamp 1
		.amdhsa_ieee_mode 1
		.amdhsa_fp16_overflow 0
		.amdhsa_tg_split 0
		.amdhsa_exception_fp_ieee_invalid_op 0
		.amdhsa_exception_fp_denorm_src 0
		.amdhsa_exception_fp_ieee_div_zero 0
		.amdhsa_exception_fp_ieee_overflow 0
		.amdhsa_exception_fp_ieee_underflow 0
		.amdhsa_exception_fp_ieee_inexact 0
		.amdhsa_exception_int_div_zero 0
	.end_amdhsa_kernel
	.section	.text._ZN12_GLOBAL__N_120geam_min_plus_kernelIf15HIP_vector_typeIfLj2EES2_Li8ELi32ELi64ELi128ELi4ELi4ELi64ELi64ELi4ELc84ELc84ELb0ELb0ELb0EPKfS3_fEEviiiT16_PT17_ilS7_ilS5_S7_ilPT18_ili26rocblas_geam_ex_operation_,"axG",@progbits,_ZN12_GLOBAL__N_120geam_min_plus_kernelIf15HIP_vector_typeIfLj2EES2_Li8ELi32ELi64ELi128ELi4ELi4ELi64ELi64ELi4ELc84ELc84ELb0ELb0ELb0EPKfS3_fEEviiiT16_PT17_ilS7_ilS5_S7_ilPT18_ili26rocblas_geam_ex_operation_,comdat
.Lfunc_end96:
	.size	_ZN12_GLOBAL__N_120geam_min_plus_kernelIf15HIP_vector_typeIfLj2EES2_Li8ELi32ELi64ELi128ELi4ELi4ELi64ELi64ELi4ELc84ELc84ELb0ELb0ELb0EPKfS3_fEEviiiT16_PT17_ilS7_ilS5_S7_ilPT18_ili26rocblas_geam_ex_operation_, .Lfunc_end96-_ZN12_GLOBAL__N_120geam_min_plus_kernelIf15HIP_vector_typeIfLj2EES2_Li8ELi32ELi64ELi128ELi4ELi4ELi64ELi64ELi4ELc84ELc84ELb0ELb0ELb0EPKfS3_fEEviiiT16_PT17_ilS7_ilS5_S7_ilPT18_ili26rocblas_geam_ex_operation_
                                        ; -- End function
	.section	.AMDGPU.csdata,"",@progbits
; Kernel info:
; codeLenInByte = 8860
; NumSgprs: 32
; NumVgprs: 219
; NumAgprs: 0
; TotalNumVgprs: 219
; ScratchSize: 0
; MemoryBound: 0
; FloatMode: 240
; IeeeMode: 1
; LDSByteSize: 6144 bytes/workgroup (compile time only)
; SGPRBlocks: 3
; VGPRBlocks: 27
; NumSGPRsForWavesPerEU: 32
; NumVGPRsForWavesPerEU: 219
; AccumOffset: 220
; Occupancy: 2
; WaveLimiterHint : 1
; COMPUTE_PGM_RSRC2:SCRATCH_EN: 0
; COMPUTE_PGM_RSRC2:USER_SGPR: 2
; COMPUTE_PGM_RSRC2:TRAP_HANDLER: 0
; COMPUTE_PGM_RSRC2:TGID_X_EN: 1
; COMPUTE_PGM_RSRC2:TGID_Y_EN: 0
; COMPUTE_PGM_RSRC2:TGID_Z_EN: 1
; COMPUTE_PGM_RSRC2:TIDIG_COMP_CNT: 1
; COMPUTE_PGM_RSRC3_GFX90A:ACCUM_OFFSET: 54
; COMPUTE_PGM_RSRC3_GFX90A:TG_SPLIT: 0
	.section	.text._ZN12_GLOBAL__N_120geam_min_plus_kernelIf15HIP_vector_typeIfLj2EES2_Li8ELi32ELi64ELi128ELi4ELi4ELi64ELi64ELi4ELc84ELc84ELb1ELb0ELb0EfKffEEviiiT16_PT17_ilS6_ilS4_S6_ilPT18_ili26rocblas_geam_ex_operation_,"axG",@progbits,_ZN12_GLOBAL__N_120geam_min_plus_kernelIf15HIP_vector_typeIfLj2EES2_Li8ELi32ELi64ELi128ELi4ELi4ELi64ELi64ELi4ELc84ELc84ELb1ELb0ELb0EfKffEEviiiT16_PT17_ilS6_ilS4_S6_ilPT18_ili26rocblas_geam_ex_operation_,comdat
	.globl	_ZN12_GLOBAL__N_120geam_min_plus_kernelIf15HIP_vector_typeIfLj2EES2_Li8ELi32ELi64ELi128ELi4ELi4ELi64ELi64ELi4ELc84ELc84ELb1ELb0ELb0EfKffEEviiiT16_PT17_ilS6_ilS4_S6_ilPT18_ili26rocblas_geam_ex_operation_ ; -- Begin function _ZN12_GLOBAL__N_120geam_min_plus_kernelIf15HIP_vector_typeIfLj2EES2_Li8ELi32ELi64ELi128ELi4ELi4ELi64ELi64ELi4ELc84ELc84ELb1ELb0ELb0EfKffEEviiiT16_PT17_ilS6_ilS4_S6_ilPT18_ili26rocblas_geam_ex_operation_
	.p2align	8
	.type	_ZN12_GLOBAL__N_120geam_min_plus_kernelIf15HIP_vector_typeIfLj2EES2_Li8ELi32ELi64ELi128ELi4ELi4ELi64ELi64ELi4ELc84ELc84ELb1ELb0ELb0EfKffEEviiiT16_PT17_ilS6_ilS4_S6_ilPT18_ili26rocblas_geam_ex_operation_,@function
_ZN12_GLOBAL__N_120geam_min_plus_kernelIf15HIP_vector_typeIfLj2EES2_Li8ELi32ELi64ELi128ELi4ELi4ELi64ELi64ELi4ELc84ELc84ELb1ELb0ELb0EfKffEEviiiT16_PT17_ilS6_ilS4_S6_ilPT18_ili26rocblas_geam_ex_operation_: ; @_ZN12_GLOBAL__N_120geam_min_plus_kernelIf15HIP_vector_typeIfLj2EES2_Li8ELi32ELi64ELi128ELi4ELi4ELi64ELi64ELi4ELc84ELc84ELb1ELb0ELb0EfKffEEviiiT16_PT17_ilS6_ilS4_S6_ilPT18_ili26rocblas_geam_ex_operation_
; %bb.0:
	s_load_dwordx2 s[14:15], s[0:1], 0x8
	s_load_dwordx4 s[4:7], s[0:1], 0x20
	s_waitcnt lgkmcnt(0)
	v_cmp_eq_f32_e64 s[8:9], s15, 0
	s_and_b64 vcc, exec, s[8:9]
	s_cbranch_vccnz .LBB97_3
; %bb.1:
	s_load_dwordx2 s[10:11], s[0:1], 0x10
	s_mul_i32 s5, s3, s5
	s_mul_hi_u32 s12, s3, s4
	s_add_i32 s5, s12, s5
	s_mul_i32 s4, s3, s4
	s_lshl_b64 s[4:5], s[4:5], 2
	s_waitcnt lgkmcnt(0)
	s_add_u32 s16, s10, s4
	s_addc_u32 s17, s11, s5
	s_andn2_b64 vcc, exec, s[8:9]
	s_cbranch_vccnz .LBB97_4
.LBB97_2:
	s_mov_b32 s13, 0
	s_mov_b64 s[18:19], 0
	s_cbranch_execz .LBB97_5
	s_branch .LBB97_6
.LBB97_3:
	s_mov_b64 s[16:17], 0
	s_andn2_b64 vcc, exec, s[8:9]
	s_cbranch_vccz .LBB97_2
.LBB97_4:
                                        ; implicit-def: $sgpr18_sgpr19
                                        ; implicit-def: $sgpr12_sgpr13
.LBB97_5:
	s_load_dwordx2 s[4:5], s[0:1], 0x38
	s_mov_b32 s13, 0
	s_waitcnt lgkmcnt(0)
	s_mul_i32 s5, s3, s5
	s_mul_hi_u32 s8, s3, s4
	s_add_i32 s5, s8, s5
	s_mul_i32 s4, s3, s4
	s_lshl_b64 s[4:5], s[4:5], 2
	s_add_u32 s18, s6, s4
	s_addc_u32 s19, s7, s5
.LBB97_6:
	s_load_dword s12, s[0:1], 0x40
	s_load_dwordx4 s[8:11], s[0:1], 0x58
	s_waitcnt lgkmcnt(0)
	v_cmp_eq_f32_e64 s[4:5], s12, 0
	s_and_b64 s[4:5], exec, s[4:5]
	s_mov_b64 vcc, s[4:5]
	s_cbranch_vccnz .LBB97_8
; %bb.7:
	s_load_dwordx2 s[6:7], s[0:1], 0x48
	s_mul_i32 s9, s3, s9
	s_mul_hi_u32 s15, s3, s8
	s_add_i32 s9, s15, s9
	s_mul_i32 s15, s13, s8
	s_add_i32 s9, s9, s15
	s_mul_i32 s8, s3, s8
	s_lshl_b64 s[8:9], s[8:9], 2
	s_waitcnt lgkmcnt(0)
	s_add_u32 s6, s6, s8
	s_addc_u32 s7, s7, s9
	s_branch .LBB97_9
.LBB97_8:
	s_mov_b64 s[6:7], 0
.LBB97_9:
	s_load_dword s8, s[0:1], 0x0
	s_load_dword s9, s[0:1], 0x18
	;; [unrolled: 1-line block ×3, first 2 shown]
	v_and_b32_e32 v126, 0x3ff, v0
	v_bfe_u32 v127, v0, 10, 10
	s_waitcnt lgkmcnt(0)
	s_add_i32 s8, s8, -1
	s_ashr_i32 s15, s8, 31
	s_lshr_b32 s15, s15, 26
	s_add_i32 s8, s8, s15
	s_ashr_i32 s8, s8, 6
	s_add_i32 s15, s8, 1
	v_cvt_f32_u32_e32 v1, s15
	s_not_b32 s8, s8
	v_and_b32_e32 v2, 3, v126
	v_lshlrev_b32_e32 v30, 2, v2
	v_rcp_iflag_f32_e32 v0, v1
	v_lshl_add_u32 v1, v127, 3, v126
	v_lshrrev_b32_e32 v6, 2, v1
	v_and_b32_e32 v7, 63, v1
	v_mul_f32_e32 v0, 0x4f7ffffe, v0
	v_cvt_u32_f32_e32 v0, v0
	v_lshrrev_b32_e32 v34, 6, v1
	v_mov_b32_e32 v31, 0
	v_lshlrev_b32_e32 v129, 4, v127
	v_readfirstlane_b32 s21, v0
	s_mul_i32 s8, s8, s21
	s_mul_hi_u32 s8, s21, s8
	s_add_i32 s21, s21, s8
	s_mul_hi_u32 s8, s2, s21
	s_mul_i32 s21, s8, s15
	s_sub_i32 s21, s2, s21
	s_add_i32 s22, s8, 1
	s_sub_i32 s23, s21, s15
	s_cmp_ge_u32 s21, s15
	s_cselect_b32 s8, s22, s8
	s_cselect_b32 s21, s23, s21
	s_add_i32 s22, s8, 1
	s_cmp_ge_u32 s21, s15
	s_cselect_b32 s8, s22, s8
	s_mul_i32 s21, s8, s15
	s_sub_i32 s2, s2, s21
	s_lshl_b32 s15, s8, 7
	s_lshl_b32 s2, s2, 6
	v_add_u32_e32 v0, s2, v6
	v_or_b32_e32 v32, s15, v7
	v_mad_i64_i32 v[28:29], s[8:9], v0, s9, 0
	v_mad_i64_i32 v[2:3], s[8:9], s20, v34, 0
	v_ashrrev_i32_e32 v33, 31, v32
	v_lshl_add_u64 v[2:3], v[2:3], 2, s[18:19]
	v_lshlrev_b64 v[4:5], 2, v[32:33]
	v_lshl_add_u64 v[0:1], v[28:29], 2, s[16:17]
	v_lshl_add_u64 v[2:3], v[2:3], 0, v[4:5]
	;; [unrolled: 1-line block ×3, first 2 shown]
	flat_load_dword v8, v[2:3]
	flat_load_dword v9, v[2:3] offset:256
	flat_load_dword v10, v[0:1]
	v_add_u32_e32 v2, 4, v34
	v_lshlrev_b32_e32 v3, 2, v34
	v_lshl_add_u32 v130, v7, 4, v3
	v_mad_i64_i32 v[2:3], s[8:9], s20, v2, 0
	v_lshl_add_u64 v[2:3], v[2:3], 2, s[18:19]
	v_lshl_add_u64 v[2:3], v[2:3], 0, v[4:5]
	flat_load_dword v36, v[2:3]
	flat_load_dword v38, v[2:3] offset:256
	flat_load_dword v37, v[0:1] offset:16
	v_lshlrev_b32_e32 v128, 4, v126
	v_lshl_or_b32 v35, v6, 4, v30
	s_cmp_lt_i32 s14, 9
	s_waitcnt vmcnt(0) lgkmcnt(0)
	ds_write2st64_b32 v130, v8, v9 offset1:4
	ds_write_b32 v35, v10 offset:4096
	s_waitcnt lgkmcnt(0)
	s_barrier
	ds_read_b128 v[4:7], v129
	ds_read_b128 v[8:11], v129 offset:512
	ds_read_b128 v[0:3], v129 offset:1536
	;; [unrolled: 1-line block ×11, first 2 shown]
	s_waitcnt lgkmcnt(11)
	v_max_f32_e32 v39, v5, v5
	s_waitcnt lgkmcnt(3)
	v_max_f32_e32 v62, v45, v45
	v_max_f32_e32 v63, v4, v4
	;; [unrolled: 1-line block ×13, first 2 shown]
	s_waitcnt lgkmcnt(1)
	v_max_f32_e32 v100, v54, v54
	v_max_f32_e32 v101, v55, v55
	s_waitcnt lgkmcnt(0)
	v_max_f32_e32 v54, v56, v56
	v_max_f32_e32 v55, v57, v57
	;; [unrolled: 1-line block ×4, first 2 shown]
	v_min_f32_e32 v49, v62, v39
	v_min_f32_e32 v48, v64, v63
	v_max_f32_e32 v120, v11, v11
	v_max_f32_e32 v121, v10, v10
	;; [unrolled: 1-line block ×11, first 2 shown]
	v_min_f32_e32 v74, v54, v63
	v_min_f32_e32 v75, v55, v39
	;; [unrolled: 1-line block ×10, first 2 shown]
	v_pk_add_f32 v[48:49], v[48:49], 0 op_sel_hi:[1,0]
	v_min_f32_e32 v55, v118, v110
	v_min_f32_e32 v54, v119, v111
	v_max_f32_e32 v6, v16, v16
	v_max_f32_e32 v122, v15, v15
	v_max_f32_e32 v123, v14, v14
	v_max_f32_e32 v7, v17, v17
	v_max_f32_e32 v72, v18, v18
	v_max_f32_e32 v73, v19, v19
	v_max_f32_e32 v14, v20, v20
	v_max_f32_e32 v15, v21, v21
	v_max_f32_e32 v77, v23, v23
	v_max_f32_e32 v82, v26, v26
	v_max_f32_e32 v83, v27, v27
	v_max_f32_e32 v86, v42, v42
	v_max_f32_e32 v87, v43, v43
	v_max_f32_e32 v131, v58, v58
	v_max_f32_e32 v132, v59, v59
	v_min_f32_e32 v16, v24, v63
	v_min_f32_e32 v17, v22, v39
	v_min_f32_e32 v18, v24, v66
	v_min_f32_e32 v19, v22, v65
	v_min_f32_e32 v20, v24, v68
	v_min_f32_e32 v21, v22, v67
	v_min_f32_e32 v23, v22, v69
	v_min_f32_e32 v22, v24, v70
	v_min_f32_e32 v24, v44, v63
	v_min_f32_e32 v25, v45, v39
	v_min_f32_e32 v26, v44, v66
	v_min_f32_e32 v27, v45, v65
	v_min_f32_e32 v40, v44, v68
	v_min_f32_e32 v41, v45, v67
	v_min_f32_e32 v43, v45, v69
	v_min_f32_e32 v42, v44, v70
	v_min_f32_e32 v44, v52, v63
	v_min_f32_e32 v45, v53, v39
	v_min_f32_e32 v46, v52, v66
	v_min_f32_e32 v47, v53, v65
	v_min_f32_e32 v58, v52, v68
	v_min_f32_e32 v59, v53, v67
	v_min_f32_e32 v61, v53, v69
	v_min_f32_e32 v60, v52, v70
	v_min_f32_e32 v53, v62, v67
	v_min_f32_e32 v52, v64, v68
	v_pk_add_f32 v[84:85], v[54:55], v[48:49]
	v_pk_add_f32 v[48:49], v[50:51], 0 op_sel_hi:[1,0]
	v_min_f32_e32 v51, v118, v120
	v_min_f32_e32 v50, v119, v121
	v_max_f32_e32 v125, v2, v2
	v_min_f32_e32 v0, v6, v63
	v_min_f32_e32 v1, v7, v39
	;; [unrolled: 1-line block ×11, first 2 shown]
	v_pk_add_f32 v[70:71], v[50:51], v[48:49]
	v_pk_add_f32 v[48:49], v[52:53], 0 op_sel_hi:[1,0]
	v_min_f32_e32 v51, v118, v122
	v_min_f32_e32 v50, v119, v123
	v_max_f32_e32 v124, v3, v3
	v_min_f32_e32 v3, v7, v65
	v_pk_add_f32 v[54:55], v[50:51], v[48:49]
	v_pk_add_f32 v[0:1], v[0:1], 0 op_sel_hi:[1,0]
	v_min_f32_e32 v48, v72, v111
	v_min_f32_e32 v49, v73, v110
	v_min_f32_e32 v5, v7, v67
	v_pk_add_f32 v[96:97], v[48:49], v[0:1]
	v_pk_add_f32 v[0:1], v[2:3], 0 op_sel_hi:[1,0]
	v_min_f32_e32 v2, v72, v121
	v_min_f32_e32 v3, v73, v120
	;; [unrolled: 5-line block ×3, first 2 shown]
	v_min_f32_e32 v9, v15, v39
	v_min_f32_e32 v13, v15, v67
	;; [unrolled: 1-line block ×4, first 2 shown]
	v_pk_add_f32 v[66:67], v[2:3], v[0:1]
	v_min_f32_e32 v1, v73, v124
	v_min_f32_e32 v0, v72, v125
	v_pk_add_f32 v[2:3], v[6:7], 0 op_sel_hi:[1,0]
	v_min_f32_e32 v11, v15, v65
	v_min_f32_e32 v106, v56, v63
	;; [unrolled: 1-line block ×6, first 2 shown]
	v_pk_add_f32 v[56:57], v[0:1], v[2:3]
	v_pk_add_f32 v[0:1], v[8:9], 0 op_sel_hi:[1,0]
	v_min_f32_e32 v2, v76, v111
	v_min_f32_e32 v3, v77, v110
	v_pk_add_f32 v[92:93], v[2:3], v[0:1]
	v_pk_add_f32 v[0:1], v[10:11], 0 op_sel_hi:[1,0]
	v_min_f32_e32 v2, v76, v121
	v_min_f32_e32 v3, v77, v120
	;; [unrolled: 1-line block ×3, first 2 shown]
	v_pk_add_f32 v[78:79], v[2:3], v[0:1]
	v_pk_add_f32 v[0:1], v[12:13], 0 op_sel_hi:[1,0]
	v_min_f32_e32 v2, v76, v123
	v_min_f32_e32 v3, v77, v122
	v_pk_add_f32 v[64:65], v[2:3], v[0:1]
	v_min_f32_e32 v1, v77, v124
	v_min_f32_e32 v0, v76, v125
	v_pk_add_f32 v[2:3], v[14:15], 0 op_sel_hi:[1,0]
	v_min_f32_e32 v117, v62, v69
	v_pk_add_f32 v[50:51], v[0:1], v[2:3]
	v_pk_add_f32 v[0:1], v[16:17], 0 op_sel_hi:[1,0]
	v_min_f32_e32 v2, v82, v111
	v_min_f32_e32 v3, v83, v110
	v_pk_add_f32 v[90:91], v[2:3], v[0:1]
	v_pk_add_f32 v[0:1], v[18:19], 0 op_sel_hi:[1,0]
	v_min_f32_e32 v2, v82, v121
	;; [unrolled: 4-line block ×3, first 2 shown]
	v_min_f32_e32 v3, v83, v122
	v_pk_add_f32 v[62:63], v[2:3], v[0:1]
	v_min_f32_e32 v1, v83, v124
	v_min_f32_e32 v0, v82, v125
	v_pk_add_f32 v[2:3], v[22:23], 0 op_sel_hi:[1,0]
	ds_write2st64_b32 v130, v36, v38 offset0:8 offset1:12
	ds_write_b32 v35, v37 offset:5120
	v_pk_add_f32 v[48:49], v[0:1], v[2:3]
	v_pk_add_f32 v[0:1], v[24:25], 0 op_sel_hi:[1,0]
	v_min_f32_e32 v2, v86, v111
	v_min_f32_e32 v3, v87, v110
	v_pk_add_f32 v[94:95], v[2:3], v[0:1]
	v_pk_add_f32 v[0:1], v[26:27], 0 op_sel_hi:[1,0]
	v_min_f32_e32 v2, v86, v121
	v_min_f32_e32 v3, v87, v120
	;; [unrolled: 4-line block ×3, first 2 shown]
	v_pk_add_f32 v[68:69], v[2:3], v[0:1]
	v_min_f32_e32 v1, v87, v124
	v_min_f32_e32 v0, v86, v125
	v_pk_add_f32 v[2:3], v[42:43], 0 op_sel_hi:[1,0]
	s_waitcnt lgkmcnt(0)
	v_pk_add_f32 v[52:53], v[0:1], v[2:3]
	v_pk_add_f32 v[0:1], v[44:45], 0 op_sel_hi:[1,0]
	v_min_f32_e32 v2, v100, v111
	v_min_f32_e32 v3, v101, v110
	v_pk_add_f32 v[98:99], v[2:3], v[0:1]
	v_pk_add_f32 v[0:1], v[46:47], 0 op_sel_hi:[1,0]
	v_min_f32_e32 v2, v100, v121
	v_min_f32_e32 v3, v101, v120
	;; [unrolled: 4-line block ×3, first 2 shown]
	v_pk_add_f32 v[72:73], v[2:3], v[0:1]
	v_min_f32_e32 v1, v101, v124
	v_min_f32_e32 v0, v100, v125
	v_pk_add_f32 v[2:3], v[60:61], 0 op_sel_hi:[1,0]
	s_barrier
	v_pk_add_f32 v[58:59], v[0:1], v[2:3]
	v_pk_add_f32 v[0:1], v[74:75], 0 op_sel_hi:[1,0]
	v_min_f32_e32 v2, v131, v111
	v_min_f32_e32 v3, v132, v110
	v_pk_add_f32 v[100:101], v[2:3], v[0:1]
	v_pk_add_f32 v[0:1], v[88:89], 0 op_sel_hi:[1,0]
	v_min_f32_e32 v2, v131, v121
	v_min_f32_e32 v3, v132, v120
	;; [unrolled: 4-line block ×3, first 2 shown]
	v_pk_add_f32 v[74:75], v[2:3], v[0:1]
	v_min_f32_e32 v1, v132, v124
	v_min_f32_e32 v0, v131, v125
	v_pk_add_f32 v[2:3], v[104:105], 0 op_sel_hi:[1,0]
	s_nop 0
	v_pk_add_f32 v[60:61], v[0:1], v[2:3]
	v_min_f32_e32 v0, v133, v111
	v_min_f32_e32 v1, v134, v110
	v_pk_add_f32 v[2:3], v[106:107], 0 op_sel_hi:[1,0]
	s_nop 0
	;; [unrolled: 5-line block ×6, first 2 shown]
	v_pk_add_f32 v[102:103], v[0:1], v[2:3]
	s_cbranch_scc1 .LBB97_12
; %bb.10:
	v_mov_b32_e32 v0, 0x1400
	v_lshl_add_u32 v135, v126, 4, v0
	v_mov_b32_e32 v0, 0x800
	v_lshl_add_u32 v136, v127, 4, v0
	v_add_u32_e32 v0, 12, v34
	v_mad_i64_i32 v[0:1], s[8:9], v0, s20, 0
	v_lshlrev_b64 v[40:41], 2, v[0:1]
	v_lshl_add_u64 v[0:1], v[28:29], 2, v[30:31]
	v_lshl_add_u64 v[0:1], v[0:1], 0, s[16:17]
	;; [unrolled: 1-line block ×3, first 2 shown]
	v_add_u32_e32 v0, 8, v34
	s_ashr_i32 s21, s20, 31
	v_mad_i64_i32 v[0:1], s[16:17], v0, s20, 0
	v_add_u32_e32 v131, 0x1000, v35
	v_add_u32_e32 v132, 0x1000, v128
	;; [unrolled: 1-line block ×3, first 2 shown]
	v_or_b32_e32 v134, 0x800, v130
	s_add_i32 s14, s14, -8
	v_lshl_add_u64 v[38:39], v[32:33], 2, s[18:19]
	s_lshl_b64 s[8:9], s[20:21], 5
	v_lshlrev_b64 v[44:45], 2, v[0:1]
	s_mov_b32 s16, 0
.LBB97_11:                              ; =>This Inner Loop Header: Depth=1
	v_lshl_add_u64 v[0:1], v[38:39], 0, v[44:45]
	flat_load_dword v139, v[42:43]
	flat_load_dword v137, v[0:1]
	flat_load_dword v138, v[0:1] offset:256
	ds_read_b128 v[12:15], v135 offset:896
	ds_read_b128 v[4:7], v136 offset:1536
	ds_read_b128 v[18:21], v136
	ds_read_b128 v[26:29], v135
	ds_read_b128 v[30:33], v135 offset:128
	ds_read_b128 v[22:25], v136 offset:1024
	s_waitcnt lgkmcnt(0)
	v_max_f32_e32 v141, v13, v13
	v_max_f32_e32 v140, v19, v19
	;; [unrolled: 1-line block ×3, first 2 shown]
	ds_read_b128 v[16:19], v136 offset:512
	v_max_f32_e32 v143, v12, v12
	v_min_f32_e32 v1, v141, v140
	v_min_f32_e32 v0, v143, v142
	v_pk_add_f32 v[84:85], v[0:1], v[84:85]
	s_waitcnt lgkmcnt(0)
	v_max_f32_e32 v17, v17, v17
	v_max_f32_e32 v16, v16, v16
	v_min_f32_e32 v1, v141, v17
	v_min_f32_e32 v0, v143, v16
	v_max_f32_e32 v23, v23, v23
	v_max_f32_e32 v22, v22, v22
	v_pk_add_f32 v[112:113], v[0:1], v[70:71]
	v_min_f32_e32 v1, v141, v23
	v_min_f32_e32 v0, v143, v22
	v_max_f32_e32 v2, v26, v26
	v_max_f32_e32 v3, v27, v27
	v_pk_add_f32 v[114:115], v[0:1], v[54:55]
	v_min_f32_e32 v0, v2, v142
	v_min_f32_e32 v1, v3, v140
	v_pk_add_f32 v[96:97], v[0:1], v[96:97]
	v_min_f32_e32 v0, v2, v16
	v_min_f32_e32 v1, v3, v17
	v_pk_add_f32 v[80:81], v[0:1], v[80:81]
	v_min_f32_e32 v0, v2, v22
	v_min_f32_e32 v1, v3, v23
	v_max_f32_e32 v26, v5, v5
	v_max_f32_e32 v144, v4, v4
	ds_read_b128 v[34:37], v135 offset:256
	ds_read_b128 v[10:13], v135 offset:384
	v_pk_add_f32 v[116:117], v[0:1], v[66:67]
	v_min_f32_e32 v1, v3, v26
	v_min_f32_e32 v0, v2, v144
	v_max_f32_e32 v2, v30, v30
	v_max_f32_e32 v3, v31, v31
	v_pk_add_f32 v[66:67], v[0:1], v[56:57]
	v_min_f32_e32 v0, v2, v142
	v_min_f32_e32 v1, v3, v140
	v_pk_add_f32 v[92:93], v[0:1], v[92:93]
	v_min_f32_e32 v0, v2, v16
	v_min_f32_e32 v1, v3, v17
	;; [unrolled: 3-line block ×4, first 2 shown]
	s_waitcnt lgkmcnt(0)
	v_max_f32_e32 v2, v34, v34
	v_max_f32_e32 v3, v35, v35
	v_pk_add_f32 v[120:121], v[0:1], v[50:51]
	v_min_f32_e32 v0, v2, v142
	v_min_f32_e32 v1, v3, v140
	v_pk_add_f32 v[90:91], v[0:1], v[90:91]
	v_min_f32_e32 v0, v2, v16
	v_min_f32_e32 v1, v3, v17
	v_pk_add_f32 v[76:77], v[0:1], v[76:77]
	v_min_f32_e32 v0, v2, v22
	v_min_f32_e32 v1, v3, v23
	v_pk_add_f32 v[122:123], v[0:1], v[62:63]
	v_min_f32_e32 v1, v3, v26
	v_min_f32_e32 v0, v2, v144
	v_max_f32_e32 v2, v10, v10
	v_max_f32_e32 v3, v11, v11
	ds_read_b128 v[8:11], v135 offset:512
	v_pk_add_f32 v[124:125], v[0:1], v[48:49]
	v_min_f32_e32 v0, v2, v142
	v_min_f32_e32 v1, v3, v140
	v_pk_add_f32 v[62:63], v[0:1], v[94:95]
	v_min_f32_e32 v0, v2, v16
	v_min_f32_e32 v1, v3, v17
	;; [unrolled: 3-line block ×4, first 2 shown]
	s_waitcnt lgkmcnt(0)
	v_max_f32_e32 v2, v8, v8
	v_max_f32_e32 v3, v9, v9
	v_pk_add_f32 v[70:71], v[0:1], v[52:53]
	v_min_f32_e32 v0, v2, v142
	v_min_f32_e32 v1, v3, v140
	v_pk_add_f32 v[50:51], v[0:1], v[98:99]
	v_min_f32_e32 v0, v2, v16
	v_min_f32_e32 v1, v3, v17
	;; [unrolled: 3-line block ×4, first 2 shown]
	ds_read_b128 v[2:5], v135 offset:640
	v_pk_add_f32 v[56:57], v[0:1], v[58:59]
	v_max_f32_e32 v145, v14, v14
	v_max_f32_e32 v25, v25, v25
	;; [unrolled: 1-line block ×3, first 2 shown]
	s_waitcnt lgkmcnt(0)
	v_max_f32_e32 v2, v2, v2
	v_max_f32_e32 v3, v3, v3
	v_min_f32_e32 v0, v2, v142
	v_min_f32_e32 v1, v3, v140
	v_pk_add_f32 v[30:31], v[0:1], v[100:101]
	v_min_f32_e32 v0, v2, v16
	v_min_f32_e32 v1, v3, v17
	v_pk_add_f32 v[34:35], v[0:1], v[88:89]
	;; [unrolled: 3-line block ×4, first 2 shown]
	ds_read_b128 v[0:3], v135 offset:768
	v_max_f32_e32 v28, v28, v28
	v_max_f32_e32 v29, v29, v29
	s_waitcnt vmcnt(0)
	ds_write_b32 v131, v139
	ds_write2st64_b32 v130, v137, v138 offset1:4
	s_waitcnt lgkmcnt(0)
	v_max_f32_e32 v27, v0, v0
	v_max_f32_e32 v58, v1, v1
	v_min_f32_e32 v0, v27, v142
	v_min_f32_e32 v8, v27, v16
	;; [unrolled: 1-line block ×9, first 2 shown]
	v_max_f32_e32 v144, v15, v15
	v_min_f32_e32 v1, v58, v140
	v_max_f32_e32 v140, v21, v21
	v_max_f32_e32 v141, v20, v20
	v_min_f32_e32 v21, v144, v25
	v_min_f32_e32 v20, v145, v24
	v_max_f32_e32 v142, v19, v19
	v_max_f32_e32 v143, v18, v18
	v_pk_add_f32 v[58:59], v[20:21], v[114:115]
	v_min_f32_e32 v20, v28, v141
	v_min_f32_e32 v21, v29, v140
	v_pk_add_f32 v[60:61], v[20:21], v[96:97]
	v_min_f32_e32 v20, v28, v143
	v_min_f32_e32 v21, v29, v142
	v_pk_add_f32 v[72:73], v[20:21], v[80:81]
	v_max_f32_e32 v80, v7, v7
	v_min_f32_e32 v21, v29, v25
	v_min_f32_e32 v7, v29, v80
	v_max_f32_e32 v29, v6, v6
	v_min_f32_e32 v6, v28, v29
	v_min_f32_e32 v20, v28, v24
	v_pk_add_f32 v[6:7], v[6:7], v[66:67]
	v_max_f32_e32 v28, v32, v32
	v_max_f32_e32 v66, v33, v33
	v_pk_add_f32 v[74:75], v[20:21], v[116:117]
	v_min_f32_e32 v20, v28, v141
	v_min_f32_e32 v21, v66, v140
	v_pk_add_f32 v[32:33], v[20:21], v[92:93]
	v_min_f32_e32 v20, v28, v143
	v_min_f32_e32 v21, v66, v142
	;; [unrolled: 1-line block ×4, first 2 shown]
	v_pk_add_f32 v[82:83], v[20:21], v[78:79]
	v_min_f32_e32 v20, v28, v24
	v_min_f32_e32 v21, v66, v25
	v_pk_add_f32 v[14:15], v[14:15], v[84:85]
	v_pk_add_f32 v[84:85], v[20:21], v[118:119]
	v_min_f32_e32 v21, v66, v80
	v_min_f32_e32 v20, v28, v29
	v_max_f32_e32 v28, v36, v36
	v_max_f32_e32 v66, v37, v37
	v_pk_add_f32 v[86:87], v[20:21], v[120:121]
	v_min_f32_e32 v20, v28, v141
	v_min_f32_e32 v21, v66, v140
	v_pk_add_f32 v[36:37], v[20:21], v[90:91]
	v_min_f32_e32 v20, v28, v143
	v_min_f32_e32 v21, v66, v142
	;; [unrolled: 3-line block ×4, first 2 shown]
	v_pk_add_f32 v[96:97], v[20:21], v[124:125]
	v_max_f32_e32 v20, v12, v12
	v_max_f32_e32 v21, v13, v13
	v_min_f32_e32 v12, v20, v141
	v_min_f32_e32 v13, v21, v140
	v_pk_add_f32 v[98:99], v[12:13], v[62:63]
	v_min_f32_e32 v12, v20, v143
	v_min_f32_e32 v13, v21, v142
	v_pk_add_f32 v[100:101], v[12:13], v[64:65]
	;; [unrolled: 3-line block ×3, first 2 shown]
	v_pk_add_f32 v[102:103], v[12:13], v[68:69]
	v_min_f32_e32 v13, v21, v80
	v_min_f32_e32 v12, v20, v29
	v_pk_add_f32 v[22:23], v[22:23], v[104:105]
	v_pk_add_f32 v[104:105], v[12:13], v[70:71]
	v_max_f32_e32 v12, v10, v10
	v_max_f32_e32 v13, v11, v11
	v_min_f32_e32 v10, v12, v141
	v_min_f32_e32 v11, v13, v140
	v_pk_add_f32 v[16:17], v[16:17], v[106:107]
	v_pk_add_f32 v[106:107], v[10:11], v[50:51]
	v_min_f32_e32 v10, v12, v143
	v_min_f32_e32 v11, v13, v142
	v_pk_add_f32 v[8:9], v[8:9], v[108:109]
	v_pk_add_f32 v[108:109], v[10:11], v[52:53]
	v_min_f32_e32 v10, v12, v24
	v_min_f32_e32 v11, v13, v25
	v_pk_add_f32 v[0:1], v[0:1], v[110:111]
	v_min_f32_e32 v19, v144, v142
	v_min_f32_e32 v18, v145, v143
	;; [unrolled: 3-line block ×3, first 2 shown]
	v_pk_add_f32 v[18:19], v[18:19], v[112:113]
	v_pk_add_f32 v[112:113], v[10:11], v[56:57]
	v_max_f32_e32 v10, v4, v4
	v_max_f32_e32 v11, v5, v5
	v_min_f32_e32 v4, v10, v141
	v_min_f32_e32 v5, v11, v140
	v_pk_add_f32 v[30:31], v[4:5], v[30:31]
	v_min_f32_e32 v4, v10, v143
	v_min_f32_e32 v5, v11, v142
	v_pk_add_f32 v[114:115], v[4:5], v[34:35]
	;; [unrolled: 3-line block ×4, first 2 shown]
	v_max_f32_e32 v4, v2, v2
	v_max_f32_e32 v5, v3, v3
	v_min_f32_e32 v2, v4, v141
	v_min_f32_e32 v3, v5, v140
	v_pk_add_f32 v[122:123], v[2:3], v[0:1]
	v_min_f32_e32 v0, v4, v143
	v_min_f32_e32 v1, v5, v142
	v_pk_add_f32 v[124:125], v[0:1], v[8:9]
	;; [unrolled: 3-line block ×5, first 2 shown]
	v_lshl_add_u64 v[0:1], v[38:39], 0, v[40:41]
	s_barrier
	flat_load_dword v118, v[42:43] offset:16
	flat_load_dword v119, v[0:1]
	flat_load_dword v120, v[0:1] offset:256
	ds_read_b128 v[20:23], v132 offset:896
	ds_read_b128 v[10:13], v129 offset:1536
	ds_read_b128 v[26:29], v129
	s_add_i32 s16, s16, 8
	v_lshl_add_u64 v[38:39], v[38:39], 0, s[8:9]
	s_waitcnt lgkmcnt(0)
	v_max_f32_e32 v137, v21, v21
	v_max_f32_e32 v139, v20, v20
	;; [unrolled: 1-line block ×4, first 2 shown]
	ds_read_b128 v[24:27], v129 offset:512
	v_min_f32_e32 v1, v137, v121
	v_min_f32_e32 v0, v139, v138
	v_max_f32_e32 v148, v11, v11
	v_max_f32_e32 v149, v10, v10
	ds_read_b128 v[8:11], v132 offset:256
	s_waitcnt lgkmcnt(0)
	v_max_f32_e32 v25, v25, v25
	v_max_f32_e32 v24, v24, v24
	v_pk_add_f32 v[80:81], v[0:1], v[14:15]
	v_min_f32_e32 v1, v137, v25
	v_min_f32_e32 v0, v139, v24
	v_pk_add_f32 v[70:71], v[0:1], v[18:19]
	ds_read_b128 v[18:21], v129 offset:1024
	v_max_f32_e32 v29, v29, v29
	v_max_f32_e32 v23, v23, v23
	;; [unrolled: 1-line block ×4, first 2 shown]
	s_waitcnt lgkmcnt(0)
	v_max_f32_e32 v146, v19, v19
	v_max_f32_e32 v147, v18, v18
	ds_read_b128 v[16:19], v132
	v_min_f32_e32 v1, v137, v146
	v_min_f32_e32 v0, v139, v147
	v_pk_add_f32 v[54:55], v[0:1], v[58:59]
	v_max_f32_e32 v27, v27, v27
	s_waitcnt lgkmcnt(0)
	v_max_f32_e32 v2, v16, v16
	v_max_f32_e32 v3, v17, v17
	ds_read_b128 v[14:17], v132 offset:128
	v_min_f32_e32 v0, v2, v138
	v_min_f32_e32 v1, v3, v121
	v_pk_add_f32 v[66:67], v[0:1], v[60:61]
	v_min_f32_e32 v0, v2, v24
	v_min_f32_e32 v1, v3, v25
	v_pk_add_f32 v[78:79], v[0:1], v[72:73]
	;; [unrolled: 3-line block ×3, first 2 shown]
	v_min_f32_e32 v1, v3, v148
	v_min_f32_e32 v0, v2, v149
	s_waitcnt lgkmcnt(0)
	v_max_f32_e32 v2, v14, v14
	v_max_f32_e32 v3, v15, v15
	v_pk_add_f32 v[56:57], v[0:1], v[6:7]
	v_min_f32_e32 v0, v2, v138
	v_min_f32_e32 v1, v3, v121
	v_pk_add_f32 v[50:51], v[0:1], v[32:33]
	v_min_f32_e32 v0, v2, v24
	v_min_f32_e32 v1, v3, v25
	;; [unrolled: 3-line block ×4, first 2 shown]
	v_max_f32_e32 v2, v8, v8
	v_max_f32_e32 v3, v9, v9
	ds_read_b128 v[6:9], v132 offset:384
	v_pk_add_f32 v[90:91], v[0:1], v[86:87]
	v_min_f32_e32 v0, v2, v138
	v_min_f32_e32 v1, v3, v121
	v_pk_add_f32 v[48:49], v[0:1], v[36:37]
	v_min_f32_e32 v0, v2, v24
	v_min_f32_e32 v1, v3, v25
	;; [unrolled: 3-line block ×4, first 2 shown]
	s_waitcnt lgkmcnt(0)
	v_max_f32_e32 v2, v6, v6
	v_max_f32_e32 v3, v7, v7
	v_pk_add_f32 v[94:95], v[0:1], v[96:97]
	v_min_f32_e32 v0, v2, v138
	v_min_f32_e32 v1, v3, v121
	v_pk_add_f32 v[52:53], v[0:1], v[98:99]
	v_min_f32_e32 v0, v2, v24
	v_min_f32_e32 v1, v3, v25
	v_pk_add_f32 v[68:69], v[0:1], v[100:101]
	v_min_f32_e32 v85, v23, v29
	v_min_f32_e32 v84, v22, v28
	v_max_f32_e32 v26, v26, v26
	v_max_f32_e32 v100, v18, v18
	v_max_f32_e32 v101, v19, v19
	v_pk_add_f32 v[84:85], v[84:85], v[80:81]
	v_min_f32_e32 v81, v23, v27
	v_min_f32_e32 v80, v22, v26
	v_max_f32_e32 v21, v21, v21
	v_max_f32_e32 v20, v20, v20
	v_min_f32_e32 v18, v100, v28
	v_min_f32_e32 v19, v101, v29
	v_pk_add_f32 v[70:71], v[80:81], v[70:71]
	v_min_f32_e32 v81, v23, v21
	v_min_f32_e32 v80, v22, v20
	v_pk_add_f32 v[96:97], v[18:19], v[66:67]
	;; [unrolled: 3-line block ×3, first 2 shown]
	v_pk_add_f32 v[80:81], v[18:19], v[78:79]
	v_min_f32_e32 v18, v100, v20
	v_min_f32_e32 v19, v101, v21
	v_max_f32_e32 v13, v13, v13
	v_max_f32_e32 v12, v12, v12
	v_pk_add_f32 v[66:67], v[18:19], v[92:93]
	v_min_f32_e32 v19, v101, v13
	v_min_f32_e32 v18, v100, v12
	ds_read_b128 v[4:7], v132 offset:512
	v_pk_add_f32 v[56:57], v[18:19], v[56:57]
	v_max_f32_e32 v18, v16, v16
	v_max_f32_e32 v19, v17, v17
	v_min_f32_e32 v16, v18, v28
	v_min_f32_e32 v17, v19, v29
	v_pk_add_f32 v[92:93], v[16:17], v[50:51]
	v_min_f32_e32 v16, v18, v26
	v_min_f32_e32 v17, v19, v27
	v_pk_add_f32 v[78:79], v[16:17], v[64:65]
	v_min_f32_e32 v16, v18, v20
	v_min_f32_e32 v17, v19, v21
	;; [unrolled: 1-line block ×4, first 2 shown]
	v_pk_add_f32 v[64:65], v[16:17], v[76:77]
	v_min_f32_e32 v17, v19, v13
	v_min_f32_e32 v16, v18, v12
	v_pk_add_f32 v[86:87], v[0:1], v[102:103]
	v_min_f32_e32 v1, v3, v148
	v_min_f32_e32 v0, v2, v149
	s_waitcnt lgkmcnt(0)
	v_max_f32_e32 v2, v4, v4
	v_max_f32_e32 v3, v5, v5
	v_pk_add_f32 v[50:51], v[16:17], v[90:91]
	v_max_f32_e32 v16, v10, v10
	v_max_f32_e32 v17, v11, v11
	v_pk_add_f32 v[98:99], v[0:1], v[104:105]
	v_min_f32_e32 v0, v2, v138
	v_min_f32_e32 v1, v3, v121
	;; [unrolled: 1-line block ×4, first 2 shown]
	v_pk_add_f32 v[58:59], v[0:1], v[106:107]
	v_min_f32_e32 v0, v2, v24
	v_min_f32_e32 v1, v3, v25
	v_pk_add_f32 v[90:91], v[10:11], v[48:49]
	v_min_f32_e32 v10, v16, v26
	v_min_f32_e32 v11, v17, v27
	;; [unrolled: 3-line block ×5, first 2 shown]
	ds_read_b128 v[2:5], v132 offset:640
	v_pk_add_f32 v[62:63], v[10:11], v[82:83]
	v_min_f32_e32 v11, v17, v13
	v_min_f32_e32 v10, v16, v12
	v_pk_add_f32 v[48:49], v[10:11], v[94:95]
	v_max_f32_e32 v10, v8, v8
	v_max_f32_e32 v11, v9, v9
	v_min_f32_e32 v8, v10, v28
	v_min_f32_e32 v9, v11, v29
	v_pk_add_f32 v[94:95], v[8:9], v[52:53]
	v_min_f32_e32 v8, v10, v26
	v_min_f32_e32 v9, v11, v27
	v_pk_add_f32 v[82:83], v[8:9], v[68:69]
	v_min_f32_e32 v8, v10, v20
	v_min_f32_e32 v9, v11, v21
	s_waitcnt lgkmcnt(0)
	v_max_f32_e32 v2, v2, v2
	v_max_f32_e32 v3, v3, v3
	v_pk_add_f32 v[68:69], v[8:9], v[86:87]
	v_min_f32_e32 v9, v11, v13
	v_min_f32_e32 v8, v10, v12
	v_pk_add_f32 v[88:89], v[0:1], v[112:113]
	v_min_f32_e32 v0, v2, v138
	v_min_f32_e32 v1, v3, v121
	v_pk_add_f32 v[52:53], v[8:9], v[98:99]
	v_max_f32_e32 v8, v6, v6
	v_max_f32_e32 v9, v7, v7
	v_pk_add_f32 v[34:35], v[0:1], v[30:31]
	v_min_f32_e32 v0, v2, v24
	v_min_f32_e32 v1, v3, v25
	;; [unrolled: 1-line block ×4, first 2 shown]
	v_pk_add_f32 v[36:37], v[0:1], v[114:115]
	v_min_f32_e32 v0, v2, v147
	v_min_f32_e32 v1, v3, v146
	v_pk_add_f32 v[98:99], v[6:7], v[58:59]
	v_min_f32_e32 v6, v8, v26
	v_min_f32_e32 v7, v9, v27
	;; [unrolled: 3-line block ×4, first 2 shown]
	v_pk_add_f32 v[60:61], v[0:1], v[116:117]
	ds_read_b128 v[0:3], v132 offset:768
	v_pk_add_f32 v[72:73], v[6:7], v[74:75]
	v_min_f32_e32 v7, v9, v13
	v_min_f32_e32 v6, v8, v12
	v_pk_add_f32 v[58:59], v[6:7], v[88:89]
	v_max_f32_e32 v6, v4, v4
	v_max_f32_e32 v7, v5, v5
	v_min_f32_e32 v4, v6, v28
	v_min_f32_e32 v5, v7, v29
	v_pk_add_f32 v[100:101], v[4:5], v[34:35]
	v_min_f32_e32 v4, v6, v26
	v_min_f32_e32 v5, v7, v27
	v_pk_add_f32 v[88:89], v[4:5], v[36:37]
	v_min_f32_e32 v4, v6, v20
	v_min_f32_e32 v5, v7, v21
	s_waitcnt lgkmcnt(0)
	v_max_f32_e32 v14, v0, v0
	v_max_f32_e32 v15, v1, v1
	v_pk_add_f32 v[74:75], v[4:5], v[46:47]
	v_min_f32_e32 v5, v7, v13
	v_min_f32_e32 v4, v6, v12
	;; [unrolled: 1-line block ×4, first 2 shown]
	v_pk_add_f32 v[60:61], v[4:5], v[60:61]
	v_max_f32_e32 v4, v2, v2
	v_max_f32_e32 v5, v3, v3
	v_pk_add_f32 v[32:33], v[0:1], v[122:123]
	v_min_f32_e32 v0, v14, v24
	v_min_f32_e32 v1, v15, v25
	;; [unrolled: 1-line block ×4, first 2 shown]
	v_pk_add_f32 v[30:31], v[0:1], v[124:125]
	v_min_f32_e32 v0, v14, v147
	v_min_f32_e32 v1, v15, v146
	v_pk_add_f32 v[110:111], v[2:3], v[32:33]
	v_min_f32_e32 v2, v4, v26
	v_min_f32_e32 v3, v5, v27
	;; [unrolled: 3-line block ×6, first 2 shown]
	v_pk_add_f32 v[0:1], v[0:1], v[144:145]
	v_pk_add_f32 v[104:105], v[2:3], v[14:15]
	v_min_f32_e32 v3, v23, v13
	v_min_f32_e32 v2, v22, v12
	v_pk_add_f32 v[102:103], v[2:3], v[0:1]
	v_lshl_add_u64 v[42:43], v[42:43], 0, 32
	s_cmp_ge_i32 s16, s14
	s_waitcnt vmcnt(0)
	ds_write_b32 v133, v118
	ds_write2st64_b32 v134, v119, v120 offset1:4
	s_waitcnt lgkmcnt(0)
	s_barrier
	s_cbranch_scc0 .LBB97_11
.LBB97_12:
	s_load_dword s14, s[0:1], 0x50
	ds_read_b128 v[40:43], v129 offset:2048
	ds_read_b128 v[44:47], v128 offset:5120
	v_add_u32_e32 v116, s15, v127
	v_cmp_neq_f32_e64 s[8:9], s12, 0
	v_add_u32_e32 v112, s2, v126
	s_waitcnt lgkmcnt(0)
	v_mad_i64_i32 v[0:1], s[16:17], v116, s14, 0
	v_ashrrev_i32_e32 v113, 31, v112
	v_lshl_add_u64 v[114:115], v[0:1], 2, s[6:7]
	s_and_b64 vcc, exec, s[8:9]
	v_mov_b32_e32 v122, 0
	v_mov_b32_e32 v123, 0
	s_cbranch_vccz .LBB97_14
; %bb.13:
	v_lshl_add_u64 v[0:1], v[112:113], 2, v[114:115]
	flat_load_dword v0, v[0:1]
	s_waitcnt vmcnt(0) lgkmcnt(0)
	v_mul_f32_e32 v123, s12, v0
.LBB97_14:
	ds_read_b128 v[12:15], v128 offset:6016
	ds_read_b128 v[0:3], v129 offset:3584
	;; [unrolled: 1-line block ×6, first 2 shown]
	s_load_dword s15, s[0:1], 0x68
	s_load_dwordx2 s[16:17], s[0:1], 0x70
	ds_read_b128 v[28:31], v128 offset:5504
	ds_read_b128 v[24:27], v128 offset:5632
	;; [unrolled: 1-line block ×4, first 2 shown]
	v_max_f32_e32 v118, v40, v40
	v_max_f32_e32 v44, v44, v44
	;; [unrolled: 1-line block ×3, first 2 shown]
	s_waitcnt lgkmcnt(0)
	s_mul_i32 s0, s3, s17
	s_mul_hi_u32 s1, s3, s16
	s_add_i32 s0, s1, s0
	s_mul_i32 s1, s13, s16
	v_max_f32_e32 v117, v45, v45
	s_add_i32 s1, s0, s1
	s_mul_i32 s0, s3, s16
	v_min_f32_e32 v40, v44, v118
	v_min_f32_e32 v41, v117, v120
	v_max_f32_e32 v119, v42, v42
	v_max_f32_e32 v45, v46, v46
	;; [unrolled: 1-line block ×4, first 2 shown]
	s_lshl_b64 s[0:1], s[0:1], 2
	v_pk_add_f32 v[40:41], v[40:41], v[96:97]
	v_min_f32_e32 v42, v45, v119
	v_min_f32_e32 v43, v46, v121
	s_add_u32 s2, s10, s0
	v_pk_add_f32 v[96:97], v[42:43], v[40:41]
	s_addc_u32 s3, s11, s1
	v_mad_i64_i32 v[42:43], s[0:1], v116, s15, 0
	v_add_f32_e32 v47, v96, v97
	v_add_u32_e32 v40, 8, v112
	v_lshl_add_u64 v[42:43], v[42:43], 2, s[2:3]
	v_add_f32_e32 v47, v47, v123
	v_cndmask_b32_e64 v123, 0, 1, s[8:9]
	v_ashrrev_i32_e32 v41, 31, v40
	v_lshl_add_u64 v[96:97], v[112:113], 2, v[42:43]
	v_cmp_ne_u32_e64 s[0:1], 1, v123
	s_andn2_b64 vcc, exec, s[8:9]
	global_store_dword v[96:97], v47, off
	s_cbranch_vccnz .LBB97_16
; %bb.15:
	v_lshl_add_u64 v[96:97], v[40:41], 2, v[114:115]
	flat_load_dword v47, v[96:97]
	s_waitcnt vmcnt(0) lgkmcnt(0)
	v_mul_f32_e32 v122, s12, v47
.LBB97_16:
	v_max_f32_e32 v47, v36, v36
	v_max_f32_e32 v96, v37, v37
	v_min_f32_e32 v36, v47, v118
	v_min_f32_e32 v37, v96, v120
	v_max_f32_e32 v38, v38, v38
	v_max_f32_e32 v39, v39, v39
	v_pk_add_f32 v[36:37], v[36:37], v[92:93]
	v_min_f32_e32 v92, v38, v119
	v_min_f32_e32 v93, v39, v121
	v_pk_add_f32 v[36:37], v[92:93], v[36:37]
	s_and_b64 vcc, exec, s[0:1]
	v_add_f32_e32 v92, v36, v37
	v_add_u32_e32 v36, 16, v112
	v_add_f32_e32 v97, v92, v122
	v_lshl_add_u64 v[92:93], v[40:41], 2, v[42:43]
	v_ashrrev_i32_e32 v37, 31, v36
	global_store_dword v[92:93], v97, off
	v_mov_b32_e32 v97, 0
	v_mov_b32_e32 v122, 0
	s_cbranch_vccnz .LBB97_18
; %bb.17:
	v_lshl_add_u64 v[92:93], v[36:37], 2, v[114:115]
	flat_load_dword v92, v[92:93]
	s_waitcnt vmcnt(0) lgkmcnt(0)
	v_mul_f32_e32 v122, s12, v92
.LBB97_18:
	v_max_f32_e32 v92, v32, v32
	v_max_f32_e32 v93, v33, v33
	v_min_f32_e32 v32, v92, v118
	v_min_f32_e32 v33, v93, v120
	v_max_f32_e32 v34, v34, v34
	v_max_f32_e32 v35, v35, v35
	v_pk_add_f32 v[32:33], v[32:33], v[90:91]
	v_min_f32_e32 v90, v34, v119
	v_min_f32_e32 v91, v35, v121
	v_pk_add_f32 v[32:33], v[90:91], v[32:33]
	s_and_b64 vcc, exec, s[0:1]
	v_add_f32_e32 v90, v32, v33
	v_add_u32_e32 v32, 24, v112
	v_ashrrev_i32_e32 v33, 31, v32
	v_add_f32_e32 v122, v90, v122
	v_lshl_add_u64 v[90:91], v[36:37], 2, v[42:43]
	global_store_dword v[90:91], v122, off
	s_cbranch_vccnz .LBB97_20
; %bb.19:
	v_lshl_add_u64 v[90:91], v[32:33], 2, v[114:115]
	flat_load_dword v90, v[90:91]
	s_waitcnt vmcnt(0) lgkmcnt(0)
	v_mul_f32_e32 v97, s12, v90
.LBB97_20:
	v_max_f32_e32 v90, v28, v28
	v_max_f32_e32 v91, v29, v29
	v_min_f32_e32 v28, v90, v118
	v_min_f32_e32 v29, v91, v120
	v_max_f32_e32 v30, v30, v30
	v_max_f32_e32 v31, v31, v31
	v_pk_add_f32 v[28:29], v[28:29], v[94:95]
	v_min_f32_e32 v94, v30, v119
	v_min_f32_e32 v95, v31, v121
	v_pk_add_f32 v[28:29], v[94:95], v[28:29]
	s_and_b64 vcc, exec, s[0:1]
	v_add_f32_e32 v94, v28, v29
	v_add_u32_e32 v28, 32, v112
	v_add_f32_e32 v97, v94, v97
	v_lshl_add_u64 v[94:95], v[32:33], 2, v[42:43]
	v_ashrrev_i32_e32 v29, 31, v28
	global_store_dword v[94:95], v97, off
	v_mov_b32_e32 v122, 0
	v_mov_b32_e32 v97, 0
	s_cbranch_vccnz .LBB97_22
; %bb.21:
	v_lshl_add_u64 v[94:95], v[28:29], 2, v[114:115]
	flat_load_dword v94, v[94:95]
	s_waitcnt vmcnt(0) lgkmcnt(0)
	v_mul_f32_e32 v97, s12, v94
.LBB97_22:
	v_max_f32_e32 v94, v24, v24
	v_max_f32_e32 v95, v25, v25
	v_min_f32_e32 v24, v94, v118
	v_min_f32_e32 v25, v95, v120
	v_max_f32_e32 v26, v26, v26
	v_max_f32_e32 v27, v27, v27
	v_pk_add_f32 v[24:25], v[24:25], v[98:99]
	v_min_f32_e32 v98, v26, v119
	v_min_f32_e32 v99, v27, v121
	v_pk_add_f32 v[24:25], v[98:99], v[24:25]
	s_and_b64 vcc, exec, s[0:1]
	v_add_f32_e32 v98, v24, v25
	v_add_u32_e32 v24, 40, v112
	v_ashrrev_i32_e32 v25, 31, v24
	v_add_f32_e32 v97, v98, v97
	v_lshl_add_u64 v[98:99], v[28:29], 2, v[42:43]
	global_store_dword v[98:99], v97, off
	s_cbranch_vccnz .LBB97_24
; %bb.23:
	v_lshl_add_u64 v[98:99], v[24:25], 2, v[114:115]
	flat_load_dword v97, v[98:99]
	s_waitcnt vmcnt(0) lgkmcnt(0)
	v_mul_f32_e32 v122, s12, v97
.LBB97_24:
	v_max_f32_e32 v97, v20, v20
	v_max_f32_e32 v98, v21, v21
	v_min_f32_e32 v20, v97, v118
	v_min_f32_e32 v21, v98, v120
	v_max_f32_e32 v22, v22, v22
	v_max_f32_e32 v23, v23, v23
	v_pk_add_f32 v[20:21], v[20:21], v[100:101]
	v_min_f32_e32 v100, v22, v119
	v_min_f32_e32 v101, v23, v121
	v_pk_add_f32 v[20:21], v[100:101], v[20:21]
	v_lshl_add_u64 v[100:101], v[24:25], 2, v[42:43]
	v_add_f32_e32 v99, v20, v21
	v_add_u32_e32 v20, 48, v112
	v_ashrrev_i32_e32 v21, 31, v20
	v_add_f32_e32 v99, v99, v122
	s_and_b64 vcc, exec, s[0:1]
	v_mov_b32_e32 v122, 0
	v_mov_b32_e32 v123, 0
	global_store_dword v[100:101], v99, off
	s_cbranch_vccnz .LBB97_26
; %bb.25:
	v_lshl_add_u64 v[100:101], v[20:21], 2, v[114:115]
	flat_load_dword v99, v[100:101]
	s_waitcnt vmcnt(0) lgkmcnt(0)
	v_mul_f32_e32 v123, s12, v99
.LBB97_26:
	v_max_f32_e32 v99, v16, v16
	v_max_f32_e32 v101, v17, v17
	v_min_f32_e32 v16, v99, v118
	v_min_f32_e32 v17, v101, v120
	v_pk_add_f32 v[16:17], v[16:17], v[110:111]
	v_max_f32_e32 v100, v18, v18
	v_max_f32_e32 v110, v19, v19
	v_min_f32_e32 v18, v100, v119
	v_min_f32_e32 v19, v110, v121
	v_pk_add_f32 v[16:17], v[18:19], v[16:17]
	s_and_b64 vcc, exec, s[0:1]
	v_add_f32_e32 v18, v16, v17
	v_add_u32_e32 v16, 56, v112
	v_ashrrev_i32_e32 v17, 31, v16
	v_add_f32_e32 v111, v18, v123
	v_lshl_add_u64 v[18:19], v[20:21], 2, v[42:43]
	global_store_dword v[18:19], v111, off
	s_cbranch_vccnz .LBB97_28
; %bb.27:
	v_lshl_add_u64 v[18:19], v[16:17], 2, v[114:115]
	flat_load_dword v18, v[18:19]
	s_waitcnt vmcnt(0) lgkmcnt(0)
	v_mul_f32_e32 v122, s12, v18
.LBB97_28:
	v_max_f32_e32 v18, v13, v13
	v_max_f32_e32 v19, v12, v12
	v_min_f32_e32 v13, v18, v120
	v_min_f32_e32 v12, v19, v118
	v_max_f32_e32 v15, v15, v15
	v_max_f32_e32 v14, v14, v14
	v_pk_add_f32 v[12:13], v[12:13], v[84:85]
	v_min_f32_e32 v85, v15, v121
	v_min_f32_e32 v84, v14, v119
	v_pk_add_f32 v[12:13], v[84:85], v[12:13]
	v_add_u32_e32 v85, 32, v116
	v_add_f32_e32 v12, v12, v13
	v_add_f32_e32 v84, v12, v122
	v_lshl_add_u64 v[12:13], v[16:17], 2, v[42:43]
	global_store_dword v[12:13], v84, off
	v_mad_i64_i32 v[12:13], s[8:9], v85, s14, 0
	v_lshl_add_u64 v[12:13], v[12:13], 2, s[6:7]
	s_and_b64 vcc, exec, s[0:1]
	v_mov_b32_e32 v84, 0
	v_mov_b32_e32 v111, 0
	s_cbranch_vccnz .LBB97_30
; %bb.29:
	v_lshl_add_u64 v[42:43], v[112:113], 2, v[12:13]
	flat_load_dword v42, v[42:43]
	s_waitcnt vmcnt(0) lgkmcnt(0)
	v_mul_f32_e32 v111, s12, v42
.LBB97_30:
	v_max_f32_e32 v42, v8, v8
	v_max_f32_e32 v43, v9, v9
	v_min_f32_e32 v8, v44, v42
	v_min_f32_e32 v9, v117, v43
	v_max_f32_e32 v10, v10, v10
	v_max_f32_e32 v11, v11, v11
	v_pk_add_f32 v[8:9], v[8:9], v[80:81]
	v_min_f32_e32 v80, v45, v10
	v_min_f32_e32 v81, v46, v11
	v_pk_add_f32 v[80:81], v[80:81], v[8:9]
	v_mad_i64_i32 v[8:9], s[8:9], v85, s15, 0
	v_lshl_add_u64 v[8:9], v[8:9], 2, s[2:3]
	v_add_f32_e32 v80, v80, v81
	v_add_f32_e32 v85, v80, v111
	v_lshl_add_u64 v[80:81], v[112:113], 2, v[8:9]
	s_and_b64 vcc, exec, s[0:1]
	global_store_dword v[80:81], v85, off
	s_cbranch_vccnz .LBB97_32
; %bb.31:
	v_lshl_add_u64 v[80:81], v[40:41], 2, v[12:13]
	flat_load_dword v80, v[80:81]
	s_waitcnt vmcnt(0) lgkmcnt(0)
	v_mul_f32_e32 v84, s12, v80
.LBB97_32:
	v_min_f32_e32 v80, v47, v42
	v_min_f32_e32 v81, v96, v43
	v_pk_add_f32 v[78:79], v[80:81], v[78:79]
	v_min_f32_e32 v80, v38, v10
	v_min_f32_e32 v81, v39, v11
	v_pk_add_f32 v[78:79], v[80:81], v[78:79]
	s_and_b64 vcc, exec, s[0:1]
	v_add_f32_e32 v78, v78, v79
	v_add_f32_e32 v80, v78, v84
	v_lshl_add_u64 v[78:79], v[40:41], 2, v[8:9]
	global_store_dword v[78:79], v80, off
	v_mov_b32_e32 v78, 0
	v_mov_b32_e32 v79, 0
	s_cbranch_vccnz .LBB97_34
; %bb.33:
	v_lshl_add_u64 v[80:81], v[36:37], 2, v[12:13]
	flat_load_dword v79, v[80:81]
	s_waitcnt vmcnt(0) lgkmcnt(0)
	v_mul_f32_e32 v79, s12, v79
.LBB97_34:
	v_min_f32_e32 v80, v92, v42
	v_min_f32_e32 v81, v93, v43
	v_pk_add_f32 v[76:77], v[80:81], v[76:77]
	v_min_f32_e32 v80, v34, v10
	v_min_f32_e32 v81, v35, v11
	v_pk_add_f32 v[76:77], v[80:81], v[76:77]
	s_and_b64 vcc, exec, s[0:1]
	v_add_f32_e32 v76, v76, v77
	v_add_f32_e32 v79, v76, v79
	v_lshl_add_u64 v[76:77], v[36:37], 2, v[8:9]
	global_store_dword v[76:77], v79, off
	s_cbranch_vccnz .LBB97_36
; %bb.35:
	v_lshl_add_u64 v[76:77], v[32:33], 2, v[12:13]
	flat_load_dword v76, v[76:77]
	s_waitcnt vmcnt(0) lgkmcnt(0)
	v_mul_f32_e32 v78, s12, v76
.LBB97_36:
	v_min_f32_e32 v76, v90, v42
	v_min_f32_e32 v77, v91, v43
	v_pk_add_f32 v[76:77], v[76:77], v[82:83]
	v_min_f32_e32 v80, v30, v10
	v_min_f32_e32 v81, v31, v11
	v_pk_add_f32 v[76:77], v[80:81], v[76:77]
	s_and_b64 vcc, exec, s[0:1]
	v_add_f32_e32 v76, v76, v77
	v_add_f32_e32 v78, v76, v78
	v_lshl_add_u64 v[76:77], v[32:33], 2, v[8:9]
	global_store_dword v[76:77], v78, off
	v_mov_b32_e32 v76, 0
	v_mov_b32_e32 v77, 0
	s_cbranch_vccnz .LBB97_38
; %bb.37:
	v_lshl_add_u64 v[78:79], v[28:29], 2, v[12:13]
	flat_load_dword v77, v[78:79]
	s_waitcnt vmcnt(0) lgkmcnt(0)
	v_mul_f32_e32 v77, s12, v77
.LBB97_38:
	v_min_f32_e32 v78, v94, v42
	v_min_f32_e32 v79, v95, v43
	v_pk_add_f32 v[78:79], v[78:79], v[86:87]
	v_min_f32_e32 v80, v26, v10
	v_min_f32_e32 v81, v27, v11
	v_pk_add_f32 v[78:79], v[80:81], v[78:79]
	s_and_b64 vcc, exec, s[0:1]
	v_add_f32_e32 v78, v78, v79
	v_add_f32_e32 v77, v78, v77
	v_lshl_add_u64 v[78:79], v[28:29], 2, v[8:9]
	;; [unrolled: 38-line block ×3, first 2 shown]
	global_store_dword v[78:79], v77, off
	s_cbranch_vccnz .LBB97_44
; %bb.43:
	v_lshl_add_u64 v[12:13], v[16:17], 2, v[12:13]
	flat_load_dword v12, v[12:13]
	s_waitcnt vmcnt(0) lgkmcnt(0)
	v_mul_f32_e32 v76, s12, v12
.LBB97_44:
	v_min_f32_e32 v13, v18, v43
	v_min_f32_e32 v12, v19, v42
	v_pk_add_f32 v[12:13], v[12:13], v[70:71]
	v_min_f32_e32 v11, v15, v11
	v_min_f32_e32 v10, v14, v10
	v_pk_add_f32 v[10:11], v[10:11], v[12:13]
	v_lshl_add_u64 v[8:9], v[16:17], 2, v[8:9]
	v_add_f32_e32 v10, v10, v11
	v_add_f32_e32 v10, v10, v76
	v_add_u32_e32 v13, 64, v116
	global_store_dword v[8:9], v10, off
	v_mad_i64_i32 v[8:9], s[8:9], v13, s14, 0
	v_lshl_add_u64 v[8:9], v[8:9], 2, s[6:7]
	s_and_b64 vcc, exec, s[0:1]
	v_mov_b32_e32 v12, 0
	v_mov_b32_e32 v42, 0
	s_cbranch_vccnz .LBB97_46
; %bb.45:
	v_lshl_add_u64 v[10:11], v[112:113], 2, v[8:9]
	flat_load_dword v10, v[10:11]
	s_waitcnt vmcnt(0) lgkmcnt(0)
	v_mul_f32_e32 v42, s12, v10
.LBB97_46:
	v_max_f32_e32 v10, v4, v4
	v_max_f32_e32 v11, v5, v5
	v_min_f32_e32 v4, v44, v10
	v_min_f32_e32 v5, v117, v11
	v_max_f32_e32 v6, v6, v6
	v_max_f32_e32 v7, v7, v7
	v_pk_add_f32 v[4:5], v[4:5], v[66:67]
	v_min_f32_e32 v66, v45, v6
	v_min_f32_e32 v67, v46, v7
	v_pk_add_f32 v[66:67], v[66:67], v[4:5]
	v_mad_i64_i32 v[4:5], s[8:9], v13, s15, 0
	v_lshl_add_u64 v[4:5], v[4:5], 2, s[2:3]
	v_add_f32_e32 v13, v66, v67
	v_add_f32_e32 v13, v13, v42
	v_lshl_add_u64 v[42:43], v[112:113], 2, v[4:5]
	s_and_b64 vcc, exec, s[0:1]
	global_store_dword v[42:43], v13, off
	s_cbranch_vccnz .LBB97_48
; %bb.47:
	v_lshl_add_u64 v[12:13], v[40:41], 2, v[8:9]
	flat_load_dword v12, v[12:13]
	s_waitcnt vmcnt(0) lgkmcnt(0)
	v_mul_f32_e32 v12, s12, v12
.LBB97_48:
	v_min_f32_e32 v42, v47, v10
	v_min_f32_e32 v43, v96, v11
	v_pk_add_f32 v[42:43], v[42:43], v[64:65]
	v_min_f32_e32 v64, v38, v6
	v_min_f32_e32 v65, v39, v7
	v_pk_add_f32 v[42:43], v[64:65], v[42:43]
	s_and_b64 vcc, exec, s[0:1]
	v_add_f32_e32 v13, v42, v43
	v_add_f32_e32 v42, v13, v12
	v_lshl_add_u64 v[12:13], v[40:41], 2, v[4:5]
	global_store_dword v[12:13], v42, off
	v_mov_b32_e32 v12, 0
	v_mov_b32_e32 v13, 0
	s_cbranch_vccnz .LBB97_50
; %bb.49:
	v_lshl_add_u64 v[42:43], v[36:37], 2, v[8:9]
	flat_load_dword v13, v[42:43]
	s_waitcnt vmcnt(0) lgkmcnt(0)
	v_mul_f32_e32 v13, s12, v13
.LBB97_50:
	v_min_f32_e32 v42, v92, v10
	v_min_f32_e32 v43, v93, v11
	v_pk_add_f32 v[42:43], v[42:43], v[62:63]
	v_min_f32_e32 v62, v34, v6
	v_min_f32_e32 v63, v35, v7
	v_pk_add_f32 v[42:43], v[62:63], v[42:43]
	s_and_b64 vcc, exec, s[0:1]
	v_add_f32_e32 v42, v42, v43
	v_add_f32_e32 v13, v42, v13
	v_lshl_add_u64 v[42:43], v[36:37], 2, v[4:5]
	global_store_dword v[42:43], v13, off
	s_cbranch_vccnz .LBB97_52
; %bb.51:
	v_lshl_add_u64 v[12:13], v[32:33], 2, v[8:9]
	flat_load_dword v12, v[12:13]
	s_waitcnt vmcnt(0) lgkmcnt(0)
	v_mul_f32_e32 v12, s12, v12
.LBB97_52:
	v_min_f32_e32 v42, v90, v10
	v_min_f32_e32 v43, v91, v11
	v_pk_add_f32 v[42:43], v[42:43], v[68:69]
	v_min_f32_e32 v62, v30, v6
	v_min_f32_e32 v63, v31, v7
	v_pk_add_f32 v[42:43], v[62:63], v[42:43]
	s_and_b64 vcc, exec, s[0:1]
	v_add_f32_e32 v13, v42, v43
	v_add_f32_e32 v42, v13, v12
	v_lshl_add_u64 v[12:13], v[32:33], 2, v[4:5]
	global_store_dword v[12:13], v42, off
	v_mov_b32_e32 v12, 0
	v_mov_b32_e32 v13, 0
	s_cbranch_vccnz .LBB97_54
; %bb.53:
	v_lshl_add_u64 v[42:43], v[28:29], 2, v[8:9]
	flat_load_dword v13, v[42:43]
	s_waitcnt vmcnt(0) lgkmcnt(0)
	v_mul_f32_e32 v13, s12, v13
.LBB97_54:
	v_min_f32_e32 v42, v94, v10
	v_min_f32_e32 v43, v95, v11
	v_pk_add_f32 v[42:43], v[42:43], v[72:73]
	v_min_f32_e32 v62, v26, v6
	v_min_f32_e32 v63, v27, v7
	v_pk_add_f32 v[42:43], v[62:63], v[42:43]
	s_and_b64 vcc, exec, s[0:1]
	v_add_f32_e32 v42, v42, v43
	v_add_f32_e32 v13, v42, v13
	v_lshl_add_u64 v[42:43], v[28:29], 2, v[4:5]
	;; [unrolled: 38-line block ×3, first 2 shown]
	global_store_dword v[42:43], v13, off
	s_cbranch_vccnz .LBB97_60
; %bb.59:
	v_lshl_add_u64 v[8:9], v[16:17], 2, v[8:9]
	flat_load_dword v8, v[8:9]
	s_waitcnt vmcnt(0) lgkmcnt(0)
	v_mul_f32_e32 v12, s12, v8
.LBB97_60:
	v_min_f32_e32 v9, v18, v11
	v_min_f32_e32 v8, v19, v10
	v_pk_add_f32 v[8:9], v[8:9], v[54:55]
	v_min_f32_e32 v7, v15, v7
	v_min_f32_e32 v6, v14, v6
	v_pk_add_f32 v[6:7], v[6:7], v[8:9]
	v_lshl_add_u64 v[4:5], v[16:17], 2, v[4:5]
	v_add_f32_e32 v6, v6, v7
	v_add_f32_e32 v6, v6, v12
	v_add_u32_e32 v9, 0x60, v116
	global_store_dword v[4:5], v6, off
	v_mad_i64_i32 v[4:5], s[8:9], v9, s14, 0
	v_lshl_add_u64 v[4:5], v[4:5], 2, s[6:7]
	s_and_b64 vcc, exec, s[0:1]
	v_mov_b32_e32 v8, 0
	v_mov_b32_e32 v10, 0
	s_cbranch_vccnz .LBB97_62
; %bb.61:
	v_lshl_add_u64 v[6:7], v[112:113], 2, v[4:5]
	flat_load_dword v6, v[6:7]
	s_waitcnt vmcnt(0) lgkmcnt(0)
	v_mul_f32_e32 v10, s12, v6
.LBB97_62:
	v_max_f32_e32 v6, v1, v1
	v_max_f32_e32 v7, v0, v0
	v_min_f32_e32 v1, v117, v6
	v_min_f32_e32 v0, v44, v7
	v_max_f32_e32 v3, v3, v3
	v_max_f32_e32 v2, v2, v2
	v_pk_add_f32 v[0:1], v[0:1], v[56:57]
	v_min_f32_e32 v13, v46, v3
	v_min_f32_e32 v12, v45, v2
	v_pk_add_f32 v[12:13], v[12:13], v[0:1]
	v_mad_i64_i32 v[0:1], s[6:7], v9, s15, 0
	v_lshl_add_u64 v[0:1], v[0:1], 2, s[2:3]
	v_add_f32_e32 v9, v12, v13
	v_add_f32_e32 v9, v9, v10
	v_lshl_add_u64 v[10:11], v[112:113], 2, v[0:1]
	s_and_b64 vcc, exec, s[0:1]
	global_store_dword v[10:11], v9, off
	s_cbranch_vccnz .LBB97_64
; %bb.63:
	v_lshl_add_u64 v[8:9], v[40:41], 2, v[4:5]
	flat_load_dword v8, v[8:9]
	s_waitcnt vmcnt(0) lgkmcnt(0)
	v_mul_f32_e32 v8, s12, v8
.LBB97_64:
	v_min_f32_e32 v11, v96, v6
	v_min_f32_e32 v10, v47, v7
	v_pk_add_f32 v[10:11], v[10:11], v[50:51]
	v_min_f32_e32 v13, v39, v3
	v_min_f32_e32 v12, v38, v2
	v_pk_add_f32 v[10:11], v[12:13], v[10:11]
	s_and_b64 vcc, exec, s[0:1]
	v_add_f32_e32 v9, v10, v11
	v_add_f32_e32 v10, v9, v8
	v_lshl_add_u64 v[8:9], v[40:41], 2, v[0:1]
	global_store_dword v[8:9], v10, off
	v_mov_b32_e32 v8, 0
	v_mov_b32_e32 v9, 0
	s_cbranch_vccnz .LBB97_66
; %bb.65:
	v_lshl_add_u64 v[10:11], v[36:37], 2, v[4:5]
	flat_load_dword v9, v[10:11]
	s_waitcnt vmcnt(0) lgkmcnt(0)
	v_mul_f32_e32 v9, s12, v9
.LBB97_66:
	v_min_f32_e32 v11, v93, v6
	v_min_f32_e32 v10, v92, v7
	v_pk_add_f32 v[10:11], v[10:11], v[48:49]
	v_min_f32_e32 v13, v35, v3
	v_min_f32_e32 v12, v34, v2
	v_pk_add_f32 v[10:11], v[12:13], v[10:11]
	s_and_b64 vcc, exec, s[0:1]
	v_add_f32_e32 v10, v10, v11
	v_add_f32_e32 v9, v10, v9
	v_lshl_add_u64 v[10:11], v[36:37], 2, v[0:1]
	global_store_dword v[10:11], v9, off
	s_cbranch_vccnz .LBB97_68
; %bb.67:
	v_lshl_add_u64 v[8:9], v[32:33], 2, v[4:5]
	flat_load_dword v8, v[8:9]
	s_waitcnt vmcnt(0) lgkmcnt(0)
	v_mul_f32_e32 v8, s12, v8
.LBB97_68:
	v_min_f32_e32 v11, v91, v6
	v_min_f32_e32 v10, v90, v7
	v_pk_add_f32 v[10:11], v[10:11], v[52:53]
	v_min_f32_e32 v13, v31, v3
	v_min_f32_e32 v12, v30, v2
	v_pk_add_f32 v[10:11], v[12:13], v[10:11]
	s_and_b64 vcc, exec, s[0:1]
	v_add_f32_e32 v9, v10, v11
	v_add_f32_e32 v10, v9, v8
	v_lshl_add_u64 v[8:9], v[32:33], 2, v[0:1]
	global_store_dword v[8:9], v10, off
	v_mov_b32_e32 v8, 0
	v_mov_b32_e32 v9, 0
	s_cbranch_vccnz .LBB97_70
; %bb.69:
	v_lshl_add_u64 v[10:11], v[28:29], 2, v[4:5]
	flat_load_dword v9, v[10:11]
	s_waitcnt vmcnt(0) lgkmcnt(0)
	v_mul_f32_e32 v9, s12, v9
.LBB97_70:
	v_min_f32_e32 v11, v95, v6
	v_min_f32_e32 v10, v94, v7
	v_pk_add_f32 v[10:11], v[10:11], v[58:59]
	v_min_f32_e32 v13, v27, v3
	v_min_f32_e32 v12, v26, v2
	v_pk_add_f32 v[10:11], v[12:13], v[10:11]
	s_and_b64 vcc, exec, s[0:1]
	v_add_f32_e32 v10, v10, v11
	v_add_f32_e32 v9, v10, v9
	v_lshl_add_u64 v[10:11], v[28:29], 2, v[0:1]
	global_store_dword v[10:11], v9, off
	s_cbranch_vccnz .LBB97_72
; %bb.71:
	v_lshl_add_u64 v[8:9], v[24:25], 2, v[4:5]
	flat_load_dword v8, v[8:9]
	s_waitcnt vmcnt(0) lgkmcnt(0)
	v_mul_f32_e32 v8, s12, v8
.LBB97_72:
	v_min_f32_e32 v11, v98, v6
	v_min_f32_e32 v10, v97, v7
	v_pk_add_f32 v[10:11], v[10:11], v[60:61]
	v_min_f32_e32 v13, v23, v3
	v_min_f32_e32 v12, v22, v2
	v_pk_add_f32 v[10:11], v[12:13], v[10:11]
	v_min_f32_e32 v13, v110, v3
	v_add_f32_e32 v9, v10, v11
	v_min_f32_e32 v11, v101, v6
	v_min_f32_e32 v10, v99, v7
	v_pk_add_f32 v[10:11], v[10:11], v[104:105]
	v_min_f32_e32 v12, v100, v2
	v_pk_add_f32 v[10:11], v[12:13], v[10:11]
	v_add_f32_e32 v12, v9, v8
	v_lshl_add_u64 v[8:9], v[24:25], 2, v[0:1]
	global_store_dword v[8:9], v12, off
	v_add_f32_e32 v8, v10, v11
	s_mov_b64 vcc, s[4:5]
	s_cbranch_vccz .LBB97_75
; %bb.73:
	v_add_f32_e32 v9, 0, v8
	v_lshl_add_u64 v[10:11], v[20:21], 2, v[0:1]
	s_mov_b32 s2, 0
	global_store_dword v[10:11], v9, off
	s_cbranch_execz .LBB97_76
; %bb.74:
	v_mov_b32_e32 v4, s2
	s_branch .LBB97_77
.LBB97_75:
                                        ; implicit-def: $sgpr2
.LBB97_76:
	v_lshlrev_b64 v[10:11], 2, v[20:21]
	v_lshl_add_u64 v[12:13], v[4:5], 0, v[10:11]
	flat_load_dword v9, v[12:13]
	v_lshl_add_u64 v[10:11], v[0:1], 0, v[10:11]
	v_lshl_add_u64 v[4:5], v[16:17], 2, v[4:5]
	s_waitcnt vmcnt(0) lgkmcnt(0)
	v_fmac_f32_e32 v8, s12, v9
	global_store_dword v[10:11], v8, off
	flat_load_dword v4, v[4:5]
	s_waitcnt vmcnt(0) lgkmcnt(0)
	v_mul_f32_e32 v4, s12, v4
.LBB97_77:
	v_min_f32_e32 v9, v18, v6
	v_min_f32_e32 v8, v19, v7
	v_min_f32_e32 v3, v15, v3
	v_min_f32_e32 v2, v14, v2
	v_pk_add_f32 v[6:7], v[8:9], v[102:103]
	v_lshl_add_u64 v[0:1], v[16:17], 2, v[0:1]
	v_pk_add_f32 v[2:3], v[2:3], v[6:7]
	s_nop 0
	v_add_f32_e32 v2, v2, v3
	v_add_f32_e32 v2, v2, v4
	global_store_dword v[0:1], v2, off
	s_endpgm
	.section	.rodata,"a",@progbits
	.p2align	6, 0x0
	.amdhsa_kernel _ZN12_GLOBAL__N_120geam_min_plus_kernelIf15HIP_vector_typeIfLj2EES2_Li8ELi32ELi64ELi128ELi4ELi4ELi64ELi64ELi4ELc84ELc84ELb1ELb0ELb0EfKffEEviiiT16_PT17_ilS6_ilS4_S6_ilPT18_ili26rocblas_geam_ex_operation_
		.amdhsa_group_segment_fixed_size 6144
		.amdhsa_private_segment_fixed_size 0
		.amdhsa_kernarg_size 128
		.amdhsa_user_sgpr_count 2
		.amdhsa_user_sgpr_dispatch_ptr 0
		.amdhsa_user_sgpr_queue_ptr 0
		.amdhsa_user_sgpr_kernarg_segment_ptr 1
		.amdhsa_user_sgpr_dispatch_id 0
		.amdhsa_user_sgpr_kernarg_preload_length 0
		.amdhsa_user_sgpr_kernarg_preload_offset 0
		.amdhsa_user_sgpr_private_segment_size 0
		.amdhsa_uses_dynamic_stack 0
		.amdhsa_enable_private_segment 0
		.amdhsa_system_sgpr_workgroup_id_x 1
		.amdhsa_system_sgpr_workgroup_id_y 0
		.amdhsa_system_sgpr_workgroup_id_z 1
		.amdhsa_system_sgpr_workgroup_info 0
		.amdhsa_system_vgpr_workitem_id 1
		.amdhsa_next_free_vgpr 150
		.amdhsa_next_free_sgpr 24
		.amdhsa_accum_offset 152
		.amdhsa_reserve_vcc 1
		.amdhsa_float_round_mode_32 0
		.amdhsa_float_round_mode_16_64 0
		.amdhsa_float_denorm_mode_32 3
		.amdhsa_float_denorm_mode_16_64 3
		.amdhsa_dx10_clamp 1
		.amdhsa_ieee_mode 1
		.amdhsa_fp16_overflow 0
		.amdhsa_tg_split 0
		.amdhsa_exception_fp_ieee_invalid_op 0
		.amdhsa_exception_fp_denorm_src 0
		.amdhsa_exception_fp_ieee_div_zero 0
		.amdhsa_exception_fp_ieee_overflow 0
		.amdhsa_exception_fp_ieee_underflow 0
		.amdhsa_exception_fp_ieee_inexact 0
		.amdhsa_exception_int_div_zero 0
	.end_amdhsa_kernel
	.section	.text._ZN12_GLOBAL__N_120geam_min_plus_kernelIf15HIP_vector_typeIfLj2EES2_Li8ELi32ELi64ELi128ELi4ELi4ELi64ELi64ELi4ELc84ELc84ELb1ELb0ELb0EfKffEEviiiT16_PT17_ilS6_ilS4_S6_ilPT18_ili26rocblas_geam_ex_operation_,"axG",@progbits,_ZN12_GLOBAL__N_120geam_min_plus_kernelIf15HIP_vector_typeIfLj2EES2_Li8ELi32ELi64ELi128ELi4ELi4ELi64ELi64ELi4ELc84ELc84ELb1ELb0ELb0EfKffEEviiiT16_PT17_ilS6_ilS4_S6_ilPT18_ili26rocblas_geam_ex_operation_,comdat
.Lfunc_end97:
	.size	_ZN12_GLOBAL__N_120geam_min_plus_kernelIf15HIP_vector_typeIfLj2EES2_Li8ELi32ELi64ELi128ELi4ELi4ELi64ELi64ELi4ELc84ELc84ELb1ELb0ELb0EfKffEEviiiT16_PT17_ilS6_ilS4_S6_ilPT18_ili26rocblas_geam_ex_operation_, .Lfunc_end97-_ZN12_GLOBAL__N_120geam_min_plus_kernelIf15HIP_vector_typeIfLj2EES2_Li8ELi32ELi64ELi128ELi4ELi4ELi64ELi64ELi4ELc84ELc84ELb1ELb0ELb0EfKffEEviiiT16_PT17_ilS6_ilS4_S6_ilPT18_ili26rocblas_geam_ex_operation_
                                        ; -- End function
	.section	.AMDGPU.csdata,"",@progbits
; Kernel info:
; codeLenInByte = 8584
; NumSgprs: 30
; NumVgprs: 150
; NumAgprs: 0
; TotalNumVgprs: 150
; ScratchSize: 0
; MemoryBound: 0
; FloatMode: 240
; IeeeMode: 1
; LDSByteSize: 6144 bytes/workgroup (compile time only)
; SGPRBlocks: 3
; VGPRBlocks: 18
; NumSGPRsForWavesPerEU: 30
; NumVGPRsForWavesPerEU: 150
; AccumOffset: 152
; Occupancy: 3
; WaveLimiterHint : 1
; COMPUTE_PGM_RSRC2:SCRATCH_EN: 0
; COMPUTE_PGM_RSRC2:USER_SGPR: 2
; COMPUTE_PGM_RSRC2:TRAP_HANDLER: 0
; COMPUTE_PGM_RSRC2:TGID_X_EN: 1
; COMPUTE_PGM_RSRC2:TGID_Y_EN: 0
; COMPUTE_PGM_RSRC2:TGID_Z_EN: 1
; COMPUTE_PGM_RSRC2:TIDIG_COMP_CNT: 1
; COMPUTE_PGM_RSRC3_GFX90A:ACCUM_OFFSET: 37
; COMPUTE_PGM_RSRC3_GFX90A:TG_SPLIT: 0
	.section	.text._ZN12_GLOBAL__N_120geam_min_plus_kernelIf15HIP_vector_typeIfLj2EES2_Li8ELi32ELi64ELi128ELi4ELi4ELi64ELi64ELi4ELc84ELc84ELb0ELb0ELb0EfKffEEviiiT16_PT17_ilS6_ilS4_S6_ilPT18_ili26rocblas_geam_ex_operation_,"axG",@progbits,_ZN12_GLOBAL__N_120geam_min_plus_kernelIf15HIP_vector_typeIfLj2EES2_Li8ELi32ELi64ELi128ELi4ELi4ELi64ELi64ELi4ELc84ELc84ELb0ELb0ELb0EfKffEEviiiT16_PT17_ilS6_ilS4_S6_ilPT18_ili26rocblas_geam_ex_operation_,comdat
	.globl	_ZN12_GLOBAL__N_120geam_min_plus_kernelIf15HIP_vector_typeIfLj2EES2_Li8ELi32ELi64ELi128ELi4ELi4ELi64ELi64ELi4ELc84ELc84ELb0ELb0ELb0EfKffEEviiiT16_PT17_ilS6_ilS4_S6_ilPT18_ili26rocblas_geam_ex_operation_ ; -- Begin function _ZN12_GLOBAL__N_120geam_min_plus_kernelIf15HIP_vector_typeIfLj2EES2_Li8ELi32ELi64ELi128ELi4ELi4ELi64ELi64ELi4ELc84ELc84ELb0ELb0ELb0EfKffEEviiiT16_PT17_ilS6_ilS4_S6_ilPT18_ili26rocblas_geam_ex_operation_
	.p2align	8
	.type	_ZN12_GLOBAL__N_120geam_min_plus_kernelIf15HIP_vector_typeIfLj2EES2_Li8ELi32ELi64ELi128ELi4ELi4ELi64ELi64ELi4ELc84ELc84ELb0ELb0ELb0EfKffEEviiiT16_PT17_ilS6_ilS4_S6_ilPT18_ili26rocblas_geam_ex_operation_,@function
_ZN12_GLOBAL__N_120geam_min_plus_kernelIf15HIP_vector_typeIfLj2EES2_Li8ELi32ELi64ELi128ELi4ELi4ELi64ELi64ELi4ELc84ELc84ELb0ELb0ELb0EfKffEEviiiT16_PT17_ilS6_ilS4_S6_ilPT18_ili26rocblas_geam_ex_operation_: ; @_ZN12_GLOBAL__N_120geam_min_plus_kernelIf15HIP_vector_typeIfLj2EES2_Li8ELi32ELi64ELi128ELi4ELi4ELi64ELi64ELi4ELc84ELc84ELb0ELb0ELb0EfKffEEviiiT16_PT17_ilS6_ilS4_S6_ilPT18_ili26rocblas_geam_ex_operation_
; %bb.0:
	s_load_dwordx2 s[14:15], s[0:1], 0x8
	s_load_dwordx4 s[4:7], s[0:1], 0x20
	s_waitcnt lgkmcnt(0)
	v_cmp_eq_f32_e64 s[8:9], s15, 0
	s_and_b64 vcc, exec, s[8:9]
	s_cbranch_vccnz .LBB98_3
; %bb.1:
	s_load_dwordx2 s[10:11], s[0:1], 0x10
	s_mul_i32 s5, s3, s5
	s_mul_hi_u32 s12, s3, s4
	s_add_i32 s5, s12, s5
	s_mul_i32 s4, s3, s4
	s_lshl_b64 s[4:5], s[4:5], 2
	s_waitcnt lgkmcnt(0)
	s_add_u32 s18, s10, s4
	s_addc_u32 s19, s11, s5
	s_andn2_b64 vcc, exec, s[8:9]
	s_cbranch_vccnz .LBB98_4
.LBB98_2:
	s_mov_b32 s13, 0
	s_mov_b64 s[16:17], 0
	s_cbranch_execz .LBB98_5
	s_branch .LBB98_6
.LBB98_3:
	s_mov_b64 s[18:19], 0
	s_andn2_b64 vcc, exec, s[8:9]
	s_cbranch_vccz .LBB98_2
.LBB98_4:
                                        ; implicit-def: $sgpr16_sgpr17
                                        ; implicit-def: $sgpr12_sgpr13
.LBB98_5:
	s_load_dwordx2 s[4:5], s[0:1], 0x38
	s_mov_b32 s13, 0
	s_waitcnt lgkmcnt(0)
	s_mul_i32 s5, s3, s5
	s_mul_hi_u32 s8, s3, s4
	s_add_i32 s5, s8, s5
	s_mul_i32 s4, s3, s4
	s_lshl_b64 s[4:5], s[4:5], 2
	s_add_u32 s16, s6, s4
	s_addc_u32 s17, s7, s5
.LBB98_6:
	s_load_dword s12, s[0:1], 0x40
	s_load_dwordx4 s[8:11], s[0:1], 0x58
	v_cmp_neq_f32_e64 s[20:21], s15, 0
	s_waitcnt lgkmcnt(0)
	v_cmp_eq_f32_e64 s[4:5], s12, 0
	s_and_b64 s[6:7], exec, s[4:5]
	s_mov_b64 vcc, s[6:7]
	s_cbranch_vccnz .LBB98_8
; %bb.7:
	s_load_dwordx2 s[4:5], s[0:1], 0x48
	s_mul_i32 s9, s3, s9
	s_mul_hi_u32 s22, s3, s8
	s_add_i32 s9, s22, s9
	s_mul_i32 s22, s13, s8
	s_add_i32 s9, s9, s22
	s_mul_i32 s8, s3, s8
	s_lshl_b64 s[8:9], s[8:9], 2
	s_waitcnt lgkmcnt(0)
	s_add_u32 s8, s4, s8
	s_addc_u32 s9, s5, s9
	s_branch .LBB98_9
.LBB98_8:
	s_mov_b64 s[8:9], 0
.LBB98_9:
	s_load_dword s4, s[0:1], 0x0
	s_load_dword s24, s[0:1], 0x18
	v_and_b32_e32 v202, 0x3ff, v0
	v_bfe_u32 v203, v0, 10, 10
	v_lshl_add_u32 v2, v203, 3, v202
	s_waitcnt lgkmcnt(0)
	s_add_i32 s4, s4, -1
	s_ashr_i32 s5, s4, 31
	s_lshr_b32 s5, s5, 26
	s_add_i32 s4, s4, s5
	s_ashr_i32 s22, s4, 6
	s_add_i32 s23, s22, 1
	v_cvt_f32_u32_e32 v1, s23
	s_not_b32 s22, s22
	v_and_b32_e32 v3, 3, v202
	v_lshrrev_b32_e32 v9, 2, v2
	v_rcp_iflag_f32_e32 v0, v1
	v_cndmask_b32_e64 v1, 0, 1, s[20:21]
	v_cmp_ne_u32_e64 s[4:5], 1, v1
	v_mul_f32_e32 v0, 0x4f7ffffe, v0
	v_cvt_u32_f32_e32 v0, v0
	s_nop 0
	v_readfirstlane_b32 s25, v0
	s_mul_i32 s22, s22, s25
	s_mul_hi_u32 s22, s25, s22
	s_add_i32 s25, s25, s22
	s_mul_hi_u32 s22, s2, s25
	s_mul_i32 s25, s22, s23
	s_sub_i32 s25, s2, s25
	s_add_i32 s26, s22, 1
	s_sub_i32 s27, s25, s23
	s_cmp_ge_u32 s25, s23
	s_cselect_b32 s22, s26, s22
	s_cselect_b32 s25, s27, s25
	s_add_i32 s26, s22, 1
	s_cmp_ge_u32 s25, s23
	s_cselect_b32 s22, s26, s22
	s_andn2_b64 vcc, exec, s[20:21]
	s_mul_i32 s20, s22, s23
	s_sub_i32 s2, s2, s20
	s_lshl_b32 s2, s2, 6
	v_add_u32_e32 v6, s2, v9
	v_lshlrev_b32_e32 v0, 2, v3
	s_cbranch_vccnz .LBB98_11
; %bb.10:
	v_mad_i64_i32 v[4:5], s[20:21], v6, s24, 0
	v_lshl_add_u64 v[4:5], v[4:5], 2, s[18:19]
	v_mov_b32_e32 v1, 0
	v_lshl_add_u64 v[4:5], v[4:5], 0, v[0:1]
	flat_load_dword v1, v[4:5]
	s_waitcnt vmcnt(0) lgkmcnt(0)
	v_mul_f32_e32 v10, s15, v1
	s_branch .LBB98_12
.LBB98_11:
	v_mov_b32_e32 v10, 0
.LBB98_12:
	s_load_dword s20, s[0:1], 0x30
	v_and_b32_e32 v8, 63, v2
	s_lshl_b32 s22, s22, 7
	v_lshrrev_b32_e32 v7, 6, v2
	v_or_b32_e32 v2, s22, v8
	s_and_b64 vcc, exec, s[4:5]
	s_waitcnt lgkmcnt(0)
	s_ashr_i32 s21, s20, 31
	v_ashrrev_i32_e32 v3, 31, v2
	s_cbranch_vccnz .LBB98_16
; %bb.13:
	v_mad_i64_i32 v[4:5], s[26:27], s20, v7, 0
	v_lshl_add_u64 v[4:5], v[4:5], 2, s[16:17]
	v_lshl_add_u64 v[4:5], v[2:3], 2, v[4:5]
	flat_load_dword v12, v[4:5]
	flat_load_dword v13, v[4:5] offset:256
	s_mov_b32 s26, s15
	s_waitcnt vmcnt(0) lgkmcnt(0)
	v_pk_mul_f32 v[4:5], v[12:13], s[26:27] op_sel_hi:[1,0]
	s_and_b64 vcc, exec, s[4:5]
	s_cbranch_vccnz .LBB98_17
.LBB98_14:
	v_mad_i64_i32 v[12:13], s[26:27], v6, s24, 0
	v_lshl_add_u64 v[12:13], v[12:13], 2, s[18:19]
	v_mov_b32_e32 v1, 0
	v_lshl_add_u64 v[12:13], v[12:13], 0, v[0:1]
	flat_load_dword v1, v[12:13] offset:16
	s_waitcnt vmcnt(0) lgkmcnt(0)
	v_mul_f32_e32 v1, s15, v1
	s_and_b64 vcc, exec, s[4:5]
	s_cbranch_vccnz .LBB98_18
.LBB98_15:
	v_add_u32_e32 v11, 4, v7
	v_mad_i64_i32 v[12:13], s[26:27], s20, v11, 0
	v_lshl_add_u64 v[12:13], v[12:13], 2, s[16:17]
	v_lshl_add_u64 v[2:3], v[2:3], 2, v[12:13]
	flat_load_dword v12, v[2:3]
	flat_load_dword v13, v[2:3] offset:256
	s_mov_b32 s26, s15
	s_waitcnt vmcnt(0) lgkmcnt(0)
	v_pk_mul_f32 v[2:3], v[12:13], s[26:27] op_sel_hi:[1,0]
	s_branch .LBB98_19
.LBB98_16:
	v_mov_b32_e32 v4, 0
	v_mov_b32_e32 v5, 0
	s_and_b64 vcc, exec, s[4:5]
	s_cbranch_vccz .LBB98_14
.LBB98_17:
	v_mov_b32_e32 v1, 0
	s_and_b64 vcc, exec, s[4:5]
	s_cbranch_vccz .LBB98_15
.LBB98_18:
	v_mov_b32_e32 v2, 0
	v_mov_b32_e32 v3, 0
.LBB98_19:
	v_lshl_or_b32 v9, v9, 4, v0
	ds_write_b32 v9, v10 offset:4096
	v_lshlrev_b32_e32 v10, 2, v7
	v_lshl_add_u32 v206, v8, 4, v10
	v_lshlrev_b32_e32 v205, 4, v203
	ds_write2st64_b32 v206, v4, v5 offset1:4
	s_waitcnt lgkmcnt(0)
	s_barrier
	ds_read_b128 v[10:13], v205
	v_lshlrev_b32_e32 v204, 4, v202
	ds_read_b128 v[14:17], v204 offset:4992
	ds_read_b128 v[18:21], v205 offset:512
	;; [unrolled: 1-line block ×5, first 2 shown]
	s_waitcnt lgkmcnt(5)
	v_max_f32_e32 v52, v11, v11
	s_waitcnt lgkmcnt(4)
	v_max_f32_e32 v56, v15, v15
	v_max_f32_e32 v53, v10, v10
	;; [unrolled: 1-line block ×3, first 2 shown]
	ds_read_b128 v[34:37], v204 offset:4096
	ds_read_b128 v[38:41], v204 offset:4224
	v_max_f32_e32 v106, v13, v13
	v_max_f32_e32 v107, v12, v12
	;; [unrolled: 1-line block ×4, first 2 shown]
	ds_read_b128 v[10:13], v204 offset:4352
	ds_read_b128 v[14:17], v204 offset:4480
	s_waitcnt lgkmcnt(4)
	v_max_f32_e32 v58, v31, v31
	v_max_f32_e32 v59, v30, v30
	;; [unrolled: 1-line block ×4, first 2 shown]
	s_waitcnt lgkmcnt(2)
	v_max_f32_e32 v26, v38, v38
	v_max_f32_e32 v27, v39, v39
	s_waitcnt lgkmcnt(1)
	v_max_f32_e32 v30, v10, v10
	v_max_f32_e32 v31, v11, v11
	;; [unrolled: 3-line block ×3, first 2 shown]
	v_max_f32_e32 v73, v13, v13
	ds_read_b128 v[10:13], v204 offset:4608
	v_max_f32_e32 v39, v15, v15
	v_max_f32_e32 v76, v16, v16
	;; [unrolled: 1-line block ×3, first 2 shown]
	ds_read_b128 v[14:17], v204 offset:4736
	v_max_f32_e32 v54, v19, v19
	v_max_f32_e32 v55, v18, v18
	;; [unrolled: 1-line block ×4, first 2 shown]
	s_waitcnt lgkmcnt(0)
	v_max_f32_e32 v50, v14, v14
	v_max_f32_e32 v51, v15, v15
	v_max_f32_e32 v46, v10, v10
	v_max_f32_e32 v47, v11, v11
	v_max_f32_e32 v70, v22, v22
	v_max_f32_e32 v71, v23, v23
	v_min_f32_e32 v48, v50, v53
	v_min_f32_e32 v49, v51, v52
	;; [unrolled: 1-line block ×10, first 2 shown]
	v_max_f32_e32 v122, v21, v21
	v_max_f32_e32 v123, v20, v20
	;; [unrolled: 1-line block ×12, first 2 shown]
	v_min_f32_e32 v4, v18, v53
	v_min_f32_e32 v5, v19, v52
	;; [unrolled: 1-line block ×38, first 2 shown]
	v_pk_add_f32 v[50:51], v[50:51], 0 op_sel_hi:[1,0]
	v_min_f32_e32 v57, v120, v106
	v_min_f32_e32 v56, v121, v107
	v_pk_add_f32 v[88:89], v[56:57], v[50:51]
	v_pk_add_f32 v[50:51], v[52:53], 0 op_sel_hi:[1,0]
	v_min_f32_e32 v53, v120, v122
	v_min_f32_e32 v52, v121, v123
	v_max_f32_e32 v66, v36, v36
	v_max_f32_e32 v67, v37, v37
	v_pk_add_f32 v[74:75], v[52:53], v[50:51]
	v_pk_add_f32 v[50:51], v[54:55], 0 op_sel_hi:[1,0]
	v_min_f32_e32 v53, v120, v124
	v_min_f32_e32 v52, v121, v125
	v_max_f32_e32 v126, v29, v29
	v_max_f32_e32 v127, v28, v28
	v_min_f32_e32 v28, v30, v59
	v_min_f32_e32 v29, v31, v58
	;; [unrolled: 1-line block ×14, first 2 shown]
	v_pk_add_f32 v[60:61], v[52:53], v[50:51]
	v_pk_add_f32 v[4:5], v[4:5], 0 op_sel_hi:[1,0]
	v_min_f32_e32 v50, v66, v107
	v_min_f32_e32 v51, v67, v106
	v_pk_add_f32 v[118:119], v[50:51], v[4:5]
	v_pk_add_f32 v[4:5], v[10:11], 0 op_sel_hi:[1,0]
	v_min_f32_e32 v10, v66, v123
	v_min_f32_e32 v11, v67, v122
	;; [unrolled: 4-line block ×3, first 2 shown]
	v_min_f32_e32 v100, v70, v59
	v_min_f32_e32 v101, v71, v58
	v_pk_add_f32 v[70:71], v[10:11], v[4:5]
	v_min_f32_e32 v5, v67, v126
	v_min_f32_e32 v4, v66, v127
	v_pk_add_f32 v[10:11], v[14:15], 0 op_sel_hi:[1,0]
	s_cmp_lt_i32 s14, 9
	v_pk_add_f32 v[56:57], v[4:5], v[10:11]
	v_pk_add_f32 v[4:5], v[16:17], 0 op_sel_hi:[1,0]
	v_min_f32_e32 v10, v68, v107
	v_min_f32_e32 v11, v69, v106
	v_pk_add_f32 v[116:117], v[10:11], v[4:5]
	v_pk_add_f32 v[4:5], v[18:19], 0 op_sel_hi:[1,0]
	v_min_f32_e32 v10, v68, v123
	v_min_f32_e32 v11, v69, v122
	;; [unrolled: 4-line block ×3, first 2 shown]
	v_pk_add_f32 v[66:67], v[10:11], v[4:5]
	v_min_f32_e32 v5, v69, v126
	v_min_f32_e32 v4, v68, v127
	v_pk_add_f32 v[10:11], v[22:23], 0 op_sel_hi:[1,0]
	ds_write2st64_b32 v206, v2, v3 offset0:8 offset1:12
	ds_write_b32 v9, v1 offset:5120
	v_pk_add_f32 v[50:51], v[4:5], v[10:11]
	v_pk_add_f32 v[4:5], v[24:25], 0 op_sel_hi:[1,0]
	v_min_f32_e32 v10, v72, v107
	v_min_f32_e32 v11, v73, v106
	v_pk_add_f32 v[114:115], v[10:11], v[4:5]
	v_pk_add_f32 v[4:5], v[26:27], 0 op_sel_hi:[1,0]
	v_min_f32_e32 v10, v72, v123
	v_min_f32_e32 v11, v73, v122
	;; [unrolled: 4-line block ×3, first 2 shown]
	v_pk_add_f32 v[68:69], v[10:11], v[4:5]
	v_min_f32_e32 v5, v73, v126
	v_min_f32_e32 v4, v72, v127
	v_pk_add_f32 v[10:11], v[30:31], 0 op_sel_hi:[1,0]
	s_waitcnt lgkmcnt(0)
	v_pk_add_f32 v[52:53], v[4:5], v[10:11]
	v_pk_add_f32 v[4:5], v[32:33], 0 op_sel_hi:[1,0]
	v_min_f32_e32 v10, v76, v107
	v_min_f32_e32 v11, v77, v106
	v_pk_add_f32 v[112:113], v[10:11], v[4:5]
	v_pk_add_f32 v[4:5], v[34:35], 0 op_sel_hi:[1,0]
	v_min_f32_e32 v10, v76, v123
	v_min_f32_e32 v11, v77, v122
	;; [unrolled: 4-line block ×3, first 2 shown]
	v_pk_add_f32 v[72:73], v[10:11], v[4:5]
	v_min_f32_e32 v5, v77, v126
	v_min_f32_e32 v4, v76, v127
	v_pk_add_f32 v[10:11], v[38:39], 0 op_sel_hi:[1,0]
	s_barrier
	v_pk_add_f32 v[54:55], v[4:5], v[10:11]
	v_pk_add_f32 v[4:5], v[40:41], 0 op_sel_hi:[1,0]
	v_min_f32_e32 v10, v78, v107
	v_min_f32_e32 v11, v79, v106
	v_pk_add_f32 v[110:111], v[10:11], v[4:5]
	v_pk_add_f32 v[4:5], v[42:43], 0 op_sel_hi:[1,0]
	v_min_f32_e32 v10, v78, v123
	v_min_f32_e32 v11, v79, v122
	;; [unrolled: 4-line block ×3, first 2 shown]
	v_pk_add_f32 v[76:77], v[10:11], v[4:5]
	v_min_f32_e32 v5, v79, v126
	v_min_f32_e32 v4, v78, v127
	v_pk_add_f32 v[10:11], v[46:47], 0 op_sel_hi:[1,0]
	s_nop 0
	v_pk_add_f32 v[58:59], v[4:5], v[10:11]
	v_pk_add_f32 v[4:5], v[48:49], 0 op_sel_hi:[1,0]
	v_min_f32_e32 v10, v128, v107
	v_min_f32_e32 v11, v129, v106
	v_pk_add_f32 v[108:109], v[10:11], v[4:5]
	v_pk_add_f32 v[4:5], v[62:63], 0 op_sel_hi:[1,0]
	v_min_f32_e32 v10, v128, v123
	v_min_f32_e32 v11, v129, v122
	;; [unrolled: 4-line block ×3, first 2 shown]
	v_pk_add_f32 v[78:79], v[10:11], v[4:5]
	v_min_f32_e32 v5, v129, v126
	v_min_f32_e32 v4, v128, v127
	v_pk_add_f32 v[10:11], v[80:81], 0 op_sel_hi:[1,0]
	s_nop 0
	v_pk_add_f32 v[62:63], v[4:5], v[10:11]
	v_min_f32_e32 v4, v130, v107
	v_min_f32_e32 v5, v131, v106
	v_pk_add_f32 v[10:11], v[96:97], 0 op_sel_hi:[1,0]
	s_nop 0
	;; [unrolled: 5-line block ×6, first 2 shown]
	v_pk_add_f32 v[48:49], v[4:5], v[10:11]
	s_cbranch_scc1 .LBB98_33
; %bb.20:
	v_mov_b32_e32 v1, 0x1400
	v_lshl_add_u32 v211, v202, 4, v1
	v_mov_b32_e32 v1, 0x800
	v_lshl_add_u32 v212, v203, 4, v1
	v_add_u32_e32 v1, 12, v7
	v_mad_i64_i32 v[2:3], s[26:27], v1, s20, 0
	v_lshlrev_b64 v[98:99], 2, v[2:3]
	v_add_u32_e32 v2, s22, v8
	v_ashrrev_i32_e32 v3, 31, v2
	v_lshl_add_u64 v[100:101], v[2:3], 2, s[16:17]
	v_mad_i64_i32 v[2:3], s[24:25], s24, v6, 0
	v_mov_b32_e32 v1, 0
	v_lshl_add_u64 v[0:1], v[2:3], 2, v[0:1]
	v_lshl_add_u64 v[0:1], v[0:1], 0, s[18:19]
	;; [unrolled: 1-line block ×3, first 2 shown]
	v_add_u32_e32 v0, 8, v7
	v_mad_i64_i32 v[0:1], s[18:19], v0, s20, 0
	v_add_u32_e32 v207, 0x1000, v9
	v_add_u32_e32 v208, 0x1000, v204
	;; [unrolled: 1-line block ×3, first 2 shown]
	v_or_b32_e32 v210, 0x800, v206
	s_add_i32 s23, s14, -8
	s_mov_b32 s14, s15
	s_lshl_b64 s[16:17], s[20:21], 5
	v_lshlrev_b64 v[104:105], 2, v[0:1]
	s_mov_b32 s18, 0
	s_branch .LBB98_23
.LBB98_21:                              ;   in Loop: Header=BB98_23 Depth=1
	v_lshl_add_u64 v[16:17], v[100:101], 0, v[98:99]
	flat_load_dword v214, v[16:17]
	flat_load_dword v215, v[16:17] offset:256
	s_waitcnt vmcnt(0) lgkmcnt(0)
	v_pk_mul_f32 v[16:17], v[214:215], s[14:15]
.LBB98_22:                              ;   in Loop: Header=BB98_23 Depth=1
	v_pk_add_f32 v[40:41], v[40:41], v[88:89]
	v_pk_add_f32 v[32:33], v[32:33], v[60:61]
	;; [unrolled: 1-line block ×32, first 2 shown]
	ds_read_b128 v[0:3], v205
	ds_read_b128 v[8:11], v205 offset:512
	v_pk_add_f32 v[22:23], v[6:7], v[80:81]
	ds_read_b128 v[4:7], v208 offset:896
	ds_read_b128 v[12:15], v208 offset:768
	;; [unrolled: 1-line block ×4, first 2 shown]
	v_pk_add_f32 v[88:89], v[128:129], v[68:69]
	v_pk_add_f32 v[90:91], v[136:137], v[90:91]
	;; [unrolled: 1-line block ×6, first 2 shown]
	ds_read_b128 v[88:91], v208
	v_pk_add_f32 v[36:37], v[36:37], v[74:75]
	v_pk_add_f32 v[112:113], v[138:139], v[112:113]
	;; [unrolled: 1-line block ×9, first 2 shown]
	s_waitcnt lgkmcnt(4)
	v_max_f32_e32 v113, v5, v5
	v_max_f32_e32 v115, v4, v4
	;; [unrolled: 1-line block ×4, first 2 shown]
	s_waitcnt lgkmcnt(1)
	v_max_f32_e32 v118, v85, v85
	v_max_f32_e32 v119, v84, v84
	v_min_f32_e32 v5, v113, v116
	v_min_f32_e32 v4, v115, v117
	;; [unrolled: 1-line block ×4, first 2 shown]
	v_max_f32_e32 v112, v1, v1
	v_max_f32_e32 v114, v0, v0
	v_pk_add_f32 v[4:5], v[4:5], v[78:79]
	v_pk_add_f32 v[8:9], v[8:9], v[76:77]
	ds_read_b128 v[76:79], v208 offset:128
	s_waitcnt lgkmcnt(1)
	v_max_f32_e32 v88, v88, v88
	v_max_f32_e32 v89, v89, v89
	v_min_f32_e32 v84, v88, v114
	v_min_f32_e32 v85, v89, v112
	v_pk_add_f32 v[92:93], v[142:143], v[92:93]
	v_pk_add_f32 v[84:85], v[84:85], v[70:71]
	v_min_f32_e32 v70, v88, v117
	v_min_f32_e32 v71, v89, v116
	v_pk_add_f32 v[94:95], v[148:149], v[94:95]
	v_pk_add_f32 v[40:41], v[182:183], v[92:93]
	;; [unrolled: 1-line block ×3, first 2 shown]
	v_min_f32_e32 v70, v88, v119
	v_min_f32_e32 v71, v89, v118
	v_pk_add_f32 v[32:33], v[192:193], v[94:95]
	v_pk_add_f32 v[94:95], v[70:71], v[74:75]
	v_max_f32_e32 v74, v81, v81
	v_max_f32_e32 v75, v80, v80
	v_pk_add_f32 v[68:69], v[26:27], v[24:25]
	v_min_f32_e32 v71, v89, v74
	v_min_f32_e32 v70, v88, v75
	s_waitcnt lgkmcnt(0)
	v_max_f32_e32 v72, v76, v76
	v_max_f32_e32 v73, v77, v77
	v_pk_add_f32 v[68:69], v[70:71], v[68:69]
	v_min_f32_e32 v70, v72, v114
	v_min_f32_e32 v71, v73, v112
	v_pk_add_f32 v[76:77], v[70:71], v[62:63]
	v_min_f32_e32 v62, v72, v117
	v_min_f32_e32 v63, v73, v116
	;; [unrolled: 3-line block ×3, first 2 shown]
	v_pk_add_f32 v[66:67], v[62:63], v[66:67]
	ds_read_b128 v[62:65], v208 offset:256
	v_pk_add_f32 v[96:97], v[154:155], v[96:97]
	v_min_f32_e32 v71, v73, v74
	v_min_f32_e32 v70, v72, v75
	v_pk_add_f32 v[24:25], v[198:199], v[96:97]
	v_pk_add_f32 v[96:97], v[70:71], v[60:61]
	ds_read_b128 v[70:73], v208 offset:384
	s_waitcnt lgkmcnt(1)
	v_max_f32_e32 v62, v62, v62
	v_max_f32_e32 v63, v63, v63
	v_min_f32_e32 v60, v62, v114
	v_min_f32_e32 v61, v63, v112
	v_pk_add_f32 v[106:107], v[156:157], v[106:107]
	v_pk_add_f32 v[54:55], v[60:61], v[54:55]
	v_min_f32_e32 v60, v62, v117
	v_min_f32_e32 v61, v63, v116
	v_pk_add_f32 v[52:53], v[134:135], v[52:53]
	v_pk_add_f32 v[26:27], v[200:201], v[106:107]
	;; [unrolled: 1-line block ×3, first 2 shown]
	v_min_f32_e32 v56, v62, v119
	v_min_f32_e32 v57, v63, v118
	v_pk_add_f32 v[52:53], v[174:175], v[52:53]
	v_pk_add_f32 v[58:59], v[56:57], v[58:59]
	v_min_f32_e32 v57, v63, v74
	v_min_f32_e32 v56, v62, v75
	s_waitcnt lgkmcnt(0)
	v_max_f32_e32 v60, v70, v70
	v_max_f32_e32 v61, v71, v71
	v_pk_add_f32 v[108:109], v[150:151], v[108:109]
	v_pk_add_f32 v[52:53], v[56:57], v[52:53]
	v_min_f32_e32 v56, v60, v114
	v_min_f32_e32 v57, v61, v112
	v_pk_add_f32 v[110:111], v[144:145], v[110:111]
	v_pk_add_f32 v[30:31], v[194:195], v[108:109]
	;; [unrolled: 1-line block ×3, first 2 shown]
	v_min_f32_e32 v46, v60, v117
	v_min_f32_e32 v47, v61, v116
	v_pk_add_f32 v[38:39], v[184:185], v[110:111]
	v_pk_add_f32 v[110:111], v[46:47], v[48:49]
	v_min_f32_e32 v46, v60, v119
	v_min_f32_e32 v47, v61, v118
	v_pk_add_f32 v[18:19], v[190:191], v[120:121]
	v_pk_add_f32 v[120:121], v[46:47], v[50:51]
	ds_read_b128 v[46:49], v208 offset:512
	v_min_f32_e32 v51, v61, v74
	v_min_f32_e32 v50, v60, v75
	ds_read_b128 v[60:63], v208 offset:640
	v_pk_add_f32 v[44:45], v[50:51], v[44:45]
	s_waitcnt lgkmcnt(1)
	v_max_f32_e32 v50, v46, v46
	v_max_f32_e32 v51, v47, v47
	v_min_f32_e32 v46, v50, v114
	v_min_f32_e32 v47, v51, v112
	v_pk_add_f32 v[38:39], v[46:47], v[38:39]
	v_min_f32_e32 v46, v50, v117
	v_min_f32_e32 v47, v51, v116
	v_pk_add_f32 v[40:41], v[46:47], v[40:41]
	;; [unrolled: 3-line block ×3, first 2 shown]
	v_min_f32_e32 v47, v51, v74
	v_min_f32_e32 v46, v50, v75
	s_waitcnt lgkmcnt(0)
	v_max_f32_e32 v50, v60, v60
	v_max_f32_e32 v51, v61, v61
	v_pk_add_f32 v[36:37], v[46:47], v[36:37]
	v_min_f32_e32 v46, v50, v114
	v_min_f32_e32 v47, v51, v112
	v_pk_add_f32 v[30:31], v[46:47], v[30:31]
	v_min_f32_e32 v46, v50, v117
	v_min_f32_e32 v47, v51, v116
	;; [unrolled: 3-line block ×4, first 2 shown]
	v_pk_add_f32 v[28:29], v[46:47], v[28:29]
	v_max_f32_e32 v46, v12, v12
	v_max_f32_e32 v47, v13, v13
	v_min_f32_e32 v12, v46, v114
	v_min_f32_e32 v13, v47, v112
	v_pk_add_f32 v[12:13], v[12:13], v[26:27]
	v_min_f32_e32 v26, v46, v117
	v_min_f32_e32 v27, v47, v116
	v_pk_add_f32 v[24:25], v[26:27], v[24:25]
	;; [unrolled: 3-line block ×4, first 2 shown]
	v_min_f32_e32 v27, v113, v74
	v_min_f32_e32 v26, v115, v75
	;; [unrolled: 1-line block ×4, first 2 shown]
	v_pk_add_f32 v[18:19], v[26:27], v[18:19]
	v_max_f32_e32 v26, v3, v3
	v_max_f32_e32 v7, v7, v7
	;; [unrolled: 1-line block ×4, first 2 shown]
	v_pk_add_f32 v[0:1], v[0:1], v[122:123]
	v_min_f32_e32 v3, v7, v26
	v_min_f32_e32 v2, v6, v27
	v_pk_add_f32 v[88:89], v[2:3], v[0:1]
	v_max_f32_e32 v2, v11, v11
	v_max_f32_e32 v3, v10, v10
	v_min_f32_e32 v1, v7, v2
	v_min_f32_e32 v0, v6, v3
	v_pk_add_f32 v[74:75], v[0:1], v[4:5]
	v_max_f32_e32 v4, v87, v87
	v_max_f32_e32 v5, v86, v86
	;; [unrolled: 5-line block ×3, first 2 shown]
	v_min_f32_e32 v0, v8, v27
	v_min_f32_e32 v1, v9, v26
	v_pk_add_f32 v[118:119], v[0:1], v[84:85]
	v_min_f32_e32 v0, v8, v3
	v_min_f32_e32 v1, v9, v2
	v_pk_add_f32 v[86:87], v[0:1], v[92:93]
	v_min_f32_e32 v0, v8, v5
	v_min_f32_e32 v1, v9, v4
	v_max_f32_e32 v10, v83, v83
	v_pk_add_f32 v[70:71], v[0:1], v[94:95]
	v_min_f32_e32 v1, v9, v10
	v_max_f32_e32 v9, v82, v82
	v_min_f32_e32 v0, v8, v9
	v_max_f32_e32 v8, v78, v78
	v_max_f32_e32 v11, v79, v79
	v_pk_add_f32 v[56:57], v[0:1], v[68:69]
	v_min_f32_e32 v0, v8, v27
	v_min_f32_e32 v1, v11, v26
	v_pk_add_f32 v[116:117], v[0:1], v[76:77]
	v_min_f32_e32 v0, v8, v3
	v_min_f32_e32 v1, v11, v2
	v_pk_add_f32 v[82:83], v[0:1], v[80:81]
	v_min_f32_e32 v0, v8, v5
	v_min_f32_e32 v1, v11, v4
	v_pk_add_f32 v[66:67], v[0:1], v[66:67]
	v_min_f32_e32 v1, v11, v10
	v_min_f32_e32 v0, v8, v9
	v_max_f32_e32 v8, v64, v64
	v_max_f32_e32 v11, v65, v65
	v_pk_add_f32 v[50:51], v[0:1], v[96:97]
	v_min_f32_e32 v0, v8, v27
	v_min_f32_e32 v1, v11, v26
	v_pk_add_f32 v[114:115], v[0:1], v[54:55]
	v_min_f32_e32 v0, v8, v3
	v_min_f32_e32 v1, v11, v2
	v_pk_add_f32 v[84:85], v[0:1], v[106:107]
	v_min_f32_e32 v0, v8, v5
	v_min_f32_e32 v1, v11, v4
	v_pk_add_f32 v[68:69], v[0:1], v[58:59]
	v_min_f32_e32 v1, v11, v10
	;; [unrolled: 14-line block ×6, first 2 shown]
	v_min_f32_e32 v0, v8, v9
	v_pk_add_f32 v[64:65], v[0:1], v[22:23]
	v_min_f32_e32 v1, v7, v10
	v_min_f32_e32 v0, v6, v9
	s_add_i32 s18, s18, 8
	v_pk_add_f32 v[48:49], v[0:1], v[18:19]
	v_lshl_add_u64 v[100:101], v[100:101], 0, s[16:17]
	s_cmp_ge_i32 s18, s23
	v_lshl_add_u64 v[102:103], v[102:103], 0, 32
	ds_write_b32 v209, v213
	ds_write2st64_b32 v210, v16, v17 offset1:4
	s_waitcnt lgkmcnt(0)
	s_barrier
	s_cbranch_scc1 .LBB98_33
.LBB98_23:                              ; =>This Inner Loop Header: Depth=1
	s_and_b64 vcc, exec, s[4:5]
	v_mov_b32_e32 v122, 0
	s_cbranch_vccnz .LBB98_25
; %bb.24:                               ;   in Loop: Header=BB98_23 Depth=1
	flat_load_dword v0, v[102:103]
	s_waitcnt vmcnt(0) lgkmcnt(0)
	v_mul_f32_e32 v122, s15, v0
.LBB98_25:                              ;   in Loop: Header=BB98_23 Depth=1
	s_and_b64 vcc, exec, s[4:5]
	s_cbranch_vccnz .LBB98_27
; %bb.26:                               ;   in Loop: Header=BB98_23 Depth=1
	v_lshl_add_u64 v[0:1], v[100:101], 0, v[104:105]
	flat_load_dword v2, v[0:1]
	flat_load_dword v3, v[0:1] offset:256
	s_waitcnt vmcnt(0) lgkmcnt(0)
	v_pk_mul_f32 v[120:121], v[2:3], s[14:15]
	s_branch .LBB98_28
.LBB98_27:                              ;   in Loop: Header=BB98_23 Depth=1
	v_mov_b32_e32 v120, 0
	v_mov_b32_e32 v121, 0
.LBB98_28:                              ;   in Loop: Header=BB98_23 Depth=1
	ds_read_b128 v[40:43], v212
	ds_read_b128 v[36:39], v212 offset:512
	ds_read_b128 v[24:27], v212 offset:1536
	;; [unrolled: 1-line block ×3, first 2 shown]
	ds_read_b128 v[28:31], v211
	ds_read_b128 v[20:23], v211 offset:128
	ds_read_b128 v[16:19], v211 offset:256
	;; [unrolled: 1-line block ×7, first 2 shown]
	s_and_b64 vcc, exec, s[4:5]
	ds_write_b32 v207, v122
	ds_write2st64_b32 v206, v120, v121 offset1:4
	s_waitcnt lgkmcnt(0)
	s_barrier
	s_cbranch_vccnz .LBB98_30
; %bb.29:                               ;   in Loop: Header=BB98_23 Depth=1
	flat_load_dword v120, v[102:103] offset:16
	s_waitcnt vmcnt(0) lgkmcnt(0)
	v_mul_f32_e32 v213, s15, v120
	s_branch .LBB98_31
.LBB98_30:                              ;   in Loop: Header=BB98_23 Depth=1
	v_mov_b32_e32 v213, 0
.LBB98_31:                              ;   in Loop: Header=BB98_23 Depth=1
	v_max_f32_e32 v154, v41, v41
	v_max_f32_e32 v155, v40, v40
	;; [unrolled: 1-line block ×10, first 2 shown]
	v_min_f32_e32 v132, v16, v155
	v_min_f32_e32 v133, v17, v154
	v_min_f32_e32 v130, v16, v159
	v_min_f32_e32 v131, v17, v158
	v_min_f32_e32 v128, v16, v163
	v_min_f32_e32 v129, v17, v161
	v_min_f32_e32 v135, v17, v164
	v_min_f32_e32 v134, v16, v165
	v_max_f32_e32 v16, v12, v12
	v_max_f32_e32 v17, v13, v13
	v_min_f32_e32 v138, v16, v155
	v_min_f32_e32 v139, v17, v154
	v_min_f32_e32 v136, v16, v159
	v_min_f32_e32 v137, v17, v158
	v_min_f32_e32 v12, v16, v163
	v_min_f32_e32 v13, v17, v161
	v_min_f32_e32 v141, v17, v164
	v_min_f32_e32 v140, v16, v165
	v_max_f32_e32 v16, v8, v8
	v_max_f32_e32 v17, v9, v9
	;; [unrolled: 10-line block ×3, first 2 shown]
	v_max_f32_e32 v160, v45, v45
	v_max_f32_e32 v162, v44, v44
	;; [unrolled: 1-line block ×6, first 2 shown]
	v_min_f32_e32 v150, v16, v155
	v_min_f32_e32 v151, v17, v154
	v_min_f32_e32 v148, v16, v159
	v_min_f32_e32 v149, v17, v158
	v_min_f32_e32 v4, v16, v163
	v_min_f32_e32 v5, v17, v161
	v_min_f32_e32 v153, v17, v164
	v_min_f32_e32 v152, v16, v165
	v_max_f32_e32 v16, v0, v0
	v_max_f32_e32 v17, v1, v1
	v_min_f32_e32 v41, v160, v154
	v_min_f32_e32 v40, v162, v155
	;; [unrolled: 1-line block ×17, first 2 shown]
	v_max_f32_e32 v16, v43, v43
	v_max_f32_e32 v190, v42, v42
	;; [unrolled: 1-line block ×10, first 2 shown]
	v_min_f32_e32 v36, v162, v159
	v_min_f32_e32 v33, v160, v161
	;; [unrolled: 1-line block ×14, first 2 shown]
	v_max_f32_e32 v17, v47, v47
	v_max_f32_e32 v214, v46, v46
	;; [unrolled: 1-line block ×12, first 2 shown]
	v_min_f32_e32 v194, v6, v190
	v_min_f32_e32 v195, v7, v16
	;; [unrolled: 1-line block ×8, first 2 shown]
	v_max_f32_e32 v6, v2, v2
	v_max_f32_e32 v7, v3, v3
	v_min_f32_e32 v32, v162, v163
	v_min_f32_e32 v43, v17, v16
	;; [unrolled: 1-line block ×56, first 2 shown]
	s_and_b64 vcc, exec, s[4:5]
	v_min_f32_e32 v190, v214, v218
	s_cbranch_vccz .LBB98_21
; %bb.32:                               ;   in Loop: Header=BB98_23 Depth=1
	v_mov_b32_e32 v16, 0
	v_mov_b32_e32 v17, 0
	s_branch .LBB98_22
.LBB98_33:
	s_load_dword s14, s[0:1], 0x50
	ds_read_b128 v[40:43], v205 offset:2048
	ds_read_b128 v[44:47], v204 offset:5120
	v_add_u32_e32 v102, s22, v203
	v_cmp_neq_f32_e64 s[4:5], s12, 0
	v_add_u32_e32 v98, s2, v202
	s_waitcnt lgkmcnt(0)
	v_mad_i64_i32 v[0:1], s[16:17], v102, s14, 0
	v_ashrrev_i32_e32 v99, 31, v98
	v_lshl_add_u64 v[100:101], v[0:1], 2, s[8:9]
	s_and_b64 vcc, exec, s[4:5]
	v_mov_b32_e32 v105, 0
	v_mov_b32_e32 v104, 0
	s_cbranch_vccz .LBB98_35
; %bb.34:
	v_lshl_add_u64 v[0:1], v[98:99], 2, v[100:101]
	flat_load_dword v0, v[0:1]
	s_waitcnt vmcnt(0) lgkmcnt(0)
	v_mul_f32_e32 v104, s12, v0
.LBB98_35:
	ds_read_b128 v[12:15], v204 offset:6016
	ds_read_b128 v[0:3], v205 offset:3584
	;; [unrolled: 1-line block ×6, first 2 shown]
	s_load_dword s15, s[0:1], 0x68
	s_load_dwordx2 s[16:17], s[0:1], 0x70
	v_max_f32_e32 v120, v40, v40
	v_max_f32_e32 v44, v44, v44
	;; [unrolled: 1-line block ×4, first 2 shown]
	s_waitcnt lgkmcnt(0)
	s_mul_i32 s0, s3, s17
	s_mul_hi_u32 s1, s3, s16
	ds_read_b128 v[28:31], v204 offset:5504
	ds_read_b128 v[24:27], v204 offset:5632
	;; [unrolled: 1-line block ×4, first 2 shown]
	s_add_i32 s0, s1, s0
	s_mul_i32 s1, s13, s16
	v_min_f32_e32 v40, v44, v120
	v_min_f32_e32 v41, v103, v121
	s_add_i32 s1, s0, s1
	s_mul_i32 s0, s3, s16
	v_pk_add_f32 v[40:41], v[40:41], v[118:119]
	v_max_f32_e32 v118, v42, v42
	v_max_f32_e32 v45, v46, v46
	v_max_f32_e32 v119, v43, v43
	v_max_f32_e32 v46, v47, v47
	s_lshl_b64 s[0:1], s[0:1], 2
	v_min_f32_e32 v42, v45, v118
	v_min_f32_e32 v43, v46, v119
	s_add_u32 s2, s10, s0
	v_pk_add_f32 v[122:123], v[42:43], v[40:41]
	s_addc_u32 s3, s11, s1
	v_mad_i64_i32 v[42:43], s[0:1], v102, s15, 0
	v_add_f32_e32 v47, v122, v123
	v_add_u32_e32 v40, 8, v98
	v_lshl_add_u64 v[42:43], v[42:43], 2, s[2:3]
	v_add_f32_e32 v47, v47, v104
	v_cndmask_b32_e64 v104, 0, 1, s[4:5]
	v_ashrrev_i32_e32 v41, 31, v40
	v_lshl_add_u64 v[122:123], v[98:99], 2, v[42:43]
	v_cmp_ne_u32_e64 s[0:1], 1, v104
	s_andn2_b64 vcc, exec, s[4:5]
	global_store_dword v[122:123], v47, off
	s_cbranch_vccnz .LBB98_37
; %bb.36:
	v_lshl_add_u64 v[104:105], v[40:41], 2, v[100:101]
	flat_load_dword v47, v[104:105]
	s_waitcnt vmcnt(0) lgkmcnt(0)
	v_mul_f32_e32 v105, s12, v47
.LBB98_37:
	v_max_f32_e32 v47, v36, v36
	v_max_f32_e32 v104, v37, v37
	v_min_f32_e32 v36, v47, v120
	v_min_f32_e32 v37, v104, v121
	v_max_f32_e32 v38, v38, v38
	v_max_f32_e32 v39, v39, v39
	v_pk_add_f32 v[36:37], v[36:37], v[116:117]
	v_min_f32_e32 v116, v38, v118
	v_min_f32_e32 v117, v39, v119
	v_pk_add_f32 v[36:37], v[116:117], v[36:37]
	s_and_b64 vcc, exec, s[0:1]
	v_add_f32_e32 v116, v36, v37
	v_add_u32_e32 v36, 16, v98
	v_add_f32_e32 v105, v116, v105
	v_lshl_add_u64 v[116:117], v[40:41], 2, v[42:43]
	v_ashrrev_i32_e32 v37, 31, v36
	global_store_dword v[116:117], v105, off
	v_mov_b32_e32 v117, 0
	v_mov_b32_e32 v122, 0
	s_cbranch_vccnz .LBB98_39
; %bb.38:
	v_lshl_add_u64 v[122:123], v[36:37], 2, v[100:101]
	flat_load_dword v105, v[122:123]
	s_waitcnt vmcnt(0) lgkmcnt(0)
	v_mul_f32_e32 v122, s12, v105
.LBB98_39:
	v_max_f32_e32 v105, v32, v32
	v_max_f32_e32 v116, v33, v33
	v_min_f32_e32 v32, v105, v120
	v_min_f32_e32 v33, v116, v121
	v_max_f32_e32 v34, v34, v34
	v_max_f32_e32 v35, v35, v35
	v_pk_add_f32 v[32:33], v[32:33], v[114:115]
	v_min_f32_e32 v114, v34, v118
	v_min_f32_e32 v115, v35, v119
	v_pk_add_f32 v[32:33], v[114:115], v[32:33]
	s_and_b64 vcc, exec, s[0:1]
	v_add_f32_e32 v114, v32, v33
	v_add_u32_e32 v32, 24, v98
	v_ashrrev_i32_e32 v33, 31, v32
	v_add_f32_e32 v122, v114, v122
	v_lshl_add_u64 v[114:115], v[36:37], 2, v[42:43]
	global_store_dword v[114:115], v122, off
	s_cbranch_vccnz .LBB98_41
; %bb.40:
	v_lshl_add_u64 v[114:115], v[32:33], 2, v[100:101]
	flat_load_dword v114, v[114:115]
	s_waitcnt vmcnt(0) lgkmcnt(0)
	v_mul_f32_e32 v117, s12, v114
.LBB98_41:
	s_waitcnt lgkmcnt(3)
	v_max_f32_e32 v114, v28, v28
	v_max_f32_e32 v115, v29, v29
	v_min_f32_e32 v28, v114, v120
	v_min_f32_e32 v29, v115, v121
	v_max_f32_e32 v30, v30, v30
	v_max_f32_e32 v31, v31, v31
	v_pk_add_f32 v[28:29], v[28:29], v[112:113]
	v_min_f32_e32 v112, v30, v118
	v_min_f32_e32 v113, v31, v119
	v_pk_add_f32 v[28:29], v[112:113], v[28:29]
	s_and_b64 vcc, exec, s[0:1]
	v_add_f32_e32 v112, v28, v29
	v_add_u32_e32 v28, 32, v98
	v_add_f32_e32 v117, v112, v117
	v_lshl_add_u64 v[112:113], v[32:33], 2, v[42:43]
	v_ashrrev_i32_e32 v29, 31, v28
	global_store_dword v[112:113], v117, off
	v_mov_b32_e32 v117, 0
	v_mov_b32_e32 v122, 0
	s_cbranch_vccnz .LBB98_43
; %bb.42:
	v_lshl_add_u64 v[112:113], v[28:29], 2, v[100:101]
	flat_load_dword v112, v[112:113]
	s_waitcnt vmcnt(0) lgkmcnt(0)
	v_mul_f32_e32 v122, s12, v112
.LBB98_43:
	s_waitcnt lgkmcnt(2)
	v_max_f32_e32 v112, v24, v24
	v_max_f32_e32 v113, v25, v25
	v_min_f32_e32 v24, v112, v120
	v_min_f32_e32 v25, v113, v121
	v_max_f32_e32 v26, v26, v26
	v_max_f32_e32 v27, v27, v27
	v_pk_add_f32 v[24:25], v[24:25], v[110:111]
	v_min_f32_e32 v110, v26, v118
	v_min_f32_e32 v111, v27, v119
	v_pk_add_f32 v[24:25], v[110:111], v[24:25]
	s_and_b64 vcc, exec, s[0:1]
	v_add_f32_e32 v110, v24, v25
	v_add_u32_e32 v24, 40, v98
	v_ashrrev_i32_e32 v25, 31, v24
	v_add_f32_e32 v122, v110, v122
	v_lshl_add_u64 v[110:111], v[28:29], 2, v[42:43]
	global_store_dword v[110:111], v122, off
	s_cbranch_vccnz .LBB98_45
; %bb.44:
	v_lshl_add_u64 v[110:111], v[24:25], 2, v[100:101]
	flat_load_dword v110, v[110:111]
	s_waitcnt vmcnt(0) lgkmcnt(0)
	v_mul_f32_e32 v117, s12, v110
.LBB98_45:
	s_waitcnt lgkmcnt(1)
	v_max_f32_e32 v110, v20, v20
	v_max_f32_e32 v111, v21, v21
	v_min_f32_e32 v20, v110, v120
	v_min_f32_e32 v21, v111, v121
	v_max_f32_e32 v22, v22, v22
	v_max_f32_e32 v23, v23, v23
	v_pk_add_f32 v[20:21], v[20:21], v[108:109]
	v_min_f32_e32 v108, v22, v118
	v_min_f32_e32 v109, v23, v119
	v_pk_add_f32 v[20:21], v[108:109], v[20:21]
	s_and_b64 vcc, exec, s[0:1]
	v_add_f32_e32 v108, v20, v21
	v_add_u32_e32 v20, 48, v98
	v_add_f32_e32 v117, v108, v117
	v_lshl_add_u64 v[108:109], v[24:25], 2, v[42:43]
	v_ashrrev_i32_e32 v21, 31, v20
	global_store_dword v[108:109], v117, off
	v_mov_b32_e32 v117, 0
	v_mov_b32_e32 v122, 0
	s_cbranch_vccnz .LBB98_47
; %bb.46:
	v_lshl_add_u64 v[108:109], v[20:21], 2, v[100:101]
	flat_load_dword v108, v[108:109]
	s_waitcnt vmcnt(0) lgkmcnt(0)
	v_mul_f32_e32 v122, s12, v108
.LBB98_47:
	s_waitcnt lgkmcnt(0)
	v_max_f32_e32 v108, v16, v16
	v_max_f32_e32 v109, v17, v17
	v_min_f32_e32 v16, v108, v120
	v_min_f32_e32 v17, v109, v121
	v_pk_add_f32 v[16:17], v[16:17], v[106:107]
	v_max_f32_e32 v106, v18, v18
	v_max_f32_e32 v107, v19, v19
	v_min_f32_e32 v18, v106, v118
	v_min_f32_e32 v19, v107, v119
	v_pk_add_f32 v[16:17], v[18:19], v[16:17]
	s_and_b64 vcc, exec, s[0:1]
	v_add_f32_e32 v18, v16, v17
	v_add_u32_e32 v16, 56, v98
	v_ashrrev_i32_e32 v17, 31, v16
	v_add_f32_e32 v122, v18, v122
	v_lshl_add_u64 v[18:19], v[20:21], 2, v[42:43]
	global_store_dword v[18:19], v122, off
	s_cbranch_vccnz .LBB98_49
; %bb.48:
	v_lshl_add_u64 v[18:19], v[16:17], 2, v[100:101]
	flat_load_dword v18, v[18:19]
	s_waitcnt vmcnt(0) lgkmcnt(0)
	v_mul_f32_e32 v117, s12, v18
.LBB98_49:
	v_max_f32_e32 v18, v13, v13
	v_max_f32_e32 v19, v12, v12
	v_min_f32_e32 v13, v18, v121
	v_min_f32_e32 v12, v19, v120
	v_max_f32_e32 v15, v15, v15
	v_max_f32_e32 v14, v14, v14
	v_pk_add_f32 v[12:13], v[12:13], v[88:89]
	v_min_f32_e32 v89, v15, v119
	v_min_f32_e32 v88, v14, v118
	v_pk_add_f32 v[12:13], v[88:89], v[12:13]
	v_add_u32_e32 v89, 32, v102
	v_add_f32_e32 v12, v12, v13
	v_add_f32_e32 v88, v12, v117
	v_lshl_add_u64 v[12:13], v[16:17], 2, v[42:43]
	global_store_dword v[12:13], v88, off
	v_mad_i64_i32 v[12:13], s[4:5], v89, s14, 0
	v_lshl_add_u64 v[12:13], v[12:13], 2, s[8:9]
	s_and_b64 vcc, exec, s[0:1]
	v_mov_b32_e32 v88, 0
	v_mov_b32_e32 v100, 0
	s_cbranch_vccnz .LBB98_51
; %bb.50:
	v_lshl_add_u64 v[42:43], v[98:99], 2, v[12:13]
	flat_load_dword v42, v[42:43]
	s_waitcnt vmcnt(0) lgkmcnt(0)
	v_mul_f32_e32 v100, s12, v42
.LBB98_51:
	v_max_f32_e32 v42, v8, v8
	v_max_f32_e32 v43, v9, v9
	v_min_f32_e32 v8, v44, v42
	v_min_f32_e32 v9, v103, v43
	v_max_f32_e32 v10, v10, v10
	v_max_f32_e32 v11, v11, v11
	v_pk_add_f32 v[8:9], v[8:9], v[86:87]
	v_min_f32_e32 v86, v45, v10
	v_min_f32_e32 v87, v46, v11
	v_pk_add_f32 v[86:87], v[86:87], v[8:9]
	v_mad_i64_i32 v[8:9], s[4:5], v89, s15, 0
	v_lshl_add_u64 v[8:9], v[8:9], 2, s[2:3]
	v_add_f32_e32 v86, v86, v87
	v_add_f32_e32 v89, v86, v100
	v_lshl_add_u64 v[86:87], v[98:99], 2, v[8:9]
	s_and_b64 vcc, exec, s[0:1]
	global_store_dword v[86:87], v89, off
	s_cbranch_vccnz .LBB98_53
; %bb.52:
	v_lshl_add_u64 v[86:87], v[40:41], 2, v[12:13]
	flat_load_dword v86, v[86:87]
	s_waitcnt vmcnt(0) lgkmcnt(0)
	v_mul_f32_e32 v88, s12, v86
.LBB98_53:
	v_min_f32_e32 v86, v47, v42
	v_min_f32_e32 v87, v104, v43
	v_pk_add_f32 v[82:83], v[86:87], v[82:83]
	v_min_f32_e32 v86, v38, v10
	v_min_f32_e32 v87, v39, v11
	v_pk_add_f32 v[82:83], v[86:87], v[82:83]
	s_and_b64 vcc, exec, s[0:1]
	v_add_f32_e32 v82, v82, v83
	v_add_f32_e32 v86, v82, v88
	v_lshl_add_u64 v[82:83], v[40:41], 2, v[8:9]
	global_store_dword v[82:83], v86, off
	v_mov_b32_e32 v82, 0
	v_mov_b32_e32 v83, 0
	s_cbranch_vccnz .LBB98_55
; %bb.54:
	v_lshl_add_u64 v[86:87], v[36:37], 2, v[12:13]
	flat_load_dword v83, v[86:87]
	s_waitcnt vmcnt(0) lgkmcnt(0)
	v_mul_f32_e32 v83, s12, v83
.LBB98_55:
	v_min_f32_e32 v86, v105, v42
	v_min_f32_e32 v87, v116, v43
	v_pk_add_f32 v[84:85], v[86:87], v[84:85]
	v_min_f32_e32 v86, v34, v10
	v_min_f32_e32 v87, v35, v11
	v_pk_add_f32 v[84:85], v[86:87], v[84:85]
	s_and_b64 vcc, exec, s[0:1]
	v_add_f32_e32 v84, v84, v85
	v_add_f32_e32 v83, v84, v83
	v_lshl_add_u64 v[84:85], v[36:37], 2, v[8:9]
	global_store_dword v[84:85], v83, off
	s_cbranch_vccnz .LBB98_57
; %bb.56:
	v_lshl_add_u64 v[82:83], v[32:33], 2, v[12:13]
	flat_load_dword v82, v[82:83]
	s_waitcnt vmcnt(0) lgkmcnt(0)
	v_mul_f32_e32 v82, s12, v82
.LBB98_57:
	v_min_f32_e32 v84, v114, v42
	v_min_f32_e32 v85, v115, v43
	v_pk_add_f32 v[84:85], v[84:85], v[90:91]
	v_min_f32_e32 v86, v30, v10
	v_min_f32_e32 v87, v31, v11
	v_pk_add_f32 v[84:85], v[86:87], v[84:85]
	s_and_b64 vcc, exec, s[0:1]
	v_add_f32_e32 v83, v84, v85
	v_add_f32_e32 v84, v83, v82
	v_lshl_add_u64 v[82:83], v[32:33], 2, v[8:9]
	global_store_dword v[82:83], v84, off
	v_mov_b32_e32 v82, 0
	v_mov_b32_e32 v83, 0
	s_cbranch_vccnz .LBB98_59
; %bb.58:
	v_lshl_add_u64 v[84:85], v[28:29], 2, v[12:13]
	flat_load_dword v83, v[84:85]
	s_waitcnt vmcnt(0) lgkmcnt(0)
	v_mul_f32_e32 v83, s12, v83
.LBB98_59:
	v_min_f32_e32 v84, v112, v42
	v_min_f32_e32 v85, v113, v43
	v_pk_add_f32 v[84:85], v[84:85], v[92:93]
	v_min_f32_e32 v86, v26, v10
	v_min_f32_e32 v87, v27, v11
	v_pk_add_f32 v[84:85], v[86:87], v[84:85]
	s_and_b64 vcc, exec, s[0:1]
	v_add_f32_e32 v84, v84, v85
	v_add_f32_e32 v83, v84, v83
	v_lshl_add_u64 v[84:85], v[28:29], 2, v[8:9]
	;; [unrolled: 38-line block ×3, first 2 shown]
	global_store_dword v[84:85], v83, off
	s_cbranch_vccnz .LBB98_65
; %bb.64:
	v_lshl_add_u64 v[12:13], v[16:17], 2, v[12:13]
	flat_load_dword v12, v[12:13]
	s_waitcnt vmcnt(0) lgkmcnt(0)
	v_mul_f32_e32 v82, s12, v12
.LBB98_65:
	v_min_f32_e32 v13, v18, v43
	v_min_f32_e32 v12, v19, v42
	v_pk_add_f32 v[12:13], v[12:13], v[74:75]
	v_min_f32_e32 v11, v15, v11
	v_min_f32_e32 v10, v14, v10
	v_pk_add_f32 v[10:11], v[10:11], v[12:13]
	v_lshl_add_u64 v[8:9], v[16:17], 2, v[8:9]
	v_add_f32_e32 v10, v10, v11
	v_add_f32_e32 v10, v10, v82
	v_add_u32_e32 v13, 64, v102
	global_store_dword v[8:9], v10, off
	v_mad_i64_i32 v[8:9], s[4:5], v13, s14, 0
	v_lshl_add_u64 v[8:9], v[8:9], 2, s[8:9]
	s_and_b64 vcc, exec, s[0:1]
	v_mov_b32_e32 v12, 0
	v_mov_b32_e32 v42, 0
	s_cbranch_vccnz .LBB98_67
; %bb.66:
	v_lshl_add_u64 v[10:11], v[98:99], 2, v[8:9]
	flat_load_dword v10, v[10:11]
	s_waitcnt vmcnt(0) lgkmcnt(0)
	v_mul_f32_e32 v42, s12, v10
.LBB98_67:
	v_max_f32_e32 v10, v4, v4
	v_max_f32_e32 v11, v5, v5
	v_min_f32_e32 v4, v44, v10
	v_min_f32_e32 v5, v103, v11
	v_max_f32_e32 v6, v6, v6
	v_max_f32_e32 v7, v7, v7
	v_pk_add_f32 v[4:5], v[4:5], v[70:71]
	v_min_f32_e32 v70, v45, v6
	v_min_f32_e32 v71, v46, v7
	v_pk_add_f32 v[70:71], v[70:71], v[4:5]
	v_mad_i64_i32 v[4:5], s[4:5], v13, s15, 0
	v_lshl_add_u64 v[4:5], v[4:5], 2, s[2:3]
	v_add_f32_e32 v13, v70, v71
	v_add_f32_e32 v13, v13, v42
	v_lshl_add_u64 v[42:43], v[98:99], 2, v[4:5]
	s_and_b64 vcc, exec, s[0:1]
	global_store_dword v[42:43], v13, off
	s_cbranch_vccnz .LBB98_69
; %bb.68:
	v_lshl_add_u64 v[12:13], v[40:41], 2, v[8:9]
	flat_load_dword v12, v[12:13]
	s_waitcnt vmcnt(0) lgkmcnt(0)
	v_mul_f32_e32 v12, s12, v12
.LBB98_69:
	v_min_f32_e32 v42, v47, v10
	v_min_f32_e32 v43, v104, v11
	v_pk_add_f32 v[42:43], v[42:43], v[66:67]
	v_min_f32_e32 v66, v38, v6
	v_min_f32_e32 v67, v39, v7
	v_pk_add_f32 v[42:43], v[66:67], v[42:43]
	s_and_b64 vcc, exec, s[0:1]
	v_add_f32_e32 v13, v42, v43
	v_add_f32_e32 v42, v13, v12
	v_lshl_add_u64 v[12:13], v[40:41], 2, v[4:5]
	global_store_dword v[12:13], v42, off
	v_mov_b32_e32 v12, 0
	v_mov_b32_e32 v13, 0
	s_cbranch_vccnz .LBB98_71
; %bb.70:
	v_lshl_add_u64 v[42:43], v[36:37], 2, v[8:9]
	flat_load_dword v13, v[42:43]
	s_waitcnt vmcnt(0) lgkmcnt(0)
	v_mul_f32_e32 v13, s12, v13
.LBB98_71:
	v_min_f32_e32 v42, v105, v10
	v_min_f32_e32 v43, v116, v11
	v_pk_add_f32 v[42:43], v[42:43], v[68:69]
	v_min_f32_e32 v66, v34, v6
	v_min_f32_e32 v67, v35, v7
	v_pk_add_f32 v[42:43], v[66:67], v[42:43]
	s_and_b64 vcc, exec, s[0:1]
	v_add_f32_e32 v42, v42, v43
	v_add_f32_e32 v13, v42, v13
	v_lshl_add_u64 v[42:43], v[36:37], 2, v[4:5]
	global_store_dword v[42:43], v13, off
	s_cbranch_vccnz .LBB98_73
; %bb.72:
	v_lshl_add_u64 v[12:13], v[32:33], 2, v[8:9]
	flat_load_dword v12, v[12:13]
	s_waitcnt vmcnt(0) lgkmcnt(0)
	v_mul_f32_e32 v12, s12, v12
.LBB98_73:
	v_min_f32_e32 v42, v114, v10
	v_min_f32_e32 v43, v115, v11
	v_pk_add_f32 v[42:43], v[42:43], v[72:73]
	v_min_f32_e32 v66, v30, v6
	v_min_f32_e32 v67, v31, v7
	v_pk_add_f32 v[42:43], v[66:67], v[42:43]
	s_and_b64 vcc, exec, s[0:1]
	v_add_f32_e32 v13, v42, v43
	v_add_f32_e32 v42, v13, v12
	v_lshl_add_u64 v[12:13], v[32:33], 2, v[4:5]
	global_store_dword v[12:13], v42, off
	v_mov_b32_e32 v12, 0
	v_mov_b32_e32 v13, 0
	s_cbranch_vccnz .LBB98_75
; %bb.74:
	v_lshl_add_u64 v[42:43], v[28:29], 2, v[8:9]
	flat_load_dword v13, v[42:43]
	s_waitcnt vmcnt(0) lgkmcnt(0)
	v_mul_f32_e32 v13, s12, v13
.LBB98_75:
	v_min_f32_e32 v42, v112, v10
	v_min_f32_e32 v43, v113, v11
	v_pk_add_f32 v[42:43], v[42:43], v[76:77]
	v_min_f32_e32 v66, v26, v6
	v_min_f32_e32 v67, v27, v7
	v_pk_add_f32 v[42:43], v[66:67], v[42:43]
	s_and_b64 vcc, exec, s[0:1]
	v_add_f32_e32 v42, v42, v43
	v_add_f32_e32 v13, v42, v13
	v_lshl_add_u64 v[42:43], v[28:29], 2, v[4:5]
	;; [unrolled: 38-line block ×3, first 2 shown]
	global_store_dword v[42:43], v13, off
	s_cbranch_vccnz .LBB98_81
; %bb.80:
	v_lshl_add_u64 v[8:9], v[16:17], 2, v[8:9]
	flat_load_dword v8, v[8:9]
	s_waitcnt vmcnt(0) lgkmcnt(0)
	v_mul_f32_e32 v12, s12, v8
.LBB98_81:
	v_min_f32_e32 v9, v18, v11
	v_min_f32_e32 v8, v19, v10
	v_pk_add_f32 v[8:9], v[8:9], v[60:61]
	v_min_f32_e32 v7, v15, v7
	v_min_f32_e32 v6, v14, v6
	v_pk_add_f32 v[6:7], v[6:7], v[8:9]
	v_lshl_add_u64 v[4:5], v[16:17], 2, v[4:5]
	v_add_f32_e32 v6, v6, v7
	v_add_f32_e32 v6, v6, v12
	v_add_u32_e32 v9, 0x60, v102
	global_store_dword v[4:5], v6, off
	v_mad_i64_i32 v[4:5], s[4:5], v9, s14, 0
	v_lshl_add_u64 v[4:5], v[4:5], 2, s[8:9]
	s_and_b64 vcc, exec, s[0:1]
	v_mov_b32_e32 v8, 0
	v_mov_b32_e32 v10, 0
	s_cbranch_vccnz .LBB98_83
; %bb.82:
	v_lshl_add_u64 v[6:7], v[98:99], 2, v[4:5]
	flat_load_dword v6, v[6:7]
	s_waitcnt vmcnt(0) lgkmcnt(0)
	v_mul_f32_e32 v10, s12, v6
.LBB98_83:
	v_max_f32_e32 v6, v1, v1
	v_max_f32_e32 v7, v0, v0
	v_min_f32_e32 v1, v103, v6
	v_min_f32_e32 v0, v44, v7
	v_max_f32_e32 v3, v3, v3
	v_max_f32_e32 v2, v2, v2
	v_pk_add_f32 v[0:1], v[0:1], v[56:57]
	v_min_f32_e32 v13, v46, v3
	v_min_f32_e32 v12, v45, v2
	v_pk_add_f32 v[12:13], v[12:13], v[0:1]
	v_mad_i64_i32 v[0:1], s[4:5], v9, s15, 0
	v_lshl_add_u64 v[0:1], v[0:1], 2, s[2:3]
	v_add_f32_e32 v9, v12, v13
	v_add_f32_e32 v9, v9, v10
	v_lshl_add_u64 v[10:11], v[98:99], 2, v[0:1]
	s_and_b64 vcc, exec, s[0:1]
	global_store_dword v[10:11], v9, off
	s_cbranch_vccnz .LBB98_85
; %bb.84:
	v_lshl_add_u64 v[8:9], v[40:41], 2, v[4:5]
	flat_load_dword v8, v[8:9]
	s_waitcnt vmcnt(0) lgkmcnt(0)
	v_mul_f32_e32 v8, s12, v8
.LBB98_85:
	v_min_f32_e32 v11, v104, v6
	v_min_f32_e32 v10, v47, v7
	v_pk_add_f32 v[10:11], v[10:11], v[50:51]
	v_min_f32_e32 v13, v39, v3
	v_min_f32_e32 v12, v38, v2
	v_pk_add_f32 v[10:11], v[12:13], v[10:11]
	s_and_b64 vcc, exec, s[0:1]
	v_add_f32_e32 v9, v10, v11
	v_add_f32_e32 v10, v9, v8
	v_lshl_add_u64 v[8:9], v[40:41], 2, v[0:1]
	global_store_dword v[8:9], v10, off
	v_mov_b32_e32 v8, 0
	v_mov_b32_e32 v9, 0
	s_cbranch_vccnz .LBB98_87
; %bb.86:
	v_lshl_add_u64 v[10:11], v[36:37], 2, v[4:5]
	flat_load_dword v9, v[10:11]
	s_waitcnt vmcnt(0) lgkmcnt(0)
	v_mul_f32_e32 v9, s12, v9
.LBB98_87:
	v_min_f32_e32 v11, v116, v6
	v_min_f32_e32 v10, v105, v7
	v_pk_add_f32 v[10:11], v[10:11], v[52:53]
	v_min_f32_e32 v13, v35, v3
	v_min_f32_e32 v12, v34, v2
	v_pk_add_f32 v[10:11], v[12:13], v[10:11]
	s_and_b64 vcc, exec, s[0:1]
	v_add_f32_e32 v10, v10, v11
	v_add_f32_e32 v9, v10, v9
	v_lshl_add_u64 v[10:11], v[36:37], 2, v[0:1]
	global_store_dword v[10:11], v9, off
	s_cbranch_vccnz .LBB98_89
; %bb.88:
	v_lshl_add_u64 v[8:9], v[32:33], 2, v[4:5]
	flat_load_dword v8, v[8:9]
	s_waitcnt vmcnt(0) lgkmcnt(0)
	v_mul_f32_e32 v8, s12, v8
.LBB98_89:
	v_min_f32_e32 v11, v115, v6
	v_min_f32_e32 v10, v114, v7
	v_pk_add_f32 v[10:11], v[10:11], v[54:55]
	v_min_f32_e32 v13, v31, v3
	v_min_f32_e32 v12, v30, v2
	v_pk_add_f32 v[10:11], v[12:13], v[10:11]
	s_and_b64 vcc, exec, s[0:1]
	v_add_f32_e32 v9, v10, v11
	v_add_f32_e32 v10, v9, v8
	v_lshl_add_u64 v[8:9], v[32:33], 2, v[0:1]
	global_store_dword v[8:9], v10, off
	v_mov_b32_e32 v8, 0
	v_mov_b32_e32 v9, 0
	s_cbranch_vccnz .LBB98_91
; %bb.90:
	v_lshl_add_u64 v[10:11], v[28:29], 2, v[4:5]
	flat_load_dword v9, v[10:11]
	s_waitcnt vmcnt(0) lgkmcnt(0)
	v_mul_f32_e32 v9, s12, v9
.LBB98_91:
	v_min_f32_e32 v11, v113, v6
	v_min_f32_e32 v10, v112, v7
	v_pk_add_f32 v[10:11], v[10:11], v[58:59]
	v_min_f32_e32 v13, v27, v3
	v_min_f32_e32 v12, v26, v2
	v_pk_add_f32 v[10:11], v[12:13], v[10:11]
	s_and_b64 vcc, exec, s[0:1]
	v_add_f32_e32 v10, v10, v11
	v_add_f32_e32 v9, v10, v9
	v_lshl_add_u64 v[10:11], v[28:29], 2, v[0:1]
	global_store_dword v[10:11], v9, off
	s_cbranch_vccnz .LBB98_93
; %bb.92:
	v_lshl_add_u64 v[8:9], v[24:25], 2, v[4:5]
	flat_load_dword v8, v[8:9]
	s_waitcnt vmcnt(0) lgkmcnt(0)
	v_mul_f32_e32 v8, s12, v8
.LBB98_93:
	v_min_f32_e32 v11, v111, v6
	v_min_f32_e32 v10, v110, v7
	v_pk_add_f32 v[10:11], v[10:11], v[62:63]
	v_min_f32_e32 v13, v23, v3
	v_min_f32_e32 v12, v22, v2
	v_pk_add_f32 v[10:11], v[12:13], v[10:11]
	v_min_f32_e32 v13, v107, v3
	v_add_f32_e32 v9, v10, v11
	v_min_f32_e32 v11, v109, v6
	v_min_f32_e32 v10, v108, v7
	v_pk_add_f32 v[10:11], v[10:11], v[64:65]
	v_min_f32_e32 v12, v106, v2
	v_pk_add_f32 v[10:11], v[12:13], v[10:11]
	v_add_f32_e32 v12, v9, v8
	v_lshl_add_u64 v[8:9], v[24:25], 2, v[0:1]
	global_store_dword v[8:9], v12, off
	v_add_f32_e32 v8, v10, v11
	s_mov_b64 vcc, s[6:7]
	s_cbranch_vccz .LBB98_96
; %bb.94:
	v_add_f32_e32 v9, 0, v8
	v_lshl_add_u64 v[10:11], v[20:21], 2, v[0:1]
	s_mov_b32 s2, 0
	global_store_dword v[10:11], v9, off
	s_cbranch_execz .LBB98_97
; %bb.95:
	v_mov_b32_e32 v4, s2
	s_branch .LBB98_98
.LBB98_96:
                                        ; implicit-def: $sgpr2
.LBB98_97:
	v_lshlrev_b64 v[10:11], 2, v[20:21]
	v_lshl_add_u64 v[12:13], v[4:5], 0, v[10:11]
	flat_load_dword v9, v[12:13]
	v_lshl_add_u64 v[10:11], v[0:1], 0, v[10:11]
	v_lshl_add_u64 v[4:5], v[16:17], 2, v[4:5]
	s_waitcnt vmcnt(0) lgkmcnt(0)
	v_fmac_f32_e32 v8, s12, v9
	global_store_dword v[10:11], v8, off
	flat_load_dword v4, v[4:5]
	s_waitcnt vmcnt(0) lgkmcnt(0)
	v_mul_f32_e32 v4, s12, v4
.LBB98_98:
	v_min_f32_e32 v9, v18, v6
	v_min_f32_e32 v8, v19, v7
	v_min_f32_e32 v3, v15, v3
	v_min_f32_e32 v2, v14, v2
	v_pk_add_f32 v[6:7], v[8:9], v[48:49]
	v_lshl_add_u64 v[0:1], v[16:17], 2, v[0:1]
	v_pk_add_f32 v[2:3], v[2:3], v[6:7]
	s_nop 0
	v_add_f32_e32 v2, v2, v3
	v_add_f32_e32 v2, v2, v4
	global_store_dword v[0:1], v2, off
	s_endpgm
	.section	.rodata,"a",@progbits
	.p2align	6, 0x0
	.amdhsa_kernel _ZN12_GLOBAL__N_120geam_min_plus_kernelIf15HIP_vector_typeIfLj2EES2_Li8ELi32ELi64ELi128ELi4ELi4ELi64ELi64ELi4ELc84ELc84ELb0ELb0ELb0EfKffEEviiiT16_PT17_ilS6_ilS4_S6_ilPT18_ili26rocblas_geam_ex_operation_
		.amdhsa_group_segment_fixed_size 6144
		.amdhsa_private_segment_fixed_size 0
		.amdhsa_kernarg_size 128
		.amdhsa_user_sgpr_count 2
		.amdhsa_user_sgpr_dispatch_ptr 0
		.amdhsa_user_sgpr_queue_ptr 0
		.amdhsa_user_sgpr_kernarg_segment_ptr 1
		.amdhsa_user_sgpr_dispatch_id 0
		.amdhsa_user_sgpr_kernarg_preload_length 0
		.amdhsa_user_sgpr_kernarg_preload_offset 0
		.amdhsa_user_sgpr_private_segment_size 0
		.amdhsa_uses_dynamic_stack 0
		.amdhsa_enable_private_segment 0
		.amdhsa_system_sgpr_workgroup_id_x 1
		.amdhsa_system_sgpr_workgroup_id_y 0
		.amdhsa_system_sgpr_workgroup_id_z 1
		.amdhsa_system_sgpr_workgroup_info 0
		.amdhsa_system_vgpr_workitem_id 1
		.amdhsa_next_free_vgpr 219
		.amdhsa_next_free_sgpr 28
		.amdhsa_accum_offset 220
		.amdhsa_reserve_vcc 1
		.amdhsa_float_round_mode_32 0
		.amdhsa_float_round_mode_16_64 0
		.amdhsa_float_denorm_mode_32 3
		.amdhsa_float_denorm_mode_16_64 3
		.amdhsa_dx10_clamp 1
		.amdhsa_ieee_mode 1
		.amdhsa_fp16_overflow 0
		.amdhsa_tg_split 0
		.amdhsa_exception_fp_ieee_invalid_op 0
		.amdhsa_exception_fp_denorm_src 0
		.amdhsa_exception_fp_ieee_div_zero 0
		.amdhsa_exception_fp_ieee_overflow 0
		.amdhsa_exception_fp_ieee_underflow 0
		.amdhsa_exception_fp_ieee_inexact 0
		.amdhsa_exception_int_div_zero 0
	.end_amdhsa_kernel
	.section	.text._ZN12_GLOBAL__N_120geam_min_plus_kernelIf15HIP_vector_typeIfLj2EES2_Li8ELi32ELi64ELi128ELi4ELi4ELi64ELi64ELi4ELc84ELc84ELb0ELb0ELb0EfKffEEviiiT16_PT17_ilS6_ilS4_S6_ilPT18_ili26rocblas_geam_ex_operation_,"axG",@progbits,_ZN12_GLOBAL__N_120geam_min_plus_kernelIf15HIP_vector_typeIfLj2EES2_Li8ELi32ELi64ELi128ELi4ELi4ELi64ELi64ELi4ELc84ELc84ELb0ELb0ELb0EfKffEEviiiT16_PT17_ilS6_ilS4_S6_ilPT18_ili26rocblas_geam_ex_operation_,comdat
.Lfunc_end98:
	.size	_ZN12_GLOBAL__N_120geam_min_plus_kernelIf15HIP_vector_typeIfLj2EES2_Li8ELi32ELi64ELi128ELi4ELi4ELi64ELi64ELi4ELc84ELc84ELb0ELb0ELb0EfKffEEviiiT16_PT17_ilS6_ilS4_S6_ilPT18_ili26rocblas_geam_ex_operation_, .Lfunc_end98-_ZN12_GLOBAL__N_120geam_min_plus_kernelIf15HIP_vector_typeIfLj2EES2_Li8ELi32ELi64ELi128ELi4ELi4ELi64ELi64ELi4ELc84ELc84ELb0ELb0ELb0EfKffEEviiiT16_PT17_ilS6_ilS4_S6_ilPT18_ili26rocblas_geam_ex_operation_
                                        ; -- End function
	.section	.AMDGPU.csdata,"",@progbits
; Kernel info:
; codeLenInByte = 8896
; NumSgprs: 34
; NumVgprs: 219
; NumAgprs: 0
; TotalNumVgprs: 219
; ScratchSize: 0
; MemoryBound: 0
; FloatMode: 240
; IeeeMode: 1
; LDSByteSize: 6144 bytes/workgroup (compile time only)
; SGPRBlocks: 4
; VGPRBlocks: 27
; NumSGPRsForWavesPerEU: 34
; NumVGPRsForWavesPerEU: 219
; AccumOffset: 220
; Occupancy: 2
; WaveLimiterHint : 1
; COMPUTE_PGM_RSRC2:SCRATCH_EN: 0
; COMPUTE_PGM_RSRC2:USER_SGPR: 2
; COMPUTE_PGM_RSRC2:TRAP_HANDLER: 0
; COMPUTE_PGM_RSRC2:TGID_X_EN: 1
; COMPUTE_PGM_RSRC2:TGID_Y_EN: 0
; COMPUTE_PGM_RSRC2:TGID_Z_EN: 1
; COMPUTE_PGM_RSRC2:TIDIG_COMP_CNT: 1
; COMPUTE_PGM_RSRC3_GFX90A:ACCUM_OFFSET: 54
; COMPUTE_PGM_RSRC3_GFX90A:TG_SPLIT: 0
	.section	.text._ZN12_GLOBAL__N_120geam_min_plus_kernelIf15HIP_vector_typeIfLj2EES2_Li8ELi32ELi64ELi128ELi4ELi4ELi64ELi64ELi4ELc84ELc84ELb0ELb1ELb0EPKfS3_fEEviiiT16_PT17_ilS7_ilS5_S7_ilPT18_ili26rocblas_geam_ex_operation_,"axG",@progbits,_ZN12_GLOBAL__N_120geam_min_plus_kernelIf15HIP_vector_typeIfLj2EES2_Li8ELi32ELi64ELi128ELi4ELi4ELi64ELi64ELi4ELc84ELc84ELb0ELb1ELb0EPKfS3_fEEviiiT16_PT17_ilS7_ilS5_S7_ilPT18_ili26rocblas_geam_ex_operation_,comdat
	.globl	_ZN12_GLOBAL__N_120geam_min_plus_kernelIf15HIP_vector_typeIfLj2EES2_Li8ELi32ELi64ELi128ELi4ELi4ELi64ELi64ELi4ELc84ELc84ELb0ELb1ELb0EPKfS3_fEEviiiT16_PT17_ilS7_ilS5_S7_ilPT18_ili26rocblas_geam_ex_operation_ ; -- Begin function _ZN12_GLOBAL__N_120geam_min_plus_kernelIf15HIP_vector_typeIfLj2EES2_Li8ELi32ELi64ELi128ELi4ELi4ELi64ELi64ELi4ELc84ELc84ELb0ELb1ELb0EPKfS3_fEEviiiT16_PT17_ilS7_ilS5_S7_ilPT18_ili26rocblas_geam_ex_operation_
	.p2align	8
	.type	_ZN12_GLOBAL__N_120geam_min_plus_kernelIf15HIP_vector_typeIfLj2EES2_Li8ELi32ELi64ELi128ELi4ELi4ELi64ELi64ELi4ELc84ELc84ELb0ELb1ELb0EPKfS3_fEEviiiT16_PT17_ilS7_ilS5_S7_ilPT18_ili26rocblas_geam_ex_operation_,@function
_ZN12_GLOBAL__N_120geam_min_plus_kernelIf15HIP_vector_typeIfLj2EES2_Li8ELi32ELi64ELi128ELi4ELi4ELi64ELi64ELi4ELc84ELc84ELb0ELb1ELb0EPKfS3_fEEviiiT16_PT17_ilS7_ilS5_S7_ilPT18_ili26rocblas_geam_ex_operation_: ; @_ZN12_GLOBAL__N_120geam_min_plus_kernelIf15HIP_vector_typeIfLj2EES2_Li8ELi32ELi64ELi128ELi4ELi4ELi64ELi64ELi4ELc84ELc84ELb0ELb1ELb0EPKfS3_fEEviiiT16_PT17_ilS7_ilS5_S7_ilPT18_ili26rocblas_geam_ex_operation_
; %bb.0:
	s_load_dwordx4 s[12:15], s[0:1], 0x10
	s_load_dwordx4 s[4:7], s[0:1], 0x28
	s_mov_b32 s16, s3
	s_mov_b32 s17, 0
	s_lshl_b64 s[18:19], s[16:17], 2
	s_waitcnt lgkmcnt(0)
	s_add_u32 s12, s12, s18
	s_load_dwordx4 s[8:11], s[0:1], 0x40
	s_addc_u32 s13, s13, s19
	s_load_dword s17, s[12:13], 0x0
	s_load_dwordx2 s[20:21], s[0:1], 0x50
	s_mov_b64 s[26:27], 0
	s_mov_b64 s[28:29], 0
	s_waitcnt lgkmcnt(0)
	s_add_u32 s10, s10, s18
	v_cmp_eq_f32_e64 s[12:13], s17, 0
	s_addc_u32 s11, s11, s19
	v_cmp_neq_f32_e64 s[18:19], s17, 0
	s_and_b64 vcc, exec, s[12:13]
	s_cbranch_vccnz .LBB99_2
; %bb.1:
	s_mul_i32 s3, s16, s5
	s_mul_hi_u32 s5, s16, s4
	s_add_i32 s5, s5, s3
	s_mul_i32 s4, s16, s4
	s_lshl_b64 s[4:5], s[4:5], 2
	s_add_u32 s28, s14, s4
	s_addc_u32 s29, s15, s5
.LBB99_2:
	s_load_dword s30, s[10:11], 0x0
	s_andn2_b64 vcc, exec, s[18:19]
	s_cbranch_vccnz .LBB99_4
; %bb.3:
	s_mul_i32 s3, s16, s9
	s_mul_hi_u32 s4, s16, s8
	s_add_i32 s5, s4, s3
	s_mul_i32 s4, s16, s8
	s_lshl_b64 s[4:5], s[4:5], 2
	s_add_u32 s26, s6, s4
	s_addc_u32 s27, s7, s5
.LBB99_4:
	s_load_dwordx4 s[8:11], s[0:1], 0x60
	s_waitcnt lgkmcnt(0)
	v_cmp_eq_f32_e64 s[4:5], s30, 0
	v_cmp_neq_f32_e64 s[12:13], s30, 0
	s_and_b64 vcc, exec, s[4:5]
	s_cbranch_vccnz .LBB99_6
; %bb.5:
	s_mul_i32 s3, s16, s9
	s_mul_hi_u32 s4, s16, s8
	s_add_i32 s5, s4, s3
	s_mul_i32 s4, s16, s8
	s_lshl_b64 s[4:5], s[4:5], 2
	s_add_u32 s24, s20, s4
	s_addc_u32 s25, s21, s5
	s_branch .LBB99_7
.LBB99_6:
	s_mov_b64 s[24:25], 0
.LBB99_7:
	s_load_dwordx4 s[20:23], s[0:1], 0x0
	s_load_dword s36, s[0:1], 0x20
	v_and_b32_e32 v198, 0x3ff, v0
	v_bfe_u32 v199, v0, 10, 10
	v_lshl_add_u32 v2, v199, 3, v198
	s_waitcnt lgkmcnt(0)
	s_add_i32 s3, s20, -1
	s_ashr_i32 s4, s3, 31
	s_lshr_b32 s4, s4, 26
	s_add_i32 s3, s3, s4
	s_ashr_i32 s3, s3, 6
	s_add_i32 s7, s3, 1
	v_cvt_f32_u32_e32 v1, s7
	s_not_b32 s3, s3
	v_lshrrev_b32_e32 v8, 2, v2
	v_and_b32_e32 v200, 3, v198
	v_rcp_iflag_f32_e32 v0, v1
	v_cmp_gt_i32_e64 s[4:5], s22, v200
	v_mov_b32_e32 v7, 0
	v_mov_b32_e32 v9, 0
	v_mul_f32_e32 v0, 0x4f7ffffe, v0
	v_cvt_u32_f32_e32 v1, v0
	v_lshlrev_b32_e32 v0, 2, v200
	v_readfirstlane_b32 s6, v1
	s_mul_i32 s3, s3, s6
	s_mul_hi_u32 s3, s6, s3
	s_add_i32 s6, s6, s3
	s_mul_hi_u32 s3, s2, s6
	s_mul_i32 s6, s3, s7
	s_sub_i32 s6, s2, s6
	s_add_i32 s8, s3, 1
	s_sub_i32 s9, s6, s7
	s_cmp_ge_u32 s6, s7
	s_cselect_b32 s3, s8, s3
	s_cselect_b32 s6, s9, s6
	s_add_i32 s8, s3, 1
	s_cmp_ge_u32 s6, s7
	s_cselect_b32 s6, s8, s3
	s_mul_i32 s3, s6, s7
	s_sub_i32 s2, s2, s3
	s_lshl_b32 s31, s2, 6
	v_add_u32_e32 v4, s31, v8
	v_cmp_gt_i32_e32 vcc, s20, v4
	s_and_b64 s[2:3], s[4:5], vcc
	s_and_b64 s[4:5], s[18:19], s[2:3]
	s_and_saveexec_b64 s[2:3], s[4:5]
	s_cbranch_execz .LBB99_9
; %bb.8:
	v_mad_i64_i32 v[10:11], s[4:5], v4, s36, 0
	v_lshl_add_u64 v[10:11], v[10:11], 2, s[28:29]
	v_mov_b32_e32 v1, 0
	v_lshl_add_u64 v[10:11], v[10:11], 0, v[0:1]
	flat_load_dword v1, v[10:11]
	s_waitcnt vmcnt(0) lgkmcnt(0)
	v_mul_f32_e32 v9, s17, v1
.LBB99_9:
	s_or_b64 exec, exec, s[2:3]
	s_load_dword s23, s[0:1], 0x38
	v_lshrrev_b32_e32 v201, 6, v2
	s_add_i32 s34, s22, -1
	v_and_b32_e32 v10, 63, v2
	s_lshl_b32 s33, s6, 7
	v_min_i32_e32 v1, s34, v201
	v_or_b32_e32 v72, s33, v10
	s_waitcnt lgkmcnt(0)
	v_mad_i64_i32 v[2:3], s[2:3], s23, v1, 0
	v_cmp_le_i32_e64 s[6:7], s22, v201
	v_cmp_le_i32_e64 s[2:3], s21, v72
	s_or_b64 s[4:5], s[2:3], s[6:7]
	s_xor_b64 s[8:9], s[18:19], -1
	s_or_b64 s[4:5], s[4:5], s[8:9]
	v_lshl_add_u64 v[2:3], v[2:3], 2, s[26:27]
	s_xor_b64 s[14:15], s[4:5], -1
	v_ashrrev_i32_e32 v73, 31, v72
	s_and_saveexec_b64 s[4:5], s[14:15]
	s_cbranch_execz .LBB99_11
; %bb.10:
	v_lshl_add_u64 v[6:7], v[72:73], 2, v[2:3]
	flat_load_dword v1, v[6:7]
	s_waitcnt vmcnt(0) lgkmcnt(0)
	v_mul_f32_e32 v7, s17, v1
.LBB99_11:
	s_or_b64 exec, exec, s[4:5]
	v_or_b32_e32 v1, 64, v72
	v_cmp_le_i32_e64 s[4:5], s21, v1
	s_or_b64 s[6:7], s[4:5], s[6:7]
	s_or_b64 s[6:7], s[6:7], s[8:9]
	s_xor_b64 s[14:15], s[6:7], -1
	v_mov_b32_e32 v1, 0
	v_mov_b32_e32 v11, 0
	s_and_saveexec_b64 s[6:7], s[14:15]
	s_cbranch_execz .LBB99_13
; %bb.12:
	v_lshl_add_u64 v[2:3], v[72:73], 2, v[2:3]
	flat_load_dword v2, v[2:3] offset:256
	s_waitcnt vmcnt(0) lgkmcnt(0)
	v_mul_f32_e32 v11, s17, v2
.LBB99_13:
	s_or_b64 exec, exec, s[6:7]
	v_or_b32_e32 v2, 4, v200
	v_cmp_gt_i32_e64 s[6:7], s22, v2
	s_and_b64 s[6:7], s[6:7], vcc
	s_and_b64 s[14:15], s[18:19], s[6:7]
	s_and_saveexec_b64 s[6:7], s[14:15]
	s_cbranch_execz .LBB99_15
; %bb.14:
	v_mad_i64_i32 v[2:3], s[14:15], v4, s36, 0
	v_lshl_add_u64 v[2:3], v[2:3], 2, s[28:29]
	v_mov_b32_e32 v1, 0
	v_lshl_add_u64 v[2:3], v[2:3], 0, v[0:1]
	flat_load_dword v1, v[2:3] offset:16
	s_waitcnt vmcnt(0) lgkmcnt(0)
	v_mul_f32_e32 v1, s17, v1
.LBB99_15:
	s_or_b64 exec, exec, s[6:7]
	v_add_u32_e32 v2, 4, v201
	v_cmp_le_i32_e64 s[6:7], s22, v2
	v_min_i32_e32 v2, s34, v2
	v_mad_i64_i32 v[2:3], s[14:15], s23, v2, 0
	s_or_b64 s[14:15], s[2:3], s[6:7]
	s_or_b64 s[14:15], s[14:15], s[8:9]
	v_lshl_add_u64 v[2:3], v[2:3], 2, s[26:27]
	s_xor_b64 s[38:39], s[14:15], -1
	v_mov_b32_e32 v5, 0
	v_mov_b32_e32 v6, 0
	s_and_saveexec_b64 s[14:15], s[38:39]
	s_cbranch_execz .LBB99_17
; %bb.16:
	v_lshl_add_u64 v[12:13], v[72:73], 2, v[2:3]
	flat_load_dword v6, v[12:13]
	s_waitcnt vmcnt(0) lgkmcnt(0)
	v_mul_f32_e32 v6, s17, v6
.LBB99_17:
	s_or_b64 exec, exec, s[14:15]
	s_or_b64 s[6:7], s[4:5], s[6:7]
	s_or_b64 s[6:7], s[6:7], s[8:9]
	s_xor_b64 s[14:15], s[6:7], -1
	s_and_saveexec_b64 s[6:7], s[14:15]
	s_cbranch_execz .LBB99_19
; %bb.18:
	v_lshl_add_u64 v[2:3], v[72:73], 2, v[2:3]
	flat_load_dword v2, v[2:3] offset:256
	s_waitcnt vmcnt(0) lgkmcnt(0)
	v_mul_f32_e32 v5, s17, v2
.LBB99_19:
	s_or_b64 exec, exec, s[6:7]
	v_lshlrev_b32_e32 v3, 2, v201
	v_lshl_or_b32 v2, v8, 4, v0
	v_lshl_add_u32 v204, v10, 4, v3
	v_lshlrev_b32_e32 v203, 4, v199
	ds_write_b32 v2, v9 offset:4096
	ds_write2st64_b32 v204, v7, v11 offset1:4
	s_waitcnt lgkmcnt(0)
	s_barrier
	ds_read_b128 v[8:11], v203
	v_lshlrev_b32_e32 v202, 4, v198
	ds_read_b128 v[12:15], v202 offset:4992
	ds_read_b128 v[16:19], v203 offset:512
	;; [unrolled: 1-line block ×5, first 2 shown]
	s_waitcnt lgkmcnt(5)
	v_max_f32_e32 v3, v9, v9
	s_waitcnt lgkmcnt(4)
	v_max_f32_e32 v7, v13, v13
	v_max_f32_e32 v56, v8, v8
	v_max_f32_e32 v60, v12, v12
	ds_read_b128 v[32:35], v202 offset:4096
	ds_read_b128 v[36:39], v202 offset:4224
	v_max_f32_e32 v112, v11, v11
	v_max_f32_e32 v122, v15, v15
	;; [unrolled: 1-line block ×4, first 2 shown]
	ds_read_b128 v[8:11], v202 offset:4352
	ds_read_b128 v[12:15], v202 offset:4480
	s_waitcnt lgkmcnt(4)
	v_max_f32_e32 v126, v31, v31
	v_max_f32_e32 v127, v30, v30
	s_waitcnt lgkmcnt(2)
	v_max_f32_e32 v70, v38, v38
	s_waitcnt lgkmcnt(1)
	v_max_f32_e32 v30, v8, v8
	v_max_f32_e32 v31, v9, v9
	s_waitcnt lgkmcnt(0)
	v_max_f32_e32 v40, v12, v12
	v_max_f32_e32 v74, v10, v10
	;; [unrolled: 1-line block ×3, first 2 shown]
	ds_read_b128 v[8:11], v202 offset:4608
	v_max_f32_e32 v38, v13, v13
	v_max_f32_e32 v86, v14, v14
	;; [unrolled: 1-line block ×3, first 2 shown]
	ds_read_b128 v[12:15], v202 offset:4736
	v_max_f32_e32 v58, v17, v17
	v_max_f32_e32 v59, v16, v16
	;; [unrolled: 1-line block ×6, first 2 shown]
	s_waitcnt lgkmcnt(0)
	v_max_f32_e32 v54, v12, v12
	v_max_f32_e32 v55, v13, v13
	;; [unrolled: 1-line block ×10, first 2 shown]
	v_min_f32_e32 v48, v54, v56
	v_min_f32_e32 v49, v55, v3
	;; [unrolled: 1-line block ×10, first 2 shown]
	v_max_f32_e32 v124, v19, v19
	v_max_f32_e32 v125, v18, v18
	;; [unrolled: 1-line block ×11, first 2 shown]
	v_min_f32_e32 v8, v16, v56
	v_min_f32_e32 v10, v16, v59
	;; [unrolled: 1-line block ×37, first 2 shown]
	v_pk_add_f32 v[54:55], v[54:55], 0 op_sel_hi:[1,0]
	v_min_f32_e32 v61, v122, v112
	v_min_f32_e32 v60, v123, v113
	v_pk_add_f32 v[98:99], v[54:55], v[60:61]
	v_pk_add_f32 v[54:55], v[56:57], 0 op_sel_hi:[1,0]
	v_min_f32_e32 v57, v122, v124
	v_min_f32_e32 v56, v123, v125
	;; [unrolled: 1-line block ×3, first 2 shown]
	v_pk_add_f32 v[82:83], v[54:55], v[56:57]
	v_pk_add_f32 v[54:55], v[58:59], 0 op_sel_hi:[1,0]
	v_min_f32_e32 v57, v122, v126
	v_min_f32_e32 v56, v123, v127
	v_min_f32_e32 v28, v30, v62
	v_min_f32_e32 v30, v30, v64
	v_min_f32_e32 v44, v46, v62
	v_min_f32_e32 v46, v46, v64
	v_min_f32_e32 v116, v65, v62
	v_min_f32_e32 v118, v65, v64
	v_pk_add_f32 v[64:65], v[54:55], v[56:57]
	v_pk_add_f32 v[8:9], v[8:9], 0 op_sel_hi:[1,0]
	v_min_f32_e32 v54, v68, v113
	v_min_f32_e32 v55, v69, v112
	v_pk_add_f32 v[114:115], v[8:9], v[54:55]
	v_pk_add_f32 v[8:9], v[10:11], 0 op_sel_hi:[1,0]
	v_min_f32_e32 v10, v68, v125
	v_min_f32_e32 v11, v69, v124
	v_max_f32_e32 v131, v15, v15
	v_min_f32_e32 v15, v17, v63
	v_pk_add_f32 v[96:97], v[8:9], v[10:11]
	v_pk_add_f32 v[8:9], v[12:13], 0 op_sel_hi:[1,0]
	v_min_f32_e32 v10, v68, v127
	v_min_f32_e32 v11, v69, v126
	;; [unrolled: 1-line block ×3, first 2 shown]
	v_pk_add_f32 v[80:81], v[8:9], v[10:11]
	v_min_f32_e32 v9, v69, v128
	v_min_f32_e32 v8, v68, v129
	v_pk_add_f32 v[10:11], v[14:15], 0 op_sel_hi:[1,0]
	v_max_f32_e32 v133, v23, v23
	v_min_f32_e32 v23, v25, v63
	v_min_f32_e32 v25, v31, v3
	;; [unrolled: 1-line block ×7, first 2 shown]
	v_pk_add_f32 v[62:63], v[10:11], v[8:9]
	v_pk_add_f32 v[8:9], v[16:17], 0 op_sel_hi:[1,0]
	v_min_f32_e32 v10, v70, v113
	v_min_f32_e32 v11, v71, v112
	v_pk_add_f32 v[102:103], v[8:9], v[10:11]
	v_pk_add_f32 v[8:9], v[18:19], 0 op_sel_hi:[1,0]
	v_min_f32_e32 v10, v70, v125
	v_min_f32_e32 v11, v71, v124
	;; [unrolled: 4-line block ×3, first 2 shown]
	v_pk_add_f32 v[78:79], v[8:9], v[10:11]
	v_min_f32_e32 v9, v71, v128
	v_min_f32_e32 v8, v70, v129
	v_pk_add_f32 v[10:11], v[22:23], 0 op_sel_hi:[1,0]
	v_min_f32_e32 v85, v76, v3
	v_pk_add_f32 v[60:61], v[10:11], v[8:9]
	v_pk_add_f32 v[8:9], v[24:25], 0 op_sel_hi:[1,0]
	v_min_f32_e32 v10, v74, v113
	v_min_f32_e32 v11, v75, v112
	v_pk_add_f32 v[104:105], v[8:9], v[10:11]
	v_pk_add_f32 v[8:9], v[26:27], 0 op_sel_hi:[1,0]
	v_min_f32_e32 v10, v74, v125
	;; [unrolled: 4-line block ×3, first 2 shown]
	v_min_f32_e32 v11, v75, v126
	v_pk_add_f32 v[76:77], v[8:9], v[10:11]
	v_min_f32_e32 v9, v75, v128
	v_min_f32_e32 v8, v74, v129
	v_pk_add_f32 v[10:11], v[30:31], 0 op_sel_hi:[1,0]
	s_cmp_lt_i32 s22, 9
	v_pk_add_f32 v[58:59], v[10:11], v[8:9]
	v_pk_add_f32 v[8:9], v[32:33], 0 op_sel_hi:[1,0]
	v_min_f32_e32 v10, v86, v113
	v_min_f32_e32 v11, v87, v112
	v_pk_add_f32 v[106:107], v[8:9], v[10:11]
	v_pk_add_f32 v[8:9], v[34:35], 0 op_sel_hi:[1,0]
	v_min_f32_e32 v10, v86, v125
	v_min_f32_e32 v11, v87, v124
	v_pk_add_f32 v[90:91], v[8:9], v[10:11]
	v_pk_add_f32 v[8:9], v[36:37], 0 op_sel_hi:[1,0]
	v_min_f32_e32 v10, v86, v127
	v_min_f32_e32 v11, v87, v126
	v_pk_add_f32 v[74:75], v[8:9], v[10:11]
	v_min_f32_e32 v9, v87, v128
	v_min_f32_e32 v8, v86, v129
	v_pk_add_f32 v[10:11], v[38:39], 0 op_sel_hi:[1,0]
	ds_write2st64_b32 v204, v6, v5 offset0:8 offset1:12
	ds_write_b32 v2, v1 offset:5120
	v_pk_add_f32 v[56:57], v[10:11], v[8:9]
	v_pk_add_f32 v[8:9], v[40:41], 0 op_sel_hi:[1,0]
	v_min_f32_e32 v10, v110, v113
	v_min_f32_e32 v11, v111, v112
	v_pk_add_f32 v[108:109], v[8:9], v[10:11]
	v_pk_add_f32 v[8:9], v[42:43], 0 op_sel_hi:[1,0]
	v_min_f32_e32 v10, v110, v125
	v_min_f32_e32 v11, v111, v124
	;; [unrolled: 4-line block ×3, first 2 shown]
	v_pk_add_f32 v[70:71], v[8:9], v[10:11]
	v_min_f32_e32 v9, v111, v128
	v_min_f32_e32 v8, v110, v129
	v_pk_add_f32 v[10:11], v[46:47], 0 op_sel_hi:[1,0]
	s_waitcnt lgkmcnt(0)
	v_pk_add_f32 v[54:55], v[10:11], v[8:9]
	v_pk_add_f32 v[8:9], v[48:49], 0 op_sel_hi:[1,0]
	v_min_f32_e32 v10, v130, v113
	v_min_f32_e32 v11, v131, v112
	v_pk_add_f32 v[110:111], v[8:9], v[10:11]
	v_pk_add_f32 v[8:9], v[50:51], 0 op_sel_hi:[1,0]
	v_min_f32_e32 v10, v130, v125
	v_min_f32_e32 v11, v131, v124
	;; [unrolled: 4-line block ×3, first 2 shown]
	v_pk_add_f32 v[68:69], v[8:9], v[10:11]
	v_min_f32_e32 v9, v131, v128
	v_min_f32_e32 v8, v130, v129
	v_pk_add_f32 v[10:11], v[66:67], 0 op_sel_hi:[1,0]
	s_barrier
	v_pk_add_f32 v[52:53], v[10:11], v[8:9]
	v_min_f32_e32 v8, v132, v113
	v_min_f32_e32 v9, v133, v112
	v_pk_add_f32 v[10:11], v[84:85], 0 op_sel_hi:[1,0]
	s_nop 0
	v_pk_add_f32 v[112:113], v[10:11], v[8:9]
	v_min_f32_e32 v8, v132, v125
	v_min_f32_e32 v9, v133, v124
	v_pk_add_f32 v[10:11], v[100:101], 0 op_sel_hi:[1,0]
	s_nop 0
	;; [unrolled: 5-line block ×5, first 2 shown]
	v_pk_add_f32 v[48:49], v[10:11], v[8:9]
	s_cbranch_scc1 .LBB99_34
; %bb.20:
	v_mov_b32_e32 v1, 0x1400
	v_lshl_add_u32 v209, v198, 4, v1
	v_mov_b32_e32 v1, 0x800
	v_add_u32_e32 v205, 0x1000, v2
	v_add_u32_e32 v207, 0x1400, v2
	v_lshl_add_u32 v210, v199, 4, v1
	v_mad_i64_i32 v[2:3], s[6:7], s36, v4, 0
	v_mov_b32_e32 v1, 0
	v_lshl_add_u64 v[0:1], v[2:3], 2, v[0:1]
	v_lshl_add_u64 v[0:1], v[0:1], 0, s[28:29]
	v_add_u32_e32 v206, 0x1000, v202
	v_or_b32_e32 v208, 0x800, v204
	s_add_i32 s35, s22, -8
	v_lshl_add_u64 v[100:101], v[0:1], 0, 48
	s_mov_b32 s28, 0
	s_branch .LBB99_22
.LBB99_21:                              ;   in Loop: Header=BB99_22 Depth=1
	s_or_b64 exec, exec, s[6:7]
	v_pk_add_f32 v[40:41], v[98:99], v[40:41]
	v_pk_add_f32 v[32:33], v[64:65], v[32:33]
	;; [unrolled: 1-line block ×20, first 2 shown]
	ds_read_b128 v[0:3], v203
	ds_read_b128 v[8:11], v203 offset:512
	v_pk_add_f32 v[20:21], v[114:115], v[6:7]
	ds_read_b128 v[4:7], v206 offset:896
	v_pk_add_f32 v[44:45], v[96:97], v[44:45]
	v_pk_add_f32 v[28:29], v[80:81], v[28:29]
	;; [unrolled: 1-line block ×21, first 2 shown]
	ds_read_b128 v[12:15], v206 offset:768
	s_waitcnt lgkmcnt(1)
	v_max_f32_e32 v95, v5, v5
	v_max_f32_e32 v97, v4, v4
	;; [unrolled: 1-line block ×4, first 2 shown]
	v_pk_add_f32 v[78:79], v[36:37], v[38:39]
	v_pk_add_f32 v[74:75], v[28:29], v[30:31]
	;; [unrolled: 1-line block ×6, first 2 shown]
	ds_read_b128 v[82:85], v203 offset:1536
	ds_read_b128 v[86:89], v203 offset:1024
	v_min_f32_e32 v5, v95, v98
	v_min_f32_e32 v4, v97, v99
	v_pk_add_f32 v[60:61], v[62:63], v[162:163]
	v_pk_add_f32 v[62:63], v[80:81], v[160:161]
	;; [unrolled: 1-line block ×3, first 2 shown]
	ds_read_b128 v[78:81], v206
	v_pk_add_f32 v[92:93], v[92:93], v[126:127]
	v_pk_add_f32 v[90:91], v[90:91], v[132:133]
	;; [unrolled: 1-line block ×3, first 2 shown]
	s_waitcnt lgkmcnt(1)
	v_max_f32_e32 v102, v87, v87
	v_max_f32_e32 v103, v86, v86
	v_pk_add_f32 v[106:107], v[54:55], v[142:143]
	v_pk_add_f32 v[54:55], v[92:93], v[166:167]
	;; [unrolled: 1-line block ×3, first 2 shown]
	ds_read_b128 v[90:93], v206 offset:128
	v_max_f32_e32 v94, v1, v1
	v_max_f32_e32 v96, v0, v0
	v_min_f32_e32 v9, v95, v102
	v_min_f32_e32 v8, v97, v103
	s_waitcnt lgkmcnt(1)
	v_max_f32_e32 v86, v78, v78
	v_max_f32_e32 v87, v79, v79
	v_pk_add_f32 v[8:9], v[76:77], v[8:9]
	v_min_f32_e32 v76, v86, v96
	v_min_f32_e32 v77, v87, v94
	v_pk_add_f32 v[76:77], v[68:69], v[76:77]
	v_min_f32_e32 v68, v86, v99
	v_min_f32_e32 v69, v87, v98
	;; [unrolled: 3-line block ×3, first 2 shown]
	v_max_f32_e32 v83, v83, v83
	v_max_f32_e32 v82, v82, v82
	v_pk_add_f32 v[66:67], v[24:25], v[26:27]
	v_pk_add_f32 v[74:75], v[74:75], v[68:69]
	v_min_f32_e32 v69, v87, v83
	v_min_f32_e32 v68, v86, v82
	v_pk_add_f32 v[86:87], v[66:67], v[68:69]
	s_waitcnt lgkmcnt(0)
	v_max_f32_e32 v68, v90, v90
	v_max_f32_e32 v69, v91, v91
	v_min_f32_e32 v66, v68, v96
	v_min_f32_e32 v67, v69, v94
	v_pk_add_f32 v[60:61], v[60:61], v[66:67]
	v_min_f32_e32 v66, v68, v99
	v_min_f32_e32 v67, v69, v98
	v_pk_add_f32 v[90:91], v[62:63], v[66:67]
	v_min_f32_e32 v62, v68, v103
	v_min_f32_e32 v63, v69, v102
	v_pk_add_f32 v[36:37], v[104:105], v[180:181]
	v_pk_add_f32 v[104:105], v[64:65], v[62:63]
	ds_read_b128 v[64:67], v206 offset:256
	v_min_f32_e32 v63, v69, v83
	v_min_f32_e32 v62, v68, v82
	ds_read_b128 v[68:71], v206 offset:384
	v_pk_add_f32 v[58:59], v[58:59], v[62:63]
	s_waitcnt lgkmcnt(1)
	v_max_f32_e32 v64, v64, v64
	v_max_f32_e32 v65, v65, v65
	v_min_f32_e32 v62, v64, v96
	v_min_f32_e32 v63, v65, v94
	v_pk_add_f32 v[52:53], v[52:53], v[62:63]
	v_min_f32_e32 v62, v64, v99
	v_min_f32_e32 v63, v65, v98
	v_pk_add_f32 v[54:55], v[54:55], v[62:63]
	;; [unrolled: 3-line block ×4, first 2 shown]
	v_pk_add_f32 v[106:107], v[50:51], v[62:63]
	s_waitcnt lgkmcnt(0)
	v_max_f32_e32 v62, v68, v68
	v_max_f32_e32 v63, v69, v69
	v_min_f32_e32 v50, v62, v96
	v_min_f32_e32 v51, v63, v94
	v_pk_add_f32 v[68:69], v[44:45], v[50:51]
	v_min_f32_e32 v44, v62, v99
	v_min_f32_e32 v45, v63, v98
	v_pk_add_f32 v[28:29], v[108:109], v[190:191]
	v_pk_add_f32 v[108:109], v[46:47], v[44:45]
	v_min_f32_e32 v44, v62, v103
	v_min_f32_e32 v45, v63, v102
	v_pk_add_f32 v[26:27], v[110:111], v[192:193]
	v_pk_add_f32 v[110:111], v[48:49], v[44:45]
	ds_read_b128 v[44:47], v206 offset:512
	v_min_f32_e32 v49, v63, v83
	v_min_f32_e32 v48, v62, v82
	v_pk_add_f32 v[42:43], v[42:43], v[48:49]
	ds_read_b128 v[48:51], v206 offset:640
	s_waitcnt lgkmcnt(1)
	v_max_f32_e32 v62, v44, v44
	v_max_f32_e32 v63, v45, v45
	v_min_f32_e32 v44, v62, v96
	v_min_f32_e32 v45, v63, v94
	v_pk_add_f32 v[36:37], v[36:37], v[44:45]
	v_min_f32_e32 v44, v62, v99
	v_min_f32_e32 v45, v63, v98
	v_pk_add_f32 v[38:39], v[38:39], v[44:45]
	;; [unrolled: 3-line block ×3, first 2 shown]
	v_min_f32_e32 v45, v63, v83
	v_min_f32_e32 v44, v62, v82
	s_waitcnt lgkmcnt(0)
	v_max_f32_e32 v48, v48, v48
	v_max_f32_e32 v49, v49, v49
	v_pk_add_f32 v[34:35], v[34:35], v[44:45]
	v_min_f32_e32 v44, v48, v96
	v_min_f32_e32 v45, v49, v94
	v_pk_add_f32 v[28:29], v[28:29], v[44:45]
	v_min_f32_e32 v44, v48, v99
	v_min_f32_e32 v45, v49, v98
	;; [unrolled: 3-line block ×4, first 2 shown]
	v_pk_add_f32 v[112:113], v[112:113], v[152:153]
	v_pk_add_f32 v[26:27], v[26:27], v[44:45]
	v_max_f32_e32 v44, v12, v12
	v_max_f32_e32 v45, v13, v13
	v_pk_add_f32 v[24:25], v[112:113], v[196:197]
	v_min_f32_e32 v12, v44, v96
	v_min_f32_e32 v13, v45, v94
	v_pk_add_f32 v[12:13], v[24:25], v[12:13]
	v_min_f32_e32 v24, v44, v99
	v_min_f32_e32 v25, v45, v98
	;; [unrolled: 3-line block ×4, first 2 shown]
	v_pk_add_f32 v[16:17], v[116:117], v[186:187]
	v_pk_add_f32 v[20:21], v[20:21], v[24:25]
	v_min_f32_e32 v25, v95, v83
	v_min_f32_e32 v24, v97, v82
	;; [unrolled: 1-line block ×4, first 2 shown]
	v_pk_add_f32 v[16:17], v[16:17], v[24:25]
	v_max_f32_e32 v24, v3, v3
	v_max_f32_e32 v7, v7, v7
	;; [unrolled: 1-line block ×4, first 2 shown]
	v_pk_add_f32 v[0:1], v[118:119], v[0:1]
	v_min_f32_e32 v3, v7, v24
	v_min_f32_e32 v2, v6, v25
	v_pk_add_f32 v[98:99], v[0:1], v[2:3]
	v_max_f32_e32 v2, v11, v11
	v_max_f32_e32 v3, v10, v10
	v_min_f32_e32 v1, v7, v2
	v_min_f32_e32 v0, v6, v3
	v_pk_add_f32 v[82:83], v[4:5], v[0:1]
	v_max_f32_e32 v4, v89, v89
	v_max_f32_e32 v5, v88, v88
	;; [unrolled: 5-line block ×3, first 2 shown]
	v_min_f32_e32 v0, v8, v25
	v_min_f32_e32 v1, v9, v24
	v_pk_add_f32 v[114:115], v[76:77], v[0:1]
	v_min_f32_e32 v0, v8, v3
	v_min_f32_e32 v1, v9, v2
	v_pk_add_f32 v[96:97], v[78:79], v[0:1]
	v_min_f32_e32 v0, v8, v5
	v_min_f32_e32 v1, v9, v4
	v_max_f32_e32 v10, v85, v85
	v_pk_add_f32 v[80:81], v[74:75], v[0:1]
	v_min_f32_e32 v1, v9, v10
	v_max_f32_e32 v9, v84, v84
	v_min_f32_e32 v0, v8, v9
	v_max_f32_e32 v8, v92, v92
	v_max_f32_e32 v11, v93, v93
	v_pk_add_f32 v[62:63], v[86:87], v[0:1]
	v_min_f32_e32 v0, v8, v25
	v_min_f32_e32 v1, v11, v24
	v_pk_add_f32 v[102:103], v[60:61], v[0:1]
	v_min_f32_e32 v0, v8, v3
	v_min_f32_e32 v1, v11, v2
	v_pk_add_f32 v[94:95], v[90:91], v[0:1]
	v_min_f32_e32 v0, v8, v5
	v_min_f32_e32 v1, v11, v4
	v_pk_add_f32 v[78:79], v[104:105], v[0:1]
	v_min_f32_e32 v1, v11, v10
	v_min_f32_e32 v0, v8, v9
	v_max_f32_e32 v8, v66, v66
	v_max_f32_e32 v11, v67, v67
	v_pk_add_f32 v[60:61], v[58:59], v[0:1]
	v_min_f32_e32 v0, v8, v25
	v_min_f32_e32 v1, v11, v24
	v_pk_add_f32 v[104:105], v[52:53], v[0:1]
	v_min_f32_e32 v0, v8, v3
	v_min_f32_e32 v1, v11, v2
	v_pk_add_f32 v[92:93], v[54:55], v[0:1]
	v_min_f32_e32 v0, v8, v5
	v_min_f32_e32 v1, v11, v4
	v_pk_add_f32 v[76:77], v[56:57], v[0:1]
	v_min_f32_e32 v1, v11, v10
	;; [unrolled: 14-line block ×6, first 2 shown]
	v_min_f32_e32 v0, v8, v9
	v_pk_add_f32 v[50:51], v[20:21], v[0:1]
	v_min_f32_e32 v1, v7, v10
	v_min_f32_e32 v0, v6, v9
	s_add_i32 s28, s28, 8
	v_pk_add_f32 v[48:49], v[16:17], v[0:1]
	s_cmp_ge_i32 s28, s35
	v_lshl_add_u64 v[100:101], v[100:101], 0, 32
	ds_write_b32 v207, v212
	ds_write2st64_b32 v208, v211, v213 offset1:4
	s_waitcnt lgkmcnt(0)
	s_barrier
	s_cbranch_scc1 .LBB99_34
.LBB99_22:                              ; =>This Inner Loop Header: Depth=1
	v_add_u32_e32 v116, s28, v200
	v_add_u32_e32 v0, 8, v116
	v_cmp_gt_i32_e64 s[6:7], s22, v0
	s_and_b64 s[6:7], s[6:7], vcc
	s_and_b64 s[6:7], s[18:19], s[6:7]
	v_mov_b32_e32 v118, 0
	s_and_saveexec_b64 s[14:15], s[6:7]
	s_cbranch_execz .LBB99_24
; %bb.23:                               ;   in Loop: Header=BB99_22 Depth=1
	v_add_co_u32_e64 v0, s[6:7], -16, v100
	s_nop 1
	v_addc_co_u32_e64 v1, s[6:7], -1, v101, s[6:7]
	flat_load_dword v0, v[0:1]
	s_waitcnt vmcnt(0) lgkmcnt(0)
	v_mul_f32_e32 v118, s17, v0
.LBB99_24:                              ;   in Loop: Header=BB99_22 Depth=1
	s_or_b64 exec, exec, s[14:15]
	v_add_u32_e32 v117, s28, v201
	v_add_u32_e32 v0, 8, v117
	v_cmp_le_i32_e64 s[6:7], s22, v0
	v_min_i32_e32 v0, s34, v0
	v_mad_i64_i32 v[0:1], s[14:15], v0, s23, 0
	s_or_b64 s[14:15], s[2:3], s[6:7]
	v_lshl_add_u64 v[0:1], v[0:1], 2, s[26:27]
	s_or_b64 s[14:15], s[14:15], s[8:9]
	s_xor_b64 s[36:37], s[14:15], -1
	v_mov_b32_e32 v119, 0
	v_lshl_add_u64 v[0:1], v[72:73], 2, v[0:1]
	v_mov_b32_e32 v120, 0
	s_and_saveexec_b64 s[14:15], s[36:37]
	s_cbranch_execz .LBB99_26
; %bb.25:                               ;   in Loop: Header=BB99_22 Depth=1
	flat_load_dword v2, v[0:1]
	s_waitcnt vmcnt(0) lgkmcnt(0)
	v_mul_f32_e32 v120, s17, v2
.LBB99_26:                              ;   in Loop: Header=BB99_22 Depth=1
	s_or_b64 exec, exec, s[14:15]
	s_or_b64 s[6:7], s[4:5], s[6:7]
	s_or_b64 s[6:7], s[6:7], s[8:9]
	s_xor_b64 s[14:15], s[6:7], -1
	s_and_saveexec_b64 s[6:7], s[14:15]
	s_cbranch_execz .LBB99_28
; %bb.27:                               ;   in Loop: Header=BB99_22 Depth=1
	flat_load_dword v0, v[0:1] offset:256
	s_waitcnt vmcnt(0) lgkmcnt(0)
	v_mul_f32_e32 v119, s17, v0
.LBB99_28:                              ;   in Loop: Header=BB99_22 Depth=1
	s_or_b64 exec, exec, s[6:7]
	ds_read_b128 v[40:43], v210
	ds_read_b128 v[36:39], v210 offset:512
	ds_read_b128 v[24:27], v210 offset:1536
	;; [unrolled: 1-line block ×3, first 2 shown]
	ds_read_b128 v[28:31], v209
	ds_read_b128 v[20:23], v209 offset:128
	ds_read_b128 v[16:19], v209 offset:256
	;; [unrolled: 1-line block ×7, first 2 shown]
	v_add_u32_e32 v116, 12, v116
	v_cmp_gt_i32_e64 s[6:7], s22, v116
	s_and_b64 s[6:7], s[6:7], vcc
	s_and_b64 s[14:15], s[18:19], s[6:7]
	v_mov_b32_e32 v211, 0
	v_mov_b32_e32 v212, 0
	ds_write_b32 v205, v118
	ds_write2st64_b32 v204, v120, v119 offset1:4
	s_waitcnt lgkmcnt(0)
	s_barrier
	s_and_saveexec_b64 s[6:7], s[14:15]
	s_cbranch_execz .LBB99_30
; %bb.29:                               ;   in Loop: Header=BB99_22 Depth=1
	flat_load_dword v116, v[100:101]
	s_waitcnt vmcnt(0) lgkmcnt(0)
	v_mul_f32_e32 v212, s17, v116
.LBB99_30:                              ;   in Loop: Header=BB99_22 Depth=1
	s_or_b64 exec, exec, s[6:7]
	v_add_u32_e32 v116, 12, v117
	v_cmp_le_i32_e64 s[6:7], s22, v116
	v_min_i32_e32 v116, s34, v116
	v_mad_i64_i32 v[116:117], s[14:15], v116, s23, 0
	s_or_b64 s[14:15], s[2:3], s[6:7]
	v_lshl_add_u64 v[116:117], v[116:117], 2, s[26:27]
	s_or_b64 s[14:15], s[14:15], s[8:9]
	s_xor_b64 s[36:37], s[14:15], -1
	v_lshl_add_u64 v[116:117], v[72:73], 2, v[116:117]
	s_and_saveexec_b64 s[14:15], s[36:37]
	s_cbranch_execz .LBB99_32
; %bb.31:                               ;   in Loop: Header=BB99_22 Depth=1
	flat_load_dword v118, v[116:117]
	s_waitcnt vmcnt(0) lgkmcnt(0)
	v_mul_f32_e32 v211, s17, v118
.LBB99_32:                              ;   in Loop: Header=BB99_22 Depth=1
	s_or_b64 exec, exec, s[14:15]
	v_max_f32_e32 v150, v41, v41
	v_max_f32_e32 v156, v45, v45
	v_max_f32_e32 v151, v40, v40
	v_max_f32_e32 v158, v44, v44
	v_max_f32_e32 v154, v37, v37
	v_max_f32_e32 v155, v36, v36
	v_max_f32_e32 v157, v33, v33
	v_max_f32_e32 v159, v32, v32
	v_max_f32_e32 v120, v28, v28
	v_max_f32_e32 v121, v29, v29
	v_max_f32_e32 v160, v25, v25
	v_max_f32_e32 v161, v24, v24
	v_max_f32_e32 v124, v20, v20
	v_max_f32_e32 v125, v21, v21
	v_max_f32_e32 v130, v16, v16
	v_max_f32_e32 v131, v17, v17
	v_max_f32_e32 v136, v12, v12
	v_max_f32_e32 v137, v13, v13
	v_max_f32_e32 v142, v8, v8
	v_max_f32_e32 v143, v9, v9
	v_max_f32_e32 v148, v4, v4
	v_max_f32_e32 v149, v5, v5
	v_max_f32_e32 v162, v0, v0
	v_max_f32_e32 v163, v1, v1
	v_max_f32_e32 v186, v43, v43
	v_max_f32_e32 v194, v42, v42
	v_max_f32_e32 v195, v39, v39
	v_max_f32_e32 v214, v38, v38
	v_max_f32_e32 v215, v35, v35
	v_max_f32_e32 v216, v34, v34
	v_max_f32_e32 v217, v27, v27
	v_max_f32_e32 v218, v26, v26
	v_max_f32_e32 v6, v6, v6
	v_max_f32_e32 v7, v7, v7
	s_or_b64 s[6:7], s[4:5], s[6:7]
	v_min_f32_e32 v41, v156, v150
	v_min_f32_e32 v40, v158, v151
	;; [unrolled: 1-line block ×62, first 2 shown]
	v_max_f32_e32 v187, v47, v47
	v_max_f32_e32 v213, v46, v46
	;; [unrolled: 1-line block ×12, first 2 shown]
	v_min_f32_e32 v190, v6, v194
	v_min_f32_e32 v191, v7, v186
	;; [unrolled: 1-line block ×8, first 2 shown]
	v_max_f32_e32 v6, v2, v2
	v_max_f32_e32 v7, v3, v3
	s_or_b64 s[6:7], s[6:7], s[8:9]
	v_min_f32_e32 v32, v158, v159
	v_min_f32_e32 v0, v162, v159
	;; [unrolled: 1-line block ×58, first 2 shown]
	s_xor_b64 s[14:15], s[6:7], -1
	v_mov_b32_e32 v213, 0
	s_and_saveexec_b64 s[6:7], s[14:15]
	s_cbranch_execz .LBB99_21
; %bb.33:                               ;   in Loop: Header=BB99_22 Depth=1
	flat_load_dword v116, v[116:117] offset:256
	s_waitcnt vmcnt(0) lgkmcnt(0)
	v_mul_f32_e32 v213, s17, v116
	s_branch .LBB99_21
.LBB99_34:
	s_load_dwordx2 s[2:3], s[0:1], 0x78
	s_load_dword s29, s[0:1], 0x58
	s_load_dword s28, s[0:1], 0x70
	ds_read_b128 v[44:47], v203 offset:2048
	ds_read_b128 v[40:43], v203 offset:2560
	;; [unrolled: 1-line block ×12, first 2 shown]
	v_add_u32_e32 v120, s33, v199
	s_waitcnt lgkmcnt(0)
	s_mul_i32 s1, s16, s3
	s_mul_hi_u32 s3, s16, s2
	s_mul_i32 s0, s16, s2
	s_add_i32 s1, s3, s1
	s_lshl_b64 s[0:1], s[0:1], 2
	s_add_u32 s22, s10, s0
	s_addc_u32 s23, s11, s1
	v_mad_i64_i32 v[100:101], s[0:1], v120, s29, 0
	v_add_u32_e32 v72, s31, v198
	v_lshl_add_u64 v[118:119], v[100:101], 2, s[24:25]
	v_mad_i64_i32 v[100:101], s[0:1], v120, s28, 0
	v_cmp_gt_i32_e64 s[18:19], s21, v120
	v_lshl_add_u64 v[116:117], v[100:101], 2, s[22:23]
	v_cmp_gt_i32_e64 s[2:3], s20, v72
	v_cndmask_b32_e64 v100, 0, 1, s[12:13]
	s_and_b64 s[6:7], s[2:3], s[18:19]
	v_ashrrev_i32_e32 v73, 31, v72
	v_cmp_ne_u32_e64 s[0:1], 1, v100
	s_and_saveexec_b64 s[4:5], s[6:7]
	s_cbranch_execz .LBB99_39
; %bb.35:
	s_and_b64 vcc, exec, s[0:1]
	s_cbranch_vccnz .LBB99_37
; %bb.36:
	v_lshl_add_u64 v[100:101], v[72:73], 2, v[118:119]
	flat_load_dword v100, v[100:101]
	s_waitcnt vmcnt(0) lgkmcnt(0)
	v_mul_f32_e32 v100, s30, v100
	s_branch .LBB99_38
.LBB99_37:
	v_mov_b32_e32 v100, 0
.LBB99_38:
	v_max_f32_e32 v101, v44, v44
	v_max_f32_e32 v121, v32, v32
	v_min_f32_e32 v122, v121, v101
	v_max_f32_e32 v101, v45, v45
	v_max_f32_e32 v121, v33, v33
	v_min_f32_e32 v123, v121, v101
	v_max_f32_e32 v101, v46, v46
	v_max_f32_e32 v121, v34, v34
	v_pk_add_f32 v[114:115], v[114:115], v[122:123]
	v_min_f32_e32 v122, v121, v101
	v_max_f32_e32 v101, v47, v47
	v_max_f32_e32 v121, v35, v35
	v_min_f32_e32 v123, v121, v101
	v_pk_add_f32 v[114:115], v[114:115], v[122:123]
	s_nop 0
	v_add_f32_e32 v101, v114, v115
	v_add_f32_e32 v114, v101, v100
	v_lshl_add_u64 v[100:101], v[72:73], 2, v[116:117]
	global_store_dword v[100:101], v114, off
.LBB99_39:
	s_or_b64 exec, exec, s[4:5]
	v_add_u32_e32 v100, 8, v72
	v_cmp_gt_i32_e64 s[4:5], s20, v100
	s_and_b64 s[8:9], s[4:5], s[18:19]
	v_ashrrev_i32_e32 v101, 31, v100
	s_and_saveexec_b64 s[6:7], s[8:9]
	s_cbranch_execz .LBB99_44
; %bb.40:
	s_and_b64 vcc, exec, s[0:1]
	s_cbranch_vccnz .LBB99_42
; %bb.41:
	v_lshl_add_u64 v[114:115], v[100:101], 2, v[118:119]
	flat_load_dword v114, v[114:115]
	s_waitcnt vmcnt(0) lgkmcnt(0)
	v_mul_f32_e32 v114, s30, v114
	s_branch .LBB99_43
.LBB99_42:
	v_mov_b32_e32 v114, 0
.LBB99_43:
	v_max_f32_e32 v115, v44, v44
	v_max_f32_e32 v121, v28, v28
	v_min_f32_e32 v122, v121, v115
	v_max_f32_e32 v115, v45, v45
	v_max_f32_e32 v121, v29, v29
	v_min_f32_e32 v123, v121, v115
	v_max_f32_e32 v115, v46, v46
	v_max_f32_e32 v121, v30, v30
	v_pk_add_f32 v[102:103], v[102:103], v[122:123]
	v_min_f32_e32 v122, v121, v115
	v_max_f32_e32 v115, v47, v47
	v_max_f32_e32 v121, v31, v31
	v_min_f32_e32 v123, v121, v115
	v_pk_add_f32 v[102:103], v[102:103], v[122:123]
	s_nop 0
	v_add_f32_e32 v102, v102, v103
	v_add_f32_e32 v114, v102, v114
	v_lshl_add_u64 v[102:103], v[100:101], 2, v[116:117]
	global_store_dword v[102:103], v114, off
.LBB99_44:
	s_or_b64 exec, exec, s[6:7]
	v_add_u32_e32 v102, 16, v72
	v_cmp_gt_i32_e64 s[6:7], s20, v102
	s_and_b64 s[10:11], s[6:7], s[18:19]
	v_ashrrev_i32_e32 v103, 31, v102
	;; [unrolled: 39-line block ×7, first 2 shown]
	s_and_saveexec_b64 s[18:19], s[26:27]
	s_cbranch_execz .LBB99_74
; %bb.70:
	s_and_b64 vcc, exec, s[0:1]
	s_cbranch_vccnz .LBB99_72
; %bb.71:
	v_lshl_add_u64 v[114:115], v[112:113], 2, v[118:119]
	flat_load_dword v114, v[114:115]
	s_waitcnt vmcnt(0) lgkmcnt(0)
	v_mul_f32_e32 v114, s30, v114
	s_branch .LBB99_73
.LBB99_72:
	v_mov_b32_e32 v114, 0
.LBB99_73:
	v_max_f32_e32 v45, v45, v45
	v_max_f32_e32 v115, v5, v5
	v_min_f32_e32 v45, v115, v45
	v_max_f32_e32 v44, v44, v44
	v_max_f32_e32 v115, v4, v4
	v_min_f32_e32 v44, v115, v44
	v_pk_add_f32 v[44:45], v[98:99], v[44:45]
	v_max_f32_e32 v47, v47, v47
	v_max_f32_e32 v98, v7, v7
	v_min_f32_e32 v47, v98, v47
	v_max_f32_e32 v46, v46, v46
	v_max_f32_e32 v98, v6, v6
	v_min_f32_e32 v46, v98, v46
	v_pk_add_f32 v[44:45], v[44:45], v[46:47]
	s_nop 0
	v_add_f32_e32 v44, v44, v45
	v_add_f32_e32 v46, v44, v114
	v_lshl_add_u64 v[44:45], v[112:113], 2, v[116:117]
	global_store_dword v[44:45], v46, off
.LBB99_74:
	s_or_b64 exec, exec, s[18:19]
	v_add_u32_e32 v98, 32, v120
	v_mad_i64_i32 v[44:45], s[26:27], v98, s29, 0
	v_cmp_gt_i32_e64 s[18:19], s21, v98
	v_lshl_add_u64 v[46:47], v[44:45], 2, s[24:25]
	v_mad_i64_i32 v[44:45], s[26:27], v98, s28, 0
	v_lshl_add_u64 v[44:45], v[44:45], 2, s[22:23]
	s_and_b64 s[34:35], s[2:3], s[18:19]
	s_and_saveexec_b64 s[26:27], s[34:35]
	s_cbranch_execnz .LBB99_82
; %bb.75:
	s_or_b64 exec, exec, s[26:27]
	s_and_b64 s[34:35], s[4:5], s[18:19]
	s_and_saveexec_b64 s[26:27], s[34:35]
	s_cbranch_execnz .LBB99_86
.LBB99_76:
	s_or_b64 exec, exec, s[26:27]
	s_and_b64 s[34:35], s[6:7], s[18:19]
	s_and_saveexec_b64 s[26:27], s[34:35]
	s_cbranch_execnz .LBB99_90
.LBB99_77:
	s_or_b64 exec, exec, s[26:27]
	s_and_b64 s[34:35], s[8:9], s[18:19]
	s_and_saveexec_b64 s[26:27], s[34:35]
	s_cbranch_execnz .LBB99_94
.LBB99_78:
	s_or_b64 exec, exec, s[26:27]
	s_and_b64 s[34:35], s[10:11], s[18:19]
	s_and_saveexec_b64 s[26:27], s[34:35]
	s_cbranch_execnz .LBB99_98
.LBB99_79:
	s_or_b64 exec, exec, s[26:27]
	s_and_b64 s[34:35], s[12:13], s[18:19]
	s_and_saveexec_b64 s[26:27], s[34:35]
	s_cbranch_execnz .LBB99_102
.LBB99_80:
	s_or_b64 exec, exec, s[26:27]
	s_and_b64 s[34:35], s[14:15], s[18:19]
	s_and_saveexec_b64 s[26:27], s[34:35]
	s_cbranch_execnz .LBB99_106
.LBB99_81:
	s_or_b64 exec, exec, s[26:27]
	s_and_b64 s[26:27], s[16:17], s[18:19]
	s_and_saveexec_b64 s[18:19], s[26:27]
	s_cbranch_execnz .LBB99_110
	s_branch .LBB99_114
.LBB99_82:
	s_and_b64 vcc, exec, s[0:1]
	s_cbranch_vccnz .LBB99_84
; %bb.83:
	v_lshl_add_u64 v[98:99], v[72:73], 2, v[46:47]
	flat_load_dword v98, v[98:99]
	s_waitcnt vmcnt(0) lgkmcnt(0)
	v_mul_f32_e32 v98, s30, v98
	s_branch .LBB99_85
.LBB99_84:
	v_mov_b32_e32 v98, 0
.LBB99_85:
	v_max_f32_e32 v99, v40, v40
	v_max_f32_e32 v114, v32, v32
	v_min_f32_e32 v114, v114, v99
	v_max_f32_e32 v99, v41, v41
	v_max_f32_e32 v115, v33, v33
	v_min_f32_e32 v115, v115, v99
	v_pk_add_f32 v[96:97], v[96:97], v[114:115]
	v_max_f32_e32 v99, v42, v42
	v_max_f32_e32 v114, v34, v34
	v_min_f32_e32 v114, v114, v99
	v_max_f32_e32 v99, v43, v43
	v_max_f32_e32 v115, v35, v35
	v_min_f32_e32 v115, v115, v99
	v_pk_add_f32 v[96:97], v[96:97], v[114:115]
	s_nop 0
	v_add_f32_e32 v96, v96, v97
	v_add_f32_e32 v98, v96, v98
	v_lshl_add_u64 v[96:97], v[72:73], 2, v[44:45]
	global_store_dword v[96:97], v98, off
	s_or_b64 exec, exec, s[26:27]
	s_and_b64 s[34:35], s[4:5], s[18:19]
	s_and_saveexec_b64 s[26:27], s[34:35]
	s_cbranch_execz .LBB99_76
.LBB99_86:
	s_and_b64 vcc, exec, s[0:1]
	s_cbranch_vccnz .LBB99_88
; %bb.87:
	v_lshl_add_u64 v[96:97], v[100:101], 2, v[46:47]
	flat_load_dword v96, v[96:97]
	s_waitcnt vmcnt(0) lgkmcnt(0)
	v_mul_f32_e32 v96, s30, v96
	s_branch .LBB99_89
.LBB99_88:
	v_mov_b32_e32 v96, 0
.LBB99_89:
	v_max_f32_e32 v97, v40, v40
	v_max_f32_e32 v98, v28, v28
	v_min_f32_e32 v98, v98, v97
	v_max_f32_e32 v97, v41, v41
	v_max_f32_e32 v99, v29, v29
	v_min_f32_e32 v99, v99, v97
	v_pk_add_f32 v[94:95], v[94:95], v[98:99]
	v_max_f32_e32 v97, v42, v42
	v_max_f32_e32 v98, v30, v30
	v_min_f32_e32 v98, v98, v97
	v_max_f32_e32 v97, v43, v43
	v_max_f32_e32 v99, v31, v31
	v_min_f32_e32 v99, v99, v97
	v_pk_add_f32 v[94:95], v[94:95], v[98:99]
	s_nop 0
	v_add_f32_e32 v94, v94, v95
	v_add_f32_e32 v96, v94, v96
	v_lshl_add_u64 v[94:95], v[100:101], 2, v[44:45]
	global_store_dword v[94:95], v96, off
	s_or_b64 exec, exec, s[26:27]
	s_and_b64 s[34:35], s[6:7], s[18:19]
	s_and_saveexec_b64 s[26:27], s[34:35]
	s_cbranch_execz .LBB99_77
.LBB99_90:
	s_and_b64 vcc, exec, s[0:1]
	s_cbranch_vccnz .LBB99_92
; %bb.91:
	v_lshl_add_u64 v[94:95], v[102:103], 2, v[46:47]
	flat_load_dword v94, v[94:95]
	s_waitcnt vmcnt(0) lgkmcnt(0)
	v_mul_f32_e32 v94, s30, v94
	s_branch .LBB99_93
.LBB99_92:
	v_mov_b32_e32 v94, 0
.LBB99_93:
	v_max_f32_e32 v95, v40, v40
	v_max_f32_e32 v96, v24, v24
	v_min_f32_e32 v96, v96, v95
	v_max_f32_e32 v95, v41, v41
	v_max_f32_e32 v97, v25, v25
	v_min_f32_e32 v97, v97, v95
	v_pk_add_f32 v[92:93], v[92:93], v[96:97]
	v_max_f32_e32 v95, v42, v42
	v_max_f32_e32 v96, v26, v26
	v_min_f32_e32 v96, v96, v95
	v_max_f32_e32 v95, v43, v43
	v_max_f32_e32 v97, v27, v27
	v_min_f32_e32 v97, v97, v95
	v_pk_add_f32 v[92:93], v[92:93], v[96:97]
	s_nop 0
	v_add_f32_e32 v92, v92, v93
	v_add_f32_e32 v94, v92, v94
	v_lshl_add_u64 v[92:93], v[102:103], 2, v[44:45]
	global_store_dword v[92:93], v94, off
	s_or_b64 exec, exec, s[26:27]
	s_and_b64 s[34:35], s[8:9], s[18:19]
	s_and_saveexec_b64 s[26:27], s[34:35]
	s_cbranch_execz .LBB99_78
.LBB99_94:
	s_and_b64 vcc, exec, s[0:1]
	s_cbranch_vccnz .LBB99_96
; %bb.95:
	v_lshl_add_u64 v[92:93], v[104:105], 2, v[46:47]
	flat_load_dword v92, v[92:93]
	s_waitcnt vmcnt(0) lgkmcnt(0)
	v_mul_f32_e32 v92, s30, v92
	s_branch .LBB99_97
.LBB99_96:
	v_mov_b32_e32 v92, 0
.LBB99_97:
	v_max_f32_e32 v93, v40, v40
	v_max_f32_e32 v94, v20, v20
	v_min_f32_e32 v94, v94, v93
	v_max_f32_e32 v93, v41, v41
	v_max_f32_e32 v95, v21, v21
	v_min_f32_e32 v95, v95, v93
	v_pk_add_f32 v[90:91], v[90:91], v[94:95]
	v_max_f32_e32 v93, v42, v42
	v_max_f32_e32 v94, v22, v22
	v_min_f32_e32 v94, v94, v93
	v_max_f32_e32 v93, v43, v43
	v_max_f32_e32 v95, v23, v23
	v_min_f32_e32 v95, v95, v93
	v_pk_add_f32 v[90:91], v[90:91], v[94:95]
	s_nop 0
	v_add_f32_e32 v90, v90, v91
	v_add_f32_e32 v92, v90, v92
	v_lshl_add_u64 v[90:91], v[104:105], 2, v[44:45]
	global_store_dword v[90:91], v92, off
	s_or_b64 exec, exec, s[26:27]
	s_and_b64 s[34:35], s[10:11], s[18:19]
	s_and_saveexec_b64 s[26:27], s[34:35]
	s_cbranch_execz .LBB99_79
.LBB99_98:
	s_and_b64 vcc, exec, s[0:1]
	s_cbranch_vccnz .LBB99_100
; %bb.99:
	v_lshl_add_u64 v[90:91], v[106:107], 2, v[46:47]
	flat_load_dword v90, v[90:91]
	s_waitcnt vmcnt(0) lgkmcnt(0)
	v_mul_f32_e32 v90, s30, v90
	s_branch .LBB99_101
.LBB99_100:
	v_mov_b32_e32 v90, 0
.LBB99_101:
	v_max_f32_e32 v91, v40, v40
	v_max_f32_e32 v92, v16, v16
	v_min_f32_e32 v92, v92, v91
	v_max_f32_e32 v91, v41, v41
	v_max_f32_e32 v93, v17, v17
	v_min_f32_e32 v93, v93, v91
	v_pk_add_f32 v[88:89], v[88:89], v[92:93]
	v_max_f32_e32 v91, v42, v42
	v_max_f32_e32 v92, v18, v18
	v_min_f32_e32 v92, v92, v91
	v_max_f32_e32 v91, v43, v43
	v_max_f32_e32 v93, v19, v19
	v_min_f32_e32 v93, v93, v91
	v_pk_add_f32 v[88:89], v[88:89], v[92:93]
	s_nop 0
	v_add_f32_e32 v88, v88, v89
	v_add_f32_e32 v90, v88, v90
	v_lshl_add_u64 v[88:89], v[106:107], 2, v[44:45]
	global_store_dword v[88:89], v90, off
	s_or_b64 exec, exec, s[26:27]
	s_and_b64 s[34:35], s[12:13], s[18:19]
	s_and_saveexec_b64 s[26:27], s[34:35]
	s_cbranch_execz .LBB99_80
.LBB99_102:
	s_and_b64 vcc, exec, s[0:1]
	s_cbranch_vccnz .LBB99_104
; %bb.103:
	v_lshl_add_u64 v[88:89], v[108:109], 2, v[46:47]
	flat_load_dword v88, v[88:89]
	s_waitcnt vmcnt(0) lgkmcnt(0)
	v_mul_f32_e32 v88, s30, v88
	s_branch .LBB99_105
.LBB99_104:
	v_mov_b32_e32 v88, 0
.LBB99_105:
	v_max_f32_e32 v89, v40, v40
	v_max_f32_e32 v90, v12, v12
	v_min_f32_e32 v90, v90, v89
	v_max_f32_e32 v89, v41, v41
	v_max_f32_e32 v91, v13, v13
	v_min_f32_e32 v91, v91, v89
	v_pk_add_f32 v[86:87], v[86:87], v[90:91]
	v_max_f32_e32 v89, v42, v42
	v_max_f32_e32 v90, v14, v14
	v_min_f32_e32 v90, v90, v89
	v_max_f32_e32 v89, v43, v43
	v_max_f32_e32 v91, v15, v15
	v_min_f32_e32 v91, v91, v89
	v_pk_add_f32 v[86:87], v[86:87], v[90:91]
	s_nop 0
	v_add_f32_e32 v86, v86, v87
	v_add_f32_e32 v88, v86, v88
	v_lshl_add_u64 v[86:87], v[108:109], 2, v[44:45]
	global_store_dword v[86:87], v88, off
	s_or_b64 exec, exec, s[26:27]
	s_and_b64 s[34:35], s[14:15], s[18:19]
	s_and_saveexec_b64 s[26:27], s[34:35]
	s_cbranch_execz .LBB99_81
.LBB99_106:
	s_and_b64 vcc, exec, s[0:1]
	s_cbranch_vccnz .LBB99_108
; %bb.107:
	v_lshl_add_u64 v[86:87], v[110:111], 2, v[46:47]
	flat_load_dword v86, v[86:87]
	s_waitcnt vmcnt(0) lgkmcnt(0)
	v_mul_f32_e32 v86, s30, v86
	s_branch .LBB99_109
.LBB99_108:
	v_mov_b32_e32 v86, 0
.LBB99_109:
	v_max_f32_e32 v87, v40, v40
	v_max_f32_e32 v88, v8, v8
	v_min_f32_e32 v88, v88, v87
	v_max_f32_e32 v87, v41, v41
	v_max_f32_e32 v89, v9, v9
	v_min_f32_e32 v89, v89, v87
	v_pk_add_f32 v[84:85], v[84:85], v[88:89]
	v_max_f32_e32 v87, v42, v42
	v_max_f32_e32 v88, v10, v10
	v_min_f32_e32 v88, v88, v87
	v_max_f32_e32 v87, v43, v43
	v_max_f32_e32 v89, v11, v11
	v_min_f32_e32 v89, v89, v87
	v_pk_add_f32 v[84:85], v[84:85], v[88:89]
	s_nop 0
	v_add_f32_e32 v84, v84, v85
	v_add_f32_e32 v86, v84, v86
	v_lshl_add_u64 v[84:85], v[110:111], 2, v[44:45]
	global_store_dword v[84:85], v86, off
	s_or_b64 exec, exec, s[26:27]
	s_and_b64 s[26:27], s[16:17], s[18:19]
	s_and_saveexec_b64 s[18:19], s[26:27]
	s_cbranch_execz .LBB99_114
.LBB99_110:
	s_and_b64 vcc, exec, s[0:1]
	s_cbranch_vccnz .LBB99_112
; %bb.111:
	v_lshl_add_u64 v[46:47], v[112:113], 2, v[46:47]
	flat_load_dword v46, v[46:47]
	s_waitcnt vmcnt(0) lgkmcnt(0)
	v_mul_f32_e32 v46, s30, v46
	s_branch .LBB99_113
.LBB99_112:
	v_mov_b32_e32 v46, 0
.LBB99_113:
	v_max_f32_e32 v41, v41, v41
	v_max_f32_e32 v47, v5, v5
	v_min_f32_e32 v41, v47, v41
	v_max_f32_e32 v40, v40, v40
	v_max_f32_e32 v47, v4, v4
	v_min_f32_e32 v40, v47, v40
	;; [unrolled: 3-line block ×3, first 2 shown]
	v_max_f32_e32 v42, v42, v42
	v_max_f32_e32 v47, v6, v6
	v_pk_add_f32 v[40:41], v[82:83], v[40:41]
	v_min_f32_e32 v42, v47, v42
	v_pk_add_f32 v[40:41], v[40:41], v[42:43]
	s_nop 0
	v_add_f32_e32 v40, v40, v41
	v_add_f32_e32 v42, v40, v46
	v_lshl_add_u64 v[40:41], v[112:113], 2, v[44:45]
	global_store_dword v[40:41], v42, off
.LBB99_114:
	s_or_b64 exec, exec, s[18:19]
	v_add_u32_e32 v44, 64, v120
	v_mad_i64_i32 v[40:41], s[26:27], v44, s29, 0
	v_cmp_gt_i32_e64 s[18:19], s21, v44
	v_lshl_add_u64 v[42:43], v[40:41], 2, s[24:25]
	v_mad_i64_i32 v[40:41], s[26:27], v44, s28, 0
	v_lshl_add_u64 v[40:41], v[40:41], 2, s[22:23]
	s_and_b64 s[34:35], s[2:3], s[18:19]
	s_and_saveexec_b64 s[26:27], s[34:35]
	s_cbranch_execnz .LBB99_122
; %bb.115:
	s_or_b64 exec, exec, s[26:27]
	s_and_b64 s[34:35], s[4:5], s[18:19]
	s_and_saveexec_b64 s[26:27], s[34:35]
	s_cbranch_execnz .LBB99_126
.LBB99_116:
	s_or_b64 exec, exec, s[26:27]
	s_and_b64 s[34:35], s[6:7], s[18:19]
	s_and_saveexec_b64 s[26:27], s[34:35]
	s_cbranch_execnz .LBB99_130
.LBB99_117:
	s_or_b64 exec, exec, s[26:27]
	s_and_b64 s[34:35], s[8:9], s[18:19]
	s_and_saveexec_b64 s[26:27], s[34:35]
	s_cbranch_execnz .LBB99_134
.LBB99_118:
	s_or_b64 exec, exec, s[26:27]
	s_and_b64 s[34:35], s[10:11], s[18:19]
	s_and_saveexec_b64 s[26:27], s[34:35]
	s_cbranch_execnz .LBB99_138
.LBB99_119:
	s_or_b64 exec, exec, s[26:27]
	s_and_b64 s[34:35], s[12:13], s[18:19]
	s_and_saveexec_b64 s[26:27], s[34:35]
	s_cbranch_execnz .LBB99_142
.LBB99_120:
	s_or_b64 exec, exec, s[26:27]
	s_and_b64 s[34:35], s[14:15], s[18:19]
	s_and_saveexec_b64 s[26:27], s[34:35]
	s_cbranch_execnz .LBB99_146
.LBB99_121:
	s_or_b64 exec, exec, s[26:27]
	s_and_b64 s[26:27], s[16:17], s[18:19]
	s_and_saveexec_b64 s[18:19], s[26:27]
	s_cbranch_execnz .LBB99_150
	s_branch .LBB99_154
.LBB99_122:
	s_and_b64 vcc, exec, s[0:1]
	s_cbranch_vccnz .LBB99_124
; %bb.123:
	v_lshl_add_u64 v[44:45], v[72:73], 2, v[42:43]
	flat_load_dword v44, v[44:45]
	s_waitcnt vmcnt(0) lgkmcnt(0)
	v_mul_f32_e32 v44, s30, v44
	s_branch .LBB99_125
.LBB99_124:
	v_mov_b32_e32 v44, 0
.LBB99_125:
	v_max_f32_e32 v45, v36, v36
	v_max_f32_e32 v46, v32, v32
	v_min_f32_e32 v46, v46, v45
	v_max_f32_e32 v45, v37, v37
	v_max_f32_e32 v47, v33, v33
	v_min_f32_e32 v47, v47, v45
	v_pk_add_f32 v[46:47], v[80:81], v[46:47]
	v_max_f32_e32 v45, v38, v38
	v_max_f32_e32 v80, v34, v34
	v_min_f32_e32 v80, v80, v45
	v_max_f32_e32 v45, v39, v39
	v_max_f32_e32 v81, v35, v35
	v_min_f32_e32 v81, v81, v45
	v_pk_add_f32 v[46:47], v[46:47], v[80:81]
	s_nop 0
	v_add_f32_e32 v45, v46, v47
	v_add_f32_e32 v46, v45, v44
	v_lshl_add_u64 v[44:45], v[72:73], 2, v[40:41]
	global_store_dword v[44:45], v46, off
	s_or_b64 exec, exec, s[26:27]
	s_and_b64 s[34:35], s[4:5], s[18:19]
	s_and_saveexec_b64 s[26:27], s[34:35]
	s_cbranch_execz .LBB99_116
.LBB99_126:
	s_and_b64 vcc, exec, s[0:1]
	s_cbranch_vccnz .LBB99_128
; %bb.127:
	v_lshl_add_u64 v[44:45], v[100:101], 2, v[42:43]
	flat_load_dword v44, v[44:45]
	s_waitcnt vmcnt(0) lgkmcnt(0)
	v_mul_f32_e32 v44, s30, v44
	s_branch .LBB99_129
.LBB99_128:
	v_mov_b32_e32 v44, 0
.LBB99_129:
	v_max_f32_e32 v45, v36, v36
	v_max_f32_e32 v46, v28, v28
	v_min_f32_e32 v46, v46, v45
	v_max_f32_e32 v45, v37, v37
	v_max_f32_e32 v47, v29, v29
	v_min_f32_e32 v47, v47, v45
	v_pk_add_f32 v[46:47], v[78:79], v[46:47]
	v_max_f32_e32 v45, v38, v38
	v_max_f32_e32 v78, v30, v30
	v_min_f32_e32 v78, v78, v45
	v_max_f32_e32 v45, v39, v39
	v_max_f32_e32 v79, v31, v31
	v_min_f32_e32 v79, v79, v45
	v_pk_add_f32 v[46:47], v[46:47], v[78:79]
	s_nop 0
	v_add_f32_e32 v45, v46, v47
	v_add_f32_e32 v46, v45, v44
	v_lshl_add_u64 v[44:45], v[100:101], 2, v[40:41]
	global_store_dword v[44:45], v46, off
	s_or_b64 exec, exec, s[26:27]
	s_and_b64 s[34:35], s[6:7], s[18:19]
	s_and_saveexec_b64 s[26:27], s[34:35]
	s_cbranch_execz .LBB99_117
.LBB99_130:
	s_and_b64 vcc, exec, s[0:1]
	s_cbranch_vccnz .LBB99_132
; %bb.131:
	v_lshl_add_u64 v[44:45], v[102:103], 2, v[42:43]
	flat_load_dword v44, v[44:45]
	s_waitcnt vmcnt(0) lgkmcnt(0)
	v_mul_f32_e32 v44, s30, v44
	s_branch .LBB99_133
.LBB99_132:
	v_mov_b32_e32 v44, 0
.LBB99_133:
	v_max_f32_e32 v45, v36, v36
	v_max_f32_e32 v46, v24, v24
	v_min_f32_e32 v46, v46, v45
	v_max_f32_e32 v45, v37, v37
	v_max_f32_e32 v47, v25, v25
	v_min_f32_e32 v47, v47, v45
	v_pk_add_f32 v[46:47], v[76:77], v[46:47]
	v_max_f32_e32 v45, v38, v38
	v_max_f32_e32 v76, v26, v26
	v_min_f32_e32 v76, v76, v45
	v_max_f32_e32 v45, v39, v39
	v_max_f32_e32 v77, v27, v27
	v_min_f32_e32 v77, v77, v45
	v_pk_add_f32 v[46:47], v[46:47], v[76:77]
	s_nop 0
	v_add_f32_e32 v45, v46, v47
	v_add_f32_e32 v46, v45, v44
	v_lshl_add_u64 v[44:45], v[102:103], 2, v[40:41]
	global_store_dword v[44:45], v46, off
	s_or_b64 exec, exec, s[26:27]
	s_and_b64 s[34:35], s[8:9], s[18:19]
	s_and_saveexec_b64 s[26:27], s[34:35]
	s_cbranch_execz .LBB99_118
.LBB99_134:
	s_and_b64 vcc, exec, s[0:1]
	s_cbranch_vccnz .LBB99_136
; %bb.135:
	v_lshl_add_u64 v[44:45], v[104:105], 2, v[42:43]
	flat_load_dword v44, v[44:45]
	s_waitcnt vmcnt(0) lgkmcnt(0)
	v_mul_f32_e32 v44, s30, v44
	s_branch .LBB99_137
.LBB99_136:
	v_mov_b32_e32 v44, 0
.LBB99_137:
	v_max_f32_e32 v45, v36, v36
	v_max_f32_e32 v46, v20, v20
	v_min_f32_e32 v46, v46, v45
	v_max_f32_e32 v45, v37, v37
	v_max_f32_e32 v47, v21, v21
	v_min_f32_e32 v47, v47, v45
	v_pk_add_f32 v[46:47], v[74:75], v[46:47]
	v_max_f32_e32 v45, v38, v38
	v_max_f32_e32 v74, v22, v22
	v_min_f32_e32 v74, v74, v45
	v_max_f32_e32 v45, v39, v39
	v_max_f32_e32 v75, v23, v23
	v_min_f32_e32 v75, v75, v45
	v_pk_add_f32 v[46:47], v[46:47], v[74:75]
	s_nop 0
	v_add_f32_e32 v45, v46, v47
	v_add_f32_e32 v46, v45, v44
	v_lshl_add_u64 v[44:45], v[104:105], 2, v[40:41]
	global_store_dword v[44:45], v46, off
	s_or_b64 exec, exec, s[26:27]
	s_and_b64 s[34:35], s[10:11], s[18:19]
	s_and_saveexec_b64 s[26:27], s[34:35]
	s_cbranch_execz .LBB99_119
.LBB99_138:
	s_and_b64 vcc, exec, s[0:1]
	s_cbranch_vccnz .LBB99_140
; %bb.139:
	v_lshl_add_u64 v[44:45], v[106:107], 2, v[42:43]
	flat_load_dword v44, v[44:45]
	s_waitcnt vmcnt(0) lgkmcnt(0)
	v_mul_f32_e32 v44, s30, v44
	s_branch .LBB99_141
.LBB99_140:
	v_mov_b32_e32 v44, 0
.LBB99_141:
	v_max_f32_e32 v45, v36, v36
	v_max_f32_e32 v46, v16, v16
	v_min_f32_e32 v46, v46, v45
	v_max_f32_e32 v45, v37, v37
	v_max_f32_e32 v47, v17, v17
	v_min_f32_e32 v47, v47, v45
	v_pk_add_f32 v[46:47], v[70:71], v[46:47]
	v_max_f32_e32 v45, v38, v38
	v_max_f32_e32 v70, v18, v18
	v_min_f32_e32 v70, v70, v45
	v_max_f32_e32 v45, v39, v39
	v_max_f32_e32 v71, v19, v19
	v_min_f32_e32 v71, v71, v45
	v_pk_add_f32 v[46:47], v[46:47], v[70:71]
	s_nop 0
	v_add_f32_e32 v45, v46, v47
	v_add_f32_e32 v46, v45, v44
	v_lshl_add_u64 v[44:45], v[106:107], 2, v[40:41]
	global_store_dword v[44:45], v46, off
	s_or_b64 exec, exec, s[26:27]
	s_and_b64 s[34:35], s[12:13], s[18:19]
	s_and_saveexec_b64 s[26:27], s[34:35]
	s_cbranch_execz .LBB99_120
.LBB99_142:
	s_and_b64 vcc, exec, s[0:1]
	s_cbranch_vccnz .LBB99_144
; %bb.143:
	v_lshl_add_u64 v[44:45], v[108:109], 2, v[42:43]
	flat_load_dword v44, v[44:45]
	s_waitcnt vmcnt(0) lgkmcnt(0)
	v_mul_f32_e32 v44, s30, v44
	s_branch .LBB99_145
.LBB99_144:
	v_mov_b32_e32 v44, 0
.LBB99_145:
	v_max_f32_e32 v45, v36, v36
	v_max_f32_e32 v46, v12, v12
	v_min_f32_e32 v46, v46, v45
	v_max_f32_e32 v45, v37, v37
	v_max_f32_e32 v47, v13, v13
	v_min_f32_e32 v47, v47, v45
	v_pk_add_f32 v[46:47], v[68:69], v[46:47]
	v_max_f32_e32 v45, v38, v38
	v_max_f32_e32 v68, v14, v14
	v_min_f32_e32 v68, v68, v45
	v_max_f32_e32 v45, v39, v39
	v_max_f32_e32 v69, v15, v15
	v_min_f32_e32 v69, v69, v45
	v_pk_add_f32 v[46:47], v[46:47], v[68:69]
	s_nop 0
	v_add_f32_e32 v45, v46, v47
	v_add_f32_e32 v46, v45, v44
	v_lshl_add_u64 v[44:45], v[108:109], 2, v[40:41]
	global_store_dword v[44:45], v46, off
	s_or_b64 exec, exec, s[26:27]
	s_and_b64 s[34:35], s[14:15], s[18:19]
	s_and_saveexec_b64 s[26:27], s[34:35]
	s_cbranch_execz .LBB99_121
.LBB99_146:
	s_and_b64 vcc, exec, s[0:1]
	s_cbranch_vccnz .LBB99_148
; %bb.147:
	v_lshl_add_u64 v[44:45], v[110:111], 2, v[42:43]
	flat_load_dword v44, v[44:45]
	s_waitcnt vmcnt(0) lgkmcnt(0)
	v_mul_f32_e32 v44, s30, v44
	s_branch .LBB99_149
.LBB99_148:
	v_mov_b32_e32 v44, 0
.LBB99_149:
	v_max_f32_e32 v45, v36, v36
	v_max_f32_e32 v46, v8, v8
	v_min_f32_e32 v46, v46, v45
	v_max_f32_e32 v45, v37, v37
	v_max_f32_e32 v47, v9, v9
	v_min_f32_e32 v47, v47, v45
	v_pk_add_f32 v[46:47], v[66:67], v[46:47]
	v_max_f32_e32 v45, v38, v38
	v_max_f32_e32 v66, v10, v10
	v_min_f32_e32 v66, v66, v45
	v_max_f32_e32 v45, v39, v39
	v_max_f32_e32 v67, v11, v11
	v_min_f32_e32 v67, v67, v45
	v_pk_add_f32 v[46:47], v[46:47], v[66:67]
	s_nop 0
	v_add_f32_e32 v45, v46, v47
	v_add_f32_e32 v46, v45, v44
	v_lshl_add_u64 v[44:45], v[110:111], 2, v[40:41]
	global_store_dword v[44:45], v46, off
	s_or_b64 exec, exec, s[26:27]
	s_and_b64 s[26:27], s[16:17], s[18:19]
	s_and_saveexec_b64 s[18:19], s[26:27]
	s_cbranch_execz .LBB99_154
.LBB99_150:
	s_and_b64 vcc, exec, s[0:1]
	s_cbranch_vccnz .LBB99_152
; %bb.151:
	v_lshl_add_u64 v[42:43], v[112:113], 2, v[42:43]
	flat_load_dword v42, v[42:43]
	s_waitcnt vmcnt(0) lgkmcnt(0)
	v_mul_f32_e32 v42, s30, v42
	s_branch .LBB99_153
.LBB99_152:
	v_mov_b32_e32 v42, 0
.LBB99_153:
	v_max_f32_e32 v37, v37, v37
	v_max_f32_e32 v43, v5, v5
	v_min_f32_e32 v37, v43, v37
	v_max_f32_e32 v36, v36, v36
	v_max_f32_e32 v43, v4, v4
	v_min_f32_e32 v36, v43, v36
	;; [unrolled: 3-line block ×3, first 2 shown]
	v_max_f32_e32 v38, v38, v38
	v_max_f32_e32 v43, v6, v6
	v_pk_add_f32 v[36:37], v[64:65], v[36:37]
	v_min_f32_e32 v38, v43, v38
	v_pk_add_f32 v[36:37], v[36:37], v[38:39]
	s_nop 0
	v_add_f32_e32 v36, v36, v37
	v_add_f32_e32 v38, v36, v42
	v_lshl_add_u64 v[36:37], v[112:113], 2, v[40:41]
	global_store_dword v[36:37], v38, off
.LBB99_154:
	s_or_b64 exec, exec, s[18:19]
	v_add_u32_e32 v40, 0x60, v120
	v_cmp_gt_i32_e64 s[18:19], s21, v40
	v_mad_i64_i32 v[36:37], s[20:21], v40, s29, 0
	v_lshl_add_u64 v[38:39], v[36:37], 2, s[24:25]
	v_mad_i64_i32 v[36:37], s[20:21], v40, s28, 0
	v_lshl_add_u64 v[36:37], v[36:37], 2, s[22:23]
	s_and_b64 s[20:21], s[2:3], s[18:19]
	s_and_saveexec_b64 s[2:3], s[20:21]
	s_cbranch_execnz .LBB99_163
; %bb.155:
	s_or_b64 exec, exec, s[2:3]
	s_and_b64 s[4:5], s[4:5], s[18:19]
	s_and_saveexec_b64 s[2:3], s[4:5]
	s_cbranch_execnz .LBB99_167
.LBB99_156:
	s_or_b64 exec, exec, s[2:3]
	s_and_b64 s[4:5], s[6:7], s[18:19]
	s_and_saveexec_b64 s[2:3], s[4:5]
	s_cbranch_execnz .LBB99_171
.LBB99_157:
	s_or_b64 exec, exec, s[2:3]
	s_and_b64 s[4:5], s[8:9], s[18:19]
	s_and_saveexec_b64 s[2:3], s[4:5]
	s_cbranch_execnz .LBB99_175
.LBB99_158:
	s_or_b64 exec, exec, s[2:3]
	s_and_b64 s[4:5], s[10:11], s[18:19]
	s_and_saveexec_b64 s[2:3], s[4:5]
	s_cbranch_execnz .LBB99_179
.LBB99_159:
	s_or_b64 exec, exec, s[2:3]
	s_and_b64 s[4:5], s[12:13], s[18:19]
	s_and_saveexec_b64 s[2:3], s[4:5]
	s_cbranch_execnz .LBB99_183
.LBB99_160:
	s_or_b64 exec, exec, s[2:3]
	s_and_b64 s[4:5], s[14:15], s[18:19]
	s_and_saveexec_b64 s[2:3], s[4:5]
	s_cbranch_execnz .LBB99_187
.LBB99_161:
	s_or_b64 exec, exec, s[2:3]
	s_and_b64 s[2:3], s[16:17], s[18:19]
	s_and_saveexec_b64 s[4:5], s[2:3]
	s_cbranch_execnz .LBB99_191
.LBB99_162:
	s_endpgm
.LBB99_163:
	s_and_b64 vcc, exec, s[0:1]
	s_cbranch_vccnz .LBB99_165
; %bb.164:
	v_lshl_add_u64 v[40:41], v[72:73], 2, v[38:39]
	flat_load_dword v40, v[40:41]
	s_waitcnt vmcnt(0) lgkmcnt(0)
	v_mul_f32_e32 v40, s30, v40
	s_branch .LBB99_166
.LBB99_165:
	v_mov_b32_e32 v40, 0
.LBB99_166:
	v_max_f32_e32 v41, v1, v1
	v_max_f32_e32 v33, v33, v33
	v_min_f32_e32 v33, v33, v41
	v_max_f32_e32 v41, v0, v0
	v_max_f32_e32 v32, v32, v32
	v_min_f32_e32 v32, v32, v41
	;; [unrolled: 3-line block ×3, first 2 shown]
	v_max_f32_e32 v41, v2, v2
	v_max_f32_e32 v34, v34, v34
	v_pk_add_f32 v[32:33], v[62:63], v[32:33]
	v_min_f32_e32 v34, v34, v41
	v_pk_add_f32 v[32:33], v[32:33], v[34:35]
	s_nop 0
	v_add_f32_e32 v32, v32, v33
	v_add_f32_e32 v34, v32, v40
	v_lshl_add_u64 v[32:33], v[72:73], 2, v[36:37]
	global_store_dword v[32:33], v34, off
	s_or_b64 exec, exec, s[2:3]
	s_and_b64 s[4:5], s[4:5], s[18:19]
	s_and_saveexec_b64 s[2:3], s[4:5]
	s_cbranch_execz .LBB99_156
.LBB99_167:
	s_and_b64 vcc, exec, s[0:1]
	s_cbranch_vccnz .LBB99_169
; %bb.168:
	v_lshl_add_u64 v[32:33], v[100:101], 2, v[38:39]
	flat_load_dword v32, v[32:33]
	s_waitcnt vmcnt(0) lgkmcnt(0)
	v_mul_f32_e32 v32, s30, v32
	s_branch .LBB99_170
.LBB99_169:
	v_mov_b32_e32 v32, 0
.LBB99_170:
	v_max_f32_e32 v33, v1, v1
	v_max_f32_e32 v29, v29, v29
	v_min_f32_e32 v29, v29, v33
	v_max_f32_e32 v33, v0, v0
	v_max_f32_e32 v28, v28, v28
	v_min_f32_e32 v28, v28, v33
	v_max_f32_e32 v33, v3, v3
	v_max_f32_e32 v31, v31, v31
	v_min_f32_e32 v31, v31, v33
	v_max_f32_e32 v33, v2, v2
	v_max_f32_e32 v30, v30, v30
	v_pk_add_f32 v[28:29], v[60:61], v[28:29]
	v_min_f32_e32 v30, v30, v33
	v_pk_add_f32 v[28:29], v[28:29], v[30:31]
	s_nop 0
	v_add_f32_e32 v28, v28, v29
	v_add_f32_e32 v30, v28, v32
	v_lshl_add_u64 v[28:29], v[100:101], 2, v[36:37]
	global_store_dword v[28:29], v30, off
	s_or_b64 exec, exec, s[2:3]
	s_and_b64 s[4:5], s[6:7], s[18:19]
	s_and_saveexec_b64 s[2:3], s[4:5]
	s_cbranch_execz .LBB99_157
.LBB99_171:
	s_and_b64 vcc, exec, s[0:1]
	s_cbranch_vccnz .LBB99_173
; %bb.172:
	v_lshl_add_u64 v[28:29], v[102:103], 2, v[38:39]
	flat_load_dword v28, v[28:29]
	s_waitcnt vmcnt(0) lgkmcnt(0)
	v_mul_f32_e32 v28, s30, v28
	s_branch .LBB99_174
.LBB99_173:
	v_mov_b32_e32 v28, 0
.LBB99_174:
	v_max_f32_e32 v29, v1, v1
	v_max_f32_e32 v25, v25, v25
	v_min_f32_e32 v25, v25, v29
	v_max_f32_e32 v29, v0, v0
	v_max_f32_e32 v24, v24, v24
	v_min_f32_e32 v24, v24, v29
	;; [unrolled: 3-line block ×3, first 2 shown]
	v_max_f32_e32 v29, v2, v2
	v_max_f32_e32 v26, v26, v26
	v_pk_add_f32 v[24:25], v[58:59], v[24:25]
	v_min_f32_e32 v26, v26, v29
	v_pk_add_f32 v[24:25], v[24:25], v[26:27]
	s_nop 0
	v_add_f32_e32 v24, v24, v25
	v_add_f32_e32 v26, v24, v28
	v_lshl_add_u64 v[24:25], v[102:103], 2, v[36:37]
	global_store_dword v[24:25], v26, off
	s_or_b64 exec, exec, s[2:3]
	s_and_b64 s[4:5], s[8:9], s[18:19]
	s_and_saveexec_b64 s[2:3], s[4:5]
	s_cbranch_execz .LBB99_158
.LBB99_175:
	s_and_b64 vcc, exec, s[0:1]
	s_cbranch_vccnz .LBB99_177
; %bb.176:
	v_lshl_add_u64 v[24:25], v[104:105], 2, v[38:39]
	flat_load_dword v24, v[24:25]
	s_waitcnt vmcnt(0) lgkmcnt(0)
	v_mul_f32_e32 v24, s30, v24
	s_branch .LBB99_178
.LBB99_177:
	v_mov_b32_e32 v24, 0
.LBB99_178:
	v_max_f32_e32 v25, v1, v1
	v_max_f32_e32 v21, v21, v21
	v_min_f32_e32 v21, v21, v25
	v_max_f32_e32 v25, v0, v0
	v_max_f32_e32 v20, v20, v20
	v_min_f32_e32 v20, v20, v25
	;; [unrolled: 3-line block ×3, first 2 shown]
	v_max_f32_e32 v25, v2, v2
	v_max_f32_e32 v22, v22, v22
	v_pk_add_f32 v[20:21], v[56:57], v[20:21]
	v_min_f32_e32 v22, v22, v25
	v_pk_add_f32 v[20:21], v[20:21], v[22:23]
	s_nop 0
	v_add_f32_e32 v20, v20, v21
	v_add_f32_e32 v22, v20, v24
	v_lshl_add_u64 v[20:21], v[104:105], 2, v[36:37]
	global_store_dword v[20:21], v22, off
	s_or_b64 exec, exec, s[2:3]
	s_and_b64 s[4:5], s[10:11], s[18:19]
	s_and_saveexec_b64 s[2:3], s[4:5]
	s_cbranch_execz .LBB99_159
.LBB99_179:
	s_and_b64 vcc, exec, s[0:1]
	s_cbranch_vccnz .LBB99_181
; %bb.180:
	v_lshl_add_u64 v[20:21], v[106:107], 2, v[38:39]
	flat_load_dword v20, v[20:21]
	s_waitcnt vmcnt(0) lgkmcnt(0)
	v_mul_f32_e32 v20, s30, v20
	s_branch .LBB99_182
.LBB99_181:
	v_mov_b32_e32 v20, 0
.LBB99_182:
	v_max_f32_e32 v21, v1, v1
	v_max_f32_e32 v17, v17, v17
	v_min_f32_e32 v17, v17, v21
	v_max_f32_e32 v21, v0, v0
	v_max_f32_e32 v16, v16, v16
	v_min_f32_e32 v16, v16, v21
	;; [unrolled: 3-line block ×3, first 2 shown]
	v_max_f32_e32 v21, v2, v2
	v_max_f32_e32 v18, v18, v18
	v_pk_add_f32 v[16:17], v[54:55], v[16:17]
	v_min_f32_e32 v18, v18, v21
	v_pk_add_f32 v[16:17], v[16:17], v[18:19]
	s_nop 0
	v_add_f32_e32 v16, v16, v17
	v_add_f32_e32 v18, v16, v20
	v_lshl_add_u64 v[16:17], v[106:107], 2, v[36:37]
	global_store_dword v[16:17], v18, off
	s_or_b64 exec, exec, s[2:3]
	s_and_b64 s[4:5], s[12:13], s[18:19]
	s_and_saveexec_b64 s[2:3], s[4:5]
	s_cbranch_execz .LBB99_160
.LBB99_183:
	s_and_b64 vcc, exec, s[0:1]
	s_cbranch_vccnz .LBB99_185
; %bb.184:
	v_lshl_add_u64 v[16:17], v[108:109], 2, v[38:39]
	flat_load_dword v16, v[16:17]
	s_waitcnt vmcnt(0) lgkmcnt(0)
	v_mul_f32_e32 v16, s30, v16
	s_branch .LBB99_186
.LBB99_185:
	v_mov_b32_e32 v16, 0
.LBB99_186:
	v_max_f32_e32 v17, v1, v1
	v_max_f32_e32 v13, v13, v13
	v_min_f32_e32 v13, v13, v17
	v_max_f32_e32 v17, v0, v0
	v_max_f32_e32 v12, v12, v12
	v_min_f32_e32 v12, v12, v17
	;; [unrolled: 3-line block ×3, first 2 shown]
	v_max_f32_e32 v17, v2, v2
	v_max_f32_e32 v14, v14, v14
	v_pk_add_f32 v[12:13], v[52:53], v[12:13]
	v_min_f32_e32 v14, v14, v17
	v_pk_add_f32 v[12:13], v[12:13], v[14:15]
	s_nop 0
	v_add_f32_e32 v12, v12, v13
	v_add_f32_e32 v14, v12, v16
	v_lshl_add_u64 v[12:13], v[108:109], 2, v[36:37]
	global_store_dword v[12:13], v14, off
	s_or_b64 exec, exec, s[2:3]
	s_and_b64 s[4:5], s[14:15], s[18:19]
	s_and_saveexec_b64 s[2:3], s[4:5]
	s_cbranch_execz .LBB99_161
.LBB99_187:
	s_and_b64 vcc, exec, s[0:1]
	s_cbranch_vccnz .LBB99_189
; %bb.188:
	v_lshl_add_u64 v[12:13], v[110:111], 2, v[38:39]
	flat_load_dword v12, v[12:13]
	s_waitcnt vmcnt(0) lgkmcnt(0)
	v_mul_f32_e32 v12, s30, v12
	s_branch .LBB99_190
.LBB99_189:
	v_mov_b32_e32 v12, 0
.LBB99_190:
	v_max_f32_e32 v13, v1, v1
	v_max_f32_e32 v9, v9, v9
	v_min_f32_e32 v9, v9, v13
	v_max_f32_e32 v13, v0, v0
	v_max_f32_e32 v8, v8, v8
	v_min_f32_e32 v8, v8, v13
	;; [unrolled: 3-line block ×3, first 2 shown]
	v_max_f32_e32 v13, v2, v2
	v_max_f32_e32 v10, v10, v10
	v_pk_add_f32 v[8:9], v[50:51], v[8:9]
	v_min_f32_e32 v10, v10, v13
	v_pk_add_f32 v[8:9], v[8:9], v[10:11]
	s_nop 0
	v_add_f32_e32 v8, v8, v9
	v_add_f32_e32 v10, v8, v12
	v_lshl_add_u64 v[8:9], v[110:111], 2, v[36:37]
	global_store_dword v[8:9], v10, off
	s_or_b64 exec, exec, s[2:3]
	s_and_b64 s[2:3], s[16:17], s[18:19]
	s_and_saveexec_b64 s[4:5], s[2:3]
	s_cbranch_execz .LBB99_162
.LBB99_191:
	s_and_b64 vcc, exec, s[0:1]
	s_cbranch_vccnz .LBB99_193
; %bb.192:
	v_lshl_add_u64 v[8:9], v[112:113], 2, v[38:39]
	flat_load_dword v8, v[8:9]
	s_waitcnt vmcnt(0) lgkmcnt(0)
	v_mul_f32_e32 v8, s30, v8
	s_branch .LBB99_194
.LBB99_193:
	v_mov_b32_e32 v8, 0
.LBB99_194:
	v_max_f32_e32 v0, v0, v0
	v_max_f32_e32 v4, v4, v4
	;; [unrolled: 1-line block ×4, first 2 shown]
	v_min_f32_e32 v0, v4, v0
	v_max_f32_e32 v3, v3, v3
	v_max_f32_e32 v4, v7, v7
	v_min_f32_e32 v1, v5, v1
	v_min_f32_e32 v3, v4, v3
	v_max_f32_e32 v2, v2, v2
	v_max_f32_e32 v4, v6, v6
	v_pk_add_f32 v[0:1], v[48:49], v[0:1]
	v_min_f32_e32 v2, v4, v2
	v_pk_add_f32 v[0:1], v[0:1], v[2:3]
	s_nop 0
	v_add_f32_e32 v0, v0, v1
	v_add_f32_e32 v2, v0, v8
	v_lshl_add_u64 v[0:1], v[112:113], 2, v[36:37]
	global_store_dword v[0:1], v2, off
	s_endpgm
	.section	.rodata,"a",@progbits
	.p2align	6, 0x0
	.amdhsa_kernel _ZN12_GLOBAL__N_120geam_min_plus_kernelIf15HIP_vector_typeIfLj2EES2_Li8ELi32ELi64ELi128ELi4ELi4ELi64ELi64ELi4ELc84ELc84ELb0ELb1ELb0EPKfS3_fEEviiiT16_PT17_ilS7_ilS5_S7_ilPT18_ili26rocblas_geam_ex_operation_
		.amdhsa_group_segment_fixed_size 6144
		.amdhsa_private_segment_fixed_size 0
		.amdhsa_kernarg_size 136
		.amdhsa_user_sgpr_count 2
		.amdhsa_user_sgpr_dispatch_ptr 0
		.amdhsa_user_sgpr_queue_ptr 0
		.amdhsa_user_sgpr_kernarg_segment_ptr 1
		.amdhsa_user_sgpr_dispatch_id 0
		.amdhsa_user_sgpr_kernarg_preload_length 0
		.amdhsa_user_sgpr_kernarg_preload_offset 0
		.amdhsa_user_sgpr_private_segment_size 0
		.amdhsa_uses_dynamic_stack 0
		.amdhsa_enable_private_segment 0
		.amdhsa_system_sgpr_workgroup_id_x 1
		.amdhsa_system_sgpr_workgroup_id_y 0
		.amdhsa_system_sgpr_workgroup_id_z 1
		.amdhsa_system_sgpr_workgroup_info 0
		.amdhsa_system_vgpr_workitem_id 1
		.amdhsa_next_free_vgpr 219
		.amdhsa_next_free_sgpr 40
		.amdhsa_accum_offset 220
		.amdhsa_reserve_vcc 1
		.amdhsa_float_round_mode_32 0
		.amdhsa_float_round_mode_16_64 0
		.amdhsa_float_denorm_mode_32 3
		.amdhsa_float_denorm_mode_16_64 3
		.amdhsa_dx10_clamp 1
		.amdhsa_ieee_mode 1
		.amdhsa_fp16_overflow 0
		.amdhsa_tg_split 0
		.amdhsa_exception_fp_ieee_invalid_op 0
		.amdhsa_exception_fp_denorm_src 0
		.amdhsa_exception_fp_ieee_div_zero 0
		.amdhsa_exception_fp_ieee_overflow 0
		.amdhsa_exception_fp_ieee_underflow 0
		.amdhsa_exception_fp_ieee_inexact 0
		.amdhsa_exception_int_div_zero 0
	.end_amdhsa_kernel
	.section	.text._ZN12_GLOBAL__N_120geam_min_plus_kernelIf15HIP_vector_typeIfLj2EES2_Li8ELi32ELi64ELi128ELi4ELi4ELi64ELi64ELi4ELc84ELc84ELb0ELb1ELb0EPKfS3_fEEviiiT16_PT17_ilS7_ilS5_S7_ilPT18_ili26rocblas_geam_ex_operation_,"axG",@progbits,_ZN12_GLOBAL__N_120geam_min_plus_kernelIf15HIP_vector_typeIfLj2EES2_Li8ELi32ELi64ELi128ELi4ELi4ELi64ELi64ELi4ELc84ELc84ELb0ELb1ELb0EPKfS3_fEEviiiT16_PT17_ilS7_ilS5_S7_ilPT18_ili26rocblas_geam_ex_operation_,comdat
.Lfunc_end99:
	.size	_ZN12_GLOBAL__N_120geam_min_plus_kernelIf15HIP_vector_typeIfLj2EES2_Li8ELi32ELi64ELi128ELi4ELi4ELi64ELi64ELi4ELc84ELc84ELb0ELb1ELb0EPKfS3_fEEviiiT16_PT17_ilS7_ilS5_S7_ilPT18_ili26rocblas_geam_ex_operation_, .Lfunc_end99-_ZN12_GLOBAL__N_120geam_min_plus_kernelIf15HIP_vector_typeIfLj2EES2_Li8ELi32ELi64ELi128ELi4ELi4ELi64ELi64ELi4ELc84ELc84ELb0ELb1ELb0EPKfS3_fEEviiiT16_PT17_ilS7_ilS5_S7_ilPT18_ili26rocblas_geam_ex_operation_
                                        ; -- End function
	.section	.AMDGPU.csdata,"",@progbits
; Kernel info:
; codeLenInByte = 11152
; NumSgprs: 46
; NumVgprs: 219
; NumAgprs: 0
; TotalNumVgprs: 219
; ScratchSize: 0
; MemoryBound: 0
; FloatMode: 240
; IeeeMode: 1
; LDSByteSize: 6144 bytes/workgroup (compile time only)
; SGPRBlocks: 5
; VGPRBlocks: 27
; NumSGPRsForWavesPerEU: 46
; NumVGPRsForWavesPerEU: 219
; AccumOffset: 220
; Occupancy: 2
; WaveLimiterHint : 0
; COMPUTE_PGM_RSRC2:SCRATCH_EN: 0
; COMPUTE_PGM_RSRC2:USER_SGPR: 2
; COMPUTE_PGM_RSRC2:TRAP_HANDLER: 0
; COMPUTE_PGM_RSRC2:TGID_X_EN: 1
; COMPUTE_PGM_RSRC2:TGID_Y_EN: 0
; COMPUTE_PGM_RSRC2:TGID_Z_EN: 1
; COMPUTE_PGM_RSRC2:TIDIG_COMP_CNT: 1
; COMPUTE_PGM_RSRC3_GFX90A:ACCUM_OFFSET: 54
; COMPUTE_PGM_RSRC3_GFX90A:TG_SPLIT: 0
	.section	.text._ZN12_GLOBAL__N_120geam_min_plus_kernelIf15HIP_vector_typeIfLj2EES2_Li8ELi32ELi64ELi128ELi4ELi4ELi64ELi64ELi4ELc84ELc84ELb1ELb1ELb0EfKffEEviiiT16_PT17_ilS6_ilS4_S6_ilPT18_ili26rocblas_geam_ex_operation_,"axG",@progbits,_ZN12_GLOBAL__N_120geam_min_plus_kernelIf15HIP_vector_typeIfLj2EES2_Li8ELi32ELi64ELi128ELi4ELi4ELi64ELi64ELi4ELc84ELc84ELb1ELb1ELb0EfKffEEviiiT16_PT17_ilS6_ilS4_S6_ilPT18_ili26rocblas_geam_ex_operation_,comdat
	.globl	_ZN12_GLOBAL__N_120geam_min_plus_kernelIf15HIP_vector_typeIfLj2EES2_Li8ELi32ELi64ELi128ELi4ELi4ELi64ELi64ELi4ELc84ELc84ELb1ELb1ELb0EfKffEEviiiT16_PT17_ilS6_ilS4_S6_ilPT18_ili26rocblas_geam_ex_operation_ ; -- Begin function _ZN12_GLOBAL__N_120geam_min_plus_kernelIf15HIP_vector_typeIfLj2EES2_Li8ELi32ELi64ELi128ELi4ELi4ELi64ELi64ELi4ELc84ELc84ELb1ELb1ELb0EfKffEEviiiT16_PT17_ilS6_ilS4_S6_ilPT18_ili26rocblas_geam_ex_operation_
	.p2align	8
	.type	_ZN12_GLOBAL__N_120geam_min_plus_kernelIf15HIP_vector_typeIfLj2EES2_Li8ELi32ELi64ELi128ELi4ELi4ELi64ELi64ELi4ELc84ELc84ELb1ELb1ELb0EfKffEEviiiT16_PT17_ilS6_ilS4_S6_ilPT18_ili26rocblas_geam_ex_operation_,@function
_ZN12_GLOBAL__N_120geam_min_plus_kernelIf15HIP_vector_typeIfLj2EES2_Li8ELi32ELi64ELi128ELi4ELi4ELi64ELi64ELi4ELc84ELc84ELb1ELb1ELb0EfKffEEviiiT16_PT17_ilS6_ilS4_S6_ilPT18_ili26rocblas_geam_ex_operation_: ; @_ZN12_GLOBAL__N_120geam_min_plus_kernelIf15HIP_vector_typeIfLj2EES2_Li8ELi32ELi64ELi128ELi4ELi4ELi64ELi64ELi4ELc84ELc84ELb1ELb1ELb0EfKffEEviiiT16_PT17_ilS6_ilS4_S6_ilPT18_ili26rocblas_geam_ex_operation_
; %bb.0:
	s_load_dwordx4 s[20:23], s[0:1], 0x0
	s_load_dwordx4 s[4:7], s[0:1], 0x20
	s_waitcnt lgkmcnt(0)
	v_cmp_eq_f32_e64 s[8:9], s23, 0
	s_and_b64 vcc, exec, s[8:9]
	s_cbranch_vccnz .LBB100_3
; %bb.1:
	s_load_dwordx2 s[10:11], s[0:1], 0x10
	s_mul_i32 s5, s3, s5
	s_mul_hi_u32 s12, s3, s4
	s_add_i32 s5, s12, s5
	s_mul_i32 s4, s3, s4
	s_lshl_b64 s[4:5], s[4:5], 2
	s_waitcnt lgkmcnt(0)
	s_add_u32 s18, s10, s4
	s_addc_u32 s19, s11, s5
	s_andn2_b64 vcc, exec, s[8:9]
	s_cbranch_vccnz .LBB100_4
.LBB100_2:
	s_mov_b32 s13, 0
	s_mov_b64 s[16:17], 0
	s_cbranch_execz .LBB100_5
	s_branch .LBB100_6
.LBB100_3:
	s_mov_b64 s[18:19], 0
	s_andn2_b64 vcc, exec, s[8:9]
	s_cbranch_vccz .LBB100_2
.LBB100_4:
                                        ; implicit-def: $sgpr16_sgpr17
                                        ; implicit-def: $sgpr12_sgpr13
.LBB100_5:
	s_load_dwordx2 s[4:5], s[0:1], 0x38
	s_mov_b32 s13, 0
	s_waitcnt lgkmcnt(0)
	s_mul_i32 s5, s3, s5
	s_mul_hi_u32 s8, s3, s4
	s_add_i32 s5, s8, s5
	s_mul_i32 s4, s3, s4
	s_lshl_b64 s[4:5], s[4:5], 2
	s_add_u32 s16, s6, s4
	s_addc_u32 s17, s7, s5
.LBB100_6:
	s_load_dword s30, s[0:1], 0x40
	s_load_dwordx4 s[8:11], s[0:1], 0x58
	s_waitcnt lgkmcnt(0)
	v_cmp_eq_f32_e64 s[4:5], s30, 0
	v_cmp_neq_f32_e64 s[14:15], s30, 0
	s_and_b64 vcc, exec, s[4:5]
	s_cbranch_vccnz .LBB100_8
; %bb.7:
	s_load_dwordx2 s[4:5], s[0:1], 0x48
	s_mul_i32 s6, s3, s9
	s_mul_hi_u32 s7, s3, s8
	s_add_i32 s6, s7, s6
	s_mul_i32 s7, s13, s8
	s_add_i32 s7, s6, s7
	s_mul_i32 s6, s3, s8
	s_lshl_b64 s[6:7], s[6:7], 2
	s_waitcnt lgkmcnt(0)
	s_add_u32 s24, s4, s6
	s_addc_u32 s25, s5, s7
	s_branch .LBB100_9
.LBB100_8:
	s_mov_b64 s[24:25], 0
.LBB100_9:
	s_add_i32 s4, s20, -1
	s_ashr_i32 s5, s4, 31
	s_lshr_b32 s5, s5, 26
	s_add_i32 s4, s4, s5
	s_ashr_i32 s4, s4, 6
	s_add_i32 s5, s4, 1
	v_cvt_f32_u32_e32 v1, s5
	v_and_b32_e32 v202, 0x3ff, v0
	v_bfe_u32 v203, v0, 10, 10
	s_not_b32 s4, s4
	v_rcp_iflag_f32_e32 v1, v1
	v_lshl_add_u32 v2, v203, 3, v202
	s_load_dword s31, s[0:1], 0x18
	v_lshrrev_b32_e32 v9, 2, v2
	v_mul_f32_e32 v0, 0x4f7ffffe, v1
	v_cvt_u32_f32_e32 v0, v0
	v_and_b32_e32 v204, 3, v202
	v_cmp_gt_i32_e32 vcc, s22, v204
	v_mov_b32_e32 v10, 0
	v_readfirstlane_b32 s6, v0
	s_mul_i32 s4, s4, s6
	s_mul_hi_u32 s4, s6, s4
	s_add_i32 s6, s6, s4
	s_mul_hi_u32 s4, s2, s6
	s_mul_i32 s6, s4, s5
	s_sub_i32 s6, s2, s6
	s_add_i32 s7, s4, 1
	s_sub_i32 s8, s6, s5
	s_cmp_ge_u32 s6, s5
	s_cselect_b32 s4, s7, s4
	s_cselect_b32 s6, s8, s6
	s_add_i32 s7, s4, 1
	s_cmp_ge_u32 s6, s5
	s_cselect_b32 s6, s7, s4
	s_mul_i32 s4, s6, s5
	s_sub_i32 s2, s2, s4
	s_lshl_b32 s2, s2, 6
	v_add_u32_e32 v6, s2, v9
	v_cmp_le_i32_e64 s[4:5], s20, v6
	s_xor_b64 s[8:9], s[4:5], -1
	s_and_b64 s[26:27], vcc, s[8:9]
	v_lshlrev_b32_e32 v0, 2, v204
	v_mov_b32_e32 v11, 0
	s_and_saveexec_b64 s[4:5], s[26:27]
	s_cbranch_execz .LBB100_11
; %bb.10:
	s_waitcnt lgkmcnt(0)
	v_mad_i64_i32 v[4:5], s[26:27], v6, s31, 0
	v_lshl_add_u64 v[4:5], v[4:5], 2, s[18:19]
	v_mov_b32_e32 v1, 0
	v_lshl_add_u64 v[4:5], v[4:5], 0, v[0:1]
	flat_load_dword v11, v[4:5]
.LBB100_11:
	s_or_b64 exec, exec, s[4:5]
	s_load_dword s26, s[0:1], 0x30
	v_and_b32_e32 v12, 63, v2
	s_lshl_b32 s12, s6, 7
	v_lshrrev_b32_e32 v207, 6, v2
	v_or_b32_e32 v2, s12, v12
	v_cmp_le_i32_e64 s[4:5], s22, v207
	s_waitcnt lgkmcnt(0)
	v_mad_i64_i32 v[4:5], s[6:7], s26, v207, 0
	v_cmp_le_i32_e32 vcc, s21, v2
	s_or_b64 s[6:7], vcc, s[4:5]
	s_ashr_i32 s27, s26, 31
	v_lshl_add_u64 v[4:5], v[4:5], 2, s[16:17]
	s_xor_b64 s[28:29], s[6:7], -1
	v_ashrrev_i32_e32 v3, 31, v2
	s_and_saveexec_b64 s[6:7], s[28:29]
	s_cbranch_execz .LBB100_13
; %bb.12:
	v_lshl_add_u64 v[14:15], v[2:3], 2, v[4:5]
	flat_load_dword v10, v[14:15]
.LBB100_13:
	s_or_b64 exec, exec, s[6:7]
	v_or_b32_e32 v1, 64, v2
	v_cmp_le_i32_e64 s[6:7], s21, v1
	s_or_b64 s[4:5], s[6:7], s[4:5]
	s_xor_b64 s[28:29], s[4:5], -1
	v_mov_b32_e32 v1, 0
	v_mov_b32_e32 v13, 0
	s_and_saveexec_b64 s[4:5], s[28:29]
	s_cbranch_execz .LBB100_15
; %bb.14:
	v_lshl_add_u64 v[4:5], v[2:3], 2, v[4:5]
	flat_load_dword v13, v[4:5] offset:256
.LBB100_15:
	s_or_b64 exec, exec, s[4:5]
	v_or_b32_e32 v4, 4, v204
	v_cmp_gt_i32_e64 s[4:5], s22, v4
	s_and_b64 s[28:29], s[4:5], s[8:9]
	s_and_saveexec_b64 s[4:5], s[28:29]
	s_cbranch_execz .LBB100_17
; %bb.16:
	v_mad_i64_i32 v[4:5], s[28:29], v6, s31, 0
	v_lshl_add_u64 v[4:5], v[4:5], 2, s[18:19]
	v_mov_b32_e32 v1, 0
	v_lshl_add_u64 v[4:5], v[4:5], 0, v[0:1]
	flat_load_dword v1, v[4:5] offset:16
.LBB100_17:
	s_or_b64 exec, exec, s[4:5]
	v_add_u32_e32 v4, 4, v207
	v_cmp_le_i32_e64 s[4:5], s22, v4
	v_mad_i64_i32 v[4:5], s[28:29], s26, v4, 0
	s_or_b64 s[28:29], vcc, s[4:5]
	v_lshl_add_u64 v[4:5], v[4:5], 2, s[16:17]
	s_xor_b64 s[34:35], s[28:29], -1
	v_mov_b32_e32 v7, 0
	v_mov_b32_e32 v8, 0
	s_and_saveexec_b64 s[28:29], s[34:35]
	s_cbranch_execz .LBB100_19
; %bb.18:
	v_lshl_add_u64 v[14:15], v[2:3], 2, v[4:5]
	flat_load_dword v8, v[14:15]
.LBB100_19:
	s_or_b64 exec, exec, s[28:29]
	s_or_b64 s[4:5], s[6:7], s[4:5]
	s_xor_b64 s[28:29], s[4:5], -1
	s_and_saveexec_b64 s[4:5], s[28:29]
	s_cbranch_execz .LBB100_21
; %bb.20:
	v_lshl_add_u64 v[4:5], v[2:3], 2, v[4:5]
	flat_load_dword v7, v[4:5] offset:256
.LBB100_21:
	s_or_b64 exec, exec, s[4:5]
	v_lshlrev_b32_e32 v5, 2, v207
	v_lshl_or_b32 v4, v9, 4, v0
	v_lshl_add_u32 v208, v12, 4, v5
	v_lshlrev_b32_e32 v206, 4, v203
	s_waitcnt vmcnt(0)
	ds_write_b32 v4, v11 offset:4096
	s_waitcnt lgkmcnt(0)
	ds_write2st64_b32 v208, v10, v13 offset1:4
	s_waitcnt lgkmcnt(0)
	s_barrier
	ds_read_b128 v[10:13], v206
	v_lshlrev_b32_e32 v205, 4, v202
	ds_read_b128 v[14:17], v205 offset:4992
	ds_read_b128 v[18:21], v206 offset:512
	;; [unrolled: 1-line block ×5, first 2 shown]
	s_waitcnt lgkmcnt(5)
	v_max_f32_e32 v5, v11, v11
	s_waitcnt lgkmcnt(4)
	v_max_f32_e32 v9, v15, v15
	v_max_f32_e32 v56, v10, v10
	;; [unrolled: 1-line block ×3, first 2 shown]
	ds_read_b128 v[34:37], v205 offset:4096
	ds_read_b128 v[38:41], v205 offset:4224
	v_max_f32_e32 v112, v13, v13
	v_max_f32_e32 v122, v17, v17
	;; [unrolled: 1-line block ×4, first 2 shown]
	ds_read_b128 v[10:13], v205 offset:4352
	ds_read_b128 v[14:17], v205 offset:4480
	s_waitcnt lgkmcnt(4)
	v_max_f32_e32 v126, v33, v33
	v_max_f32_e32 v127, v32, v32
	s_waitcnt lgkmcnt(2)
	v_max_f32_e32 v70, v40, v40
	s_waitcnt lgkmcnt(1)
	v_max_f32_e32 v32, v10, v10
	v_max_f32_e32 v33, v11, v11
	s_waitcnt lgkmcnt(0)
	v_max_f32_e32 v42, v14, v14
	v_max_f32_e32 v72, v12, v12
	;; [unrolled: 1-line block ×3, first 2 shown]
	ds_read_b128 v[10:13], v205 offset:4608
	v_max_f32_e32 v40, v15, v15
	v_max_f32_e32 v84, v16, v16
	;; [unrolled: 1-line block ×3, first 2 shown]
	ds_read_b128 v[14:17], v205 offset:4736
	v_max_f32_e32 v58, v19, v19
	v_max_f32_e32 v59, v18, v18
	;; [unrolled: 1-line block ×6, first 2 shown]
	s_waitcnt lgkmcnt(0)
	v_max_f32_e32 v54, v14, v14
	v_max_f32_e32 v55, v15, v15
	;; [unrolled: 1-line block ×10, first 2 shown]
	v_min_f32_e32 v50, v54, v56
	v_min_f32_e32 v51, v55, v5
	;; [unrolled: 1-line block ×10, first 2 shown]
	v_max_f32_e32 v124, v21, v21
	v_max_f32_e32 v125, v20, v20
	;; [unrolled: 1-line block ×11, first 2 shown]
	v_min_f32_e32 v10, v18, v56
	v_min_f32_e32 v12, v18, v59
	;; [unrolled: 1-line block ×37, first 2 shown]
	v_pk_add_f32 v[54:55], v[54:55], 0 op_sel_hi:[1,0]
	v_min_f32_e32 v61, v122, v112
	v_min_f32_e32 v60, v123, v113
	v_pk_add_f32 v[96:97], v[54:55], v[60:61]
	v_pk_add_f32 v[54:55], v[56:57], 0 op_sel_hi:[1,0]
	v_min_f32_e32 v57, v122, v124
	v_min_f32_e32 v56, v123, v125
	;; [unrolled: 1-line block ×3, first 2 shown]
	v_pk_add_f32 v[80:81], v[54:55], v[56:57]
	v_pk_add_f32 v[54:55], v[58:59], 0 op_sel_hi:[1,0]
	v_min_f32_e32 v57, v122, v126
	v_min_f32_e32 v56, v123, v127
	;; [unrolled: 1-line block ×8, first 2 shown]
	v_pk_add_f32 v[64:65], v[54:55], v[56:57]
	v_pk_add_f32 v[10:11], v[10:11], 0 op_sel_hi:[1,0]
	v_min_f32_e32 v54, v68, v113
	v_min_f32_e32 v55, v69, v112
	v_pk_add_f32 v[118:119], v[10:11], v[54:55]
	v_pk_add_f32 v[10:11], v[12:13], 0 op_sel_hi:[1,0]
	v_min_f32_e32 v12, v68, v125
	v_min_f32_e32 v13, v69, v124
	v_max_f32_e32 v131, v17, v17
	v_min_f32_e32 v17, v19, v63
	v_pk_add_f32 v[94:95], v[10:11], v[12:13]
	v_pk_add_f32 v[10:11], v[14:15], 0 op_sel_hi:[1,0]
	v_min_f32_e32 v12, v68, v127
	v_min_f32_e32 v13, v69, v126
	;; [unrolled: 1-line block ×3, first 2 shown]
	v_pk_add_f32 v[78:79], v[10:11], v[12:13]
	v_min_f32_e32 v11, v69, v128
	v_min_f32_e32 v10, v68, v129
	v_pk_add_f32 v[12:13], v[16:17], 0 op_sel_hi:[1,0]
	v_max_f32_e32 v133, v25, v25
	v_min_f32_e32 v25, v27, v63
	v_min_f32_e32 v27, v33, v5
	v_min_f32_e32 v33, v33, v63
	v_min_f32_e32 v43, v49, v5
	v_min_f32_e32 v49, v49, v63
	v_min_f32_e32 v105, v74, v63
	v_min_f32_e32 v121, v9, v63
	v_pk_add_f32 v[62:63], v[12:13], v[10:11]
	v_pk_add_f32 v[10:11], v[18:19], 0 op_sel_hi:[1,0]
	v_min_f32_e32 v12, v70, v113
	v_min_f32_e32 v13, v71, v112
	v_pk_add_f32 v[116:117], v[10:11], v[12:13]
	v_pk_add_f32 v[10:11], v[20:21], 0 op_sel_hi:[1,0]
	v_min_f32_e32 v12, v70, v125
	v_min_f32_e32 v13, v71, v124
	;; [unrolled: 4-line block ×3, first 2 shown]
	v_pk_add_f32 v[76:77], v[10:11], v[12:13]
	v_min_f32_e32 v11, v71, v128
	v_min_f32_e32 v10, v70, v129
	v_pk_add_f32 v[12:13], v[24:25], 0 op_sel_hi:[1,0]
	v_min_f32_e32 v99, v74, v5
	v_pk_add_f32 v[60:61], v[12:13], v[10:11]
	v_pk_add_f32 v[10:11], v[26:27], 0 op_sel_hi:[1,0]
	v_min_f32_e32 v12, v72, v113
	v_min_f32_e32 v13, v73, v112
	v_pk_add_f32 v[114:115], v[10:11], v[12:13]
	v_pk_add_f32 v[10:11], v[28:29], 0 op_sel_hi:[1,0]
	v_min_f32_e32 v12, v72, v125
	;; [unrolled: 4-line block ×3, first 2 shown]
	v_min_f32_e32 v13, v73, v126
	v_pk_add_f32 v[74:75], v[10:11], v[12:13]
	v_min_f32_e32 v11, v73, v128
	v_min_f32_e32 v10, v72, v129
	v_pk_add_f32 v[12:13], v[32:33], 0 op_sel_hi:[1,0]
	s_cmp_lt_i32 s22, 9
	v_pk_add_f32 v[58:59], v[12:13], v[10:11]
	v_pk_add_f32 v[10:11], v[34:35], 0 op_sel_hi:[1,0]
	v_min_f32_e32 v12, v84, v113
	v_min_f32_e32 v13, v85, v112
	v_pk_add_f32 v[106:107], v[10:11], v[12:13]
	v_pk_add_f32 v[10:11], v[36:37], 0 op_sel_hi:[1,0]
	v_min_f32_e32 v12, v84, v125
	v_min_f32_e32 v13, v85, v124
	;; [unrolled: 4-line block ×3, first 2 shown]
	v_pk_add_f32 v[72:73], v[10:11], v[12:13]
	v_min_f32_e32 v11, v85, v128
	v_min_f32_e32 v10, v84, v129
	v_pk_add_f32 v[12:13], v[40:41], 0 op_sel_hi:[1,0]
	ds_write2st64_b32 v208, v8, v7 offset0:8 offset1:12
	ds_write_b32 v4, v1 offset:5120
	v_pk_add_f32 v[56:57], v[12:13], v[10:11]
	v_pk_add_f32 v[10:11], v[42:43], 0 op_sel_hi:[1,0]
	v_min_f32_e32 v12, v110, v113
	v_min_f32_e32 v13, v111, v112
	v_pk_add_f32 v[108:109], v[10:11], v[12:13]
	v_pk_add_f32 v[10:11], v[44:45], 0 op_sel_hi:[1,0]
	v_min_f32_e32 v12, v110, v125
	v_min_f32_e32 v13, v111, v124
	;; [unrolled: 4-line block ×3, first 2 shown]
	v_pk_add_f32 v[70:71], v[10:11], v[12:13]
	v_min_f32_e32 v11, v111, v128
	v_min_f32_e32 v10, v110, v129
	v_pk_add_f32 v[12:13], v[48:49], 0 op_sel_hi:[1,0]
	s_waitcnt lgkmcnt(0)
	v_pk_add_f32 v[54:55], v[12:13], v[10:11]
	v_pk_add_f32 v[10:11], v[50:51], 0 op_sel_hi:[1,0]
	v_min_f32_e32 v12, v130, v113
	v_min_f32_e32 v13, v131, v112
	v_pk_add_f32 v[110:111], v[10:11], v[12:13]
	v_pk_add_f32 v[10:11], v[52:53], 0 op_sel_hi:[1,0]
	v_min_f32_e32 v12, v130, v125
	v_min_f32_e32 v13, v131, v124
	;; [unrolled: 4-line block ×3, first 2 shown]
	v_pk_add_f32 v[68:69], v[10:11], v[12:13]
	v_min_f32_e32 v11, v131, v128
	v_min_f32_e32 v10, v130, v129
	v_pk_add_f32 v[12:13], v[82:83], 0 op_sel_hi:[1,0]
	s_barrier
	v_pk_add_f32 v[52:53], v[12:13], v[10:11]
	v_min_f32_e32 v10, v132, v113
	v_min_f32_e32 v11, v133, v112
	v_pk_add_f32 v[12:13], v[98:99], 0 op_sel_hi:[1,0]
	s_nop 0
	v_pk_add_f32 v[112:113], v[12:13], v[10:11]
	v_min_f32_e32 v10, v132, v125
	v_min_f32_e32 v11, v133, v124
	v_pk_add_f32 v[12:13], v[100:101], 0 op_sel_hi:[1,0]
	s_nop 0
	;; [unrolled: 5-line block ×5, first 2 shown]
	v_pk_add_f32 v[48:49], v[12:13], v[10:11]
	s_cbranch_scc1 .LBB100_36
; %bb.22:
	v_mov_b32_e32 v1, 0x1400
	v_lshl_add_u32 v213, v202, 4, v1
	v_mov_b32_e32 v1, 0x800
	v_lshl_add_u32 v214, v203, 4, v1
	v_add_u32_e32 v1, 8, v207
	v_add_u32_e32 v209, 0x1000, v4
	v_add_u32_e32 v211, 0x1400, v4
	v_mad_i64_i32 v[4:5], s[4:5], v1, s26, 0
	v_lshl_add_u64 v[100:101], v[2:3], 2, s[16:17]
	v_mad_i64_i32 v[2:3], s[4:5], s31, v6, 0
	v_mov_b32_e32 v1, 0
	v_lshl_add_u64 v[0:1], v[2:3], 2, v[0:1]
	v_lshl_add_u64 v[0:1], v[0:1], 0, s[18:19]
	;; [unrolled: 1-line block ×3, first 2 shown]
	v_add_u32_e32 v0, 12, v207
	v_mad_i64_i32 v[0:1], s[4:5], v0, s26, 0
	v_add_u32_e32 v210, 0x1000, v205
	v_or_b32_e32 v212, 0x800, v208
	s_add_i32 s23, s22, -8
	v_lshlrev_b64 v[98:99], 2, v[4:5]
	s_lshl_b64 s[16:17], s[26:27], 5
	v_lshlrev_b64 v[104:105], 2, v[0:1]
	s_mov_b32 s26, 0
	s_branch .LBB100_24
.LBB100_23:                             ;   in Loop: Header=BB100_24 Depth=1
	s_or_b64 exec, exec, s[4:5]
	v_pk_add_f32 v[40:41], v[96:97], v[40:41]
	v_pk_add_f32 v[32:33], v[64:65], v[32:33]
	;; [unrolled: 1-line block ×19, first 2 shown]
	ds_read_b128 v[0:3], v206
	ds_read_b128 v[8:11], v206 offset:512
	v_pk_add_f32 v[20:21], v[118:119], v[6:7]
	ds_read_b128 v[4:7], v210 offset:896
	v_pk_add_f32 v[44:45], v[94:95], v[44:45]
	v_pk_add_f32 v[28:29], v[78:79], v[28:29]
	;; [unrolled: 1-line block ×20, first 2 shown]
	ds_read_b128 v[12:15], v210 offset:768
	s_waitcnt lgkmcnt(0)
	v_max_f32_e32 v93, v5, v5
	v_max_f32_e32 v95, v4, v4
	;; [unrolled: 1-line block ×4, first 2 shown]
	v_pk_add_f32 v[76:77], v[36:37], v[38:39]
	v_pk_add_f32 v[72:73], v[28:29], v[30:31]
	;; [unrolled: 1-line block ×6, first 2 shown]
	ds_read_b128 v[80:83], v206 offset:1536
	ds_read_b128 v[84:87], v206 offset:1024
	v_min_f32_e32 v5, v93, v96
	v_min_f32_e32 v4, v95, v97
	v_pk_add_f32 v[60:61], v[62:63], v[166:167]
	v_pk_add_f32 v[62:63], v[78:79], v[164:165]
	;; [unrolled: 1-line block ×3, first 2 shown]
	ds_read_b128 v[76:79], v210
	v_pk_add_f32 v[114:115], v[54:55], v[146:147]
	v_pk_add_f32 v[90:91], v[90:91], v[130:131]
	;; [unrolled: 1-line block ×4, first 2 shown]
	s_waitcnt lgkmcnt(0)
	v_max_f32_e32 v114, v85, v85
	v_max_f32_e32 v115, v84, v84
	v_pk_add_f32 v[54:55], v[90:91], v[170:171]
	v_pk_add_f32 v[46:47], v[88:89], v[176:177]
	ds_read_b128 v[88:91], v210 offset:128
	v_max_f32_e32 v92, v1, v1
	v_max_f32_e32 v94, v0, v0
	v_min_f32_e32 v9, v93, v114
	v_min_f32_e32 v8, v95, v115
	v_max_f32_e32 v84, v76, v76
	v_max_f32_e32 v85, v77, v77
	v_pk_add_f32 v[8:9], v[74:75], v[8:9]
	v_min_f32_e32 v74, v84, v94
	v_min_f32_e32 v75, v85, v92
	v_pk_add_f32 v[74:75], v[68:69], v[74:75]
	v_min_f32_e32 v68, v84, v97
	v_min_f32_e32 v69, v85, v96
	v_pk_add_f32 v[76:77], v[70:71], v[68:69]
	v_min_f32_e32 v68, v84, v115
	v_min_f32_e32 v69, v85, v114
	v_max_f32_e32 v81, v81, v81
	v_max_f32_e32 v80, v80, v80
	v_pk_add_f32 v[66:67], v[24:25], v[26:27]
	v_pk_add_f32 v[72:73], v[72:73], v[68:69]
	v_min_f32_e32 v69, v85, v81
	v_min_f32_e32 v68, v84, v80
	v_pk_add_f32 v[84:85], v[66:67], v[68:69]
	s_waitcnt lgkmcnt(0)
	v_max_f32_e32 v68, v88, v88
	v_max_f32_e32 v69, v89, v89
	v_min_f32_e32 v66, v68, v94
	v_min_f32_e32 v67, v69, v92
	v_pk_add_f32 v[60:61], v[60:61], v[66:67]
	v_min_f32_e32 v66, v68, v97
	v_min_f32_e32 v67, v69, v96
	v_pk_add_f32 v[88:89], v[62:63], v[66:67]
	v_min_f32_e32 v62, v68, v115
	v_min_f32_e32 v63, v69, v114
	v_pk_add_f32 v[42:43], v[106:107], v[180:181]
	v_pk_add_f32 v[106:107], v[64:65], v[62:63]
	ds_read_b128 v[64:67], v210 offset:256
	v_min_f32_e32 v63, v69, v81
	v_min_f32_e32 v62, v68, v80
	ds_read_b128 v[68:71], v210 offset:384
	v_pk_add_f32 v[58:59], v[58:59], v[62:63]
	s_waitcnt lgkmcnt(0)
	v_max_f32_e32 v64, v64, v64
	v_max_f32_e32 v65, v65, v65
	v_min_f32_e32 v62, v64, v94
	v_min_f32_e32 v63, v65, v92
	v_pk_add_f32 v[52:53], v[52:53], v[62:63]
	v_min_f32_e32 v62, v64, v97
	v_min_f32_e32 v63, v65, v96
	v_pk_add_f32 v[54:55], v[54:55], v[62:63]
	;; [unrolled: 3-line block ×3, first 2 shown]
	v_pk_add_f32 v[56:57], v[56:57], v[62:63]
	v_min_f32_e32 v63, v65, v81
	v_min_f32_e32 v62, v64, v80
	v_pk_add_f32 v[36:37], v[108:109], v[184:185]
	v_pk_add_f32 v[108:109], v[50:51], v[62:63]
	v_max_f32_e32 v62, v68, v68
	v_max_f32_e32 v63, v69, v69
	v_min_f32_e32 v50, v62, v94
	v_min_f32_e32 v51, v63, v92
	v_pk_add_f32 v[110:111], v[110:111], v[150:151]
	v_pk_add_f32 v[68:69], v[44:45], v[50:51]
	v_min_f32_e32 v44, v62, v97
	v_min_f32_e32 v45, v63, v96
	v_pk_add_f32 v[112:113], v[112:113], v[156:157]
	v_pk_add_f32 v[28:29], v[110:111], v[194:195]
	;; [unrolled: 1-line block ×3, first 2 shown]
	v_min_f32_e32 v44, v62, v115
	v_min_f32_e32 v45, v63, v114
	v_pk_add_f32 v[24:25], v[112:113], v[200:201]
	v_pk_add_f32 v[112:113], v[48:49], v[44:45]
	ds_read_b128 v[44:47], v210 offset:512
	v_min_f32_e32 v49, v63, v81
	v_min_f32_e32 v48, v62, v80
	v_pk_add_f32 v[42:43], v[42:43], v[48:49]
	ds_read_b128 v[48:51], v210 offset:640
	s_waitcnt lgkmcnt(0)
	v_max_f32_e32 v62, v44, v44
	v_max_f32_e32 v63, v45, v45
	v_min_f32_e32 v44, v62, v94
	v_min_f32_e32 v45, v63, v92
	v_pk_add_f32 v[36:37], v[36:37], v[44:45]
	v_min_f32_e32 v44, v62, v97
	v_min_f32_e32 v45, v63, v96
	v_pk_add_f32 v[38:39], v[38:39], v[44:45]
	;; [unrolled: 3-line block ×3, first 2 shown]
	v_min_f32_e32 v45, v63, v81
	v_min_f32_e32 v44, v62, v80
	v_max_f32_e32 v48, v48, v48
	v_max_f32_e32 v49, v49, v49
	v_pk_add_f32 v[34:35], v[34:35], v[44:45]
	v_min_f32_e32 v44, v48, v94
	v_min_f32_e32 v45, v49, v92
	v_pk_add_f32 v[28:29], v[28:29], v[44:45]
	v_min_f32_e32 v44, v48, v97
	v_min_f32_e32 v45, v49, v96
	;; [unrolled: 3-line block ×3, first 2 shown]
	v_pk_add_f32 v[26:27], v[116:117], v[196:197]
	v_pk_add_f32 v[32:33], v[32:33], v[44:45]
	v_min_f32_e32 v45, v49, v81
	v_min_f32_e32 v44, v48, v80
	v_pk_add_f32 v[26:27], v[26:27], v[44:45]
	v_max_f32_e32 v44, v12, v12
	v_max_f32_e32 v45, v13, v13
	v_min_f32_e32 v12, v44, v94
	v_min_f32_e32 v13, v45, v92
	v_pk_add_f32 v[12:13], v[24:25], v[12:13]
	v_min_f32_e32 v24, v44, v97
	v_min_f32_e32 v25, v45, v96
	v_pk_add_f32 v[22:23], v[22:23], v[24:25]
	;; [unrolled: 3-line block ×4, first 2 shown]
	v_pk_add_f32 v[20:21], v[20:21], v[24:25]
	v_min_f32_e32 v25, v93, v81
	v_min_f32_e32 v24, v95, v80
	;; [unrolled: 1-line block ×4, first 2 shown]
	v_pk_add_f32 v[16:17], v[16:17], v[24:25]
	v_max_f32_e32 v24, v3, v3
	v_max_f32_e32 v7, v7, v7
	;; [unrolled: 1-line block ×4, first 2 shown]
	v_pk_add_f32 v[0:1], v[122:123], v[0:1]
	v_min_f32_e32 v3, v7, v24
	v_min_f32_e32 v2, v6, v25
	v_pk_add_f32 v[96:97], v[0:1], v[2:3]
	v_max_f32_e32 v2, v11, v11
	v_max_f32_e32 v3, v10, v10
	v_min_f32_e32 v1, v7, v2
	v_min_f32_e32 v0, v6, v3
	v_pk_add_f32 v[80:81], v[4:5], v[0:1]
	v_max_f32_e32 v4, v87, v87
	v_max_f32_e32 v5, v86, v86
	;; [unrolled: 5-line block ×3, first 2 shown]
	v_min_f32_e32 v0, v8, v25
	v_min_f32_e32 v1, v9, v24
	v_pk_add_f32 v[118:119], v[74:75], v[0:1]
	v_min_f32_e32 v0, v8, v3
	v_min_f32_e32 v1, v9, v2
	v_pk_add_f32 v[94:95], v[76:77], v[0:1]
	v_min_f32_e32 v0, v8, v5
	v_min_f32_e32 v1, v9, v4
	v_max_f32_e32 v10, v83, v83
	v_pk_add_f32 v[78:79], v[72:73], v[0:1]
	v_min_f32_e32 v1, v9, v10
	v_max_f32_e32 v9, v82, v82
	v_min_f32_e32 v0, v8, v9
	v_max_f32_e32 v8, v90, v90
	v_max_f32_e32 v11, v91, v91
	v_pk_add_f32 v[62:63], v[84:85], v[0:1]
	v_min_f32_e32 v0, v8, v25
	v_min_f32_e32 v1, v11, v24
	v_pk_add_f32 v[116:117], v[60:61], v[0:1]
	v_min_f32_e32 v0, v8, v3
	v_min_f32_e32 v1, v11, v2
	v_pk_add_f32 v[92:93], v[88:89], v[0:1]
	v_min_f32_e32 v0, v8, v5
	v_min_f32_e32 v1, v11, v4
	v_pk_add_f32 v[76:77], v[106:107], v[0:1]
	v_min_f32_e32 v1, v11, v10
	v_min_f32_e32 v0, v8, v9
	v_max_f32_e32 v8, v66, v66
	v_max_f32_e32 v11, v67, v67
	v_pk_add_f32 v[60:61], v[58:59], v[0:1]
	v_min_f32_e32 v0, v8, v25
	v_min_f32_e32 v1, v11, v24
	v_pk_add_f32 v[114:115], v[52:53], v[0:1]
	v_min_f32_e32 v0, v8, v3
	v_min_f32_e32 v1, v11, v2
	v_pk_add_f32 v[90:91], v[54:55], v[0:1]
	v_min_f32_e32 v0, v8, v5
	v_min_f32_e32 v1, v11, v4
	v_pk_add_f32 v[74:75], v[56:57], v[0:1]
	v_min_f32_e32 v1, v11, v10
	;; [unrolled: 14-line block ×6, first 2 shown]
	v_min_f32_e32 v0, v8, v9
	v_pk_add_f32 v[50:51], v[20:21], v[0:1]
	v_min_f32_e32 v1, v7, v10
	v_min_f32_e32 v0, v6, v9
	s_add_i32 s26, s26, 8
	v_pk_add_f32 v[48:49], v[16:17], v[0:1]
	v_lshl_add_u64 v[100:101], v[100:101], 0, s[16:17]
	s_cmp_ge_i32 s26, s23
	v_lshl_add_u64 v[102:103], v[102:103], 0, 32
	s_waitcnt vmcnt(0)
	ds_write_b32 v211, v216
	ds_write2st64_b32 v212, v215, v217 offset1:4
	s_waitcnt lgkmcnt(0)
	s_barrier
	s_cbranch_scc1 .LBB100_36
.LBB100_24:                             ; =>This Inner Loop Header: Depth=1
	v_add_u32_e32 v120, s26, v204
	v_add_u32_e32 v0, 8, v120
	v_cmp_gt_i32_e64 s[4:5], s22, v0
	s_and_b64 s[18:19], s[4:5], s[8:9]
	v_mov_b32_e32 v122, 0
	s_and_saveexec_b64 s[4:5], s[18:19]
	s_cbranch_execz .LBB100_26
; %bb.25:                               ;   in Loop: Header=BB100_24 Depth=1
	flat_load_dword v122, v[102:103]
.LBB100_26:                             ;   in Loop: Header=BB100_24 Depth=1
	s_or_b64 exec, exec, s[4:5]
	v_add_u32_e32 v121, s26, v207
	v_add_u32_e32 v0, 8, v121
	v_cmp_le_i32_e64 s[4:5], s22, v0
	s_or_b64 s[18:19], vcc, s[4:5]
	s_xor_b64 s[28:29], s[18:19], -1
	v_mov_b32_e32 v123, 0
	v_lshl_add_u64 v[0:1], v[100:101], 0, v[98:99]
	v_mov_b32_e32 v124, 0
	s_and_saveexec_b64 s[18:19], s[28:29]
	s_cbranch_execz .LBB100_28
; %bb.27:                               ;   in Loop: Header=BB100_24 Depth=1
	flat_load_dword v124, v[0:1]
.LBB100_28:                             ;   in Loop: Header=BB100_24 Depth=1
	s_or_b64 exec, exec, s[18:19]
	s_or_b64 s[4:5], s[6:7], s[4:5]
	s_xor_b64 s[18:19], s[4:5], -1
	s_and_saveexec_b64 s[4:5], s[18:19]
	s_cbranch_execz .LBB100_30
; %bb.29:                               ;   in Loop: Header=BB100_24 Depth=1
	flat_load_dword v123, v[0:1] offset:256
.LBB100_30:                             ;   in Loop: Header=BB100_24 Depth=1
	s_or_b64 exec, exec, s[4:5]
	ds_read_b128 v[40:43], v214
	ds_read_b128 v[36:39], v214 offset:512
	ds_read_b128 v[24:27], v214 offset:1536
	;; [unrolled: 1-line block ×3, first 2 shown]
	ds_read_b128 v[28:31], v213
	ds_read_b128 v[20:23], v213 offset:128
	ds_read_b128 v[16:19], v213 offset:256
	ds_read_b128 v[12:15], v213 offset:384
	ds_read_b128 v[8:11], v213 offset:512
	ds_read_b128 v[4:7], v213 offset:640
	ds_read_b128 v[44:47], v213 offset:896
	ds_read_b128 v[0:3], v213 offset:768
	v_add_u32_e32 v120, 12, v120
	v_cmp_gt_i32_e64 s[4:5], s22, v120
	s_and_b64 s[18:19], s[4:5], s[8:9]
	v_mov_b32_e32 v215, 0
	v_mov_b32_e32 v216, 0
	s_waitcnt vmcnt(0) lgkmcnt(0)
	ds_write_b32 v209, v122
	ds_write2st64_b32 v208, v124, v123 offset1:4
	s_waitcnt lgkmcnt(0)
	s_barrier
	s_and_saveexec_b64 s[4:5], s[18:19]
	s_cbranch_execz .LBB100_32
; %bb.31:                               ;   in Loop: Header=BB100_24 Depth=1
	flat_load_dword v216, v[102:103] offset:16
.LBB100_32:                             ;   in Loop: Header=BB100_24 Depth=1
	s_or_b64 exec, exec, s[4:5]
	v_add_u32_e32 v120, 12, v121
	v_cmp_le_i32_e64 s[4:5], s22, v120
	s_or_b64 s[18:19], vcc, s[4:5]
	s_xor_b64 s[28:29], s[18:19], -1
	v_lshl_add_u64 v[120:121], v[100:101], 0, v[104:105]
	s_and_saveexec_b64 s[18:19], s[28:29]
	s_cbranch_execz .LBB100_34
; %bb.33:                               ;   in Loop: Header=BB100_24 Depth=1
	flat_load_dword v215, v[120:121]
.LBB100_34:                             ;   in Loop: Header=BB100_24 Depth=1
	s_or_b64 exec, exec, s[18:19]
	v_max_f32_e32 v154, v41, v41
	v_max_f32_e32 v160, v45, v45
	;; [unrolled: 1-line block ×34, first 2 shown]
	v_min_f32_e32 v41, v160, v154
	v_min_f32_e32 v40, v162, v155
	;; [unrolled: 1-line block ×62, first 2 shown]
	v_max_f32_e32 v191, v47, v47
	v_max_f32_e32 v217, v46, v46
	;; [unrolled: 1-line block ×12, first 2 shown]
	v_min_f32_e32 v194, v6, v198
	v_min_f32_e32 v195, v7, v190
	;; [unrolled: 1-line block ×8, first 2 shown]
	v_max_f32_e32 v6, v2, v2
	v_max_f32_e32 v7, v3, v3
	s_or_b64 s[4:5], s[6:7], s[4:5]
	v_min_f32_e32 v32, v162, v163
	v_min_f32_e32 v0, v166, v163
	;; [unrolled: 1-line block ×58, first 2 shown]
	s_xor_b64 s[18:19], s[4:5], -1
	v_mov_b32_e32 v217, 0
	s_and_saveexec_b64 s[4:5], s[18:19]
	s_cbranch_execz .LBB100_23
; %bb.35:                               ;   in Loop: Header=BB100_24 Depth=1
	flat_load_dword v217, v[120:121] offset:256
	s_branch .LBB100_23
.LBB100_36:
	s_load_dwordx2 s[4:5], s[0:1], 0x70
	s_load_dword s29, s[0:1], 0x50
	s_load_dword s28, s[0:1], 0x68
	ds_read_b128 v[44:47], v206 offset:2048
	ds_read_b128 v[40:43], v206 offset:2560
	ds_read_b128 v[0:3], v206 offset:3584
	ds_read_b128 v[36:39], v206 offset:3072
	ds_read_b128 v[32:35], v205 offset:5120
	ds_read_b128 v[28:31], v205 offset:5248
	ds_read_b128 v[24:27], v205 offset:5376
	ds_read_b128 v[20:23], v205 offset:5504
	ds_read_b128 v[16:19], v205 offset:5632
	ds_read_b128 v[12:15], v205 offset:5760
	ds_read_b128 v[4:7], v205 offset:6016
	ds_read_b128 v[8:11], v205 offset:5888
	v_add_u32_e32 v124, s12, v203
	s_waitcnt lgkmcnt(0)
	s_mul_i32 s0, s3, s5
	s_mul_hi_u32 s1, s3, s4
	s_mul_i32 s5, s13, s4
	s_add_i32 s0, s1, s0
	s_add_i32 s1, s0, s5
	s_mul_i32 s0, s3, s4
	s_lshl_b64 s[0:1], s[0:1], 2
	s_add_u32 s22, s10, s0
	s_addc_u32 s23, s11, s1
	v_mad_i64_i32 v[100:101], s[0:1], v124, s29, 0
	v_add_u32_e32 v98, s2, v202
	v_lshl_add_u64 v[122:123], v[100:101], 2, s[24:25]
	v_mad_i64_i32 v[100:101], s[0:1], v124, s28, 0
	v_cmp_gt_i32_e64 s[18:19], s21, v124
	v_lshl_add_u64 v[120:121], v[100:101], 2, s[22:23]
	v_cmp_gt_i32_e64 s[2:3], s20, v98
	v_cndmask_b32_e64 v100, 0, 1, s[14:15]
	s_and_b64 s[6:7], s[2:3], s[18:19]
	v_ashrrev_i32_e32 v99, 31, v98
	v_cmp_ne_u32_e64 s[0:1], 1, v100
	s_and_saveexec_b64 s[4:5], s[6:7]
	s_cbranch_execz .LBB100_41
; %bb.37:
	s_and_b64 vcc, exec, s[0:1]
	s_cbranch_vccnz .LBB100_39
; %bb.38:
	v_lshl_add_u64 v[100:101], v[98:99], 2, v[122:123]
	flat_load_dword v100, v[100:101]
	s_waitcnt vmcnt(0) lgkmcnt(0)
	v_mul_f32_e32 v100, s30, v100
	s_branch .LBB100_40
.LBB100_39:
	v_mov_b32_e32 v100, 0
.LBB100_40:
	v_max_f32_e32 v101, v44, v44
	v_max_f32_e32 v102, v32, v32
	v_min_f32_e32 v102, v102, v101
	v_max_f32_e32 v101, v45, v45
	v_max_f32_e32 v103, v33, v33
	v_min_f32_e32 v103, v103, v101
	;; [unrolled: 3-line block ×3, first 2 shown]
	v_max_f32_e32 v101, v47, v47
	v_max_f32_e32 v105, v35, v35
	v_pk_add_f32 v[102:103], v[118:119], v[102:103]
	v_min_f32_e32 v105, v105, v101
	v_pk_add_f32 v[102:103], v[102:103], v[104:105]
	s_nop 0
	v_add_f32_e32 v101, v102, v103
	v_add_f32_e32 v102, v101, v100
	v_lshl_add_u64 v[100:101], v[98:99], 2, v[120:121]
	global_store_dword v[100:101], v102, off
.LBB100_41:
	s_or_b64 exec, exec, s[4:5]
	v_add_u32_e32 v100, 8, v98
	v_cmp_gt_i32_e64 s[4:5], s20, v100
	s_and_b64 s[8:9], s[4:5], s[18:19]
	v_ashrrev_i32_e32 v101, 31, v100
	s_and_saveexec_b64 s[6:7], s[8:9]
	s_cbranch_execz .LBB100_46
; %bb.42:
	s_and_b64 vcc, exec, s[0:1]
	s_cbranch_vccnz .LBB100_44
; %bb.43:
	v_lshl_add_u64 v[102:103], v[100:101], 2, v[122:123]
	flat_load_dword v102, v[102:103]
	s_waitcnt vmcnt(0) lgkmcnt(0)
	v_mul_f32_e32 v102, s30, v102
	s_branch .LBB100_45
.LBB100_44:
	v_mov_b32_e32 v102, 0
.LBB100_45:
	v_max_f32_e32 v103, v44, v44
	v_max_f32_e32 v104, v28, v28
	v_min_f32_e32 v104, v104, v103
	v_max_f32_e32 v103, v45, v45
	v_max_f32_e32 v105, v29, v29
	v_min_f32_e32 v105, v105, v103
	v_pk_add_f32 v[104:105], v[116:117], v[104:105]
	v_max_f32_e32 v103, v46, v46
	v_max_f32_e32 v116, v30, v30
	v_min_f32_e32 v116, v116, v103
	v_max_f32_e32 v103, v47, v47
	v_max_f32_e32 v117, v31, v31
	v_min_f32_e32 v117, v117, v103
	v_pk_add_f32 v[104:105], v[104:105], v[116:117]
	s_nop 0
	v_add_f32_e32 v103, v104, v105
	v_add_f32_e32 v104, v103, v102
	v_lshl_add_u64 v[102:103], v[100:101], 2, v[120:121]
	global_store_dword v[102:103], v104, off
.LBB100_46:
	s_or_b64 exec, exec, s[6:7]
	v_add_u32_e32 v102, 16, v98
	v_cmp_gt_i32_e64 s[6:7], s20, v102
	s_and_b64 s[10:11], s[6:7], s[18:19]
	v_ashrrev_i32_e32 v103, 31, v102
	s_and_saveexec_b64 s[8:9], s[10:11]
	s_cbranch_execz .LBB100_51
; %bb.47:
	s_and_b64 vcc, exec, s[0:1]
	s_cbranch_vccnz .LBB100_49
; %bb.48:
	v_lshl_add_u64 v[104:105], v[102:103], 2, v[122:123]
	flat_load_dword v104, v[104:105]
	s_waitcnt vmcnt(0) lgkmcnt(0)
	v_mul_f32_e32 v104, s30, v104
	s_branch .LBB100_50
.LBB100_49:
	v_mov_b32_e32 v104, 0
.LBB100_50:
	v_max_f32_e32 v105, v44, v44
	v_max_f32_e32 v116, v24, v24
	v_min_f32_e32 v116, v116, v105
	v_max_f32_e32 v105, v45, v45
	v_max_f32_e32 v117, v25, v25
	v_min_f32_e32 v117, v117, v105
	v_pk_add_f32 v[114:115], v[114:115], v[116:117]
	v_max_f32_e32 v105, v46, v46
	v_max_f32_e32 v116, v26, v26
	v_min_f32_e32 v116, v116, v105
	v_max_f32_e32 v105, v47, v47
	v_max_f32_e32 v117, v27, v27
	v_min_f32_e32 v117, v117, v105
	v_pk_add_f32 v[114:115], v[114:115], v[116:117]
	s_nop 0
	v_add_f32_e32 v105, v114, v115
	v_add_f32_e32 v114, v105, v104
	v_lshl_add_u64 v[104:105], v[102:103], 2, v[120:121]
	global_store_dword v[104:105], v114, off
.LBB100_51:
	;; [unrolled: 39-line block ×7, first 2 shown]
	s_or_b64 exec, exec, s[18:19]
	v_add_u32_e32 v96, 32, v124
	v_mad_i64_i32 v[44:45], s[26:27], v96, s29, 0
	v_cmp_gt_i32_e64 s[18:19], s21, v96
	v_lshl_add_u64 v[46:47], v[44:45], 2, s[24:25]
	v_mad_i64_i32 v[44:45], s[26:27], v96, s28, 0
	v_lshl_add_u64 v[44:45], v[44:45], 2, s[22:23]
	s_and_b64 s[34:35], s[2:3], s[18:19]
	s_and_saveexec_b64 s[26:27], s[34:35]
	s_cbranch_execnz .LBB100_84
; %bb.77:
	s_or_b64 exec, exec, s[26:27]
	s_and_b64 s[34:35], s[4:5], s[18:19]
	s_and_saveexec_b64 s[26:27], s[34:35]
	s_cbranch_execnz .LBB100_88
.LBB100_78:
	s_or_b64 exec, exec, s[26:27]
	s_and_b64 s[34:35], s[6:7], s[18:19]
	s_and_saveexec_b64 s[26:27], s[34:35]
	s_cbranch_execnz .LBB100_92
.LBB100_79:
	s_or_b64 exec, exec, s[26:27]
	s_and_b64 s[34:35], s[8:9], s[18:19]
	s_and_saveexec_b64 s[26:27], s[34:35]
	s_cbranch_execnz .LBB100_96
.LBB100_80:
	s_or_b64 exec, exec, s[26:27]
	s_and_b64 s[34:35], s[10:11], s[18:19]
	s_and_saveexec_b64 s[26:27], s[34:35]
	s_cbranch_execnz .LBB100_100
.LBB100_81:
	s_or_b64 exec, exec, s[26:27]
	s_and_b64 s[34:35], s[12:13], s[18:19]
	s_and_saveexec_b64 s[26:27], s[34:35]
	s_cbranch_execnz .LBB100_104
.LBB100_82:
	s_or_b64 exec, exec, s[26:27]
	s_and_b64 s[34:35], s[14:15], s[18:19]
	s_and_saveexec_b64 s[26:27], s[34:35]
	s_cbranch_execnz .LBB100_108
.LBB100_83:
	s_or_b64 exec, exec, s[26:27]
	s_and_b64 s[26:27], s[16:17], s[18:19]
	s_and_saveexec_b64 s[18:19], s[26:27]
	s_cbranch_execnz .LBB100_112
	s_branch .LBB100_116
.LBB100_84:
	s_and_b64 vcc, exec, s[0:1]
	s_cbranch_vccnz .LBB100_86
; %bb.85:
	v_lshl_add_u64 v[96:97], v[98:99], 2, v[46:47]
	flat_load_dword v96, v[96:97]
	s_waitcnt vmcnt(0) lgkmcnt(0)
	v_mul_f32_e32 v96, s30, v96
	s_branch .LBB100_87
.LBB100_86:
	v_mov_b32_e32 v96, 0
.LBB100_87:
	v_max_f32_e32 v97, v40, v40
	v_max_f32_e32 v114, v32, v32
	v_min_f32_e32 v114, v114, v97
	v_max_f32_e32 v97, v41, v41
	v_max_f32_e32 v115, v33, v33
	v_min_f32_e32 v115, v115, v97
	v_pk_add_f32 v[94:95], v[94:95], v[114:115]
	v_max_f32_e32 v97, v42, v42
	v_max_f32_e32 v114, v34, v34
	v_min_f32_e32 v114, v114, v97
	v_max_f32_e32 v97, v43, v43
	v_max_f32_e32 v115, v35, v35
	v_min_f32_e32 v115, v115, v97
	v_pk_add_f32 v[94:95], v[94:95], v[114:115]
	s_nop 0
	v_add_f32_e32 v94, v94, v95
	v_add_f32_e32 v96, v94, v96
	v_lshl_add_u64 v[94:95], v[98:99], 2, v[44:45]
	global_store_dword v[94:95], v96, off
	s_or_b64 exec, exec, s[26:27]
	s_and_b64 s[34:35], s[4:5], s[18:19]
	s_and_saveexec_b64 s[26:27], s[34:35]
	s_cbranch_execz .LBB100_78
.LBB100_88:
	s_and_b64 vcc, exec, s[0:1]
	s_cbranch_vccnz .LBB100_90
; %bb.89:
	v_lshl_add_u64 v[94:95], v[100:101], 2, v[46:47]
	flat_load_dword v94, v[94:95]
	s_waitcnt vmcnt(0) lgkmcnt(0)
	v_mul_f32_e32 v94, s30, v94
	s_branch .LBB100_91
.LBB100_90:
	v_mov_b32_e32 v94, 0
.LBB100_91:
	v_max_f32_e32 v95, v40, v40
	v_max_f32_e32 v96, v28, v28
	v_min_f32_e32 v96, v96, v95
	v_max_f32_e32 v95, v41, v41
	v_max_f32_e32 v97, v29, v29
	v_min_f32_e32 v97, v97, v95
	v_pk_add_f32 v[92:93], v[92:93], v[96:97]
	v_max_f32_e32 v95, v42, v42
	v_max_f32_e32 v96, v30, v30
	v_min_f32_e32 v96, v96, v95
	v_max_f32_e32 v95, v43, v43
	v_max_f32_e32 v97, v31, v31
	v_min_f32_e32 v97, v97, v95
	v_pk_add_f32 v[92:93], v[92:93], v[96:97]
	s_nop 0
	v_add_f32_e32 v92, v92, v93
	v_add_f32_e32 v94, v92, v94
	v_lshl_add_u64 v[92:93], v[100:101], 2, v[44:45]
	global_store_dword v[92:93], v94, off
	s_or_b64 exec, exec, s[26:27]
	s_and_b64 s[34:35], s[6:7], s[18:19]
	s_and_saveexec_b64 s[26:27], s[34:35]
	s_cbranch_execz .LBB100_79
.LBB100_92:
	s_and_b64 vcc, exec, s[0:1]
	s_cbranch_vccnz .LBB100_94
; %bb.93:
	v_lshl_add_u64 v[92:93], v[102:103], 2, v[46:47]
	flat_load_dword v92, v[92:93]
	s_waitcnt vmcnt(0) lgkmcnt(0)
	v_mul_f32_e32 v92, s30, v92
	s_branch .LBB100_95
.LBB100_94:
	v_mov_b32_e32 v92, 0
.LBB100_95:
	v_max_f32_e32 v93, v40, v40
	v_max_f32_e32 v94, v24, v24
	v_min_f32_e32 v94, v94, v93
	v_max_f32_e32 v93, v41, v41
	v_max_f32_e32 v95, v25, v25
	v_min_f32_e32 v95, v95, v93
	v_pk_add_f32 v[90:91], v[90:91], v[94:95]
	v_max_f32_e32 v93, v42, v42
	v_max_f32_e32 v94, v26, v26
	v_min_f32_e32 v94, v94, v93
	v_max_f32_e32 v93, v43, v43
	v_max_f32_e32 v95, v27, v27
	v_min_f32_e32 v95, v95, v93
	v_pk_add_f32 v[90:91], v[90:91], v[94:95]
	s_nop 0
	v_add_f32_e32 v90, v90, v91
	v_add_f32_e32 v92, v90, v92
	v_lshl_add_u64 v[90:91], v[102:103], 2, v[44:45]
	global_store_dword v[90:91], v92, off
	s_or_b64 exec, exec, s[26:27]
	s_and_b64 s[34:35], s[8:9], s[18:19]
	s_and_saveexec_b64 s[26:27], s[34:35]
	s_cbranch_execz .LBB100_80
.LBB100_96:
	s_and_b64 vcc, exec, s[0:1]
	s_cbranch_vccnz .LBB100_98
; %bb.97:
	v_lshl_add_u64 v[90:91], v[104:105], 2, v[46:47]
	flat_load_dword v90, v[90:91]
	s_waitcnt vmcnt(0) lgkmcnt(0)
	v_mul_f32_e32 v90, s30, v90
	s_branch .LBB100_99
.LBB100_98:
	v_mov_b32_e32 v90, 0
.LBB100_99:
	v_max_f32_e32 v91, v40, v40
	v_max_f32_e32 v92, v20, v20
	v_min_f32_e32 v92, v92, v91
	v_max_f32_e32 v91, v41, v41
	v_max_f32_e32 v93, v21, v21
	v_min_f32_e32 v93, v93, v91
	v_pk_add_f32 v[88:89], v[88:89], v[92:93]
	v_max_f32_e32 v91, v42, v42
	v_max_f32_e32 v92, v22, v22
	v_min_f32_e32 v92, v92, v91
	v_max_f32_e32 v91, v43, v43
	v_max_f32_e32 v93, v23, v23
	v_min_f32_e32 v93, v93, v91
	v_pk_add_f32 v[88:89], v[88:89], v[92:93]
	s_nop 0
	v_add_f32_e32 v88, v88, v89
	v_add_f32_e32 v90, v88, v90
	v_lshl_add_u64 v[88:89], v[104:105], 2, v[44:45]
	global_store_dword v[88:89], v90, off
	s_or_b64 exec, exec, s[26:27]
	s_and_b64 s[34:35], s[10:11], s[18:19]
	s_and_saveexec_b64 s[26:27], s[34:35]
	s_cbranch_execz .LBB100_81
.LBB100_100:
	s_and_b64 vcc, exec, s[0:1]
	s_cbranch_vccnz .LBB100_102
; %bb.101:
	v_lshl_add_u64 v[88:89], v[106:107], 2, v[46:47]
	flat_load_dword v88, v[88:89]
	s_waitcnt vmcnt(0) lgkmcnt(0)
	v_mul_f32_e32 v88, s30, v88
	s_branch .LBB100_103
.LBB100_102:
	v_mov_b32_e32 v88, 0
.LBB100_103:
	v_max_f32_e32 v89, v40, v40
	v_max_f32_e32 v90, v16, v16
	v_min_f32_e32 v90, v90, v89
	v_max_f32_e32 v89, v41, v41
	v_max_f32_e32 v91, v17, v17
	v_min_f32_e32 v91, v91, v89
	v_pk_add_f32 v[86:87], v[86:87], v[90:91]
	v_max_f32_e32 v89, v42, v42
	v_max_f32_e32 v90, v18, v18
	v_min_f32_e32 v90, v90, v89
	v_max_f32_e32 v89, v43, v43
	v_max_f32_e32 v91, v19, v19
	v_min_f32_e32 v91, v91, v89
	v_pk_add_f32 v[86:87], v[86:87], v[90:91]
	s_nop 0
	v_add_f32_e32 v86, v86, v87
	v_add_f32_e32 v88, v86, v88
	v_lshl_add_u64 v[86:87], v[106:107], 2, v[44:45]
	global_store_dword v[86:87], v88, off
	s_or_b64 exec, exec, s[26:27]
	s_and_b64 s[34:35], s[12:13], s[18:19]
	s_and_saveexec_b64 s[26:27], s[34:35]
	s_cbranch_execz .LBB100_82
.LBB100_104:
	s_and_b64 vcc, exec, s[0:1]
	s_cbranch_vccnz .LBB100_106
; %bb.105:
	v_lshl_add_u64 v[86:87], v[108:109], 2, v[46:47]
	flat_load_dword v86, v[86:87]
	s_waitcnt vmcnt(0) lgkmcnt(0)
	v_mul_f32_e32 v86, s30, v86
	s_branch .LBB100_107
.LBB100_106:
	v_mov_b32_e32 v86, 0
.LBB100_107:
	v_max_f32_e32 v87, v40, v40
	v_max_f32_e32 v88, v12, v12
	v_min_f32_e32 v88, v88, v87
	v_max_f32_e32 v87, v41, v41
	v_max_f32_e32 v89, v13, v13
	v_min_f32_e32 v89, v89, v87
	v_pk_add_f32 v[84:85], v[84:85], v[88:89]
	v_max_f32_e32 v87, v42, v42
	v_max_f32_e32 v88, v14, v14
	v_min_f32_e32 v88, v88, v87
	v_max_f32_e32 v87, v43, v43
	v_max_f32_e32 v89, v15, v15
	v_min_f32_e32 v89, v89, v87
	v_pk_add_f32 v[84:85], v[84:85], v[88:89]
	s_nop 0
	v_add_f32_e32 v84, v84, v85
	v_add_f32_e32 v86, v84, v86
	v_lshl_add_u64 v[84:85], v[108:109], 2, v[44:45]
	global_store_dword v[84:85], v86, off
	s_or_b64 exec, exec, s[26:27]
	s_and_b64 s[34:35], s[14:15], s[18:19]
	s_and_saveexec_b64 s[26:27], s[34:35]
	s_cbranch_execz .LBB100_83
.LBB100_108:
	s_and_b64 vcc, exec, s[0:1]
	s_cbranch_vccnz .LBB100_110
; %bb.109:
	v_lshl_add_u64 v[84:85], v[110:111], 2, v[46:47]
	flat_load_dword v84, v[84:85]
	s_waitcnt vmcnt(0) lgkmcnt(0)
	v_mul_f32_e32 v84, s30, v84
	s_branch .LBB100_111
.LBB100_110:
	v_mov_b32_e32 v84, 0
.LBB100_111:
	v_max_f32_e32 v85, v40, v40
	v_max_f32_e32 v86, v8, v8
	v_min_f32_e32 v86, v86, v85
	v_max_f32_e32 v85, v41, v41
	v_max_f32_e32 v87, v9, v9
	v_min_f32_e32 v87, v87, v85
	v_pk_add_f32 v[82:83], v[82:83], v[86:87]
	v_max_f32_e32 v85, v42, v42
	v_max_f32_e32 v86, v10, v10
	v_min_f32_e32 v86, v86, v85
	v_max_f32_e32 v85, v43, v43
	v_max_f32_e32 v87, v11, v11
	v_min_f32_e32 v87, v87, v85
	v_pk_add_f32 v[82:83], v[82:83], v[86:87]
	s_nop 0
	v_add_f32_e32 v82, v82, v83
	v_add_f32_e32 v84, v82, v84
	v_lshl_add_u64 v[82:83], v[110:111], 2, v[44:45]
	global_store_dword v[82:83], v84, off
	s_or_b64 exec, exec, s[26:27]
	s_and_b64 s[26:27], s[16:17], s[18:19]
	s_and_saveexec_b64 s[18:19], s[26:27]
	s_cbranch_execz .LBB100_116
.LBB100_112:
	s_and_b64 vcc, exec, s[0:1]
	s_cbranch_vccnz .LBB100_114
; %bb.113:
	v_lshl_add_u64 v[46:47], v[112:113], 2, v[46:47]
	flat_load_dword v46, v[46:47]
	s_waitcnt vmcnt(0) lgkmcnt(0)
	v_mul_f32_e32 v46, s30, v46
	s_branch .LBB100_115
.LBB100_114:
	v_mov_b32_e32 v46, 0
.LBB100_115:
	v_max_f32_e32 v41, v41, v41
	v_max_f32_e32 v47, v5, v5
	v_min_f32_e32 v41, v47, v41
	v_max_f32_e32 v40, v40, v40
	v_max_f32_e32 v47, v4, v4
	v_min_f32_e32 v40, v47, v40
	;; [unrolled: 3-line block ×3, first 2 shown]
	v_max_f32_e32 v42, v42, v42
	v_max_f32_e32 v47, v6, v6
	v_pk_add_f32 v[40:41], v[80:81], v[40:41]
	v_min_f32_e32 v42, v47, v42
	v_pk_add_f32 v[40:41], v[40:41], v[42:43]
	s_nop 0
	v_add_f32_e32 v40, v40, v41
	v_add_f32_e32 v42, v40, v46
	v_lshl_add_u64 v[40:41], v[112:113], 2, v[44:45]
	global_store_dword v[40:41], v42, off
.LBB100_116:
	s_or_b64 exec, exec, s[18:19]
	v_add_u32_e32 v44, 64, v124
	v_mad_i64_i32 v[40:41], s[26:27], v44, s29, 0
	v_cmp_gt_i32_e64 s[18:19], s21, v44
	v_lshl_add_u64 v[42:43], v[40:41], 2, s[24:25]
	v_mad_i64_i32 v[40:41], s[26:27], v44, s28, 0
	v_lshl_add_u64 v[40:41], v[40:41], 2, s[22:23]
	s_and_b64 s[34:35], s[2:3], s[18:19]
	s_and_saveexec_b64 s[26:27], s[34:35]
	s_cbranch_execnz .LBB100_124
; %bb.117:
	s_or_b64 exec, exec, s[26:27]
	s_and_b64 s[34:35], s[4:5], s[18:19]
	s_and_saveexec_b64 s[26:27], s[34:35]
	s_cbranch_execnz .LBB100_128
.LBB100_118:
	s_or_b64 exec, exec, s[26:27]
	s_and_b64 s[34:35], s[6:7], s[18:19]
	s_and_saveexec_b64 s[26:27], s[34:35]
	s_cbranch_execnz .LBB100_132
.LBB100_119:
	s_or_b64 exec, exec, s[26:27]
	s_and_b64 s[34:35], s[8:9], s[18:19]
	s_and_saveexec_b64 s[26:27], s[34:35]
	s_cbranch_execnz .LBB100_136
.LBB100_120:
	s_or_b64 exec, exec, s[26:27]
	s_and_b64 s[34:35], s[10:11], s[18:19]
	s_and_saveexec_b64 s[26:27], s[34:35]
	s_cbranch_execnz .LBB100_140
.LBB100_121:
	s_or_b64 exec, exec, s[26:27]
	s_and_b64 s[34:35], s[12:13], s[18:19]
	s_and_saveexec_b64 s[26:27], s[34:35]
	s_cbranch_execnz .LBB100_144
.LBB100_122:
	s_or_b64 exec, exec, s[26:27]
	s_and_b64 s[34:35], s[14:15], s[18:19]
	s_and_saveexec_b64 s[26:27], s[34:35]
	s_cbranch_execnz .LBB100_148
.LBB100_123:
	s_or_b64 exec, exec, s[26:27]
	s_and_b64 s[26:27], s[16:17], s[18:19]
	s_and_saveexec_b64 s[18:19], s[26:27]
	s_cbranch_execnz .LBB100_152
	s_branch .LBB100_156
.LBB100_124:
	s_and_b64 vcc, exec, s[0:1]
	s_cbranch_vccnz .LBB100_126
; %bb.125:
	v_lshl_add_u64 v[44:45], v[98:99], 2, v[42:43]
	flat_load_dword v44, v[44:45]
	s_waitcnt vmcnt(0) lgkmcnt(0)
	v_mul_f32_e32 v44, s30, v44
	s_branch .LBB100_127
.LBB100_126:
	v_mov_b32_e32 v44, 0
.LBB100_127:
	v_max_f32_e32 v45, v36, v36
	v_max_f32_e32 v46, v32, v32
	v_min_f32_e32 v46, v46, v45
	v_max_f32_e32 v45, v37, v37
	v_max_f32_e32 v47, v33, v33
	v_min_f32_e32 v47, v47, v45
	v_pk_add_f32 v[46:47], v[78:79], v[46:47]
	v_max_f32_e32 v45, v38, v38
	v_max_f32_e32 v78, v34, v34
	v_min_f32_e32 v78, v78, v45
	v_max_f32_e32 v45, v39, v39
	v_max_f32_e32 v79, v35, v35
	v_min_f32_e32 v79, v79, v45
	v_pk_add_f32 v[46:47], v[46:47], v[78:79]
	s_nop 0
	v_add_f32_e32 v45, v46, v47
	v_add_f32_e32 v46, v45, v44
	v_lshl_add_u64 v[44:45], v[98:99], 2, v[40:41]
	global_store_dword v[44:45], v46, off
	s_or_b64 exec, exec, s[26:27]
	s_and_b64 s[34:35], s[4:5], s[18:19]
	s_and_saveexec_b64 s[26:27], s[34:35]
	s_cbranch_execz .LBB100_118
.LBB100_128:
	s_and_b64 vcc, exec, s[0:1]
	s_cbranch_vccnz .LBB100_130
; %bb.129:
	v_lshl_add_u64 v[44:45], v[100:101], 2, v[42:43]
	flat_load_dword v44, v[44:45]
	s_waitcnt vmcnt(0) lgkmcnt(0)
	v_mul_f32_e32 v44, s30, v44
	s_branch .LBB100_131
.LBB100_130:
	v_mov_b32_e32 v44, 0
.LBB100_131:
	v_max_f32_e32 v45, v36, v36
	v_max_f32_e32 v46, v28, v28
	v_min_f32_e32 v46, v46, v45
	v_max_f32_e32 v45, v37, v37
	v_max_f32_e32 v47, v29, v29
	v_min_f32_e32 v47, v47, v45
	v_pk_add_f32 v[46:47], v[76:77], v[46:47]
	v_max_f32_e32 v45, v38, v38
	v_max_f32_e32 v76, v30, v30
	v_min_f32_e32 v76, v76, v45
	v_max_f32_e32 v45, v39, v39
	v_max_f32_e32 v77, v31, v31
	v_min_f32_e32 v77, v77, v45
	v_pk_add_f32 v[46:47], v[46:47], v[76:77]
	s_nop 0
	v_add_f32_e32 v45, v46, v47
	v_add_f32_e32 v46, v45, v44
	v_lshl_add_u64 v[44:45], v[100:101], 2, v[40:41]
	global_store_dword v[44:45], v46, off
	s_or_b64 exec, exec, s[26:27]
	s_and_b64 s[34:35], s[6:7], s[18:19]
	s_and_saveexec_b64 s[26:27], s[34:35]
	s_cbranch_execz .LBB100_119
.LBB100_132:
	s_and_b64 vcc, exec, s[0:1]
	s_cbranch_vccnz .LBB100_134
; %bb.133:
	v_lshl_add_u64 v[44:45], v[102:103], 2, v[42:43]
	flat_load_dword v44, v[44:45]
	s_waitcnt vmcnt(0) lgkmcnt(0)
	v_mul_f32_e32 v44, s30, v44
	s_branch .LBB100_135
.LBB100_134:
	v_mov_b32_e32 v44, 0
.LBB100_135:
	v_max_f32_e32 v45, v36, v36
	v_max_f32_e32 v46, v24, v24
	v_min_f32_e32 v46, v46, v45
	v_max_f32_e32 v45, v37, v37
	v_max_f32_e32 v47, v25, v25
	v_min_f32_e32 v47, v47, v45
	v_pk_add_f32 v[46:47], v[74:75], v[46:47]
	v_max_f32_e32 v45, v38, v38
	v_max_f32_e32 v74, v26, v26
	v_min_f32_e32 v74, v74, v45
	v_max_f32_e32 v45, v39, v39
	v_max_f32_e32 v75, v27, v27
	v_min_f32_e32 v75, v75, v45
	v_pk_add_f32 v[46:47], v[46:47], v[74:75]
	s_nop 0
	v_add_f32_e32 v45, v46, v47
	v_add_f32_e32 v46, v45, v44
	v_lshl_add_u64 v[44:45], v[102:103], 2, v[40:41]
	global_store_dword v[44:45], v46, off
	s_or_b64 exec, exec, s[26:27]
	s_and_b64 s[34:35], s[8:9], s[18:19]
	s_and_saveexec_b64 s[26:27], s[34:35]
	s_cbranch_execz .LBB100_120
.LBB100_136:
	s_and_b64 vcc, exec, s[0:1]
	s_cbranch_vccnz .LBB100_138
; %bb.137:
	v_lshl_add_u64 v[44:45], v[104:105], 2, v[42:43]
	flat_load_dword v44, v[44:45]
	s_waitcnt vmcnt(0) lgkmcnt(0)
	v_mul_f32_e32 v44, s30, v44
	s_branch .LBB100_139
.LBB100_138:
	v_mov_b32_e32 v44, 0
.LBB100_139:
	v_max_f32_e32 v45, v36, v36
	v_max_f32_e32 v46, v20, v20
	v_min_f32_e32 v46, v46, v45
	v_max_f32_e32 v45, v37, v37
	v_max_f32_e32 v47, v21, v21
	v_min_f32_e32 v47, v47, v45
	v_pk_add_f32 v[46:47], v[72:73], v[46:47]
	v_max_f32_e32 v45, v38, v38
	v_max_f32_e32 v72, v22, v22
	v_min_f32_e32 v72, v72, v45
	v_max_f32_e32 v45, v39, v39
	v_max_f32_e32 v73, v23, v23
	v_min_f32_e32 v73, v73, v45
	v_pk_add_f32 v[46:47], v[46:47], v[72:73]
	s_nop 0
	v_add_f32_e32 v45, v46, v47
	v_add_f32_e32 v46, v45, v44
	v_lshl_add_u64 v[44:45], v[104:105], 2, v[40:41]
	global_store_dword v[44:45], v46, off
	s_or_b64 exec, exec, s[26:27]
	s_and_b64 s[34:35], s[10:11], s[18:19]
	s_and_saveexec_b64 s[26:27], s[34:35]
	s_cbranch_execz .LBB100_121
.LBB100_140:
	s_and_b64 vcc, exec, s[0:1]
	s_cbranch_vccnz .LBB100_142
; %bb.141:
	v_lshl_add_u64 v[44:45], v[106:107], 2, v[42:43]
	flat_load_dword v44, v[44:45]
	s_waitcnt vmcnt(0) lgkmcnt(0)
	v_mul_f32_e32 v44, s30, v44
	s_branch .LBB100_143
.LBB100_142:
	v_mov_b32_e32 v44, 0
.LBB100_143:
	v_max_f32_e32 v45, v36, v36
	v_max_f32_e32 v46, v16, v16
	v_min_f32_e32 v46, v46, v45
	v_max_f32_e32 v45, v37, v37
	v_max_f32_e32 v47, v17, v17
	v_min_f32_e32 v47, v47, v45
	v_pk_add_f32 v[46:47], v[70:71], v[46:47]
	v_max_f32_e32 v45, v38, v38
	v_max_f32_e32 v70, v18, v18
	v_min_f32_e32 v70, v70, v45
	v_max_f32_e32 v45, v39, v39
	v_max_f32_e32 v71, v19, v19
	v_min_f32_e32 v71, v71, v45
	v_pk_add_f32 v[46:47], v[46:47], v[70:71]
	s_nop 0
	v_add_f32_e32 v45, v46, v47
	v_add_f32_e32 v46, v45, v44
	v_lshl_add_u64 v[44:45], v[106:107], 2, v[40:41]
	global_store_dword v[44:45], v46, off
	s_or_b64 exec, exec, s[26:27]
	s_and_b64 s[34:35], s[12:13], s[18:19]
	s_and_saveexec_b64 s[26:27], s[34:35]
	s_cbranch_execz .LBB100_122
.LBB100_144:
	s_and_b64 vcc, exec, s[0:1]
	s_cbranch_vccnz .LBB100_146
; %bb.145:
	v_lshl_add_u64 v[44:45], v[108:109], 2, v[42:43]
	flat_load_dword v44, v[44:45]
	s_waitcnt vmcnt(0) lgkmcnt(0)
	v_mul_f32_e32 v44, s30, v44
	s_branch .LBB100_147
.LBB100_146:
	v_mov_b32_e32 v44, 0
.LBB100_147:
	v_max_f32_e32 v45, v36, v36
	v_max_f32_e32 v46, v12, v12
	v_min_f32_e32 v46, v46, v45
	v_max_f32_e32 v45, v37, v37
	v_max_f32_e32 v47, v13, v13
	v_min_f32_e32 v47, v47, v45
	v_pk_add_f32 v[46:47], v[68:69], v[46:47]
	v_max_f32_e32 v45, v38, v38
	v_max_f32_e32 v68, v14, v14
	v_min_f32_e32 v68, v68, v45
	v_max_f32_e32 v45, v39, v39
	v_max_f32_e32 v69, v15, v15
	v_min_f32_e32 v69, v69, v45
	v_pk_add_f32 v[46:47], v[46:47], v[68:69]
	s_nop 0
	v_add_f32_e32 v45, v46, v47
	v_add_f32_e32 v46, v45, v44
	v_lshl_add_u64 v[44:45], v[108:109], 2, v[40:41]
	global_store_dword v[44:45], v46, off
	s_or_b64 exec, exec, s[26:27]
	s_and_b64 s[34:35], s[14:15], s[18:19]
	s_and_saveexec_b64 s[26:27], s[34:35]
	s_cbranch_execz .LBB100_123
.LBB100_148:
	s_and_b64 vcc, exec, s[0:1]
	s_cbranch_vccnz .LBB100_150
; %bb.149:
	v_lshl_add_u64 v[44:45], v[110:111], 2, v[42:43]
	flat_load_dword v44, v[44:45]
	s_waitcnt vmcnt(0) lgkmcnt(0)
	v_mul_f32_e32 v44, s30, v44
	s_branch .LBB100_151
.LBB100_150:
	v_mov_b32_e32 v44, 0
.LBB100_151:
	v_max_f32_e32 v45, v36, v36
	v_max_f32_e32 v46, v8, v8
	v_min_f32_e32 v46, v46, v45
	v_max_f32_e32 v45, v37, v37
	v_max_f32_e32 v47, v9, v9
	v_min_f32_e32 v47, v47, v45
	v_pk_add_f32 v[46:47], v[66:67], v[46:47]
	v_max_f32_e32 v45, v38, v38
	v_max_f32_e32 v66, v10, v10
	v_min_f32_e32 v66, v66, v45
	v_max_f32_e32 v45, v39, v39
	v_max_f32_e32 v67, v11, v11
	v_min_f32_e32 v67, v67, v45
	v_pk_add_f32 v[46:47], v[46:47], v[66:67]
	s_nop 0
	v_add_f32_e32 v45, v46, v47
	v_add_f32_e32 v46, v45, v44
	v_lshl_add_u64 v[44:45], v[110:111], 2, v[40:41]
	global_store_dword v[44:45], v46, off
	s_or_b64 exec, exec, s[26:27]
	s_and_b64 s[26:27], s[16:17], s[18:19]
	s_and_saveexec_b64 s[18:19], s[26:27]
	s_cbranch_execz .LBB100_156
.LBB100_152:
	s_and_b64 vcc, exec, s[0:1]
	s_cbranch_vccnz .LBB100_154
; %bb.153:
	v_lshl_add_u64 v[42:43], v[112:113], 2, v[42:43]
	flat_load_dword v42, v[42:43]
	s_waitcnt vmcnt(0) lgkmcnt(0)
	v_mul_f32_e32 v42, s30, v42
	s_branch .LBB100_155
.LBB100_154:
	v_mov_b32_e32 v42, 0
.LBB100_155:
	v_max_f32_e32 v37, v37, v37
	v_max_f32_e32 v43, v5, v5
	v_min_f32_e32 v37, v43, v37
	v_max_f32_e32 v36, v36, v36
	v_max_f32_e32 v43, v4, v4
	v_min_f32_e32 v36, v43, v36
	;; [unrolled: 3-line block ×3, first 2 shown]
	v_max_f32_e32 v38, v38, v38
	v_max_f32_e32 v43, v6, v6
	v_pk_add_f32 v[36:37], v[64:65], v[36:37]
	v_min_f32_e32 v38, v43, v38
	v_pk_add_f32 v[36:37], v[36:37], v[38:39]
	s_nop 0
	v_add_f32_e32 v36, v36, v37
	v_add_f32_e32 v38, v36, v42
	v_lshl_add_u64 v[36:37], v[112:113], 2, v[40:41]
	global_store_dword v[36:37], v38, off
.LBB100_156:
	s_or_b64 exec, exec, s[18:19]
	v_add_u32_e32 v40, 0x60, v124
	v_cmp_gt_i32_e64 s[18:19], s21, v40
	v_mad_i64_i32 v[36:37], s[20:21], v40, s29, 0
	v_lshl_add_u64 v[38:39], v[36:37], 2, s[24:25]
	v_mad_i64_i32 v[36:37], s[20:21], v40, s28, 0
	v_lshl_add_u64 v[36:37], v[36:37], 2, s[22:23]
	s_and_b64 s[20:21], s[2:3], s[18:19]
	s_and_saveexec_b64 s[2:3], s[20:21]
	s_cbranch_execnz .LBB100_165
; %bb.157:
	s_or_b64 exec, exec, s[2:3]
	s_and_b64 s[4:5], s[4:5], s[18:19]
	s_and_saveexec_b64 s[2:3], s[4:5]
	s_cbranch_execnz .LBB100_169
.LBB100_158:
	s_or_b64 exec, exec, s[2:3]
	s_and_b64 s[4:5], s[6:7], s[18:19]
	s_and_saveexec_b64 s[2:3], s[4:5]
	s_cbranch_execnz .LBB100_173
.LBB100_159:
	s_or_b64 exec, exec, s[2:3]
	s_and_b64 s[4:5], s[8:9], s[18:19]
	s_and_saveexec_b64 s[2:3], s[4:5]
	s_cbranch_execnz .LBB100_177
.LBB100_160:
	s_or_b64 exec, exec, s[2:3]
	s_and_b64 s[4:5], s[10:11], s[18:19]
	s_and_saveexec_b64 s[2:3], s[4:5]
	s_cbranch_execnz .LBB100_181
.LBB100_161:
	s_or_b64 exec, exec, s[2:3]
	s_and_b64 s[4:5], s[12:13], s[18:19]
	s_and_saveexec_b64 s[2:3], s[4:5]
	s_cbranch_execnz .LBB100_185
.LBB100_162:
	s_or_b64 exec, exec, s[2:3]
	s_and_b64 s[4:5], s[14:15], s[18:19]
	s_and_saveexec_b64 s[2:3], s[4:5]
	s_cbranch_execnz .LBB100_189
.LBB100_163:
	s_or_b64 exec, exec, s[2:3]
	s_and_b64 s[2:3], s[16:17], s[18:19]
	s_and_saveexec_b64 s[4:5], s[2:3]
	s_cbranch_execnz .LBB100_193
.LBB100_164:
	s_endpgm
.LBB100_165:
	s_and_b64 vcc, exec, s[0:1]
	s_cbranch_vccnz .LBB100_167
; %bb.166:
	v_lshl_add_u64 v[40:41], v[98:99], 2, v[38:39]
	flat_load_dword v40, v[40:41]
	s_waitcnt vmcnt(0) lgkmcnt(0)
	v_mul_f32_e32 v40, s30, v40
	s_branch .LBB100_168
.LBB100_167:
	v_mov_b32_e32 v40, 0
.LBB100_168:
	v_max_f32_e32 v41, v1, v1
	v_max_f32_e32 v33, v33, v33
	v_min_f32_e32 v33, v33, v41
	v_max_f32_e32 v41, v0, v0
	v_max_f32_e32 v32, v32, v32
	v_min_f32_e32 v32, v32, v41
	;; [unrolled: 3-line block ×3, first 2 shown]
	v_max_f32_e32 v41, v2, v2
	v_max_f32_e32 v34, v34, v34
	v_pk_add_f32 v[32:33], v[62:63], v[32:33]
	v_min_f32_e32 v34, v34, v41
	v_pk_add_f32 v[32:33], v[32:33], v[34:35]
	s_nop 0
	v_add_f32_e32 v32, v32, v33
	v_add_f32_e32 v34, v32, v40
	v_lshl_add_u64 v[32:33], v[98:99], 2, v[36:37]
	global_store_dword v[32:33], v34, off
	s_or_b64 exec, exec, s[2:3]
	s_and_b64 s[4:5], s[4:5], s[18:19]
	s_and_saveexec_b64 s[2:3], s[4:5]
	s_cbranch_execz .LBB100_158
.LBB100_169:
	s_and_b64 vcc, exec, s[0:1]
	s_cbranch_vccnz .LBB100_171
; %bb.170:
	v_lshl_add_u64 v[32:33], v[100:101], 2, v[38:39]
	flat_load_dword v32, v[32:33]
	s_waitcnt vmcnt(0) lgkmcnt(0)
	v_mul_f32_e32 v32, s30, v32
	s_branch .LBB100_172
.LBB100_171:
	v_mov_b32_e32 v32, 0
.LBB100_172:
	v_max_f32_e32 v33, v1, v1
	v_max_f32_e32 v29, v29, v29
	v_min_f32_e32 v29, v29, v33
	v_max_f32_e32 v33, v0, v0
	v_max_f32_e32 v28, v28, v28
	v_min_f32_e32 v28, v28, v33
	v_max_f32_e32 v33, v3, v3
	v_max_f32_e32 v31, v31, v31
	v_min_f32_e32 v31, v31, v33
	v_max_f32_e32 v33, v2, v2
	v_max_f32_e32 v30, v30, v30
	v_pk_add_f32 v[28:29], v[60:61], v[28:29]
	v_min_f32_e32 v30, v30, v33
	v_pk_add_f32 v[28:29], v[28:29], v[30:31]
	s_nop 0
	v_add_f32_e32 v28, v28, v29
	v_add_f32_e32 v30, v28, v32
	v_lshl_add_u64 v[28:29], v[100:101], 2, v[36:37]
	global_store_dword v[28:29], v30, off
	s_or_b64 exec, exec, s[2:3]
	s_and_b64 s[4:5], s[6:7], s[18:19]
	s_and_saveexec_b64 s[2:3], s[4:5]
	s_cbranch_execz .LBB100_159
.LBB100_173:
	s_and_b64 vcc, exec, s[0:1]
	s_cbranch_vccnz .LBB100_175
; %bb.174:
	v_lshl_add_u64 v[28:29], v[102:103], 2, v[38:39]
	flat_load_dword v28, v[28:29]
	s_waitcnt vmcnt(0) lgkmcnt(0)
	v_mul_f32_e32 v28, s30, v28
	s_branch .LBB100_176
.LBB100_175:
	v_mov_b32_e32 v28, 0
.LBB100_176:
	v_max_f32_e32 v29, v1, v1
	v_max_f32_e32 v25, v25, v25
	v_min_f32_e32 v25, v25, v29
	v_max_f32_e32 v29, v0, v0
	v_max_f32_e32 v24, v24, v24
	v_min_f32_e32 v24, v24, v29
	;; [unrolled: 3-line block ×3, first 2 shown]
	v_max_f32_e32 v29, v2, v2
	v_max_f32_e32 v26, v26, v26
	v_pk_add_f32 v[24:25], v[58:59], v[24:25]
	v_min_f32_e32 v26, v26, v29
	v_pk_add_f32 v[24:25], v[24:25], v[26:27]
	s_nop 0
	v_add_f32_e32 v24, v24, v25
	v_add_f32_e32 v26, v24, v28
	v_lshl_add_u64 v[24:25], v[102:103], 2, v[36:37]
	global_store_dword v[24:25], v26, off
	s_or_b64 exec, exec, s[2:3]
	s_and_b64 s[4:5], s[8:9], s[18:19]
	s_and_saveexec_b64 s[2:3], s[4:5]
	s_cbranch_execz .LBB100_160
.LBB100_177:
	s_and_b64 vcc, exec, s[0:1]
	s_cbranch_vccnz .LBB100_179
; %bb.178:
	v_lshl_add_u64 v[24:25], v[104:105], 2, v[38:39]
	flat_load_dword v24, v[24:25]
	s_waitcnt vmcnt(0) lgkmcnt(0)
	v_mul_f32_e32 v24, s30, v24
	s_branch .LBB100_180
.LBB100_179:
	v_mov_b32_e32 v24, 0
.LBB100_180:
	v_max_f32_e32 v25, v1, v1
	v_max_f32_e32 v21, v21, v21
	v_min_f32_e32 v21, v21, v25
	v_max_f32_e32 v25, v0, v0
	v_max_f32_e32 v20, v20, v20
	v_min_f32_e32 v20, v20, v25
	;; [unrolled: 3-line block ×3, first 2 shown]
	v_max_f32_e32 v25, v2, v2
	v_max_f32_e32 v22, v22, v22
	v_pk_add_f32 v[20:21], v[56:57], v[20:21]
	v_min_f32_e32 v22, v22, v25
	v_pk_add_f32 v[20:21], v[20:21], v[22:23]
	s_nop 0
	v_add_f32_e32 v20, v20, v21
	v_add_f32_e32 v22, v20, v24
	v_lshl_add_u64 v[20:21], v[104:105], 2, v[36:37]
	global_store_dword v[20:21], v22, off
	s_or_b64 exec, exec, s[2:3]
	s_and_b64 s[4:5], s[10:11], s[18:19]
	s_and_saveexec_b64 s[2:3], s[4:5]
	s_cbranch_execz .LBB100_161
.LBB100_181:
	s_and_b64 vcc, exec, s[0:1]
	s_cbranch_vccnz .LBB100_183
; %bb.182:
	v_lshl_add_u64 v[20:21], v[106:107], 2, v[38:39]
	flat_load_dword v20, v[20:21]
	s_waitcnt vmcnt(0) lgkmcnt(0)
	v_mul_f32_e32 v20, s30, v20
	s_branch .LBB100_184
.LBB100_183:
	v_mov_b32_e32 v20, 0
.LBB100_184:
	v_max_f32_e32 v21, v1, v1
	v_max_f32_e32 v17, v17, v17
	v_min_f32_e32 v17, v17, v21
	v_max_f32_e32 v21, v0, v0
	v_max_f32_e32 v16, v16, v16
	v_min_f32_e32 v16, v16, v21
	;; [unrolled: 3-line block ×3, first 2 shown]
	v_max_f32_e32 v21, v2, v2
	v_max_f32_e32 v18, v18, v18
	v_pk_add_f32 v[16:17], v[54:55], v[16:17]
	v_min_f32_e32 v18, v18, v21
	v_pk_add_f32 v[16:17], v[16:17], v[18:19]
	s_nop 0
	v_add_f32_e32 v16, v16, v17
	v_add_f32_e32 v18, v16, v20
	v_lshl_add_u64 v[16:17], v[106:107], 2, v[36:37]
	global_store_dword v[16:17], v18, off
	s_or_b64 exec, exec, s[2:3]
	s_and_b64 s[4:5], s[12:13], s[18:19]
	s_and_saveexec_b64 s[2:3], s[4:5]
	s_cbranch_execz .LBB100_162
.LBB100_185:
	s_and_b64 vcc, exec, s[0:1]
	s_cbranch_vccnz .LBB100_187
; %bb.186:
	v_lshl_add_u64 v[16:17], v[108:109], 2, v[38:39]
	flat_load_dword v16, v[16:17]
	s_waitcnt vmcnt(0) lgkmcnt(0)
	v_mul_f32_e32 v16, s30, v16
	s_branch .LBB100_188
.LBB100_187:
	v_mov_b32_e32 v16, 0
.LBB100_188:
	v_max_f32_e32 v17, v1, v1
	v_max_f32_e32 v13, v13, v13
	v_min_f32_e32 v13, v13, v17
	v_max_f32_e32 v17, v0, v0
	v_max_f32_e32 v12, v12, v12
	v_min_f32_e32 v12, v12, v17
	v_max_f32_e32 v17, v3, v3
	v_max_f32_e32 v15, v15, v15
	v_min_f32_e32 v15, v15, v17
	v_max_f32_e32 v17, v2, v2
	v_max_f32_e32 v14, v14, v14
	v_pk_add_f32 v[12:13], v[52:53], v[12:13]
	v_min_f32_e32 v14, v14, v17
	v_pk_add_f32 v[12:13], v[12:13], v[14:15]
	s_nop 0
	v_add_f32_e32 v12, v12, v13
	v_add_f32_e32 v14, v12, v16
	v_lshl_add_u64 v[12:13], v[108:109], 2, v[36:37]
	global_store_dword v[12:13], v14, off
	s_or_b64 exec, exec, s[2:3]
	s_and_b64 s[4:5], s[14:15], s[18:19]
	s_and_saveexec_b64 s[2:3], s[4:5]
	s_cbranch_execz .LBB100_163
.LBB100_189:
	s_and_b64 vcc, exec, s[0:1]
	s_cbranch_vccnz .LBB100_191
; %bb.190:
	v_lshl_add_u64 v[12:13], v[110:111], 2, v[38:39]
	flat_load_dword v12, v[12:13]
	s_waitcnt vmcnt(0) lgkmcnt(0)
	v_mul_f32_e32 v12, s30, v12
	s_branch .LBB100_192
.LBB100_191:
	v_mov_b32_e32 v12, 0
.LBB100_192:
	v_max_f32_e32 v13, v1, v1
	v_max_f32_e32 v9, v9, v9
	v_min_f32_e32 v9, v9, v13
	v_max_f32_e32 v13, v0, v0
	v_max_f32_e32 v8, v8, v8
	v_min_f32_e32 v8, v8, v13
	v_max_f32_e32 v13, v3, v3
	v_max_f32_e32 v11, v11, v11
	v_min_f32_e32 v11, v11, v13
	v_max_f32_e32 v13, v2, v2
	v_max_f32_e32 v10, v10, v10
	v_pk_add_f32 v[8:9], v[50:51], v[8:9]
	v_min_f32_e32 v10, v10, v13
	v_pk_add_f32 v[8:9], v[8:9], v[10:11]
	s_nop 0
	v_add_f32_e32 v8, v8, v9
	v_add_f32_e32 v10, v8, v12
	v_lshl_add_u64 v[8:9], v[110:111], 2, v[36:37]
	global_store_dword v[8:9], v10, off
	s_or_b64 exec, exec, s[2:3]
	s_and_b64 s[2:3], s[16:17], s[18:19]
	s_and_saveexec_b64 s[4:5], s[2:3]
	s_cbranch_execz .LBB100_164
.LBB100_193:
	s_and_b64 vcc, exec, s[0:1]
	s_cbranch_vccnz .LBB100_195
; %bb.194:
	v_lshl_add_u64 v[8:9], v[112:113], 2, v[38:39]
	flat_load_dword v8, v[8:9]
	s_waitcnt vmcnt(0) lgkmcnt(0)
	v_mul_f32_e32 v8, s30, v8
	s_branch .LBB100_196
.LBB100_195:
	v_mov_b32_e32 v8, 0
.LBB100_196:
	v_max_f32_e32 v0, v0, v0
	v_max_f32_e32 v4, v4, v4
	;; [unrolled: 1-line block ×4, first 2 shown]
	v_min_f32_e32 v0, v4, v0
	v_max_f32_e32 v3, v3, v3
	v_max_f32_e32 v4, v7, v7
	v_min_f32_e32 v1, v5, v1
	v_min_f32_e32 v3, v4, v3
	v_max_f32_e32 v2, v2, v2
	v_max_f32_e32 v4, v6, v6
	v_pk_add_f32 v[0:1], v[48:49], v[0:1]
	v_min_f32_e32 v2, v4, v2
	v_pk_add_f32 v[0:1], v[0:1], v[2:3]
	s_nop 0
	v_add_f32_e32 v0, v0, v1
	v_add_f32_e32 v2, v0, v8
	v_lshl_add_u64 v[0:1], v[112:113], 2, v[36:37]
	global_store_dword v[0:1], v2, off
	s_endpgm
	.section	.rodata,"a",@progbits
	.p2align	6, 0x0
	.amdhsa_kernel _ZN12_GLOBAL__N_120geam_min_plus_kernelIf15HIP_vector_typeIfLj2EES2_Li8ELi32ELi64ELi128ELi4ELi4ELi64ELi64ELi4ELc84ELc84ELb1ELb1ELb0EfKffEEviiiT16_PT17_ilS6_ilS4_S6_ilPT18_ili26rocblas_geam_ex_operation_
		.amdhsa_group_segment_fixed_size 6144
		.amdhsa_private_segment_fixed_size 0
		.amdhsa_kernarg_size 128
		.amdhsa_user_sgpr_count 2
		.amdhsa_user_sgpr_dispatch_ptr 0
		.amdhsa_user_sgpr_queue_ptr 0
		.amdhsa_user_sgpr_kernarg_segment_ptr 1
		.amdhsa_user_sgpr_dispatch_id 0
		.amdhsa_user_sgpr_kernarg_preload_length 0
		.amdhsa_user_sgpr_kernarg_preload_offset 0
		.amdhsa_user_sgpr_private_segment_size 0
		.amdhsa_uses_dynamic_stack 0
		.amdhsa_enable_private_segment 0
		.amdhsa_system_sgpr_workgroup_id_x 1
		.amdhsa_system_sgpr_workgroup_id_y 0
		.amdhsa_system_sgpr_workgroup_id_z 1
		.amdhsa_system_sgpr_workgroup_info 0
		.amdhsa_system_vgpr_workitem_id 1
		.amdhsa_next_free_vgpr 223
		.amdhsa_next_free_sgpr 36
		.amdhsa_accum_offset 224
		.amdhsa_reserve_vcc 1
		.amdhsa_float_round_mode_32 0
		.amdhsa_float_round_mode_16_64 0
		.amdhsa_float_denorm_mode_32 3
		.amdhsa_float_denorm_mode_16_64 3
		.amdhsa_dx10_clamp 1
		.amdhsa_ieee_mode 1
		.amdhsa_fp16_overflow 0
		.amdhsa_tg_split 0
		.amdhsa_exception_fp_ieee_invalid_op 0
		.amdhsa_exception_fp_denorm_src 0
		.amdhsa_exception_fp_ieee_div_zero 0
		.amdhsa_exception_fp_ieee_overflow 0
		.amdhsa_exception_fp_ieee_underflow 0
		.amdhsa_exception_fp_ieee_inexact 0
		.amdhsa_exception_int_div_zero 0
	.end_amdhsa_kernel
	.section	.text._ZN12_GLOBAL__N_120geam_min_plus_kernelIf15HIP_vector_typeIfLj2EES2_Li8ELi32ELi64ELi128ELi4ELi4ELi64ELi64ELi4ELc84ELc84ELb1ELb1ELb0EfKffEEviiiT16_PT17_ilS6_ilS4_S6_ilPT18_ili26rocblas_geam_ex_operation_,"axG",@progbits,_ZN12_GLOBAL__N_120geam_min_plus_kernelIf15HIP_vector_typeIfLj2EES2_Li8ELi32ELi64ELi128ELi4ELi4ELi64ELi64ELi4ELc84ELc84ELb1ELb1ELb0EfKffEEviiiT16_PT17_ilS6_ilS4_S6_ilPT18_ili26rocblas_geam_ex_operation_,comdat
.Lfunc_end100:
	.size	_ZN12_GLOBAL__N_120geam_min_plus_kernelIf15HIP_vector_typeIfLj2EES2_Li8ELi32ELi64ELi128ELi4ELi4ELi64ELi64ELi4ELc84ELc84ELb1ELb1ELb0EfKffEEviiiT16_PT17_ilS6_ilS4_S6_ilPT18_ili26rocblas_geam_ex_operation_, .Lfunc_end100-_ZN12_GLOBAL__N_120geam_min_plus_kernelIf15HIP_vector_typeIfLj2EES2_Li8ELi32ELi64ELi128ELi4ELi4ELi64ELi64ELi4ELc84ELc84ELb1ELb1ELb0EfKffEEviiiT16_PT17_ilS6_ilS4_S6_ilPT18_ili26rocblas_geam_ex_operation_
                                        ; -- End function
	.section	.AMDGPU.csdata,"",@progbits
; Kernel info:
; codeLenInByte = 11004
; NumSgprs: 42
; NumVgprs: 223
; NumAgprs: 0
; TotalNumVgprs: 223
; ScratchSize: 0
; MemoryBound: 0
; FloatMode: 240
; IeeeMode: 1
; LDSByteSize: 6144 bytes/workgroup (compile time only)
; SGPRBlocks: 5
; VGPRBlocks: 27
; NumSGPRsForWavesPerEU: 42
; NumVGPRsForWavesPerEU: 223
; AccumOffset: 224
; Occupancy: 2
; WaveLimiterHint : 0
; COMPUTE_PGM_RSRC2:SCRATCH_EN: 0
; COMPUTE_PGM_RSRC2:USER_SGPR: 2
; COMPUTE_PGM_RSRC2:TRAP_HANDLER: 0
; COMPUTE_PGM_RSRC2:TGID_X_EN: 1
; COMPUTE_PGM_RSRC2:TGID_Y_EN: 0
; COMPUTE_PGM_RSRC2:TGID_Z_EN: 1
; COMPUTE_PGM_RSRC2:TIDIG_COMP_CNT: 1
; COMPUTE_PGM_RSRC3_GFX90A:ACCUM_OFFSET: 55
; COMPUTE_PGM_RSRC3_GFX90A:TG_SPLIT: 0
	.section	.text._ZN12_GLOBAL__N_120geam_min_plus_kernelIf15HIP_vector_typeIfLj2EES2_Li8ELi32ELi64ELi128ELi4ELi4ELi64ELi64ELi4ELc84ELc84ELb0ELb1ELb0EfKffEEviiiT16_PT17_ilS6_ilS4_S6_ilPT18_ili26rocblas_geam_ex_operation_,"axG",@progbits,_ZN12_GLOBAL__N_120geam_min_plus_kernelIf15HIP_vector_typeIfLj2EES2_Li8ELi32ELi64ELi128ELi4ELi4ELi64ELi64ELi4ELc84ELc84ELb0ELb1ELb0EfKffEEviiiT16_PT17_ilS6_ilS4_S6_ilPT18_ili26rocblas_geam_ex_operation_,comdat
	.globl	_ZN12_GLOBAL__N_120geam_min_plus_kernelIf15HIP_vector_typeIfLj2EES2_Li8ELi32ELi64ELi128ELi4ELi4ELi64ELi64ELi4ELc84ELc84ELb0ELb1ELb0EfKffEEviiiT16_PT17_ilS6_ilS4_S6_ilPT18_ili26rocblas_geam_ex_operation_ ; -- Begin function _ZN12_GLOBAL__N_120geam_min_plus_kernelIf15HIP_vector_typeIfLj2EES2_Li8ELi32ELi64ELi128ELi4ELi4ELi64ELi64ELi4ELc84ELc84ELb0ELb1ELb0EfKffEEviiiT16_PT17_ilS6_ilS4_S6_ilPT18_ili26rocblas_geam_ex_operation_
	.p2align	8
	.type	_ZN12_GLOBAL__N_120geam_min_plus_kernelIf15HIP_vector_typeIfLj2EES2_Li8ELi32ELi64ELi128ELi4ELi4ELi64ELi64ELi4ELc84ELc84ELb0ELb1ELb0EfKffEEviiiT16_PT17_ilS6_ilS4_S6_ilPT18_ili26rocblas_geam_ex_operation_,@function
_ZN12_GLOBAL__N_120geam_min_plus_kernelIf15HIP_vector_typeIfLj2EES2_Li8ELi32ELi64ELi128ELi4ELi4ELi64ELi64ELi4ELc84ELc84ELb0ELb1ELb0EfKffEEviiiT16_PT17_ilS6_ilS4_S6_ilPT18_ili26rocblas_geam_ex_operation_: ; @_ZN12_GLOBAL__N_120geam_min_plus_kernelIf15HIP_vector_typeIfLj2EES2_Li8ELi32ELi64ELi128ELi4ELi4ELi64ELi64ELi4ELc84ELc84ELb0ELb1ELb0EfKffEEviiiT16_PT17_ilS6_ilS4_S6_ilPT18_ili26rocblas_geam_ex_operation_
; %bb.0:
	s_load_dwordx4 s[20:23], s[0:1], 0x0
	s_load_dwordx4 s[4:7], s[0:1], 0x20
	s_waitcnt lgkmcnt(0)
	v_cmp_eq_f32_e64 s[8:9], s23, 0
	v_cmp_neq_f32_e64 s[16:17], s23, 0
	s_and_b64 vcc, exec, s[8:9]
	s_cbranch_vccnz .LBB101_3
; %bb.1:
	s_load_dwordx2 s[10:11], s[0:1], 0x10
	s_mul_i32 s5, s3, s5
	s_mul_hi_u32 s12, s3, s4
	s_add_i32 s5, s12, s5
	s_mul_i32 s4, s3, s4
	s_lshl_b64 s[4:5], s[4:5], 2
	s_waitcnt lgkmcnt(0)
	s_add_u32 s28, s10, s4
	s_addc_u32 s29, s11, s5
	s_andn2_b64 vcc, exec, s[8:9]
	s_cbranch_vccnz .LBB101_4
.LBB101_2:
	s_mov_b32 s13, 0
	s_mov_b64 s[18:19], 0
	s_cbranch_execz .LBB101_5
	s_branch .LBB101_6
.LBB101_3:
	s_mov_b64 s[28:29], 0
	s_andn2_b64 vcc, exec, s[8:9]
	s_cbranch_vccz .LBB101_2
.LBB101_4:
                                        ; implicit-def: $sgpr18_sgpr19
                                        ; implicit-def: $sgpr12_sgpr13
.LBB101_5:
	s_load_dwordx2 s[4:5], s[0:1], 0x38
	s_mov_b32 s13, 0
	s_waitcnt lgkmcnt(0)
	s_mul_i32 s5, s3, s5
	s_mul_hi_u32 s8, s3, s4
	s_add_i32 s5, s8, s5
	s_mul_i32 s4, s3, s4
	s_lshl_b64 s[4:5], s[4:5], 2
	s_add_u32 s18, s6, s4
	s_addc_u32 s19, s7, s5
.LBB101_6:
	s_load_dword s33, s[0:1], 0x40
	s_load_dwordx4 s[8:11], s[0:1], 0x58
	s_waitcnt lgkmcnt(0)
	v_cmp_eq_f32_e64 s[4:5], s33, 0
	v_cmp_neq_f32_e64 s[14:15], s33, 0
	s_and_b64 vcc, exec, s[4:5]
	s_cbranch_vccnz .LBB101_8
; %bb.7:
	s_load_dwordx2 s[4:5], s[0:1], 0x48
	s_mul_i32 s6, s3, s9
	s_mul_hi_u32 s7, s3, s8
	s_add_i32 s6, s7, s6
	s_mul_i32 s7, s13, s8
	s_add_i32 s7, s6, s7
	s_mul_i32 s6, s3, s8
	s_lshl_b64 s[6:7], s[6:7], 2
	s_waitcnt lgkmcnt(0)
	s_add_u32 s24, s4, s6
	s_addc_u32 s25, s5, s7
	s_branch .LBB101_9
.LBB101_8:
	s_mov_b64 s[24:25], 0
.LBB101_9:
	s_add_i32 s4, s20, -1
	s_ashr_i32 s5, s4, 31
	s_lshr_b32 s5, s5, 26
	s_add_i32 s4, s4, s5
	s_ashr_i32 s4, s4, 6
	s_add_i32 s5, s4, 1
	v_cvt_f32_u32_e32 v1, s5
	v_and_b32_e32 v198, 0x3ff, v0
	v_bfe_u32 v199, v0, 10, 10
	s_not_b32 s4, s4
	v_rcp_iflag_f32_e32 v1, v1
	v_lshl_add_u32 v2, v199, 3, v198
	s_load_dword s36, s[0:1], 0x18
	v_lshrrev_b32_e32 v7, 2, v2
	v_mul_f32_e32 v0, 0x4f7ffffe, v1
	v_cvt_u32_f32_e32 v0, v0
	v_and_b32_e32 v200, 3, v198
	v_mov_b32_e32 v8, 0
	v_mov_b32_e32 v9, 0
	v_readfirstlane_b32 s6, v0
	s_mul_i32 s4, s4, s6
	s_mul_hi_u32 s4, s6, s4
	s_add_i32 s6, s6, s4
	s_mul_hi_u32 s4, s2, s6
	s_mul_i32 s6, s4, s5
	s_sub_i32 s6, s2, s6
	s_add_i32 s7, s4, 1
	s_sub_i32 s8, s6, s5
	s_cmp_ge_u32 s6, s5
	s_cselect_b32 s4, s7, s4
	s_cselect_b32 s6, s8, s6
	s_add_i32 s7, s4, 1
	s_cmp_ge_u32 s6, s5
	s_cselect_b32 s6, s7, s4
	s_mul_i32 s4, s6, s5
	s_sub_i32 s2, s2, s4
	s_lshl_b32 s2, s2, 6
	v_add_u32_e32 v4, s2, v7
	v_cmp_gt_i32_e64 s[4:5], s22, v200
	v_cmp_gt_i32_e32 vcc, s20, v4
	s_and_b64 s[4:5], s[4:5], vcc
	s_and_b64 s[8:9], s[16:17], s[4:5]
	v_lshlrev_b32_e32 v0, 2, v200
	s_and_saveexec_b64 s[4:5], s[8:9]
	s_cbranch_execz .LBB101_11
; %bb.10:
	s_waitcnt lgkmcnt(0)
	v_mad_i64_i32 v[10:11], s[8:9], v4, s36, 0
	v_lshl_add_u64 v[10:11], v[10:11], 2, s[28:29]
	v_mov_b32_e32 v1, 0
	v_lshl_add_u64 v[10:11], v[10:11], 0, v[0:1]
	flat_load_dword v1, v[10:11]
	s_waitcnt vmcnt(0) lgkmcnt(0)
	v_mul_f32_e32 v9, s23, v1
.LBB101_11:
	s_or_b64 exec, exec, s[4:5]
	s_load_dword s34, s[0:1], 0x30
	v_and_b32_e32 v10, 63, v2
	v_lshrrev_b32_e32 v201, 6, v2
	s_lshl_b32 s12, s6, 7
	s_add_i32 s35, s22, -1
	v_or_b32_e32 v72, s12, v10
	v_min_i32_e32 v1, s35, v201
	v_cmp_le_i32_e64 s[6:7], s22, v201
	s_waitcnt lgkmcnt(0)
	v_mad_i64_i32 v[2:3], s[4:5], s34, v1, 0
	v_cmp_le_i32_e64 s[8:9], s21, v72
	s_or_b64 s[4:5], s[8:9], s[6:7]
	s_xor_b64 s[26:27], s[16:17], -1
	s_or_b64 s[4:5], s[4:5], s[26:27]
	v_lshl_add_u64 v[2:3], v[2:3], 2, s[18:19]
	s_xor_b64 s[30:31], s[4:5], -1
	v_ashrrev_i32_e32 v73, 31, v72
	s_and_saveexec_b64 s[4:5], s[30:31]
	s_cbranch_execz .LBB101_13
; %bb.12:
	v_lshl_add_u64 v[12:13], v[72:73], 2, v[2:3]
	flat_load_dword v1, v[12:13]
	s_waitcnt vmcnt(0) lgkmcnt(0)
	v_mul_f32_e32 v8, s23, v1
.LBB101_13:
	s_or_b64 exec, exec, s[4:5]
	v_or_b32_e32 v1, 64, v72
	v_cmp_le_i32_e64 s[4:5], s21, v1
	s_or_b64 s[6:7], s[4:5], s[6:7]
	s_or_b64 s[6:7], s[6:7], s[26:27]
	s_xor_b64 s[30:31], s[6:7], -1
	v_mov_b32_e32 v1, 0
	v_mov_b32_e32 v11, 0
	s_and_saveexec_b64 s[6:7], s[30:31]
	s_cbranch_execz .LBB101_15
; %bb.14:
	v_lshl_add_u64 v[2:3], v[72:73], 2, v[2:3]
	flat_load_dword v2, v[2:3] offset:256
	s_waitcnt vmcnt(0) lgkmcnt(0)
	v_mul_f32_e32 v11, s23, v2
.LBB101_15:
	s_or_b64 exec, exec, s[6:7]
	v_or_b32_e32 v2, 4, v200
	v_cmp_gt_i32_e64 s[6:7], s22, v2
	s_and_b64 s[6:7], s[6:7], vcc
	s_and_b64 s[30:31], s[16:17], s[6:7]
	s_and_saveexec_b64 s[6:7], s[30:31]
	s_cbranch_execz .LBB101_17
; %bb.16:
	v_mad_i64_i32 v[2:3], s[30:31], v4, s36, 0
	v_lshl_add_u64 v[2:3], v[2:3], 2, s[28:29]
	v_mov_b32_e32 v1, 0
	v_lshl_add_u64 v[2:3], v[2:3], 0, v[0:1]
	flat_load_dword v1, v[2:3] offset:16
	s_waitcnt vmcnt(0) lgkmcnt(0)
	v_mul_f32_e32 v1, s23, v1
.LBB101_17:
	s_or_b64 exec, exec, s[6:7]
	v_add_u32_e32 v2, 4, v201
	v_cmp_le_i32_e64 s[6:7], s22, v2
	v_min_i32_e32 v2, s35, v2
	v_mad_i64_i32 v[2:3], s[30:31], s34, v2, 0
	s_or_b64 s[30:31], s[8:9], s[6:7]
	s_or_b64 s[30:31], s[30:31], s[26:27]
	v_lshl_add_u64 v[2:3], v[2:3], 2, s[18:19]
	s_xor_b64 s[38:39], s[30:31], -1
	v_mov_b32_e32 v5, 0
	v_mov_b32_e32 v6, 0
	s_and_saveexec_b64 s[30:31], s[38:39]
	s_cbranch_execz .LBB101_19
; %bb.18:
	v_lshl_add_u64 v[12:13], v[72:73], 2, v[2:3]
	flat_load_dword v6, v[12:13]
	s_waitcnt vmcnt(0) lgkmcnt(0)
	v_mul_f32_e32 v6, s23, v6
.LBB101_19:
	s_or_b64 exec, exec, s[30:31]
	s_or_b64 s[6:7], s[4:5], s[6:7]
	s_or_b64 s[6:7], s[6:7], s[26:27]
	s_xor_b64 s[30:31], s[6:7], -1
	s_and_saveexec_b64 s[6:7], s[30:31]
	s_cbranch_execz .LBB101_21
; %bb.20:
	v_lshl_add_u64 v[2:3], v[72:73], 2, v[2:3]
	flat_load_dword v2, v[2:3] offset:256
	s_waitcnt vmcnt(0) lgkmcnt(0)
	v_mul_f32_e32 v5, s23, v2
.LBB101_21:
	s_or_b64 exec, exec, s[6:7]
	v_lshlrev_b32_e32 v3, 2, v201
	v_lshl_or_b32 v2, v7, 4, v0
	v_lshl_add_u32 v204, v10, 4, v3
	v_lshlrev_b32_e32 v203, 4, v199
	ds_write_b32 v2, v9 offset:4096
	ds_write2st64_b32 v204, v8, v11 offset1:4
	s_waitcnt lgkmcnt(0)
	s_barrier
	ds_read_b128 v[8:11], v203
	v_lshlrev_b32_e32 v202, 4, v198
	ds_read_b128 v[12:15], v202 offset:4992
	ds_read_b128 v[16:19], v203 offset:512
	;; [unrolled: 1-line block ×5, first 2 shown]
	s_waitcnt lgkmcnt(5)
	v_max_f32_e32 v3, v9, v9
	s_waitcnt lgkmcnt(4)
	v_max_f32_e32 v7, v13, v13
	v_max_f32_e32 v56, v8, v8
	;; [unrolled: 1-line block ×3, first 2 shown]
	ds_read_b128 v[32:35], v202 offset:4096
	ds_read_b128 v[36:39], v202 offset:4224
	v_max_f32_e32 v112, v11, v11
	v_max_f32_e32 v122, v15, v15
	v_max_f32_e32 v113, v10, v10
	v_max_f32_e32 v123, v14, v14
	ds_read_b128 v[8:11], v202 offset:4352
	ds_read_b128 v[12:15], v202 offset:4480
	s_waitcnt lgkmcnt(4)
	v_max_f32_e32 v126, v31, v31
	v_max_f32_e32 v127, v30, v30
	s_waitcnt lgkmcnt(2)
	v_max_f32_e32 v70, v38, v38
	s_waitcnt lgkmcnt(1)
	v_max_f32_e32 v30, v8, v8
	v_max_f32_e32 v31, v9, v9
	s_waitcnt lgkmcnt(0)
	v_max_f32_e32 v40, v12, v12
	v_max_f32_e32 v74, v10, v10
	;; [unrolled: 1-line block ×3, first 2 shown]
	ds_read_b128 v[8:11], v202 offset:4608
	v_max_f32_e32 v38, v13, v13
	v_max_f32_e32 v86, v14, v14
	;; [unrolled: 1-line block ×3, first 2 shown]
	ds_read_b128 v[12:15], v202 offset:4736
	v_max_f32_e32 v58, v17, v17
	v_max_f32_e32 v59, v16, v16
	;; [unrolled: 1-line block ×6, first 2 shown]
	s_waitcnt lgkmcnt(0)
	v_max_f32_e32 v54, v12, v12
	v_max_f32_e32 v55, v13, v13
	;; [unrolled: 1-line block ×10, first 2 shown]
	v_min_f32_e32 v48, v54, v56
	v_min_f32_e32 v49, v55, v3
	;; [unrolled: 1-line block ×10, first 2 shown]
	v_max_f32_e32 v124, v19, v19
	v_max_f32_e32 v125, v18, v18
	;; [unrolled: 1-line block ×11, first 2 shown]
	v_min_f32_e32 v8, v16, v56
	v_min_f32_e32 v10, v16, v59
	;; [unrolled: 1-line block ×37, first 2 shown]
	v_pk_add_f32 v[54:55], v[54:55], 0 op_sel_hi:[1,0]
	v_min_f32_e32 v61, v122, v112
	v_min_f32_e32 v60, v123, v113
	v_pk_add_f32 v[98:99], v[54:55], v[60:61]
	v_pk_add_f32 v[54:55], v[56:57], 0 op_sel_hi:[1,0]
	v_min_f32_e32 v57, v122, v124
	v_min_f32_e32 v56, v123, v125
	;; [unrolled: 1-line block ×3, first 2 shown]
	v_pk_add_f32 v[82:83], v[54:55], v[56:57]
	v_pk_add_f32 v[54:55], v[58:59], 0 op_sel_hi:[1,0]
	v_min_f32_e32 v57, v122, v126
	v_min_f32_e32 v56, v123, v127
	;; [unrolled: 1-line block ×8, first 2 shown]
	v_pk_add_f32 v[64:65], v[54:55], v[56:57]
	v_pk_add_f32 v[8:9], v[8:9], 0 op_sel_hi:[1,0]
	v_min_f32_e32 v54, v68, v113
	v_min_f32_e32 v55, v69, v112
	v_pk_add_f32 v[114:115], v[8:9], v[54:55]
	v_pk_add_f32 v[8:9], v[10:11], 0 op_sel_hi:[1,0]
	v_min_f32_e32 v10, v68, v125
	v_min_f32_e32 v11, v69, v124
	v_max_f32_e32 v131, v15, v15
	v_min_f32_e32 v15, v17, v63
	v_pk_add_f32 v[96:97], v[8:9], v[10:11]
	v_pk_add_f32 v[8:9], v[12:13], 0 op_sel_hi:[1,0]
	v_min_f32_e32 v10, v68, v127
	v_min_f32_e32 v11, v69, v126
	;; [unrolled: 1-line block ×3, first 2 shown]
	v_pk_add_f32 v[80:81], v[8:9], v[10:11]
	v_min_f32_e32 v9, v69, v128
	v_min_f32_e32 v8, v68, v129
	v_pk_add_f32 v[10:11], v[14:15], 0 op_sel_hi:[1,0]
	v_max_f32_e32 v133, v23, v23
	v_min_f32_e32 v23, v25, v63
	v_min_f32_e32 v25, v31, v3
	;; [unrolled: 1-line block ×7, first 2 shown]
	v_pk_add_f32 v[62:63], v[10:11], v[8:9]
	v_pk_add_f32 v[8:9], v[16:17], 0 op_sel_hi:[1,0]
	v_min_f32_e32 v10, v70, v113
	v_min_f32_e32 v11, v71, v112
	v_pk_add_f32 v[102:103], v[8:9], v[10:11]
	v_pk_add_f32 v[8:9], v[18:19], 0 op_sel_hi:[1,0]
	v_min_f32_e32 v10, v70, v125
	v_min_f32_e32 v11, v71, v124
	;; [unrolled: 4-line block ×3, first 2 shown]
	v_pk_add_f32 v[78:79], v[8:9], v[10:11]
	v_min_f32_e32 v9, v71, v128
	v_min_f32_e32 v8, v70, v129
	v_pk_add_f32 v[10:11], v[22:23], 0 op_sel_hi:[1,0]
	v_min_f32_e32 v85, v76, v3
	v_pk_add_f32 v[60:61], v[10:11], v[8:9]
	v_pk_add_f32 v[8:9], v[24:25], 0 op_sel_hi:[1,0]
	v_min_f32_e32 v10, v74, v113
	v_min_f32_e32 v11, v75, v112
	v_pk_add_f32 v[104:105], v[8:9], v[10:11]
	v_pk_add_f32 v[8:9], v[26:27], 0 op_sel_hi:[1,0]
	v_min_f32_e32 v10, v74, v125
	;; [unrolled: 4-line block ×3, first 2 shown]
	v_min_f32_e32 v11, v75, v126
	v_pk_add_f32 v[76:77], v[8:9], v[10:11]
	v_min_f32_e32 v9, v75, v128
	v_min_f32_e32 v8, v74, v129
	v_pk_add_f32 v[10:11], v[30:31], 0 op_sel_hi:[1,0]
	s_cmp_lt_i32 s22, 9
	v_pk_add_f32 v[58:59], v[10:11], v[8:9]
	v_pk_add_f32 v[8:9], v[32:33], 0 op_sel_hi:[1,0]
	v_min_f32_e32 v10, v86, v113
	v_min_f32_e32 v11, v87, v112
	v_pk_add_f32 v[106:107], v[8:9], v[10:11]
	v_pk_add_f32 v[8:9], v[34:35], 0 op_sel_hi:[1,0]
	v_min_f32_e32 v10, v86, v125
	v_min_f32_e32 v11, v87, v124
	;; [unrolled: 4-line block ×3, first 2 shown]
	v_pk_add_f32 v[74:75], v[8:9], v[10:11]
	v_min_f32_e32 v9, v87, v128
	v_min_f32_e32 v8, v86, v129
	v_pk_add_f32 v[10:11], v[38:39], 0 op_sel_hi:[1,0]
	ds_write2st64_b32 v204, v6, v5 offset0:8 offset1:12
	ds_write_b32 v2, v1 offset:5120
	v_pk_add_f32 v[56:57], v[10:11], v[8:9]
	v_pk_add_f32 v[8:9], v[40:41], 0 op_sel_hi:[1,0]
	v_min_f32_e32 v10, v110, v113
	v_min_f32_e32 v11, v111, v112
	v_pk_add_f32 v[108:109], v[8:9], v[10:11]
	v_pk_add_f32 v[8:9], v[42:43], 0 op_sel_hi:[1,0]
	v_min_f32_e32 v10, v110, v125
	v_min_f32_e32 v11, v111, v124
	v_pk_add_f32 v[88:89], v[8:9], v[10:11]
	v_pk_add_f32 v[8:9], v[44:45], 0 op_sel_hi:[1,0]
	v_min_f32_e32 v10, v110, v127
	v_min_f32_e32 v11, v111, v126
	v_pk_add_f32 v[70:71], v[8:9], v[10:11]
	v_min_f32_e32 v9, v111, v128
	v_min_f32_e32 v8, v110, v129
	v_pk_add_f32 v[10:11], v[46:47], 0 op_sel_hi:[1,0]
	s_waitcnt lgkmcnt(0)
	v_pk_add_f32 v[54:55], v[10:11], v[8:9]
	v_pk_add_f32 v[8:9], v[48:49], 0 op_sel_hi:[1,0]
	v_min_f32_e32 v10, v130, v113
	v_min_f32_e32 v11, v131, v112
	v_pk_add_f32 v[110:111], v[8:9], v[10:11]
	v_pk_add_f32 v[8:9], v[50:51], 0 op_sel_hi:[1,0]
	v_min_f32_e32 v10, v130, v125
	v_min_f32_e32 v11, v131, v124
	;; [unrolled: 4-line block ×3, first 2 shown]
	v_pk_add_f32 v[68:69], v[8:9], v[10:11]
	v_min_f32_e32 v9, v131, v128
	v_min_f32_e32 v8, v130, v129
	v_pk_add_f32 v[10:11], v[66:67], 0 op_sel_hi:[1,0]
	s_barrier
	v_pk_add_f32 v[52:53], v[10:11], v[8:9]
	v_min_f32_e32 v8, v132, v113
	v_min_f32_e32 v9, v133, v112
	v_pk_add_f32 v[10:11], v[84:85], 0 op_sel_hi:[1,0]
	s_nop 0
	v_pk_add_f32 v[112:113], v[10:11], v[8:9]
	v_min_f32_e32 v8, v132, v125
	v_min_f32_e32 v9, v133, v124
	v_pk_add_f32 v[10:11], v[100:101], 0 op_sel_hi:[1,0]
	s_nop 0
	;; [unrolled: 5-line block ×5, first 2 shown]
	v_pk_add_f32 v[48:49], v[10:11], v[8:9]
	s_cbranch_scc1 .LBB101_36
; %bb.22:
	v_mov_b32_e32 v1, 0x1400
	v_lshl_add_u32 v209, v198, 4, v1
	v_mov_b32_e32 v1, 0x800
	v_add_u32_e32 v205, 0x1000, v2
	v_add_u32_e32 v207, 0x1400, v2
	v_lshl_add_u32 v210, v199, 4, v1
	v_mad_i64_i32 v[2:3], s[6:7], s36, v4, 0
	v_mov_b32_e32 v1, 0
	v_lshl_add_u64 v[0:1], v[2:3], 2, v[0:1]
	v_lshl_add_u64 v[0:1], v[0:1], 0, s[28:29]
	v_add_u32_e32 v206, 0x1000, v202
	v_or_b32_e32 v208, 0x800, v204
	s_add_i32 s30, s22, -8
	v_lshl_add_u64 v[100:101], v[0:1], 0, 48
	s_mov_b32 s31, 0
	s_branch .LBB101_24
.LBB101_23:                             ;   in Loop: Header=BB101_24 Depth=1
	s_or_b64 exec, exec, s[6:7]
	v_pk_add_f32 v[40:41], v[98:99], v[40:41]
	v_pk_add_f32 v[32:33], v[64:65], v[32:33]
	;; [unrolled: 1-line block ×20, first 2 shown]
	ds_read_b128 v[0:3], v203
	ds_read_b128 v[8:11], v203 offset:512
	v_pk_add_f32 v[20:21], v[114:115], v[6:7]
	ds_read_b128 v[4:7], v206 offset:896
	v_pk_add_f32 v[44:45], v[96:97], v[44:45]
	v_pk_add_f32 v[28:29], v[80:81], v[28:29]
	;; [unrolled: 1-line block ×21, first 2 shown]
	ds_read_b128 v[12:15], v206 offset:768
	s_waitcnt lgkmcnt(1)
	v_max_f32_e32 v95, v5, v5
	v_max_f32_e32 v97, v4, v4
	;; [unrolled: 1-line block ×4, first 2 shown]
	v_pk_add_f32 v[78:79], v[36:37], v[38:39]
	v_pk_add_f32 v[74:75], v[28:29], v[30:31]
	;; [unrolled: 1-line block ×6, first 2 shown]
	ds_read_b128 v[82:85], v203 offset:1536
	ds_read_b128 v[86:89], v203 offset:1024
	v_min_f32_e32 v5, v95, v98
	v_min_f32_e32 v4, v97, v99
	v_pk_add_f32 v[60:61], v[62:63], v[162:163]
	v_pk_add_f32 v[62:63], v[80:81], v[160:161]
	;; [unrolled: 1-line block ×3, first 2 shown]
	ds_read_b128 v[78:81], v206
	v_pk_add_f32 v[92:93], v[92:93], v[126:127]
	v_pk_add_f32 v[90:91], v[90:91], v[132:133]
	;; [unrolled: 1-line block ×3, first 2 shown]
	s_waitcnt lgkmcnt(1)
	v_max_f32_e32 v102, v87, v87
	v_max_f32_e32 v103, v86, v86
	v_pk_add_f32 v[106:107], v[54:55], v[142:143]
	v_pk_add_f32 v[54:55], v[92:93], v[166:167]
	v_pk_add_f32 v[46:47], v[90:91], v[172:173]
	ds_read_b128 v[90:93], v206 offset:128
	v_max_f32_e32 v94, v1, v1
	v_max_f32_e32 v96, v0, v0
	v_min_f32_e32 v9, v95, v102
	v_min_f32_e32 v8, v97, v103
	s_waitcnt lgkmcnt(1)
	v_max_f32_e32 v86, v78, v78
	v_max_f32_e32 v87, v79, v79
	v_pk_add_f32 v[8:9], v[76:77], v[8:9]
	v_min_f32_e32 v76, v86, v96
	v_min_f32_e32 v77, v87, v94
	v_pk_add_f32 v[76:77], v[68:69], v[76:77]
	v_min_f32_e32 v68, v86, v99
	v_min_f32_e32 v69, v87, v98
	;; [unrolled: 3-line block ×3, first 2 shown]
	v_max_f32_e32 v83, v83, v83
	v_max_f32_e32 v82, v82, v82
	v_pk_add_f32 v[66:67], v[24:25], v[26:27]
	v_pk_add_f32 v[74:75], v[74:75], v[68:69]
	v_min_f32_e32 v69, v87, v83
	v_min_f32_e32 v68, v86, v82
	v_pk_add_f32 v[86:87], v[66:67], v[68:69]
	s_waitcnt lgkmcnt(0)
	v_max_f32_e32 v68, v90, v90
	v_max_f32_e32 v69, v91, v91
	v_min_f32_e32 v66, v68, v96
	v_min_f32_e32 v67, v69, v94
	v_pk_add_f32 v[60:61], v[60:61], v[66:67]
	v_min_f32_e32 v66, v68, v99
	v_min_f32_e32 v67, v69, v98
	v_pk_add_f32 v[90:91], v[62:63], v[66:67]
	;; [unrolled: 3-line block ×3, first 2 shown]
	v_pk_add_f32 v[104:105], v[64:65], v[62:63]
	ds_read_b128 v[64:67], v206 offset:256
	v_min_f32_e32 v63, v69, v83
	v_min_f32_e32 v62, v68, v82
	ds_read_b128 v[68:71], v206 offset:384
	v_pk_add_f32 v[58:59], v[58:59], v[62:63]
	s_waitcnt lgkmcnt(1)
	v_max_f32_e32 v64, v64, v64
	v_max_f32_e32 v65, v65, v65
	v_min_f32_e32 v62, v64, v96
	v_min_f32_e32 v63, v65, v94
	v_pk_add_f32 v[52:53], v[52:53], v[62:63]
	v_min_f32_e32 v62, v64, v99
	v_min_f32_e32 v63, v65, v98
	v_pk_add_f32 v[54:55], v[54:55], v[62:63]
	;; [unrolled: 3-line block ×4, first 2 shown]
	v_pk_add_f32 v[106:107], v[50:51], v[62:63]
	s_waitcnt lgkmcnt(0)
	v_max_f32_e32 v62, v68, v68
	v_max_f32_e32 v63, v69, v69
	v_min_f32_e32 v50, v62, v96
	v_min_f32_e32 v51, v63, v94
	v_pk_add_f32 v[68:69], v[44:45], v[50:51]
	v_min_f32_e32 v44, v62, v99
	v_min_f32_e32 v45, v63, v98
	v_pk_add_f32 v[28:29], v[108:109], v[190:191]
	v_pk_add_f32 v[108:109], v[46:47], v[44:45]
	v_min_f32_e32 v44, v62, v103
	v_min_f32_e32 v45, v63, v102
	v_pk_add_f32 v[26:27], v[110:111], v[192:193]
	v_pk_add_f32 v[110:111], v[48:49], v[44:45]
	ds_read_b128 v[44:47], v206 offset:512
	v_min_f32_e32 v49, v63, v83
	v_min_f32_e32 v48, v62, v82
	v_pk_add_f32 v[42:43], v[42:43], v[48:49]
	ds_read_b128 v[48:51], v206 offset:640
	s_waitcnt lgkmcnt(1)
	v_max_f32_e32 v62, v44, v44
	v_max_f32_e32 v63, v45, v45
	v_min_f32_e32 v44, v62, v96
	v_min_f32_e32 v45, v63, v94
	v_pk_add_f32 v[36:37], v[36:37], v[44:45]
	v_min_f32_e32 v44, v62, v99
	v_min_f32_e32 v45, v63, v98
	v_pk_add_f32 v[38:39], v[38:39], v[44:45]
	;; [unrolled: 3-line block ×3, first 2 shown]
	v_min_f32_e32 v45, v63, v83
	v_min_f32_e32 v44, v62, v82
	s_waitcnt lgkmcnt(0)
	v_max_f32_e32 v48, v48, v48
	v_max_f32_e32 v49, v49, v49
	v_pk_add_f32 v[34:35], v[34:35], v[44:45]
	v_min_f32_e32 v44, v48, v96
	v_min_f32_e32 v45, v49, v94
	v_pk_add_f32 v[28:29], v[28:29], v[44:45]
	v_min_f32_e32 v44, v48, v99
	v_min_f32_e32 v45, v49, v98
	;; [unrolled: 3-line block ×4, first 2 shown]
	v_pk_add_f32 v[112:113], v[112:113], v[152:153]
	v_pk_add_f32 v[26:27], v[26:27], v[44:45]
	v_max_f32_e32 v44, v12, v12
	v_max_f32_e32 v45, v13, v13
	v_pk_add_f32 v[24:25], v[112:113], v[196:197]
	v_min_f32_e32 v12, v44, v96
	v_min_f32_e32 v13, v45, v94
	v_pk_add_f32 v[12:13], v[24:25], v[12:13]
	v_min_f32_e32 v24, v44, v99
	v_min_f32_e32 v25, v45, v98
	;; [unrolled: 3-line block ×4, first 2 shown]
	v_pk_add_f32 v[16:17], v[116:117], v[186:187]
	v_pk_add_f32 v[20:21], v[20:21], v[24:25]
	v_min_f32_e32 v25, v95, v83
	v_min_f32_e32 v24, v97, v82
	;; [unrolled: 1-line block ×4, first 2 shown]
	v_pk_add_f32 v[16:17], v[16:17], v[24:25]
	v_max_f32_e32 v24, v3, v3
	v_max_f32_e32 v7, v7, v7
	;; [unrolled: 1-line block ×4, first 2 shown]
	v_pk_add_f32 v[0:1], v[118:119], v[0:1]
	v_min_f32_e32 v3, v7, v24
	v_min_f32_e32 v2, v6, v25
	v_pk_add_f32 v[98:99], v[0:1], v[2:3]
	v_max_f32_e32 v2, v11, v11
	v_max_f32_e32 v3, v10, v10
	v_min_f32_e32 v1, v7, v2
	v_min_f32_e32 v0, v6, v3
	v_pk_add_f32 v[82:83], v[4:5], v[0:1]
	v_max_f32_e32 v4, v89, v89
	v_max_f32_e32 v5, v88, v88
	;; [unrolled: 5-line block ×3, first 2 shown]
	v_min_f32_e32 v0, v8, v25
	v_min_f32_e32 v1, v9, v24
	v_pk_add_f32 v[114:115], v[76:77], v[0:1]
	v_min_f32_e32 v0, v8, v3
	v_min_f32_e32 v1, v9, v2
	v_pk_add_f32 v[96:97], v[78:79], v[0:1]
	v_min_f32_e32 v0, v8, v5
	v_min_f32_e32 v1, v9, v4
	v_max_f32_e32 v10, v85, v85
	v_pk_add_f32 v[80:81], v[74:75], v[0:1]
	v_min_f32_e32 v1, v9, v10
	v_max_f32_e32 v9, v84, v84
	v_min_f32_e32 v0, v8, v9
	v_max_f32_e32 v8, v92, v92
	v_max_f32_e32 v11, v93, v93
	v_pk_add_f32 v[62:63], v[86:87], v[0:1]
	v_min_f32_e32 v0, v8, v25
	v_min_f32_e32 v1, v11, v24
	v_pk_add_f32 v[102:103], v[60:61], v[0:1]
	v_min_f32_e32 v0, v8, v3
	v_min_f32_e32 v1, v11, v2
	v_pk_add_f32 v[94:95], v[90:91], v[0:1]
	v_min_f32_e32 v0, v8, v5
	v_min_f32_e32 v1, v11, v4
	v_pk_add_f32 v[78:79], v[104:105], v[0:1]
	v_min_f32_e32 v1, v11, v10
	v_min_f32_e32 v0, v8, v9
	v_max_f32_e32 v8, v66, v66
	v_max_f32_e32 v11, v67, v67
	v_pk_add_f32 v[60:61], v[58:59], v[0:1]
	v_min_f32_e32 v0, v8, v25
	v_min_f32_e32 v1, v11, v24
	v_pk_add_f32 v[104:105], v[52:53], v[0:1]
	v_min_f32_e32 v0, v8, v3
	v_min_f32_e32 v1, v11, v2
	v_pk_add_f32 v[92:93], v[54:55], v[0:1]
	v_min_f32_e32 v0, v8, v5
	v_min_f32_e32 v1, v11, v4
	v_pk_add_f32 v[76:77], v[56:57], v[0:1]
	v_min_f32_e32 v1, v11, v10
	;; [unrolled: 14-line block ×6, first 2 shown]
	v_min_f32_e32 v0, v8, v9
	v_pk_add_f32 v[50:51], v[20:21], v[0:1]
	v_min_f32_e32 v1, v7, v10
	v_min_f32_e32 v0, v6, v9
	s_add_i32 s31, s31, 8
	v_pk_add_f32 v[48:49], v[16:17], v[0:1]
	s_cmp_ge_i32 s31, s30
	v_lshl_add_u64 v[100:101], v[100:101], 0, 32
	ds_write_b32 v207, v212
	ds_write2st64_b32 v208, v211, v213 offset1:4
	s_waitcnt lgkmcnt(0)
	s_barrier
	s_cbranch_scc1 .LBB101_36
.LBB101_24:                             ; =>This Inner Loop Header: Depth=1
	v_add_u32_e32 v116, s31, v200
	v_add_u32_e32 v0, 8, v116
	v_cmp_gt_i32_e64 s[6:7], s22, v0
	s_and_b64 s[6:7], s[6:7], vcc
	s_and_b64 s[6:7], s[16:17], s[6:7]
	v_mov_b32_e32 v118, 0
	s_and_saveexec_b64 s[28:29], s[6:7]
	s_cbranch_execz .LBB101_26
; %bb.25:                               ;   in Loop: Header=BB101_24 Depth=1
	v_add_co_u32_e64 v0, s[6:7], -16, v100
	s_nop 1
	v_addc_co_u32_e64 v1, s[6:7], -1, v101, s[6:7]
	flat_load_dword v0, v[0:1]
	s_waitcnt vmcnt(0) lgkmcnt(0)
	v_mul_f32_e32 v118, s23, v0
.LBB101_26:                             ;   in Loop: Header=BB101_24 Depth=1
	s_or_b64 exec, exec, s[28:29]
	v_add_u32_e32 v117, s31, v201
	v_add_u32_e32 v0, 8, v117
	v_cmp_le_i32_e64 s[6:7], s22, v0
	v_min_i32_e32 v0, s35, v0
	v_mad_i64_i32 v[0:1], s[28:29], v0, s34, 0
	s_or_b64 s[28:29], s[8:9], s[6:7]
	v_lshl_add_u64 v[0:1], v[0:1], 2, s[18:19]
	s_or_b64 s[28:29], s[28:29], s[26:27]
	s_xor_b64 s[36:37], s[28:29], -1
	v_mov_b32_e32 v119, 0
	v_lshl_add_u64 v[0:1], v[72:73], 2, v[0:1]
	v_mov_b32_e32 v120, 0
	s_and_saveexec_b64 s[28:29], s[36:37]
	s_cbranch_execz .LBB101_28
; %bb.27:                               ;   in Loop: Header=BB101_24 Depth=1
	flat_load_dword v2, v[0:1]
	s_waitcnt vmcnt(0) lgkmcnt(0)
	v_mul_f32_e32 v120, s23, v2
.LBB101_28:                             ;   in Loop: Header=BB101_24 Depth=1
	s_or_b64 exec, exec, s[28:29]
	s_or_b64 s[6:7], s[4:5], s[6:7]
	s_or_b64 s[6:7], s[6:7], s[26:27]
	s_xor_b64 s[28:29], s[6:7], -1
	s_and_saveexec_b64 s[6:7], s[28:29]
	s_cbranch_execz .LBB101_30
; %bb.29:                               ;   in Loop: Header=BB101_24 Depth=1
	flat_load_dword v0, v[0:1] offset:256
	s_waitcnt vmcnt(0) lgkmcnt(0)
	v_mul_f32_e32 v119, s23, v0
.LBB101_30:                             ;   in Loop: Header=BB101_24 Depth=1
	s_or_b64 exec, exec, s[6:7]
	ds_read_b128 v[40:43], v210
	ds_read_b128 v[36:39], v210 offset:512
	ds_read_b128 v[24:27], v210 offset:1536
	;; [unrolled: 1-line block ×3, first 2 shown]
	ds_read_b128 v[28:31], v209
	ds_read_b128 v[20:23], v209 offset:128
	ds_read_b128 v[16:19], v209 offset:256
	;; [unrolled: 1-line block ×7, first 2 shown]
	v_add_u32_e32 v116, 12, v116
	v_cmp_gt_i32_e64 s[6:7], s22, v116
	s_and_b64 s[6:7], s[6:7], vcc
	s_and_b64 s[28:29], s[16:17], s[6:7]
	v_mov_b32_e32 v211, 0
	v_mov_b32_e32 v212, 0
	ds_write_b32 v205, v118
	ds_write2st64_b32 v204, v120, v119 offset1:4
	s_waitcnt lgkmcnt(0)
	s_barrier
	s_and_saveexec_b64 s[6:7], s[28:29]
	s_cbranch_execz .LBB101_32
; %bb.31:                               ;   in Loop: Header=BB101_24 Depth=1
	flat_load_dword v116, v[100:101]
	s_waitcnt vmcnt(0) lgkmcnt(0)
	v_mul_f32_e32 v212, s23, v116
.LBB101_32:                             ;   in Loop: Header=BB101_24 Depth=1
	s_or_b64 exec, exec, s[6:7]
	v_add_u32_e32 v116, 12, v117
	v_cmp_le_i32_e64 s[6:7], s22, v116
	v_min_i32_e32 v116, s35, v116
	v_mad_i64_i32 v[116:117], s[28:29], v116, s34, 0
	s_or_b64 s[28:29], s[8:9], s[6:7]
	v_lshl_add_u64 v[116:117], v[116:117], 2, s[18:19]
	s_or_b64 s[28:29], s[28:29], s[26:27]
	s_xor_b64 s[36:37], s[28:29], -1
	v_lshl_add_u64 v[116:117], v[72:73], 2, v[116:117]
	s_and_saveexec_b64 s[28:29], s[36:37]
	s_cbranch_execz .LBB101_34
; %bb.33:                               ;   in Loop: Header=BB101_24 Depth=1
	flat_load_dword v118, v[116:117]
	s_waitcnt vmcnt(0) lgkmcnt(0)
	v_mul_f32_e32 v211, s23, v118
.LBB101_34:                             ;   in Loop: Header=BB101_24 Depth=1
	s_or_b64 exec, exec, s[28:29]
	v_max_f32_e32 v150, v41, v41
	v_max_f32_e32 v156, v45, v45
	;; [unrolled: 1-line block ×34, first 2 shown]
	s_or_b64 s[6:7], s[4:5], s[6:7]
	v_min_f32_e32 v41, v156, v150
	v_min_f32_e32 v40, v158, v151
	;; [unrolled: 1-line block ×62, first 2 shown]
	v_max_f32_e32 v187, v47, v47
	v_max_f32_e32 v213, v46, v46
	;; [unrolled: 1-line block ×12, first 2 shown]
	v_min_f32_e32 v190, v6, v194
	v_min_f32_e32 v191, v7, v186
	;; [unrolled: 1-line block ×8, first 2 shown]
	v_max_f32_e32 v6, v2, v2
	v_max_f32_e32 v7, v3, v3
	s_or_b64 s[6:7], s[6:7], s[26:27]
	v_min_f32_e32 v32, v158, v159
	v_min_f32_e32 v0, v162, v159
	;; [unrolled: 1-line block ×58, first 2 shown]
	s_xor_b64 s[28:29], s[6:7], -1
	v_mov_b32_e32 v213, 0
	s_and_saveexec_b64 s[6:7], s[28:29]
	s_cbranch_execz .LBB101_23
; %bb.35:                               ;   in Loop: Header=BB101_24 Depth=1
	flat_load_dword v116, v[116:117] offset:256
	s_waitcnt vmcnt(0) lgkmcnt(0)
	v_mul_f32_e32 v213, s23, v116
	s_branch .LBB101_23
.LBB101_36:
	s_load_dwordx2 s[4:5], s[0:1], 0x70
	s_load_dword s29, s[0:1], 0x50
	s_load_dword s28, s[0:1], 0x68
	ds_read_b128 v[44:47], v203 offset:2048
	ds_read_b128 v[40:43], v203 offset:2560
	ds_read_b128 v[0:3], v203 offset:3584
	ds_read_b128 v[36:39], v203 offset:3072
	ds_read_b128 v[32:35], v202 offset:5120
	ds_read_b128 v[28:31], v202 offset:5248
	ds_read_b128 v[24:27], v202 offset:5376
	ds_read_b128 v[20:23], v202 offset:5504
	ds_read_b128 v[16:19], v202 offset:5632
	ds_read_b128 v[12:15], v202 offset:5760
	ds_read_b128 v[4:7], v202 offset:6016
	ds_read_b128 v[8:11], v202 offset:5888
	v_add_u32_e32 v120, s12, v199
	s_waitcnt lgkmcnt(0)
	s_mul_i32 s0, s3, s5
	s_mul_hi_u32 s1, s3, s4
	s_mul_i32 s5, s13, s4
	s_add_i32 s0, s1, s0
	s_add_i32 s1, s0, s5
	s_mul_i32 s0, s3, s4
	s_lshl_b64 s[0:1], s[0:1], 2
	s_add_u32 s22, s10, s0
	s_addc_u32 s23, s11, s1
	v_mad_i64_i32 v[100:101], s[0:1], v120, s29, 0
	v_add_u32_e32 v72, s2, v198
	v_lshl_add_u64 v[118:119], v[100:101], 2, s[24:25]
	v_mad_i64_i32 v[100:101], s[0:1], v120, s28, 0
	v_cmp_gt_i32_e64 s[18:19], s21, v120
	v_lshl_add_u64 v[116:117], v[100:101], 2, s[22:23]
	v_cmp_gt_i32_e64 s[2:3], s20, v72
	v_cndmask_b32_e64 v100, 0, 1, s[14:15]
	s_and_b64 s[6:7], s[2:3], s[18:19]
	v_ashrrev_i32_e32 v73, 31, v72
	v_cmp_ne_u32_e64 s[0:1], 1, v100
	s_and_saveexec_b64 s[4:5], s[6:7]
	s_cbranch_execz .LBB101_41
; %bb.37:
	s_and_b64 vcc, exec, s[0:1]
	s_cbranch_vccnz .LBB101_39
; %bb.38:
	v_lshl_add_u64 v[100:101], v[72:73], 2, v[118:119]
	flat_load_dword v100, v[100:101]
	s_waitcnt vmcnt(0) lgkmcnt(0)
	v_mul_f32_e32 v100, s33, v100
	s_branch .LBB101_40
.LBB101_39:
	v_mov_b32_e32 v100, 0
.LBB101_40:
	v_max_f32_e32 v101, v44, v44
	v_max_f32_e32 v121, v32, v32
	v_min_f32_e32 v122, v121, v101
	v_max_f32_e32 v101, v45, v45
	v_max_f32_e32 v121, v33, v33
	v_min_f32_e32 v123, v121, v101
	v_max_f32_e32 v101, v46, v46
	v_max_f32_e32 v121, v34, v34
	v_pk_add_f32 v[114:115], v[114:115], v[122:123]
	v_min_f32_e32 v122, v121, v101
	v_max_f32_e32 v101, v47, v47
	v_max_f32_e32 v121, v35, v35
	v_min_f32_e32 v123, v121, v101
	v_pk_add_f32 v[114:115], v[114:115], v[122:123]
	s_nop 0
	v_add_f32_e32 v101, v114, v115
	v_add_f32_e32 v114, v101, v100
	v_lshl_add_u64 v[100:101], v[72:73], 2, v[116:117]
	global_store_dword v[100:101], v114, off
.LBB101_41:
	s_or_b64 exec, exec, s[4:5]
	v_add_u32_e32 v100, 8, v72
	v_cmp_gt_i32_e64 s[4:5], s20, v100
	s_and_b64 s[8:9], s[4:5], s[18:19]
	v_ashrrev_i32_e32 v101, 31, v100
	s_and_saveexec_b64 s[6:7], s[8:9]
	s_cbranch_execz .LBB101_46
; %bb.42:
	s_and_b64 vcc, exec, s[0:1]
	s_cbranch_vccnz .LBB101_44
; %bb.43:
	v_lshl_add_u64 v[114:115], v[100:101], 2, v[118:119]
	flat_load_dword v114, v[114:115]
	s_waitcnt vmcnt(0) lgkmcnt(0)
	v_mul_f32_e32 v114, s33, v114
	s_branch .LBB101_45
.LBB101_44:
	v_mov_b32_e32 v114, 0
.LBB101_45:
	v_max_f32_e32 v115, v44, v44
	v_max_f32_e32 v121, v28, v28
	v_min_f32_e32 v122, v121, v115
	v_max_f32_e32 v115, v45, v45
	v_max_f32_e32 v121, v29, v29
	v_min_f32_e32 v123, v121, v115
	v_max_f32_e32 v115, v46, v46
	v_max_f32_e32 v121, v30, v30
	v_pk_add_f32 v[102:103], v[102:103], v[122:123]
	v_min_f32_e32 v122, v121, v115
	v_max_f32_e32 v115, v47, v47
	v_max_f32_e32 v121, v31, v31
	v_min_f32_e32 v123, v121, v115
	v_pk_add_f32 v[102:103], v[102:103], v[122:123]
	s_nop 0
	v_add_f32_e32 v102, v102, v103
	v_add_f32_e32 v114, v102, v114
	v_lshl_add_u64 v[102:103], v[100:101], 2, v[116:117]
	global_store_dword v[102:103], v114, off
.LBB101_46:
	s_or_b64 exec, exec, s[6:7]
	v_add_u32_e32 v102, 16, v72
	v_cmp_gt_i32_e64 s[6:7], s20, v102
	s_and_b64 s[10:11], s[6:7], s[18:19]
	v_ashrrev_i32_e32 v103, 31, v102
	;; [unrolled: 39-line block ×7, first 2 shown]
	s_and_saveexec_b64 s[18:19], s[26:27]
	s_cbranch_execz .LBB101_76
; %bb.72:
	s_and_b64 vcc, exec, s[0:1]
	s_cbranch_vccnz .LBB101_74
; %bb.73:
	v_lshl_add_u64 v[114:115], v[112:113], 2, v[118:119]
	flat_load_dword v114, v[114:115]
	s_waitcnt vmcnt(0) lgkmcnt(0)
	v_mul_f32_e32 v114, s33, v114
	s_branch .LBB101_75
.LBB101_74:
	v_mov_b32_e32 v114, 0
.LBB101_75:
	v_max_f32_e32 v45, v45, v45
	v_max_f32_e32 v115, v5, v5
	v_min_f32_e32 v45, v115, v45
	v_max_f32_e32 v44, v44, v44
	v_max_f32_e32 v115, v4, v4
	v_min_f32_e32 v44, v115, v44
	v_pk_add_f32 v[44:45], v[98:99], v[44:45]
	v_max_f32_e32 v47, v47, v47
	v_max_f32_e32 v98, v7, v7
	v_min_f32_e32 v47, v98, v47
	v_max_f32_e32 v46, v46, v46
	v_max_f32_e32 v98, v6, v6
	v_min_f32_e32 v46, v98, v46
	v_pk_add_f32 v[44:45], v[44:45], v[46:47]
	s_nop 0
	v_add_f32_e32 v44, v44, v45
	v_add_f32_e32 v46, v44, v114
	v_lshl_add_u64 v[44:45], v[112:113], 2, v[116:117]
	global_store_dword v[44:45], v46, off
.LBB101_76:
	s_or_b64 exec, exec, s[18:19]
	v_add_u32_e32 v98, 32, v120
	v_mad_i64_i32 v[44:45], s[26:27], v98, s29, 0
	v_cmp_gt_i32_e64 s[18:19], s21, v98
	v_lshl_add_u64 v[46:47], v[44:45], 2, s[24:25]
	v_mad_i64_i32 v[44:45], s[26:27], v98, s28, 0
	v_lshl_add_u64 v[44:45], v[44:45], 2, s[22:23]
	s_and_b64 s[30:31], s[2:3], s[18:19]
	s_and_saveexec_b64 s[26:27], s[30:31]
	s_cbranch_execnz .LBB101_84
; %bb.77:
	s_or_b64 exec, exec, s[26:27]
	s_and_b64 s[30:31], s[4:5], s[18:19]
	s_and_saveexec_b64 s[26:27], s[30:31]
	s_cbranch_execnz .LBB101_88
.LBB101_78:
	s_or_b64 exec, exec, s[26:27]
	s_and_b64 s[30:31], s[6:7], s[18:19]
	s_and_saveexec_b64 s[26:27], s[30:31]
	s_cbranch_execnz .LBB101_92
.LBB101_79:
	s_or_b64 exec, exec, s[26:27]
	s_and_b64 s[30:31], s[8:9], s[18:19]
	s_and_saveexec_b64 s[26:27], s[30:31]
	s_cbranch_execnz .LBB101_96
.LBB101_80:
	s_or_b64 exec, exec, s[26:27]
	s_and_b64 s[30:31], s[10:11], s[18:19]
	s_and_saveexec_b64 s[26:27], s[30:31]
	s_cbranch_execnz .LBB101_100
.LBB101_81:
	s_or_b64 exec, exec, s[26:27]
	s_and_b64 s[30:31], s[12:13], s[18:19]
	s_and_saveexec_b64 s[26:27], s[30:31]
	s_cbranch_execnz .LBB101_104
.LBB101_82:
	s_or_b64 exec, exec, s[26:27]
	s_and_b64 s[30:31], s[14:15], s[18:19]
	s_and_saveexec_b64 s[26:27], s[30:31]
	s_cbranch_execnz .LBB101_108
.LBB101_83:
	s_or_b64 exec, exec, s[26:27]
	s_and_b64 s[26:27], s[16:17], s[18:19]
	s_and_saveexec_b64 s[18:19], s[26:27]
	s_cbranch_execnz .LBB101_112
	s_branch .LBB101_116
.LBB101_84:
	s_and_b64 vcc, exec, s[0:1]
	s_cbranch_vccnz .LBB101_86
; %bb.85:
	v_lshl_add_u64 v[98:99], v[72:73], 2, v[46:47]
	flat_load_dword v98, v[98:99]
	s_waitcnt vmcnt(0) lgkmcnt(0)
	v_mul_f32_e32 v98, s33, v98
	s_branch .LBB101_87
.LBB101_86:
	v_mov_b32_e32 v98, 0
.LBB101_87:
	v_max_f32_e32 v99, v40, v40
	v_max_f32_e32 v114, v32, v32
	v_min_f32_e32 v114, v114, v99
	v_max_f32_e32 v99, v41, v41
	v_max_f32_e32 v115, v33, v33
	v_min_f32_e32 v115, v115, v99
	v_pk_add_f32 v[96:97], v[96:97], v[114:115]
	v_max_f32_e32 v99, v42, v42
	v_max_f32_e32 v114, v34, v34
	v_min_f32_e32 v114, v114, v99
	v_max_f32_e32 v99, v43, v43
	v_max_f32_e32 v115, v35, v35
	v_min_f32_e32 v115, v115, v99
	v_pk_add_f32 v[96:97], v[96:97], v[114:115]
	s_nop 0
	v_add_f32_e32 v96, v96, v97
	v_add_f32_e32 v98, v96, v98
	v_lshl_add_u64 v[96:97], v[72:73], 2, v[44:45]
	global_store_dword v[96:97], v98, off
	s_or_b64 exec, exec, s[26:27]
	s_and_b64 s[30:31], s[4:5], s[18:19]
	s_and_saveexec_b64 s[26:27], s[30:31]
	s_cbranch_execz .LBB101_78
.LBB101_88:
	s_and_b64 vcc, exec, s[0:1]
	s_cbranch_vccnz .LBB101_90
; %bb.89:
	v_lshl_add_u64 v[96:97], v[100:101], 2, v[46:47]
	flat_load_dword v96, v[96:97]
	s_waitcnt vmcnt(0) lgkmcnt(0)
	v_mul_f32_e32 v96, s33, v96
	s_branch .LBB101_91
.LBB101_90:
	v_mov_b32_e32 v96, 0
.LBB101_91:
	v_max_f32_e32 v97, v40, v40
	v_max_f32_e32 v98, v28, v28
	v_min_f32_e32 v98, v98, v97
	v_max_f32_e32 v97, v41, v41
	v_max_f32_e32 v99, v29, v29
	v_min_f32_e32 v99, v99, v97
	v_pk_add_f32 v[94:95], v[94:95], v[98:99]
	v_max_f32_e32 v97, v42, v42
	v_max_f32_e32 v98, v30, v30
	v_min_f32_e32 v98, v98, v97
	v_max_f32_e32 v97, v43, v43
	v_max_f32_e32 v99, v31, v31
	v_min_f32_e32 v99, v99, v97
	v_pk_add_f32 v[94:95], v[94:95], v[98:99]
	s_nop 0
	v_add_f32_e32 v94, v94, v95
	v_add_f32_e32 v96, v94, v96
	v_lshl_add_u64 v[94:95], v[100:101], 2, v[44:45]
	global_store_dword v[94:95], v96, off
	s_or_b64 exec, exec, s[26:27]
	s_and_b64 s[30:31], s[6:7], s[18:19]
	s_and_saveexec_b64 s[26:27], s[30:31]
	s_cbranch_execz .LBB101_79
.LBB101_92:
	s_and_b64 vcc, exec, s[0:1]
	s_cbranch_vccnz .LBB101_94
; %bb.93:
	v_lshl_add_u64 v[94:95], v[102:103], 2, v[46:47]
	flat_load_dword v94, v[94:95]
	s_waitcnt vmcnt(0) lgkmcnt(0)
	v_mul_f32_e32 v94, s33, v94
	s_branch .LBB101_95
.LBB101_94:
	v_mov_b32_e32 v94, 0
.LBB101_95:
	v_max_f32_e32 v95, v40, v40
	v_max_f32_e32 v96, v24, v24
	v_min_f32_e32 v96, v96, v95
	v_max_f32_e32 v95, v41, v41
	v_max_f32_e32 v97, v25, v25
	v_min_f32_e32 v97, v97, v95
	v_pk_add_f32 v[92:93], v[92:93], v[96:97]
	v_max_f32_e32 v95, v42, v42
	v_max_f32_e32 v96, v26, v26
	v_min_f32_e32 v96, v96, v95
	v_max_f32_e32 v95, v43, v43
	v_max_f32_e32 v97, v27, v27
	v_min_f32_e32 v97, v97, v95
	v_pk_add_f32 v[92:93], v[92:93], v[96:97]
	s_nop 0
	v_add_f32_e32 v92, v92, v93
	v_add_f32_e32 v94, v92, v94
	v_lshl_add_u64 v[92:93], v[102:103], 2, v[44:45]
	global_store_dword v[92:93], v94, off
	s_or_b64 exec, exec, s[26:27]
	s_and_b64 s[30:31], s[8:9], s[18:19]
	s_and_saveexec_b64 s[26:27], s[30:31]
	s_cbranch_execz .LBB101_80
.LBB101_96:
	s_and_b64 vcc, exec, s[0:1]
	s_cbranch_vccnz .LBB101_98
; %bb.97:
	v_lshl_add_u64 v[92:93], v[104:105], 2, v[46:47]
	flat_load_dword v92, v[92:93]
	s_waitcnt vmcnt(0) lgkmcnt(0)
	v_mul_f32_e32 v92, s33, v92
	s_branch .LBB101_99
.LBB101_98:
	v_mov_b32_e32 v92, 0
.LBB101_99:
	v_max_f32_e32 v93, v40, v40
	v_max_f32_e32 v94, v20, v20
	v_min_f32_e32 v94, v94, v93
	v_max_f32_e32 v93, v41, v41
	v_max_f32_e32 v95, v21, v21
	v_min_f32_e32 v95, v95, v93
	v_pk_add_f32 v[90:91], v[90:91], v[94:95]
	v_max_f32_e32 v93, v42, v42
	v_max_f32_e32 v94, v22, v22
	v_min_f32_e32 v94, v94, v93
	v_max_f32_e32 v93, v43, v43
	v_max_f32_e32 v95, v23, v23
	v_min_f32_e32 v95, v95, v93
	v_pk_add_f32 v[90:91], v[90:91], v[94:95]
	s_nop 0
	v_add_f32_e32 v90, v90, v91
	v_add_f32_e32 v92, v90, v92
	v_lshl_add_u64 v[90:91], v[104:105], 2, v[44:45]
	global_store_dword v[90:91], v92, off
	s_or_b64 exec, exec, s[26:27]
	s_and_b64 s[30:31], s[10:11], s[18:19]
	s_and_saveexec_b64 s[26:27], s[30:31]
	s_cbranch_execz .LBB101_81
.LBB101_100:
	s_and_b64 vcc, exec, s[0:1]
	s_cbranch_vccnz .LBB101_102
; %bb.101:
	v_lshl_add_u64 v[90:91], v[106:107], 2, v[46:47]
	flat_load_dword v90, v[90:91]
	s_waitcnt vmcnt(0) lgkmcnt(0)
	v_mul_f32_e32 v90, s33, v90
	s_branch .LBB101_103
.LBB101_102:
	v_mov_b32_e32 v90, 0
.LBB101_103:
	v_max_f32_e32 v91, v40, v40
	v_max_f32_e32 v92, v16, v16
	v_min_f32_e32 v92, v92, v91
	v_max_f32_e32 v91, v41, v41
	v_max_f32_e32 v93, v17, v17
	v_min_f32_e32 v93, v93, v91
	v_pk_add_f32 v[88:89], v[88:89], v[92:93]
	v_max_f32_e32 v91, v42, v42
	v_max_f32_e32 v92, v18, v18
	v_min_f32_e32 v92, v92, v91
	v_max_f32_e32 v91, v43, v43
	v_max_f32_e32 v93, v19, v19
	v_min_f32_e32 v93, v93, v91
	v_pk_add_f32 v[88:89], v[88:89], v[92:93]
	s_nop 0
	v_add_f32_e32 v88, v88, v89
	v_add_f32_e32 v90, v88, v90
	v_lshl_add_u64 v[88:89], v[106:107], 2, v[44:45]
	global_store_dword v[88:89], v90, off
	s_or_b64 exec, exec, s[26:27]
	s_and_b64 s[30:31], s[12:13], s[18:19]
	s_and_saveexec_b64 s[26:27], s[30:31]
	s_cbranch_execz .LBB101_82
.LBB101_104:
	s_and_b64 vcc, exec, s[0:1]
	s_cbranch_vccnz .LBB101_106
; %bb.105:
	v_lshl_add_u64 v[88:89], v[108:109], 2, v[46:47]
	flat_load_dword v88, v[88:89]
	s_waitcnt vmcnt(0) lgkmcnt(0)
	v_mul_f32_e32 v88, s33, v88
	s_branch .LBB101_107
.LBB101_106:
	v_mov_b32_e32 v88, 0
.LBB101_107:
	v_max_f32_e32 v89, v40, v40
	v_max_f32_e32 v90, v12, v12
	v_min_f32_e32 v90, v90, v89
	v_max_f32_e32 v89, v41, v41
	v_max_f32_e32 v91, v13, v13
	v_min_f32_e32 v91, v91, v89
	v_pk_add_f32 v[86:87], v[86:87], v[90:91]
	v_max_f32_e32 v89, v42, v42
	v_max_f32_e32 v90, v14, v14
	v_min_f32_e32 v90, v90, v89
	v_max_f32_e32 v89, v43, v43
	v_max_f32_e32 v91, v15, v15
	v_min_f32_e32 v91, v91, v89
	v_pk_add_f32 v[86:87], v[86:87], v[90:91]
	s_nop 0
	v_add_f32_e32 v86, v86, v87
	v_add_f32_e32 v88, v86, v88
	v_lshl_add_u64 v[86:87], v[108:109], 2, v[44:45]
	global_store_dword v[86:87], v88, off
	s_or_b64 exec, exec, s[26:27]
	s_and_b64 s[30:31], s[14:15], s[18:19]
	s_and_saveexec_b64 s[26:27], s[30:31]
	s_cbranch_execz .LBB101_83
.LBB101_108:
	s_and_b64 vcc, exec, s[0:1]
	s_cbranch_vccnz .LBB101_110
; %bb.109:
	v_lshl_add_u64 v[86:87], v[110:111], 2, v[46:47]
	flat_load_dword v86, v[86:87]
	s_waitcnt vmcnt(0) lgkmcnt(0)
	v_mul_f32_e32 v86, s33, v86
	s_branch .LBB101_111
.LBB101_110:
	v_mov_b32_e32 v86, 0
.LBB101_111:
	v_max_f32_e32 v87, v40, v40
	v_max_f32_e32 v88, v8, v8
	v_min_f32_e32 v88, v88, v87
	v_max_f32_e32 v87, v41, v41
	v_max_f32_e32 v89, v9, v9
	v_min_f32_e32 v89, v89, v87
	v_pk_add_f32 v[84:85], v[84:85], v[88:89]
	v_max_f32_e32 v87, v42, v42
	v_max_f32_e32 v88, v10, v10
	v_min_f32_e32 v88, v88, v87
	v_max_f32_e32 v87, v43, v43
	v_max_f32_e32 v89, v11, v11
	v_min_f32_e32 v89, v89, v87
	v_pk_add_f32 v[84:85], v[84:85], v[88:89]
	s_nop 0
	v_add_f32_e32 v84, v84, v85
	v_add_f32_e32 v86, v84, v86
	v_lshl_add_u64 v[84:85], v[110:111], 2, v[44:45]
	global_store_dword v[84:85], v86, off
	s_or_b64 exec, exec, s[26:27]
	s_and_b64 s[26:27], s[16:17], s[18:19]
	s_and_saveexec_b64 s[18:19], s[26:27]
	s_cbranch_execz .LBB101_116
.LBB101_112:
	s_and_b64 vcc, exec, s[0:1]
	s_cbranch_vccnz .LBB101_114
; %bb.113:
	v_lshl_add_u64 v[46:47], v[112:113], 2, v[46:47]
	flat_load_dword v46, v[46:47]
	s_waitcnt vmcnt(0) lgkmcnt(0)
	v_mul_f32_e32 v46, s33, v46
	s_branch .LBB101_115
.LBB101_114:
	v_mov_b32_e32 v46, 0
.LBB101_115:
	v_max_f32_e32 v41, v41, v41
	v_max_f32_e32 v47, v5, v5
	v_min_f32_e32 v41, v47, v41
	v_max_f32_e32 v40, v40, v40
	v_max_f32_e32 v47, v4, v4
	v_min_f32_e32 v40, v47, v40
	;; [unrolled: 3-line block ×3, first 2 shown]
	v_max_f32_e32 v42, v42, v42
	v_max_f32_e32 v47, v6, v6
	v_pk_add_f32 v[40:41], v[82:83], v[40:41]
	v_min_f32_e32 v42, v47, v42
	v_pk_add_f32 v[40:41], v[40:41], v[42:43]
	s_nop 0
	v_add_f32_e32 v40, v40, v41
	v_add_f32_e32 v42, v40, v46
	v_lshl_add_u64 v[40:41], v[112:113], 2, v[44:45]
	global_store_dword v[40:41], v42, off
.LBB101_116:
	s_or_b64 exec, exec, s[18:19]
	v_add_u32_e32 v44, 64, v120
	v_mad_i64_i32 v[40:41], s[26:27], v44, s29, 0
	v_cmp_gt_i32_e64 s[18:19], s21, v44
	v_lshl_add_u64 v[42:43], v[40:41], 2, s[24:25]
	v_mad_i64_i32 v[40:41], s[26:27], v44, s28, 0
	v_lshl_add_u64 v[40:41], v[40:41], 2, s[22:23]
	s_and_b64 s[30:31], s[2:3], s[18:19]
	s_and_saveexec_b64 s[26:27], s[30:31]
	s_cbranch_execnz .LBB101_124
; %bb.117:
	s_or_b64 exec, exec, s[26:27]
	s_and_b64 s[30:31], s[4:5], s[18:19]
	s_and_saveexec_b64 s[26:27], s[30:31]
	s_cbranch_execnz .LBB101_128
.LBB101_118:
	s_or_b64 exec, exec, s[26:27]
	s_and_b64 s[30:31], s[6:7], s[18:19]
	s_and_saveexec_b64 s[26:27], s[30:31]
	s_cbranch_execnz .LBB101_132
.LBB101_119:
	s_or_b64 exec, exec, s[26:27]
	s_and_b64 s[30:31], s[8:9], s[18:19]
	s_and_saveexec_b64 s[26:27], s[30:31]
	s_cbranch_execnz .LBB101_136
.LBB101_120:
	s_or_b64 exec, exec, s[26:27]
	s_and_b64 s[30:31], s[10:11], s[18:19]
	s_and_saveexec_b64 s[26:27], s[30:31]
	s_cbranch_execnz .LBB101_140
.LBB101_121:
	s_or_b64 exec, exec, s[26:27]
	s_and_b64 s[30:31], s[12:13], s[18:19]
	s_and_saveexec_b64 s[26:27], s[30:31]
	s_cbranch_execnz .LBB101_144
.LBB101_122:
	s_or_b64 exec, exec, s[26:27]
	s_and_b64 s[30:31], s[14:15], s[18:19]
	s_and_saveexec_b64 s[26:27], s[30:31]
	s_cbranch_execnz .LBB101_148
.LBB101_123:
	s_or_b64 exec, exec, s[26:27]
	s_and_b64 s[26:27], s[16:17], s[18:19]
	s_and_saveexec_b64 s[18:19], s[26:27]
	s_cbranch_execnz .LBB101_152
	s_branch .LBB101_156
.LBB101_124:
	s_and_b64 vcc, exec, s[0:1]
	s_cbranch_vccnz .LBB101_126
; %bb.125:
	v_lshl_add_u64 v[44:45], v[72:73], 2, v[42:43]
	flat_load_dword v44, v[44:45]
	s_waitcnt vmcnt(0) lgkmcnt(0)
	v_mul_f32_e32 v44, s33, v44
	s_branch .LBB101_127
.LBB101_126:
	v_mov_b32_e32 v44, 0
.LBB101_127:
	v_max_f32_e32 v45, v36, v36
	v_max_f32_e32 v46, v32, v32
	v_min_f32_e32 v46, v46, v45
	v_max_f32_e32 v45, v37, v37
	v_max_f32_e32 v47, v33, v33
	v_min_f32_e32 v47, v47, v45
	v_pk_add_f32 v[46:47], v[80:81], v[46:47]
	v_max_f32_e32 v45, v38, v38
	v_max_f32_e32 v80, v34, v34
	v_min_f32_e32 v80, v80, v45
	v_max_f32_e32 v45, v39, v39
	v_max_f32_e32 v81, v35, v35
	v_min_f32_e32 v81, v81, v45
	v_pk_add_f32 v[46:47], v[46:47], v[80:81]
	s_nop 0
	v_add_f32_e32 v45, v46, v47
	v_add_f32_e32 v46, v45, v44
	v_lshl_add_u64 v[44:45], v[72:73], 2, v[40:41]
	global_store_dword v[44:45], v46, off
	s_or_b64 exec, exec, s[26:27]
	s_and_b64 s[30:31], s[4:5], s[18:19]
	s_and_saveexec_b64 s[26:27], s[30:31]
	s_cbranch_execz .LBB101_118
.LBB101_128:
	s_and_b64 vcc, exec, s[0:1]
	s_cbranch_vccnz .LBB101_130
; %bb.129:
	v_lshl_add_u64 v[44:45], v[100:101], 2, v[42:43]
	flat_load_dword v44, v[44:45]
	s_waitcnt vmcnt(0) lgkmcnt(0)
	v_mul_f32_e32 v44, s33, v44
	s_branch .LBB101_131
.LBB101_130:
	v_mov_b32_e32 v44, 0
.LBB101_131:
	v_max_f32_e32 v45, v36, v36
	v_max_f32_e32 v46, v28, v28
	v_min_f32_e32 v46, v46, v45
	v_max_f32_e32 v45, v37, v37
	v_max_f32_e32 v47, v29, v29
	v_min_f32_e32 v47, v47, v45
	v_pk_add_f32 v[46:47], v[78:79], v[46:47]
	v_max_f32_e32 v45, v38, v38
	v_max_f32_e32 v78, v30, v30
	v_min_f32_e32 v78, v78, v45
	v_max_f32_e32 v45, v39, v39
	v_max_f32_e32 v79, v31, v31
	v_min_f32_e32 v79, v79, v45
	v_pk_add_f32 v[46:47], v[46:47], v[78:79]
	s_nop 0
	v_add_f32_e32 v45, v46, v47
	v_add_f32_e32 v46, v45, v44
	v_lshl_add_u64 v[44:45], v[100:101], 2, v[40:41]
	global_store_dword v[44:45], v46, off
	s_or_b64 exec, exec, s[26:27]
	s_and_b64 s[30:31], s[6:7], s[18:19]
	s_and_saveexec_b64 s[26:27], s[30:31]
	s_cbranch_execz .LBB101_119
.LBB101_132:
	s_and_b64 vcc, exec, s[0:1]
	s_cbranch_vccnz .LBB101_134
; %bb.133:
	v_lshl_add_u64 v[44:45], v[102:103], 2, v[42:43]
	flat_load_dword v44, v[44:45]
	s_waitcnt vmcnt(0) lgkmcnt(0)
	v_mul_f32_e32 v44, s33, v44
	s_branch .LBB101_135
.LBB101_134:
	v_mov_b32_e32 v44, 0
.LBB101_135:
	v_max_f32_e32 v45, v36, v36
	v_max_f32_e32 v46, v24, v24
	v_min_f32_e32 v46, v46, v45
	v_max_f32_e32 v45, v37, v37
	v_max_f32_e32 v47, v25, v25
	v_min_f32_e32 v47, v47, v45
	v_pk_add_f32 v[46:47], v[76:77], v[46:47]
	v_max_f32_e32 v45, v38, v38
	v_max_f32_e32 v76, v26, v26
	v_min_f32_e32 v76, v76, v45
	v_max_f32_e32 v45, v39, v39
	v_max_f32_e32 v77, v27, v27
	v_min_f32_e32 v77, v77, v45
	v_pk_add_f32 v[46:47], v[46:47], v[76:77]
	s_nop 0
	v_add_f32_e32 v45, v46, v47
	v_add_f32_e32 v46, v45, v44
	v_lshl_add_u64 v[44:45], v[102:103], 2, v[40:41]
	global_store_dword v[44:45], v46, off
	s_or_b64 exec, exec, s[26:27]
	s_and_b64 s[30:31], s[8:9], s[18:19]
	s_and_saveexec_b64 s[26:27], s[30:31]
	s_cbranch_execz .LBB101_120
.LBB101_136:
	s_and_b64 vcc, exec, s[0:1]
	s_cbranch_vccnz .LBB101_138
; %bb.137:
	v_lshl_add_u64 v[44:45], v[104:105], 2, v[42:43]
	flat_load_dword v44, v[44:45]
	s_waitcnt vmcnt(0) lgkmcnt(0)
	v_mul_f32_e32 v44, s33, v44
	s_branch .LBB101_139
.LBB101_138:
	v_mov_b32_e32 v44, 0
.LBB101_139:
	v_max_f32_e32 v45, v36, v36
	v_max_f32_e32 v46, v20, v20
	v_min_f32_e32 v46, v46, v45
	v_max_f32_e32 v45, v37, v37
	v_max_f32_e32 v47, v21, v21
	v_min_f32_e32 v47, v47, v45
	v_pk_add_f32 v[46:47], v[74:75], v[46:47]
	v_max_f32_e32 v45, v38, v38
	v_max_f32_e32 v74, v22, v22
	v_min_f32_e32 v74, v74, v45
	v_max_f32_e32 v45, v39, v39
	v_max_f32_e32 v75, v23, v23
	v_min_f32_e32 v75, v75, v45
	v_pk_add_f32 v[46:47], v[46:47], v[74:75]
	s_nop 0
	v_add_f32_e32 v45, v46, v47
	v_add_f32_e32 v46, v45, v44
	v_lshl_add_u64 v[44:45], v[104:105], 2, v[40:41]
	global_store_dword v[44:45], v46, off
	s_or_b64 exec, exec, s[26:27]
	s_and_b64 s[30:31], s[10:11], s[18:19]
	s_and_saveexec_b64 s[26:27], s[30:31]
	s_cbranch_execz .LBB101_121
.LBB101_140:
	s_and_b64 vcc, exec, s[0:1]
	s_cbranch_vccnz .LBB101_142
; %bb.141:
	v_lshl_add_u64 v[44:45], v[106:107], 2, v[42:43]
	flat_load_dword v44, v[44:45]
	s_waitcnt vmcnt(0) lgkmcnt(0)
	v_mul_f32_e32 v44, s33, v44
	s_branch .LBB101_143
.LBB101_142:
	v_mov_b32_e32 v44, 0
.LBB101_143:
	v_max_f32_e32 v45, v36, v36
	v_max_f32_e32 v46, v16, v16
	v_min_f32_e32 v46, v46, v45
	v_max_f32_e32 v45, v37, v37
	v_max_f32_e32 v47, v17, v17
	v_min_f32_e32 v47, v47, v45
	v_pk_add_f32 v[46:47], v[70:71], v[46:47]
	v_max_f32_e32 v45, v38, v38
	v_max_f32_e32 v70, v18, v18
	v_min_f32_e32 v70, v70, v45
	v_max_f32_e32 v45, v39, v39
	v_max_f32_e32 v71, v19, v19
	v_min_f32_e32 v71, v71, v45
	v_pk_add_f32 v[46:47], v[46:47], v[70:71]
	s_nop 0
	v_add_f32_e32 v45, v46, v47
	v_add_f32_e32 v46, v45, v44
	v_lshl_add_u64 v[44:45], v[106:107], 2, v[40:41]
	global_store_dword v[44:45], v46, off
	s_or_b64 exec, exec, s[26:27]
	s_and_b64 s[30:31], s[12:13], s[18:19]
	s_and_saveexec_b64 s[26:27], s[30:31]
	s_cbranch_execz .LBB101_122
.LBB101_144:
	s_and_b64 vcc, exec, s[0:1]
	s_cbranch_vccnz .LBB101_146
; %bb.145:
	v_lshl_add_u64 v[44:45], v[108:109], 2, v[42:43]
	flat_load_dword v44, v[44:45]
	s_waitcnt vmcnt(0) lgkmcnt(0)
	v_mul_f32_e32 v44, s33, v44
	s_branch .LBB101_147
.LBB101_146:
	v_mov_b32_e32 v44, 0
.LBB101_147:
	v_max_f32_e32 v45, v36, v36
	v_max_f32_e32 v46, v12, v12
	v_min_f32_e32 v46, v46, v45
	v_max_f32_e32 v45, v37, v37
	v_max_f32_e32 v47, v13, v13
	v_min_f32_e32 v47, v47, v45
	v_pk_add_f32 v[46:47], v[68:69], v[46:47]
	v_max_f32_e32 v45, v38, v38
	v_max_f32_e32 v68, v14, v14
	v_min_f32_e32 v68, v68, v45
	v_max_f32_e32 v45, v39, v39
	v_max_f32_e32 v69, v15, v15
	v_min_f32_e32 v69, v69, v45
	v_pk_add_f32 v[46:47], v[46:47], v[68:69]
	s_nop 0
	v_add_f32_e32 v45, v46, v47
	v_add_f32_e32 v46, v45, v44
	v_lshl_add_u64 v[44:45], v[108:109], 2, v[40:41]
	global_store_dword v[44:45], v46, off
	s_or_b64 exec, exec, s[26:27]
	s_and_b64 s[30:31], s[14:15], s[18:19]
	s_and_saveexec_b64 s[26:27], s[30:31]
	s_cbranch_execz .LBB101_123
.LBB101_148:
	s_and_b64 vcc, exec, s[0:1]
	s_cbranch_vccnz .LBB101_150
; %bb.149:
	v_lshl_add_u64 v[44:45], v[110:111], 2, v[42:43]
	flat_load_dword v44, v[44:45]
	s_waitcnt vmcnt(0) lgkmcnt(0)
	v_mul_f32_e32 v44, s33, v44
	s_branch .LBB101_151
.LBB101_150:
	v_mov_b32_e32 v44, 0
.LBB101_151:
	v_max_f32_e32 v45, v36, v36
	v_max_f32_e32 v46, v8, v8
	v_min_f32_e32 v46, v46, v45
	v_max_f32_e32 v45, v37, v37
	v_max_f32_e32 v47, v9, v9
	v_min_f32_e32 v47, v47, v45
	v_pk_add_f32 v[46:47], v[66:67], v[46:47]
	v_max_f32_e32 v45, v38, v38
	v_max_f32_e32 v66, v10, v10
	v_min_f32_e32 v66, v66, v45
	v_max_f32_e32 v45, v39, v39
	v_max_f32_e32 v67, v11, v11
	v_min_f32_e32 v67, v67, v45
	v_pk_add_f32 v[46:47], v[46:47], v[66:67]
	s_nop 0
	v_add_f32_e32 v45, v46, v47
	v_add_f32_e32 v46, v45, v44
	v_lshl_add_u64 v[44:45], v[110:111], 2, v[40:41]
	global_store_dword v[44:45], v46, off
	s_or_b64 exec, exec, s[26:27]
	s_and_b64 s[26:27], s[16:17], s[18:19]
	s_and_saveexec_b64 s[18:19], s[26:27]
	s_cbranch_execz .LBB101_156
.LBB101_152:
	s_and_b64 vcc, exec, s[0:1]
	s_cbranch_vccnz .LBB101_154
; %bb.153:
	v_lshl_add_u64 v[42:43], v[112:113], 2, v[42:43]
	flat_load_dword v42, v[42:43]
	s_waitcnt vmcnt(0) lgkmcnt(0)
	v_mul_f32_e32 v42, s33, v42
	s_branch .LBB101_155
.LBB101_154:
	v_mov_b32_e32 v42, 0
.LBB101_155:
	v_max_f32_e32 v37, v37, v37
	v_max_f32_e32 v43, v5, v5
	v_min_f32_e32 v37, v43, v37
	v_max_f32_e32 v36, v36, v36
	v_max_f32_e32 v43, v4, v4
	v_min_f32_e32 v36, v43, v36
	;; [unrolled: 3-line block ×3, first 2 shown]
	v_max_f32_e32 v38, v38, v38
	v_max_f32_e32 v43, v6, v6
	v_pk_add_f32 v[36:37], v[64:65], v[36:37]
	v_min_f32_e32 v38, v43, v38
	v_pk_add_f32 v[36:37], v[36:37], v[38:39]
	s_nop 0
	v_add_f32_e32 v36, v36, v37
	v_add_f32_e32 v38, v36, v42
	v_lshl_add_u64 v[36:37], v[112:113], 2, v[40:41]
	global_store_dword v[36:37], v38, off
.LBB101_156:
	s_or_b64 exec, exec, s[18:19]
	v_add_u32_e32 v40, 0x60, v120
	v_cmp_gt_i32_e64 s[18:19], s21, v40
	v_mad_i64_i32 v[36:37], s[20:21], v40, s29, 0
	v_lshl_add_u64 v[38:39], v[36:37], 2, s[24:25]
	v_mad_i64_i32 v[36:37], s[20:21], v40, s28, 0
	v_lshl_add_u64 v[36:37], v[36:37], 2, s[22:23]
	s_and_b64 s[20:21], s[2:3], s[18:19]
	s_and_saveexec_b64 s[2:3], s[20:21]
	s_cbranch_execnz .LBB101_165
; %bb.157:
	s_or_b64 exec, exec, s[2:3]
	s_and_b64 s[4:5], s[4:5], s[18:19]
	s_and_saveexec_b64 s[2:3], s[4:5]
	s_cbranch_execnz .LBB101_169
.LBB101_158:
	s_or_b64 exec, exec, s[2:3]
	s_and_b64 s[4:5], s[6:7], s[18:19]
	s_and_saveexec_b64 s[2:3], s[4:5]
	s_cbranch_execnz .LBB101_173
.LBB101_159:
	s_or_b64 exec, exec, s[2:3]
	s_and_b64 s[4:5], s[8:9], s[18:19]
	s_and_saveexec_b64 s[2:3], s[4:5]
	s_cbranch_execnz .LBB101_177
.LBB101_160:
	s_or_b64 exec, exec, s[2:3]
	s_and_b64 s[4:5], s[10:11], s[18:19]
	s_and_saveexec_b64 s[2:3], s[4:5]
	s_cbranch_execnz .LBB101_181
.LBB101_161:
	s_or_b64 exec, exec, s[2:3]
	s_and_b64 s[4:5], s[12:13], s[18:19]
	s_and_saveexec_b64 s[2:3], s[4:5]
	s_cbranch_execnz .LBB101_185
.LBB101_162:
	s_or_b64 exec, exec, s[2:3]
	s_and_b64 s[4:5], s[14:15], s[18:19]
	s_and_saveexec_b64 s[2:3], s[4:5]
	s_cbranch_execnz .LBB101_189
.LBB101_163:
	s_or_b64 exec, exec, s[2:3]
	s_and_b64 s[2:3], s[16:17], s[18:19]
	s_and_saveexec_b64 s[4:5], s[2:3]
	s_cbranch_execnz .LBB101_193
.LBB101_164:
	s_endpgm
.LBB101_165:
	s_and_b64 vcc, exec, s[0:1]
	s_cbranch_vccnz .LBB101_167
; %bb.166:
	v_lshl_add_u64 v[40:41], v[72:73], 2, v[38:39]
	flat_load_dword v40, v[40:41]
	s_waitcnt vmcnt(0) lgkmcnt(0)
	v_mul_f32_e32 v40, s33, v40
	s_branch .LBB101_168
.LBB101_167:
	v_mov_b32_e32 v40, 0
.LBB101_168:
	v_max_f32_e32 v41, v1, v1
	v_max_f32_e32 v33, v33, v33
	v_min_f32_e32 v33, v33, v41
	v_max_f32_e32 v41, v0, v0
	v_max_f32_e32 v32, v32, v32
	v_min_f32_e32 v32, v32, v41
	;; [unrolled: 3-line block ×3, first 2 shown]
	v_max_f32_e32 v41, v2, v2
	v_max_f32_e32 v34, v34, v34
	v_pk_add_f32 v[32:33], v[62:63], v[32:33]
	v_min_f32_e32 v34, v34, v41
	v_pk_add_f32 v[32:33], v[32:33], v[34:35]
	s_nop 0
	v_add_f32_e32 v32, v32, v33
	v_add_f32_e32 v34, v32, v40
	v_lshl_add_u64 v[32:33], v[72:73], 2, v[36:37]
	global_store_dword v[32:33], v34, off
	s_or_b64 exec, exec, s[2:3]
	s_and_b64 s[4:5], s[4:5], s[18:19]
	s_and_saveexec_b64 s[2:3], s[4:5]
	s_cbranch_execz .LBB101_158
.LBB101_169:
	s_and_b64 vcc, exec, s[0:1]
	s_cbranch_vccnz .LBB101_171
; %bb.170:
	v_lshl_add_u64 v[32:33], v[100:101], 2, v[38:39]
	flat_load_dword v32, v[32:33]
	s_waitcnt vmcnt(0) lgkmcnt(0)
	v_mul_f32_e32 v32, s33, v32
	s_branch .LBB101_172
.LBB101_171:
	v_mov_b32_e32 v32, 0
.LBB101_172:
	v_max_f32_e32 v33, v1, v1
	v_max_f32_e32 v29, v29, v29
	v_min_f32_e32 v29, v29, v33
	v_max_f32_e32 v33, v0, v0
	v_max_f32_e32 v28, v28, v28
	v_min_f32_e32 v28, v28, v33
	;; [unrolled: 3-line block ×3, first 2 shown]
	v_max_f32_e32 v33, v2, v2
	v_max_f32_e32 v30, v30, v30
	v_pk_add_f32 v[28:29], v[60:61], v[28:29]
	v_min_f32_e32 v30, v30, v33
	v_pk_add_f32 v[28:29], v[28:29], v[30:31]
	s_nop 0
	v_add_f32_e32 v28, v28, v29
	v_add_f32_e32 v30, v28, v32
	v_lshl_add_u64 v[28:29], v[100:101], 2, v[36:37]
	global_store_dword v[28:29], v30, off
	s_or_b64 exec, exec, s[2:3]
	s_and_b64 s[4:5], s[6:7], s[18:19]
	s_and_saveexec_b64 s[2:3], s[4:5]
	s_cbranch_execz .LBB101_159
.LBB101_173:
	s_and_b64 vcc, exec, s[0:1]
	s_cbranch_vccnz .LBB101_175
; %bb.174:
	v_lshl_add_u64 v[28:29], v[102:103], 2, v[38:39]
	flat_load_dword v28, v[28:29]
	s_waitcnt vmcnt(0) lgkmcnt(0)
	v_mul_f32_e32 v28, s33, v28
	s_branch .LBB101_176
.LBB101_175:
	v_mov_b32_e32 v28, 0
.LBB101_176:
	v_max_f32_e32 v29, v1, v1
	v_max_f32_e32 v25, v25, v25
	v_min_f32_e32 v25, v25, v29
	v_max_f32_e32 v29, v0, v0
	v_max_f32_e32 v24, v24, v24
	v_min_f32_e32 v24, v24, v29
	;; [unrolled: 3-line block ×3, first 2 shown]
	v_max_f32_e32 v29, v2, v2
	v_max_f32_e32 v26, v26, v26
	v_pk_add_f32 v[24:25], v[58:59], v[24:25]
	v_min_f32_e32 v26, v26, v29
	v_pk_add_f32 v[24:25], v[24:25], v[26:27]
	s_nop 0
	v_add_f32_e32 v24, v24, v25
	v_add_f32_e32 v26, v24, v28
	v_lshl_add_u64 v[24:25], v[102:103], 2, v[36:37]
	global_store_dword v[24:25], v26, off
	s_or_b64 exec, exec, s[2:3]
	s_and_b64 s[4:5], s[8:9], s[18:19]
	s_and_saveexec_b64 s[2:3], s[4:5]
	s_cbranch_execz .LBB101_160
.LBB101_177:
	s_and_b64 vcc, exec, s[0:1]
	s_cbranch_vccnz .LBB101_179
; %bb.178:
	v_lshl_add_u64 v[24:25], v[104:105], 2, v[38:39]
	flat_load_dword v24, v[24:25]
	s_waitcnt vmcnt(0) lgkmcnt(0)
	v_mul_f32_e32 v24, s33, v24
	s_branch .LBB101_180
.LBB101_179:
	v_mov_b32_e32 v24, 0
.LBB101_180:
	v_max_f32_e32 v25, v1, v1
	v_max_f32_e32 v21, v21, v21
	v_min_f32_e32 v21, v21, v25
	v_max_f32_e32 v25, v0, v0
	v_max_f32_e32 v20, v20, v20
	v_min_f32_e32 v20, v20, v25
	;; [unrolled: 3-line block ×3, first 2 shown]
	v_max_f32_e32 v25, v2, v2
	v_max_f32_e32 v22, v22, v22
	v_pk_add_f32 v[20:21], v[56:57], v[20:21]
	v_min_f32_e32 v22, v22, v25
	v_pk_add_f32 v[20:21], v[20:21], v[22:23]
	s_nop 0
	v_add_f32_e32 v20, v20, v21
	v_add_f32_e32 v22, v20, v24
	v_lshl_add_u64 v[20:21], v[104:105], 2, v[36:37]
	global_store_dword v[20:21], v22, off
	s_or_b64 exec, exec, s[2:3]
	s_and_b64 s[4:5], s[10:11], s[18:19]
	s_and_saveexec_b64 s[2:3], s[4:5]
	s_cbranch_execz .LBB101_161
.LBB101_181:
	s_and_b64 vcc, exec, s[0:1]
	s_cbranch_vccnz .LBB101_183
; %bb.182:
	v_lshl_add_u64 v[20:21], v[106:107], 2, v[38:39]
	flat_load_dword v20, v[20:21]
	s_waitcnt vmcnt(0) lgkmcnt(0)
	v_mul_f32_e32 v20, s33, v20
	s_branch .LBB101_184
.LBB101_183:
	v_mov_b32_e32 v20, 0
.LBB101_184:
	v_max_f32_e32 v21, v1, v1
	v_max_f32_e32 v17, v17, v17
	v_min_f32_e32 v17, v17, v21
	v_max_f32_e32 v21, v0, v0
	v_max_f32_e32 v16, v16, v16
	v_min_f32_e32 v16, v16, v21
	;; [unrolled: 3-line block ×3, first 2 shown]
	v_max_f32_e32 v21, v2, v2
	v_max_f32_e32 v18, v18, v18
	v_pk_add_f32 v[16:17], v[54:55], v[16:17]
	v_min_f32_e32 v18, v18, v21
	v_pk_add_f32 v[16:17], v[16:17], v[18:19]
	s_nop 0
	v_add_f32_e32 v16, v16, v17
	v_add_f32_e32 v18, v16, v20
	v_lshl_add_u64 v[16:17], v[106:107], 2, v[36:37]
	global_store_dword v[16:17], v18, off
	s_or_b64 exec, exec, s[2:3]
	s_and_b64 s[4:5], s[12:13], s[18:19]
	s_and_saveexec_b64 s[2:3], s[4:5]
	s_cbranch_execz .LBB101_162
.LBB101_185:
	s_and_b64 vcc, exec, s[0:1]
	s_cbranch_vccnz .LBB101_187
; %bb.186:
	v_lshl_add_u64 v[16:17], v[108:109], 2, v[38:39]
	flat_load_dword v16, v[16:17]
	s_waitcnt vmcnt(0) lgkmcnt(0)
	v_mul_f32_e32 v16, s33, v16
	s_branch .LBB101_188
.LBB101_187:
	v_mov_b32_e32 v16, 0
.LBB101_188:
	v_max_f32_e32 v17, v1, v1
	v_max_f32_e32 v13, v13, v13
	v_min_f32_e32 v13, v13, v17
	v_max_f32_e32 v17, v0, v0
	v_max_f32_e32 v12, v12, v12
	v_min_f32_e32 v12, v12, v17
	;; [unrolled: 3-line block ×3, first 2 shown]
	v_max_f32_e32 v17, v2, v2
	v_max_f32_e32 v14, v14, v14
	v_pk_add_f32 v[12:13], v[52:53], v[12:13]
	v_min_f32_e32 v14, v14, v17
	v_pk_add_f32 v[12:13], v[12:13], v[14:15]
	s_nop 0
	v_add_f32_e32 v12, v12, v13
	v_add_f32_e32 v14, v12, v16
	v_lshl_add_u64 v[12:13], v[108:109], 2, v[36:37]
	global_store_dword v[12:13], v14, off
	s_or_b64 exec, exec, s[2:3]
	s_and_b64 s[4:5], s[14:15], s[18:19]
	s_and_saveexec_b64 s[2:3], s[4:5]
	s_cbranch_execz .LBB101_163
.LBB101_189:
	s_and_b64 vcc, exec, s[0:1]
	s_cbranch_vccnz .LBB101_191
; %bb.190:
	v_lshl_add_u64 v[12:13], v[110:111], 2, v[38:39]
	flat_load_dword v12, v[12:13]
	s_waitcnt vmcnt(0) lgkmcnt(0)
	v_mul_f32_e32 v12, s33, v12
	s_branch .LBB101_192
.LBB101_191:
	v_mov_b32_e32 v12, 0
.LBB101_192:
	v_max_f32_e32 v13, v1, v1
	v_max_f32_e32 v9, v9, v9
	v_min_f32_e32 v9, v9, v13
	v_max_f32_e32 v13, v0, v0
	v_max_f32_e32 v8, v8, v8
	v_min_f32_e32 v8, v8, v13
	;; [unrolled: 3-line block ×3, first 2 shown]
	v_max_f32_e32 v13, v2, v2
	v_max_f32_e32 v10, v10, v10
	v_pk_add_f32 v[8:9], v[50:51], v[8:9]
	v_min_f32_e32 v10, v10, v13
	v_pk_add_f32 v[8:9], v[8:9], v[10:11]
	s_nop 0
	v_add_f32_e32 v8, v8, v9
	v_add_f32_e32 v10, v8, v12
	v_lshl_add_u64 v[8:9], v[110:111], 2, v[36:37]
	global_store_dword v[8:9], v10, off
	s_or_b64 exec, exec, s[2:3]
	s_and_b64 s[2:3], s[16:17], s[18:19]
	s_and_saveexec_b64 s[4:5], s[2:3]
	s_cbranch_execz .LBB101_164
.LBB101_193:
	s_and_b64 vcc, exec, s[0:1]
	s_cbranch_vccnz .LBB101_195
; %bb.194:
	v_lshl_add_u64 v[8:9], v[112:113], 2, v[38:39]
	flat_load_dword v8, v[8:9]
	s_waitcnt vmcnt(0) lgkmcnt(0)
	v_mul_f32_e32 v8, s33, v8
	s_branch .LBB101_196
.LBB101_195:
	v_mov_b32_e32 v8, 0
.LBB101_196:
	v_max_f32_e32 v0, v0, v0
	v_max_f32_e32 v4, v4, v4
	;; [unrolled: 1-line block ×4, first 2 shown]
	v_min_f32_e32 v0, v4, v0
	v_max_f32_e32 v3, v3, v3
	v_max_f32_e32 v4, v7, v7
	v_min_f32_e32 v1, v5, v1
	v_min_f32_e32 v3, v4, v3
	v_max_f32_e32 v2, v2, v2
	v_max_f32_e32 v4, v6, v6
	v_pk_add_f32 v[0:1], v[48:49], v[0:1]
	v_min_f32_e32 v2, v4, v2
	v_pk_add_f32 v[0:1], v[0:1], v[2:3]
	s_nop 0
	v_add_f32_e32 v0, v0, v1
	v_add_f32_e32 v2, v0, v8
	v_lshl_add_u64 v[0:1], v[112:113], 2, v[36:37]
	global_store_dword v[0:1], v2, off
	s_endpgm
	.section	.rodata,"a",@progbits
	.p2align	6, 0x0
	.amdhsa_kernel _ZN12_GLOBAL__N_120geam_min_plus_kernelIf15HIP_vector_typeIfLj2EES2_Li8ELi32ELi64ELi128ELi4ELi4ELi64ELi64ELi4ELc84ELc84ELb0ELb1ELb0EfKffEEviiiT16_PT17_ilS6_ilS4_S6_ilPT18_ili26rocblas_geam_ex_operation_
		.amdhsa_group_segment_fixed_size 6144
		.amdhsa_private_segment_fixed_size 0
		.amdhsa_kernarg_size 128
		.amdhsa_user_sgpr_count 2
		.amdhsa_user_sgpr_dispatch_ptr 0
		.amdhsa_user_sgpr_queue_ptr 0
		.amdhsa_user_sgpr_kernarg_segment_ptr 1
		.amdhsa_user_sgpr_dispatch_id 0
		.amdhsa_user_sgpr_kernarg_preload_length 0
		.amdhsa_user_sgpr_kernarg_preload_offset 0
		.amdhsa_user_sgpr_private_segment_size 0
		.amdhsa_uses_dynamic_stack 0
		.amdhsa_enable_private_segment 0
		.amdhsa_system_sgpr_workgroup_id_x 1
		.amdhsa_system_sgpr_workgroup_id_y 0
		.amdhsa_system_sgpr_workgroup_id_z 1
		.amdhsa_system_sgpr_workgroup_info 0
		.amdhsa_system_vgpr_workitem_id 1
		.amdhsa_next_free_vgpr 219
		.amdhsa_next_free_sgpr 40
		.amdhsa_accum_offset 220
		.amdhsa_reserve_vcc 1
		.amdhsa_float_round_mode_32 0
		.amdhsa_float_round_mode_16_64 0
		.amdhsa_float_denorm_mode_32 3
		.amdhsa_float_denorm_mode_16_64 3
		.amdhsa_dx10_clamp 1
		.amdhsa_ieee_mode 1
		.amdhsa_fp16_overflow 0
		.amdhsa_tg_split 0
		.amdhsa_exception_fp_ieee_invalid_op 0
		.amdhsa_exception_fp_denorm_src 0
		.amdhsa_exception_fp_ieee_div_zero 0
		.amdhsa_exception_fp_ieee_overflow 0
		.amdhsa_exception_fp_ieee_underflow 0
		.amdhsa_exception_fp_ieee_inexact 0
		.amdhsa_exception_int_div_zero 0
	.end_amdhsa_kernel
	.section	.text._ZN12_GLOBAL__N_120geam_min_plus_kernelIf15HIP_vector_typeIfLj2EES2_Li8ELi32ELi64ELi128ELi4ELi4ELi64ELi64ELi4ELc84ELc84ELb0ELb1ELb0EfKffEEviiiT16_PT17_ilS6_ilS4_S6_ilPT18_ili26rocblas_geam_ex_operation_,"axG",@progbits,_ZN12_GLOBAL__N_120geam_min_plus_kernelIf15HIP_vector_typeIfLj2EES2_Li8ELi32ELi64ELi128ELi4ELi4ELi64ELi64ELi4ELc84ELc84ELb0ELb1ELb0EfKffEEviiiT16_PT17_ilS6_ilS4_S6_ilPT18_ili26rocblas_geam_ex_operation_,comdat
.Lfunc_end101:
	.size	_ZN12_GLOBAL__N_120geam_min_plus_kernelIf15HIP_vector_typeIfLj2EES2_Li8ELi32ELi64ELi128ELi4ELi4ELi64ELi64ELi4ELc84ELc84ELb0ELb1ELb0EfKffEEviiiT16_PT17_ilS6_ilS4_S6_ilPT18_ili26rocblas_geam_ex_operation_, .Lfunc_end101-_ZN12_GLOBAL__N_120geam_min_plus_kernelIf15HIP_vector_typeIfLj2EES2_Li8ELi32ELi64ELi128ELi4ELi4ELi64ELi64ELi4ELc84ELc84ELb0ELb1ELb0EfKffEEviiiT16_PT17_ilS6_ilS4_S6_ilPT18_ili26rocblas_geam_ex_operation_
                                        ; -- End function
	.section	.AMDGPU.csdata,"",@progbits
; Kernel info:
; codeLenInByte = 11164
; NumSgprs: 46
; NumVgprs: 219
; NumAgprs: 0
; TotalNumVgprs: 219
; ScratchSize: 0
; MemoryBound: 0
; FloatMode: 240
; IeeeMode: 1
; LDSByteSize: 6144 bytes/workgroup (compile time only)
; SGPRBlocks: 5
; VGPRBlocks: 27
; NumSGPRsForWavesPerEU: 46
; NumVGPRsForWavesPerEU: 219
; AccumOffset: 220
; Occupancy: 2
; WaveLimiterHint : 0
; COMPUTE_PGM_RSRC2:SCRATCH_EN: 0
; COMPUTE_PGM_RSRC2:USER_SGPR: 2
; COMPUTE_PGM_RSRC2:TRAP_HANDLER: 0
; COMPUTE_PGM_RSRC2:TGID_X_EN: 1
; COMPUTE_PGM_RSRC2:TGID_Y_EN: 0
; COMPUTE_PGM_RSRC2:TGID_Z_EN: 1
; COMPUTE_PGM_RSRC2:TIDIG_COMP_CNT: 1
; COMPUTE_PGM_RSRC3_GFX90A:ACCUM_OFFSET: 54
; COMPUTE_PGM_RSRC3_GFX90A:TG_SPLIT: 0
	.section	.text._ZN12_GLOBAL__N_120geam_ex_scale_kernelILi32ELi32EddPKPKdPKPdEEviiT2_T3_lilT4_lil,"axG",@progbits,_ZN12_GLOBAL__N_120geam_ex_scale_kernelILi32ELi32EddPKPKdPKPdEEviiT2_T3_lilT4_lil,comdat
	.globl	_ZN12_GLOBAL__N_120geam_ex_scale_kernelILi32ELi32EddPKPKdPKPdEEviiT2_T3_lilT4_lil ; -- Begin function _ZN12_GLOBAL__N_120geam_ex_scale_kernelILi32ELi32EddPKPKdPKPdEEviiT2_T3_lilT4_lil
	.p2align	8
	.type	_ZN12_GLOBAL__N_120geam_ex_scale_kernelILi32ELi32EddPKPKdPKPdEEviiT2_T3_lilT4_lil,@function
_ZN12_GLOBAL__N_120geam_ex_scale_kernelILi32ELi32EddPKPKdPKPdEEviiT2_T3_lilT4_lil: ; @_ZN12_GLOBAL__N_120geam_ex_scale_kernelILi32ELi32EddPKPKdPKPdEEviiT2_T3_lilT4_lil
; %bb.0:
	s_load_dwordx4 s[4:7], s[0:1], 0x8
	s_mov_b32 s14, s3
	s_mov_b64 s[12:13], 0
	s_mov_b32 s15, 0
	s_waitcnt lgkmcnt(0)
	v_cmp_eq_f64_e64 s[16:17], s[4:5], 0
	s_and_b64 vcc, exec, s[16:17]
	s_cbranch_vccnz .LBB102_2
; %bb.1:
	s_lshl_b64 s[10:11], s[14:15], 3
	s_add_u32 s6, s6, s10
	s_load_dwordx2 s[8:9], s[0:1], 0x18
	s_addc_u32 s7, s7, s11
	s_load_dwordx2 s[6:7], s[6:7], 0x0
	s_waitcnt lgkmcnt(0)
	s_lshl_b64 s[8:9], s[8:9], 3
	s_add_u32 s12, s6, s8
	s_addc_u32 s13, s7, s9
.LBB102_2:
	s_load_dwordx2 s[6:7], s[0:1], 0x0
	v_and_b32_e32 v2, 0x3ff, v0
	v_bfe_u32 v0, v0, 10, 10
	s_waitcnt lgkmcnt(0)
	s_add_i32 s3, s6, -1
	s_ashr_i32 s8, s3, 31
	s_lshr_b32 s8, s8, 27
	s_add_i32 s3, s3, s8
	s_ashr_i32 s3, s3, 5
	s_add_i32 s8, s3, 1
	v_cvt_f32_u32_e32 v1, s8
	s_not_b32 s3, s3
	v_rcp_iflag_f32_e32 v1, v1
	s_nop 0
	v_mul_f32_e32 v1, 0x4f7ffffe, v1
	v_cvt_u32_f32_e32 v1, v1
	s_nop 0
	v_readfirstlane_b32 s9, v1
	s_mul_i32 s3, s3, s9
	s_mul_hi_u32 s3, s9, s3
	s_add_i32 s9, s9, s3
	s_mul_hi_u32 s3, s2, s9
	s_mul_i32 s9, s3, s8
	s_sub_i32 s9, s2, s9
	s_add_i32 s10, s3, 1
	s_sub_i32 s11, s9, s8
	s_cmp_ge_u32 s9, s8
	s_cselect_b32 s3, s10, s3
	s_cselect_b32 s9, s11, s9
	s_add_i32 s10, s3, 1
	s_cmp_ge_u32 s9, s8
	s_cselect_b32 s3, s10, s3
	s_mul_i32 s8, s3, s8
	s_sub_i32 s2, s2, s8
	v_lshl_add_u32 v4, s3, 5, v0
	v_lshl_add_u32 v0, s2, 5, v2
	v_cmp_gt_u32_e32 vcc, s6, v0
	v_cmp_gt_u32_e64 s[2:3], s7, v4
	s_and_b64 s[2:3], vcc, s[2:3]
	s_and_saveexec_b64 s[6:7], s[2:3]
	s_cbranch_execz .LBB102_8
; %bb.3:
	s_load_dwordx4 s[8:11], s[0:1], 0x30
	s_lshl_b64 s[2:3], s[14:15], 3
	v_mov_b32_e32 v1, 0
	s_waitcnt lgkmcnt(0)
	s_add_u32 s2, s8, s2
	s_addc_u32 s3, s9, s3
	s_load_dwordx2 s[2:3], s[2:3], 0x0
	s_andn2_b64 vcc, exec, s[16:17]
	s_cbranch_vccnz .LBB102_5
; %bb.4:
	s_mov_b64 s[8:9], 0
	v_mov_b64_e32 v[2:3], s[8:9]
	s_cbranch_execz .LBB102_6
	s_branch .LBB102_7
.LBB102_5:
                                        ; implicit-def: $sgpr8_sgpr9
	v_mov_b64_e32 v[2:3], s[8:9]
.LBB102_6:
	s_load_dword s6, s[0:1], 0x20
	v_mov_b32_e32 v1, 0
	s_waitcnt lgkmcnt(0)
	s_ashr_i32 s8, s6, 31
	v_mad_u64_u32 v[2:3], s[6:7], v4, s6, v[0:1]
	v_mov_b32_e32 v6, v3
	v_mad_u64_u32 v[6:7], s[6:7], v4, s8, v[6:7]
	v_mov_b32_e32 v3, v6
	v_lshl_add_u64 v[2:3], v[2:3], 3, s[12:13]
	flat_load_dwordx2 v[2:3], v[2:3]
	s_waitcnt vmcnt(0) lgkmcnt(0)
	v_mul_f64 v[2:3], v[2:3], s[4:5]
.LBB102_7:
	s_load_dword s4, s[0:1], 0x40
	s_lshl_b64 s[0:1], s[10:11], 3
	s_waitcnt lgkmcnt(0)
	s_add_u32 s0, s2, s0
	s_addc_u32 s1, s3, s1
	v_mad_u64_u32 v[6:7], s[2:3], v4, s4, 0
	s_ashr_i32 s5, s4, 31
	v_mov_b32_e32 v8, v7
	v_mad_u64_u32 v[4:5], s[2:3], v4, s5, v[8:9]
	v_mov_b32_e32 v7, v4
	v_lshl_add_u64 v[4:5], v[6:7], 3, s[0:1]
	v_lshl_add_u64 v[0:1], v[0:1], 3, v[4:5]
	global_store_dwordx2 v[0:1], v[2:3], off
.LBB102_8:
	s_endpgm
	.section	.rodata,"a",@progbits
	.p2align	6, 0x0
	.amdhsa_kernel _ZN12_GLOBAL__N_120geam_ex_scale_kernelILi32ELi32EddPKPKdPKPdEEviiT2_T3_lilT4_lil
		.amdhsa_group_segment_fixed_size 0
		.amdhsa_private_segment_fixed_size 0
		.amdhsa_kernarg_size 80
		.amdhsa_user_sgpr_count 2
		.amdhsa_user_sgpr_dispatch_ptr 0
		.amdhsa_user_sgpr_queue_ptr 0
		.amdhsa_user_sgpr_kernarg_segment_ptr 1
		.amdhsa_user_sgpr_dispatch_id 0
		.amdhsa_user_sgpr_kernarg_preload_length 0
		.amdhsa_user_sgpr_kernarg_preload_offset 0
		.amdhsa_user_sgpr_private_segment_size 0
		.amdhsa_uses_dynamic_stack 0
		.amdhsa_enable_private_segment 0
		.amdhsa_system_sgpr_workgroup_id_x 1
		.amdhsa_system_sgpr_workgroup_id_y 0
		.amdhsa_system_sgpr_workgroup_id_z 1
		.amdhsa_system_sgpr_workgroup_info 0
		.amdhsa_system_vgpr_workitem_id 1
		.amdhsa_next_free_vgpr 10
		.amdhsa_next_free_sgpr 18
		.amdhsa_accum_offset 12
		.amdhsa_reserve_vcc 1
		.amdhsa_float_round_mode_32 0
		.amdhsa_float_round_mode_16_64 0
		.amdhsa_float_denorm_mode_32 3
		.amdhsa_float_denorm_mode_16_64 3
		.amdhsa_dx10_clamp 1
		.amdhsa_ieee_mode 1
		.amdhsa_fp16_overflow 0
		.amdhsa_tg_split 0
		.amdhsa_exception_fp_ieee_invalid_op 0
		.amdhsa_exception_fp_denorm_src 0
		.amdhsa_exception_fp_ieee_div_zero 0
		.amdhsa_exception_fp_ieee_overflow 0
		.amdhsa_exception_fp_ieee_underflow 0
		.amdhsa_exception_fp_ieee_inexact 0
		.amdhsa_exception_int_div_zero 0
	.end_amdhsa_kernel
	.section	.text._ZN12_GLOBAL__N_120geam_ex_scale_kernelILi32ELi32EddPKPKdPKPdEEviiT2_T3_lilT4_lil,"axG",@progbits,_ZN12_GLOBAL__N_120geam_ex_scale_kernelILi32ELi32EddPKPKdPKPdEEviiT2_T3_lilT4_lil,comdat
.Lfunc_end102:
	.size	_ZN12_GLOBAL__N_120geam_ex_scale_kernelILi32ELi32EddPKPKdPKPdEEviiT2_T3_lilT4_lil, .Lfunc_end102-_ZN12_GLOBAL__N_120geam_ex_scale_kernelILi32ELi32EddPKPKdPKPdEEviiT2_T3_lilT4_lil
                                        ; -- End function
	.section	.AMDGPU.csdata,"",@progbits
; Kernel info:
; codeLenInByte = 492
; NumSgprs: 24
; NumVgprs: 10
; NumAgprs: 0
; TotalNumVgprs: 10
; ScratchSize: 0
; MemoryBound: 0
; FloatMode: 240
; IeeeMode: 1
; LDSByteSize: 0 bytes/workgroup (compile time only)
; SGPRBlocks: 2
; VGPRBlocks: 1
; NumSGPRsForWavesPerEU: 24
; NumVGPRsForWavesPerEU: 10
; AccumOffset: 12
; Occupancy: 8
; WaveLimiterHint : 1
; COMPUTE_PGM_RSRC2:SCRATCH_EN: 0
; COMPUTE_PGM_RSRC2:USER_SGPR: 2
; COMPUTE_PGM_RSRC2:TRAP_HANDLER: 0
; COMPUTE_PGM_RSRC2:TGID_X_EN: 1
; COMPUTE_PGM_RSRC2:TGID_Y_EN: 0
; COMPUTE_PGM_RSRC2:TGID_Z_EN: 1
; COMPUTE_PGM_RSRC2:TIDIG_COMP_CNT: 1
; COMPUTE_PGM_RSRC3_GFX90A:ACCUM_OFFSET: 2
; COMPUTE_PGM_RSRC3_GFX90A:TG_SPLIT: 0
	.section	.text._ZN12_GLOBAL__N_120geam_ex_scale_kernelILi32ELi32EdPKdPKS2_PKPdEEviiT2_T3_lilT4_lil,"axG",@progbits,_ZN12_GLOBAL__N_120geam_ex_scale_kernelILi32ELi32EdPKdPKS2_PKPdEEviiT2_T3_lilT4_lil,comdat
	.globl	_ZN12_GLOBAL__N_120geam_ex_scale_kernelILi32ELi32EdPKdPKS2_PKPdEEviiT2_T3_lilT4_lil ; -- Begin function _ZN12_GLOBAL__N_120geam_ex_scale_kernelILi32ELi32EdPKdPKS2_PKPdEEviiT2_T3_lilT4_lil
	.p2align	8
	.type	_ZN12_GLOBAL__N_120geam_ex_scale_kernelILi32ELi32EdPKdPKS2_PKPdEEviiT2_T3_lilT4_lil,@function
_ZN12_GLOBAL__N_120geam_ex_scale_kernelILi32ELi32EdPKdPKS2_PKPdEEviiT2_T3_lilT4_lil: ; @_ZN12_GLOBAL__N_120geam_ex_scale_kernelILi32ELi32EdPKdPKS2_PKPdEEviiT2_T3_lilT4_lil
; %bb.0:
	s_load_dwordx4 s[4:7], s[0:1], 0x8
	s_mov_b32 s12, s3
	s_mov_b64 s[10:11], 0
	s_mov_b32 s13, 0
	s_waitcnt lgkmcnt(0)
	s_load_dwordx2 s[8:9], s[4:5], 0x0
	s_waitcnt lgkmcnt(0)
	v_cmp_eq_f64_e64 s[14:15], s[8:9], 0
	s_and_b64 vcc, exec, s[14:15]
	s_cbranch_vccnz .LBB103_2
; %bb.1:
	s_lshl_b64 s[10:11], s[12:13], 3
	s_add_u32 s6, s6, s10
	s_load_dwordx2 s[4:5], s[0:1], 0x18
	s_addc_u32 s7, s7, s11
	s_load_dwordx2 s[6:7], s[6:7], 0x0
	s_waitcnt lgkmcnt(0)
	s_lshl_b64 s[4:5], s[4:5], 3
	s_add_u32 s10, s6, s4
	s_addc_u32 s11, s7, s5
.LBB103_2:
	s_load_dwordx2 s[4:5], s[0:1], 0x0
	v_and_b32_e32 v2, 0x3ff, v0
	v_bfe_u32 v0, v0, 10, 10
	s_waitcnt lgkmcnt(0)
	s_add_i32 s3, s4, -1
	s_ashr_i32 s6, s3, 31
	s_lshr_b32 s6, s6, 27
	s_add_i32 s3, s3, s6
	s_ashr_i32 s3, s3, 5
	s_add_i32 s6, s3, 1
	v_cvt_f32_u32_e32 v1, s6
	s_not_b32 s3, s3
	v_rcp_iflag_f32_e32 v1, v1
	s_nop 0
	v_mul_f32_e32 v1, 0x4f7ffffe, v1
	v_cvt_u32_f32_e32 v1, v1
	s_nop 0
	v_readfirstlane_b32 s7, v1
	s_mul_i32 s3, s3, s7
	s_mul_hi_u32 s3, s7, s3
	s_add_i32 s7, s7, s3
	s_mul_hi_u32 s3, s2, s7
	s_mul_i32 s7, s3, s6
	s_sub_i32 s7, s2, s7
	s_add_i32 s16, s3, 1
	s_sub_i32 s17, s7, s6
	s_cmp_ge_u32 s7, s6
	s_cselect_b32 s3, s16, s3
	s_cselect_b32 s7, s17, s7
	s_add_i32 s16, s3, 1
	s_cmp_ge_u32 s7, s6
	s_cselect_b32 s3, s16, s3
	s_mul_i32 s6, s3, s6
	s_sub_i32 s2, s2, s6
	v_lshl_add_u32 v4, s3, 5, v0
	v_lshl_add_u32 v0, s2, 5, v2
	v_cmp_gt_u32_e32 vcc, s4, v0
	v_cmp_gt_u32_e64 s[2:3], s5, v4
	s_and_b64 s[2:3], vcc, s[2:3]
	s_and_saveexec_b64 s[4:5], s[2:3]
	s_cbranch_execz .LBB103_8
; %bb.3:
	s_load_dwordx4 s[4:7], s[0:1], 0x30
	s_lshl_b64 s[2:3], s[12:13], 3
	v_mov_b32_e32 v1, 0
	s_waitcnt lgkmcnt(0)
	s_add_u32 s2, s4, s2
	s_addc_u32 s3, s5, s3
	s_load_dwordx2 s[2:3], s[2:3], 0x0
	s_andn2_b64 vcc, exec, s[14:15]
	s_cbranch_vccnz .LBB103_5
; %bb.4:
	s_mov_b64 s[12:13], 0
	v_mov_b64_e32 v[2:3], s[12:13]
	s_cbranch_execz .LBB103_6
	s_branch .LBB103_7
.LBB103_5:
                                        ; implicit-def: $sgpr12_sgpr13
	v_mov_b64_e32 v[2:3], s[12:13]
.LBB103_6:
	s_load_dword s4, s[0:1], 0x20
	v_mov_b32_e32 v1, 0
	s_waitcnt lgkmcnt(0)
	s_ashr_i32 s12, s4, 31
	v_mad_u64_u32 v[2:3], s[4:5], v4, s4, v[0:1]
	v_mov_b32_e32 v6, v3
	v_mad_u64_u32 v[6:7], s[4:5], v4, s12, v[6:7]
	v_mov_b32_e32 v3, v6
	v_lshl_add_u64 v[2:3], v[2:3], 3, s[10:11]
	flat_load_dwordx2 v[2:3], v[2:3]
	s_waitcnt vmcnt(0) lgkmcnt(0)
	v_mul_f64 v[2:3], s[8:9], v[2:3]
.LBB103_7:
	s_load_dword s4, s[0:1], 0x40
	s_lshl_b64 s[0:1], s[6:7], 3
	s_waitcnt lgkmcnt(0)
	s_add_u32 s0, s2, s0
	s_addc_u32 s1, s3, s1
	v_mad_u64_u32 v[6:7], s[2:3], v4, s4, 0
	s_ashr_i32 s5, s4, 31
	v_mov_b32_e32 v8, v7
	v_mad_u64_u32 v[4:5], s[2:3], v4, s5, v[8:9]
	v_mov_b32_e32 v7, v4
	v_lshl_add_u64 v[4:5], v[6:7], 3, s[0:1]
	v_lshl_add_u64 v[0:1], v[0:1], 3, v[4:5]
	global_store_dwordx2 v[0:1], v[2:3], off
.LBB103_8:
	s_endpgm
	.section	.rodata,"a",@progbits
	.p2align	6, 0x0
	.amdhsa_kernel _ZN12_GLOBAL__N_120geam_ex_scale_kernelILi32ELi32EdPKdPKS2_PKPdEEviiT2_T3_lilT4_lil
		.amdhsa_group_segment_fixed_size 0
		.amdhsa_private_segment_fixed_size 0
		.amdhsa_kernarg_size 80
		.amdhsa_user_sgpr_count 2
		.amdhsa_user_sgpr_dispatch_ptr 0
		.amdhsa_user_sgpr_queue_ptr 0
		.amdhsa_user_sgpr_kernarg_segment_ptr 1
		.amdhsa_user_sgpr_dispatch_id 0
		.amdhsa_user_sgpr_kernarg_preload_length 0
		.amdhsa_user_sgpr_kernarg_preload_offset 0
		.amdhsa_user_sgpr_private_segment_size 0
		.amdhsa_uses_dynamic_stack 0
		.amdhsa_enable_private_segment 0
		.amdhsa_system_sgpr_workgroup_id_x 1
		.amdhsa_system_sgpr_workgroup_id_y 0
		.amdhsa_system_sgpr_workgroup_id_z 1
		.amdhsa_system_sgpr_workgroup_info 0
		.amdhsa_system_vgpr_workitem_id 1
		.amdhsa_next_free_vgpr 10
		.amdhsa_next_free_sgpr 18
		.amdhsa_accum_offset 12
		.amdhsa_reserve_vcc 1
		.amdhsa_float_round_mode_32 0
		.amdhsa_float_round_mode_16_64 0
		.amdhsa_float_denorm_mode_32 3
		.amdhsa_float_denorm_mode_16_64 3
		.amdhsa_dx10_clamp 1
		.amdhsa_ieee_mode 1
		.amdhsa_fp16_overflow 0
		.amdhsa_tg_split 0
		.amdhsa_exception_fp_ieee_invalid_op 0
		.amdhsa_exception_fp_denorm_src 0
		.amdhsa_exception_fp_ieee_div_zero 0
		.amdhsa_exception_fp_ieee_overflow 0
		.amdhsa_exception_fp_ieee_underflow 0
		.amdhsa_exception_fp_ieee_inexact 0
		.amdhsa_exception_int_div_zero 0
	.end_amdhsa_kernel
	.section	.text._ZN12_GLOBAL__N_120geam_ex_scale_kernelILi32ELi32EdPKdPKS2_PKPdEEviiT2_T3_lilT4_lil,"axG",@progbits,_ZN12_GLOBAL__N_120geam_ex_scale_kernelILi32ELi32EdPKdPKS2_PKPdEEviiT2_T3_lilT4_lil,comdat
.Lfunc_end103:
	.size	_ZN12_GLOBAL__N_120geam_ex_scale_kernelILi32ELi32EdPKdPKS2_PKPdEEviiT2_T3_lilT4_lil, .Lfunc_end103-_ZN12_GLOBAL__N_120geam_ex_scale_kernelILi32ELi32EdPKdPKS2_PKPdEEviiT2_T3_lilT4_lil
                                        ; -- End function
	.section	.AMDGPU.csdata,"",@progbits
; Kernel info:
; codeLenInByte = 504
; NumSgprs: 24
; NumVgprs: 10
; NumAgprs: 0
; TotalNumVgprs: 10
; ScratchSize: 0
; MemoryBound: 0
; FloatMode: 240
; IeeeMode: 1
; LDSByteSize: 0 bytes/workgroup (compile time only)
; SGPRBlocks: 2
; VGPRBlocks: 1
; NumSGPRsForWavesPerEU: 24
; NumVGPRsForWavesPerEU: 10
; AccumOffset: 12
; Occupancy: 8
; WaveLimiterHint : 1
; COMPUTE_PGM_RSRC2:SCRATCH_EN: 0
; COMPUTE_PGM_RSRC2:USER_SGPR: 2
; COMPUTE_PGM_RSRC2:TRAP_HANDLER: 0
; COMPUTE_PGM_RSRC2:TGID_X_EN: 1
; COMPUTE_PGM_RSRC2:TGID_Y_EN: 0
; COMPUTE_PGM_RSRC2:TGID_Z_EN: 1
; COMPUTE_PGM_RSRC2:TIDIG_COMP_CNT: 1
; COMPUTE_PGM_RSRC3_GFX90A:ACCUM_OFFSET: 2
; COMPUTE_PGM_RSRC3_GFX90A:TG_SPLIT: 0
	.section	.text._ZN12_GLOBAL__N_120geam_ex_round_kernelILi32ELi32EddPKPKdPKPdEEviiT2_T3_lilT4_lil,"axG",@progbits,_ZN12_GLOBAL__N_120geam_ex_round_kernelILi32ELi32EddPKPKdPKPdEEviiT2_T3_lilT4_lil,comdat
	.globl	_ZN12_GLOBAL__N_120geam_ex_round_kernelILi32ELi32EddPKPKdPKPdEEviiT2_T3_lilT4_lil ; -- Begin function _ZN12_GLOBAL__N_120geam_ex_round_kernelILi32ELi32EddPKPKdPKPdEEviiT2_T3_lilT4_lil
	.p2align	8
	.type	_ZN12_GLOBAL__N_120geam_ex_round_kernelILi32ELi32EddPKPKdPKPdEEviiT2_T3_lilT4_lil,@function
_ZN12_GLOBAL__N_120geam_ex_round_kernelILi32ELi32EddPKPKdPKPdEEviiT2_T3_lilT4_lil: ; @_ZN12_GLOBAL__N_120geam_ex_round_kernelILi32ELi32EddPKPKdPKPdEEviiT2_T3_lilT4_lil
; %bb.0:
	s_load_dwordx4 s[4:7], s[0:1], 0x8
	s_mov_b32 s14, s3
	s_mov_b64 s[12:13], 0
	s_mov_b32 s15, 0
	s_waitcnt lgkmcnt(0)
	v_cmp_eq_f64_e64 s[16:17], s[4:5], 0
	s_and_b64 vcc, exec, s[16:17]
	s_cbranch_vccnz .LBB104_2
; %bb.1:
	s_lshl_b64 s[10:11], s[14:15], 3
	s_add_u32 s6, s6, s10
	s_load_dwordx2 s[8:9], s[0:1], 0x18
	s_addc_u32 s7, s7, s11
	s_load_dwordx2 s[6:7], s[6:7], 0x0
	s_waitcnt lgkmcnt(0)
	s_lshl_b64 s[8:9], s[8:9], 3
	s_add_u32 s12, s6, s8
	s_addc_u32 s13, s7, s9
.LBB104_2:
	s_load_dwordx2 s[6:7], s[0:1], 0x0
	v_and_b32_e32 v3, 0x3ff, v0
	v_bfe_u32 v0, v0, 10, 10
	s_waitcnt lgkmcnt(0)
	s_add_i32 s3, s6, -1
	s_ashr_i32 s8, s3, 31
	s_lshr_b32 s8, s8, 27
	s_add_i32 s3, s3, s8
	s_ashr_i32 s3, s3, 5
	s_add_i32 s8, s3, 1
	v_cvt_f32_u32_e32 v1, s8
	s_not_b32 s3, s3
	v_rcp_iflag_f32_e32 v1, v1
	s_nop 0
	v_mul_f32_e32 v1, 0x4f7ffffe, v1
	v_cvt_u32_f32_e32 v1, v1
	s_nop 0
	v_readfirstlane_b32 s9, v1
	s_mul_i32 s3, s3, s9
	s_mul_hi_u32 s3, s9, s3
	s_add_i32 s9, s9, s3
	s_mul_hi_u32 s3, s2, s9
	s_mul_i32 s9, s3, s8
	s_sub_i32 s9, s2, s9
	s_add_i32 s10, s3, 1
	s_sub_i32 s11, s9, s8
	s_cmp_ge_u32 s9, s8
	s_cselect_b32 s3, s10, s3
	s_cselect_b32 s9, s11, s9
	s_add_i32 s10, s3, 1
	s_cmp_ge_u32 s9, s8
	s_cselect_b32 s3, s10, s3
	s_mul_i32 s8, s3, s8
	s_sub_i32 s2, s2, s8
	v_lshl_add_u32 v2, s3, 5, v0
	v_lshl_add_u32 v0, s2, 5, v3
	v_cmp_gt_u32_e32 vcc, s6, v0
	v_cmp_gt_u32_e64 s[2:3], s7, v2
	s_and_b64 s[2:3], vcc, s[2:3]
	s_and_saveexec_b64 s[6:7], s[2:3]
	s_cbranch_execz .LBB104_8
; %bb.3:
	s_load_dwordx4 s[8:11], s[0:1], 0x30
	s_lshl_b64 s[2:3], s[14:15], 3
	s_waitcnt lgkmcnt(0)
	s_add_u32 s2, s8, s2
	s_addc_u32 s3, s9, s3
	s_load_dwordx2 s[2:3], s[2:3], 0x0
	s_andn2_b64 vcc, exec, s[16:17]
	s_cbranch_vccnz .LBB104_5
; %bb.4:
	v_mov_b32_e32 v5, 0
	v_mov_b32_e32 v1, v5
	s_mov_b64 s[8:9], 0
	v_mov_b64_e32 v[6:7], s[8:9]
	s_cbranch_execz .LBB104_6
	s_branch .LBB104_7
.LBB104_5:
                                        ; implicit-def: $sgpr8_sgpr9
                                        ; implicit-def: $vgpr4_vgpr5
	v_mov_b64_e32 v[6:7], s[8:9]
.LBB104_6:
	s_load_dword s6, s[0:1], 0x20
	v_mov_b32_e32 v5, 0
	v_mov_b32_e32 v1, v5
	s_waitcnt lgkmcnt(0)
	s_ashr_i32 s8, s6, 31
	v_mad_u64_u32 v[6:7], s[6:7], v2, s6, v[0:1]
	v_mov_b32_e32 v4, v7
	v_mad_u64_u32 v[8:9], s[6:7], v2, s8, v[4:5]
	v_mov_b32_e32 v7, v8
	v_lshl_add_u64 v[6:7], v[6:7], 3, s[12:13]
	flat_load_dwordx2 v[6:7], v[6:7]
	s_waitcnt vmcnt(0) lgkmcnt(0)
	v_mul_f64 v[6:7], v[6:7], s[4:5]
.LBB104_7:
	s_load_dword s4, s[0:1], 0x40
	s_lshl_b64 s[0:1], s[10:11], 3
	s_waitcnt lgkmcnt(0)
	s_add_u32 s0, s2, s0
	s_addc_u32 s1, s3, s1
	v_cmp_nlt_f64_e32 vcc, 0, v[6:7]
	s_ashr_i32 s2, s4, 31
	v_mul_lo_u32 v4, v5, s4
	v_mul_lo_u32 v5, v2, s2
	v_mad_u64_u32 v[2:3], s[2:3], v2, s4, 0
	v_add3_u32 v3, v3, v5, v4
	v_lshl_add_u64 v[2:3], v[2:3], 3, s[0:1]
	v_lshl_add_u64 v[0:1], v[0:1], 3, v[2:3]
	v_cndmask_b32_e32 v3, 0, v7, vcc
	v_cndmask_b32_e32 v2, 0, v6, vcc
	global_store_dwordx2 v[0:1], v[2:3], off
.LBB104_8:
	s_endpgm
	.section	.rodata,"a",@progbits
	.p2align	6, 0x0
	.amdhsa_kernel _ZN12_GLOBAL__N_120geam_ex_round_kernelILi32ELi32EddPKPKdPKPdEEviiT2_T3_lilT4_lil
		.amdhsa_group_segment_fixed_size 0
		.amdhsa_private_segment_fixed_size 0
		.amdhsa_kernarg_size 80
		.amdhsa_user_sgpr_count 2
		.amdhsa_user_sgpr_dispatch_ptr 0
		.amdhsa_user_sgpr_queue_ptr 0
		.amdhsa_user_sgpr_kernarg_segment_ptr 1
		.amdhsa_user_sgpr_dispatch_id 0
		.amdhsa_user_sgpr_kernarg_preload_length 0
		.amdhsa_user_sgpr_kernarg_preload_offset 0
		.amdhsa_user_sgpr_private_segment_size 0
		.amdhsa_uses_dynamic_stack 0
		.amdhsa_enable_private_segment 0
		.amdhsa_system_sgpr_workgroup_id_x 1
		.amdhsa_system_sgpr_workgroup_id_y 0
		.amdhsa_system_sgpr_workgroup_id_z 1
		.amdhsa_system_sgpr_workgroup_info 0
		.amdhsa_system_vgpr_workitem_id 1
		.amdhsa_next_free_vgpr 10
		.amdhsa_next_free_sgpr 18
		.amdhsa_accum_offset 12
		.amdhsa_reserve_vcc 1
		.amdhsa_float_round_mode_32 0
		.amdhsa_float_round_mode_16_64 0
		.amdhsa_float_denorm_mode_32 3
		.amdhsa_float_denorm_mode_16_64 3
		.amdhsa_dx10_clamp 1
		.amdhsa_ieee_mode 1
		.amdhsa_fp16_overflow 0
		.amdhsa_tg_split 0
		.amdhsa_exception_fp_ieee_invalid_op 0
		.amdhsa_exception_fp_denorm_src 0
		.amdhsa_exception_fp_ieee_div_zero 0
		.amdhsa_exception_fp_ieee_overflow 0
		.amdhsa_exception_fp_ieee_underflow 0
		.amdhsa_exception_fp_ieee_inexact 0
		.amdhsa_exception_int_div_zero 0
	.end_amdhsa_kernel
	.section	.text._ZN12_GLOBAL__N_120geam_ex_round_kernelILi32ELi32EddPKPKdPKPdEEviiT2_T3_lilT4_lil,"axG",@progbits,_ZN12_GLOBAL__N_120geam_ex_round_kernelILi32ELi32EddPKPKdPKPdEEviiT2_T3_lilT4_lil,comdat
.Lfunc_end104:
	.size	_ZN12_GLOBAL__N_120geam_ex_round_kernelILi32ELi32EddPKPKdPKPdEEviiT2_T3_lilT4_lil, .Lfunc_end104-_ZN12_GLOBAL__N_120geam_ex_round_kernelILi32ELi32EddPKPKdPKPdEEviiT2_T3_lilT4_lil
                                        ; -- End function
	.section	.AMDGPU.csdata,"",@progbits
; Kernel info:
; codeLenInByte = 520
; NumSgprs: 24
; NumVgprs: 10
; NumAgprs: 0
; TotalNumVgprs: 10
; ScratchSize: 0
; MemoryBound: 0
; FloatMode: 240
; IeeeMode: 1
; LDSByteSize: 0 bytes/workgroup (compile time only)
; SGPRBlocks: 2
; VGPRBlocks: 1
; NumSGPRsForWavesPerEU: 24
; NumVGPRsForWavesPerEU: 10
; AccumOffset: 12
; Occupancy: 8
; WaveLimiterHint : 1
; COMPUTE_PGM_RSRC2:SCRATCH_EN: 0
; COMPUTE_PGM_RSRC2:USER_SGPR: 2
; COMPUTE_PGM_RSRC2:TRAP_HANDLER: 0
; COMPUTE_PGM_RSRC2:TGID_X_EN: 1
; COMPUTE_PGM_RSRC2:TGID_Y_EN: 0
; COMPUTE_PGM_RSRC2:TGID_Z_EN: 1
; COMPUTE_PGM_RSRC2:TIDIG_COMP_CNT: 1
; COMPUTE_PGM_RSRC3_GFX90A:ACCUM_OFFSET: 2
; COMPUTE_PGM_RSRC3_GFX90A:TG_SPLIT: 0
	.section	.text._ZN12_GLOBAL__N_120geam_min_plus_kernelId15HIP_vector_typeIdLj2EEdLi32ELi8ELi256ELi64ELi4ELi64ELi4ELi4ELi64ELc78ELc78ELb0ELb0ELb1EPKdKS4_KPdEEviiiT16_PT17_ilSA_ilS8_SA_ilPT18_ili26rocblas_geam_ex_operation_,"axG",@progbits,_ZN12_GLOBAL__N_120geam_min_plus_kernelId15HIP_vector_typeIdLj2EEdLi32ELi8ELi256ELi64ELi4ELi64ELi4ELi4ELi64ELc78ELc78ELb0ELb0ELb1EPKdKS4_KPdEEviiiT16_PT17_ilSA_ilS8_SA_ilPT18_ili26rocblas_geam_ex_operation_,comdat
	.globl	_ZN12_GLOBAL__N_120geam_min_plus_kernelId15HIP_vector_typeIdLj2EEdLi32ELi8ELi256ELi64ELi4ELi64ELi4ELi4ELi64ELc78ELc78ELb0ELb0ELb1EPKdKS4_KPdEEviiiT16_PT17_ilSA_ilS8_SA_ilPT18_ili26rocblas_geam_ex_operation_ ; -- Begin function _ZN12_GLOBAL__N_120geam_min_plus_kernelId15HIP_vector_typeIdLj2EEdLi32ELi8ELi256ELi64ELi4ELi64ELi4ELi4ELi64ELc78ELc78ELb0ELb0ELb1EPKdKS4_KPdEEviiiT16_PT17_ilSA_ilS8_SA_ilPT18_ili26rocblas_geam_ex_operation_
	.p2align	8
	.type	_ZN12_GLOBAL__N_120geam_min_plus_kernelId15HIP_vector_typeIdLj2EEdLi32ELi8ELi256ELi64ELi4ELi64ELi4ELi4ELi64ELc78ELc78ELb0ELb0ELb1EPKdKS4_KPdEEviiiT16_PT17_ilSA_ilS8_SA_ilPT18_ili26rocblas_geam_ex_operation_,@function
_ZN12_GLOBAL__N_120geam_min_plus_kernelId15HIP_vector_typeIdLj2EEdLi32ELi8ELi256ELi64ELi4ELi64ELi4ELi4ELi64ELc78ELc78ELb0ELb0ELb1EPKdKS4_KPdEEviiiT16_PT17_ilSA_ilS8_SA_ilPT18_ili26rocblas_geam_ex_operation_: ; @_ZN12_GLOBAL__N_120geam_min_plus_kernelId15HIP_vector_typeIdLj2EEdLi32ELi8ELi256ELi64ELi4ELi64ELi4ELi4ELi64ELc78ELc78ELb0ELb0ELb1EPKdKS4_KPdEEviiiT16_PT17_ilSA_ilS8_SA_ilPT18_ili26rocblas_geam_ex_operation_
; %bb.0:
	s_load_dwordx4 s[12:15], s[0:1], 0x10
	s_load_dwordx4 s[4:7], s[0:1], 0x28
	s_mov_b32 s8, s3
	s_mov_b32 s9, 0
	s_lshl_b64 s[22:23], s[8:9], 3
	s_waitcnt lgkmcnt(0)
	s_add_u32 s12, s12, s22
	s_load_dwordx4 s[8:11], s[0:1], 0x40
	s_addc_u32 s13, s13, s23
	s_load_dwordx2 s[16:17], s[12:13], 0x0
	s_load_dwordx2 s[24:25], s[0:1], 0x50
	s_mov_b64 s[20:21], 0
	s_mov_b64 s[18:19], 0
	s_waitcnt lgkmcnt(0)
	s_add_u32 s10, s10, s22
	v_cmp_eq_f64_e64 s[12:13], s[16:17], 0
	s_addc_u32 s11, s11, s23
	v_cmp_neq_f64_e64 s[26:27], s[16:17], 0
	s_and_b64 vcc, exec, s[12:13]
	s_cbranch_vccnz .LBB105_2
; %bb.1:
	s_add_u32 s12, s14, s22
	s_addc_u32 s13, s15, s23
	s_load_dwordx2 s[12:13], s[12:13], 0x0
	s_lshl_b64 s[4:5], s[4:5], 3
	s_waitcnt lgkmcnt(0)
	s_add_u32 s18, s12, s4
	s_addc_u32 s19, s13, s5
.LBB105_2:
	s_load_dwordx2 s[12:13], s[10:11], 0x0
	v_cndmask_b32_e64 v1, 0, 1, s[26:27]
	v_cmp_ne_u32_e64 s[4:5], 1, v1
	s_andn2_b64 vcc, exec, s[26:27]
	s_cbranch_vccnz .LBB105_4
; %bb.3:
	s_add_u32 s6, s6, s22
	s_addc_u32 s7, s7, s23
	s_load_dwordx2 s[6:7], s[6:7], 0x0
	s_lshl_b64 s[8:9], s[8:9], 3
	s_waitcnt lgkmcnt(0)
	s_add_u32 s20, s6, s8
	s_addc_u32 s21, s7, s9
.LBB105_4:
	s_load_dwordx4 s[8:11], s[0:1], 0x60
	s_waitcnt lgkmcnt(0)
	v_cmp_eq_f64_e64 s[6:7], s[12:13], 0
	s_and_b64 s[6:7], exec, s[6:7]
	s_mov_b64 s[14:15], 0
	s_mov_b64 vcc, s[6:7]
	s_cbranch_vccnz .LBB105_6
; %bb.5:
	s_add_u32 s14, s24, s22
	s_addc_u32 s15, s25, s23
	s_load_dwordx2 s[14:15], s[14:15], 0x0
	s_lshl_b64 s[8:9], s[8:9], 3
	s_waitcnt lgkmcnt(0)
	s_add_u32 s14, s14, s8
	s_addc_u32 s15, s15, s9
.LBB105_6:
	s_load_dword s24, s[0:1], 0x20
	s_load_dword s3, s[0:1], 0x0
	v_and_b32_e32 v135, 0x3ff, v0
	v_bfe_u32 v136, v0, 10, 10
	v_lshl_add_u32 v8, v136, 5, v135
	s_waitcnt lgkmcnt(0)
	s_ashr_i32 s25, s24, 31
	s_add_u32 s8, s10, s22
	s_addc_u32 s9, s11, s23
	s_add_i32 s3, s3, -1
	s_ashr_i32 s10, s3, 31
	s_lshr_b32 s10, s10, 24
	s_add_i32 s3, s3, s10
	s_ashr_i32 s3, s3, 8
	s_add_i32 s22, s3, 1
	v_cvt_f32_u32_e32 v1, s22
	v_lshrrev_b32_e32 v144, 6, v8
	s_not_b32 s3, s3
	s_load_dwordx2 s[8:9], s[8:9], 0x0
	v_rcp_iflag_f32_e32 v0, v1
	v_and_b32_e32 v72, 63, v8
	v_mul_f32_e32 v0, 0x4f7ffffe, v0
	v_cvt_u32_f32_e32 v2, v0
	v_mad_i64_i32 v[0:1], s[10:11], s24, v144, 0
	v_lshl_add_u64 v[4:5], v[0:1], 3, s[18:19]
	v_readfirstlane_b32 s10, v2
	s_mul_i32 s3, s3, s10
	s_mul_hi_u32 s3, s10, s3
	s_add_i32 s10, s10, s3
	s_mul_hi_u32 s3, s2, s10
	s_mul_i32 s10, s3, s22
	s_sub_i32 s10, s2, s10
	s_add_i32 s11, s3, 1
	s_sub_i32 s23, s10, s22
	s_cmp_ge_u32 s10, s22
	s_cselect_b32 s3, s11, s3
	s_cselect_b32 s10, s23, s10
	s_add_i32 s11, s3, 1
	s_cmp_ge_u32 s10, s22
	s_cselect_b32 s3, s11, s3
	s_mul_i32 s10, s3, s22
	s_sub_i32 s2, s2, s10
	s_lshl_b32 s10, s2, 8
	v_or_b32_e32 v60, s10, v72
	s_and_b64 vcc, exec, s[4:5]
	v_ashrrev_i32_e32 v61, 31, v60
	s_cbranch_vccnz .LBB105_9
; %bb.7:
	v_lshl_add_u64 v[0:1], v[60:61], 3, v[4:5]
	flat_load_dwordx2 v[2:3], v[0:1]
	flat_load_dwordx2 v[6:7], v[0:1] offset:512
	s_waitcnt vmcnt(0) lgkmcnt(0)
	v_mul_f64 v[0:1], s[16:17], v[2:3]
	v_mul_f64 v[2:3], s[16:17], v[6:7]
	s_and_b64 vcc, exec, s[4:5]
	s_cbranch_vccnz .LBB105_10
.LBB105_8:
	v_lshl_add_u64 v[4:5], v[60:61], 3, v[4:5]
	flat_load_dwordx2 v[6:7], v[4:5] offset:1024
	flat_load_dwordx2 v[10:11], v[4:5] offset:1536
	s_waitcnt vmcnt(0) lgkmcnt(0)
	v_mul_f64 v[4:5], s[16:17], v[6:7]
	v_mul_f64 v[6:7], s[16:17], v[10:11]
	s_branch .LBB105_11
.LBB105_9:
	v_mov_b64_e32 v[0:1], 0
	v_mov_b64_e32 v[2:3], 0
	s_and_b64 vcc, exec, s[4:5]
	s_cbranch_vccz .LBB105_8
.LBB105_10:
	v_mov_b64_e32 v[4:5], 0
	v_mov_b64_e32 v[6:7], 0
.LBB105_11:
	s_load_dword s26, s[0:1], 0x38
	v_and_b32_e32 v145, 3, v135
	v_lshrrev_b32_e32 v14, 2, v8
	s_lshl_b32 s11, s3, 6
	s_and_b64 vcc, exec, s[4:5]
	v_add_u32_e32 v73, s11, v14
	v_lshlrev_b32_e32 v8, 3, v145
	s_cbranch_vccnz .LBB105_13
; %bb.12:
	s_waitcnt lgkmcnt(0)
	v_mad_i64_i32 v[10:11], s[2:3], v73, s26, 0
	v_lshl_add_u64 v[10:11], v[10:11], 3, s[20:21]
	v_mov_b32_e32 v9, 0
	v_lshl_add_u64 v[10:11], v[10:11], 0, v[8:9]
	flat_load_dwordx2 v[10:11], v[10:11]
	s_waitcnt vmcnt(0) lgkmcnt(0)
	v_mul_f64 v[10:11], s[16:17], v[10:11]
	s_branch .LBB105_14
.LBB105_13:
	v_mov_b64_e32 v[10:11], 0
.LBB105_14:
	v_add_u32_e32 v146, 4, v144
	v_mad_i64_i32 v[12:13], s[2:3], s24, v146, 0
	s_and_b64 vcc, exec, s[4:5]
	v_lshl_add_u64 v[12:13], v[12:13], 3, s[18:19]
	s_cbranch_vccnz .LBB105_18
; %bb.15:
	v_lshl_add_u64 v[16:17], v[60:61], 3, v[12:13]
	flat_load_dwordx2 v[18:19], v[16:17]
	flat_load_dwordx2 v[20:21], v[16:17] offset:512
	s_waitcnt vmcnt(0) lgkmcnt(0)
	v_mul_f64 v[62:63], s[16:17], v[18:19]
	v_mul_f64 v[64:65], s[16:17], v[20:21]
	s_and_b64 vcc, exec, s[4:5]
	s_cbranch_vccnz .LBB105_19
.LBB105_16:
	v_lshl_add_u64 v[12:13], v[60:61], 3, v[12:13]
	flat_load_dwordx2 v[16:17], v[12:13] offset:1024
	flat_load_dwordx2 v[18:19], v[12:13] offset:1536
	s_waitcnt vmcnt(0) lgkmcnt(0)
	v_mul_f64 v[66:67], s[16:17], v[16:17]
	v_mul_f64 v[68:69], s[16:17], v[18:19]
	s_and_b64 vcc, exec, s[4:5]
	s_cbranch_vccnz .LBB105_20
.LBB105_17:
	s_waitcnt lgkmcnt(0)
	v_mad_i64_i32 v[12:13], s[2:3], v73, s26, 0
	v_lshl_add_u64 v[12:13], v[12:13], 3, s[20:21]
	v_mov_b32_e32 v9, 0
	v_lshl_add_u64 v[12:13], v[12:13], 0, v[8:9]
	flat_load_dwordx2 v[12:13], v[12:13] offset:32
	s_waitcnt vmcnt(0) lgkmcnt(0)
	v_mul_f64 v[70:71], s[16:17], v[12:13]
	s_branch .LBB105_21
.LBB105_18:
	v_mov_b64_e32 v[62:63], 0
	v_mov_b64_e32 v[64:65], 0
	s_and_b64 vcc, exec, s[4:5]
	s_cbranch_vccz .LBB105_16
.LBB105_19:
	v_mov_b64_e32 v[66:67], 0
	v_mov_b64_e32 v[68:69], 0
	s_and_b64 vcc, exec, s[4:5]
	s_cbranch_vccz .LBB105_17
.LBB105_20:
	v_mov_b64_e32 v[70:71], 0
.LBB105_21:
	v_lshlrev_b32_e32 v9, 3, v144
	v_lshl_or_b32 v74, v14, 5, v8
	v_lshl_add_u32 v147, v72, 5, v9
	v_add_u32_e32 v148, 0x4000, v74
	s_mov_b32 s22, 0
	s_mov_b64 s[2:3], -1
	v_mov_b32_e32 v78, 0x7f800000
	v_mov_b32_e32 v79, 0x7f800000
	;; [unrolled: 1-line block ×64, first 2 shown]
	ds_write2st64_b64 v147, v[0:1], v[2:3] offset1:4
	ds_write2st64_b64 v147, v[4:5], v[6:7] offset0:8 offset1:12
	ds_write_b64 v74, v[10:11] offset:16384
	s_waitcnt lgkmcnt(0)
	s_barrier
.LBB105_22:                             ; =>This Inner Loop Header: Depth=1
	v_cndmask_b32_e64 v0, 0, 1, s[2:3]
	s_lshl_b32 s2, s22, 3
	v_cmp_ne_u32_e32 vcc, 1, v0
	v_lshl_add_u32 v0, v135, 5, s2
	v_lshl_add_u32 v20, v136, 5, s2
	ds_read_b128 v[32:35], v0
	ds_read_b128 v[28:31], v0 offset:1024
	ds_read_b128 v[24:27], v0 offset:2048
	;; [unrolled: 1-line block ×15, first 2 shown]
	s_waitcnt lgkmcnt(7)
	v_add_f64 v[76:77], v[34:35], v[152:153]
	v_add_f64 v[154:155], v[32:33], v[150:151]
	v_cvt_f32_f64_e32 v75, v[154:155]
	v_cvt_f32_f64_e32 v76, v[76:77]
	v_min3_f32 v143, v75, v76, v143
	v_add_f64 v[76:77], v[30:31], v[152:153]
	v_add_f64 v[154:155], v[28:29], v[150:151]
	v_cvt_f32_f64_e32 v75, v[154:155]
	v_cvt_f32_f64_e32 v76, v[76:77]
	v_min3_f32 v142, v75, v76, v142
	;; [unrolled: 5-line block ×8, first 2 shown]
	s_waitcnt lgkmcnt(6)
	v_add_f64 v[76:77], v[34:35], v[58:59]
	v_add_f64 v[150:151], v[32:33], v[56:57]
	v_cvt_f32_f64_e32 v75, v[150:151]
	v_cvt_f32_f64_e32 v76, v[76:77]
	v_min3_f32 v133, v75, v76, v133
	v_add_f64 v[76:77], v[30:31], v[58:59]
	v_add_f64 v[150:151], v[28:29], v[56:57]
	v_cvt_f32_f64_e32 v75, v[150:151]
	v_cvt_f32_f64_e32 v76, v[76:77]
	v_min3_f32 v132, v75, v76, v132
	v_add_f64 v[76:77], v[26:27], v[58:59]
	v_add_f64 v[150:151], v[24:25], v[56:57]
	v_cvt_f32_f64_e32 v75, v[150:151]
	v_cvt_f32_f64_e32 v76, v[76:77]
	v_min3_f32 v131, v75, v76, v131
	v_add_f64 v[76:77], v[18:19], v[58:59]
	v_add_f64 v[150:151], v[16:17], v[56:57]
	v_cvt_f32_f64_e32 v75, v[150:151]
	v_cvt_f32_f64_e32 v76, v[76:77]
	v_min3_f32 v130, v75, v76, v130
	v_add_f64 v[76:77], v[14:15], v[58:59]
	v_add_f64 v[150:151], v[12:13], v[56:57]
	v_cvt_f32_f64_e32 v75, v[150:151]
	v_cvt_f32_f64_e32 v76, v[76:77]
	v_min3_f32 v129, v75, v76, v129
	v_add_f64 v[76:77], v[10:11], v[58:59]
	v_add_f64 v[150:151], v[8:9], v[56:57]
	v_cvt_f32_f64_e32 v75, v[150:151]
	v_cvt_f32_f64_e32 v76, v[76:77]
	v_min3_f32 v128, v75, v76, v128
	v_add_f64 v[76:77], v[6:7], v[58:59]
	v_add_f64 v[150:151], v[4:5], v[56:57]
	v_add_f64 v[58:59], v[2:3], v[58:59]
	v_add_f64 v[56:57], v[0:1], v[56:57]
	v_cvt_f32_f64_e32 v56, v[56:57]
	v_cvt_f32_f64_e32 v57, v[58:59]
	v_min3_f32 v126, v56, v57, v126
	s_waitcnt lgkmcnt(5)
	v_add_f64 v[56:57], v[34:35], v[54:55]
	v_add_f64 v[58:59], v[32:33], v[52:53]
	v_cvt_f32_f64_e32 v58, v[58:59]
	v_cvt_f32_f64_e32 v56, v[56:57]
	v_min3_f32 v125, v58, v56, v125
	v_add_f64 v[56:57], v[30:31], v[54:55]
	v_add_f64 v[58:59], v[28:29], v[52:53]
	v_cvt_f32_f64_e32 v58, v[58:59]
	v_cvt_f32_f64_e32 v56, v[56:57]
	v_min3_f32 v124, v58, v56, v124
	v_add_f64 v[56:57], v[26:27], v[54:55]
	v_add_f64 v[58:59], v[24:25], v[52:53]
	v_cvt_f32_f64_e32 v58, v[58:59]
	v_cvt_f32_f64_e32 v56, v[56:57]
	v_min3_f32 v123, v58, v56, v123
	v_add_f64 v[56:57], v[18:19], v[54:55]
	v_add_f64 v[58:59], v[16:17], v[52:53]
	v_cvt_f32_f64_e32 v58, v[58:59]
	v_cvt_f32_f64_e32 v56, v[56:57]
	v_min3_f32 v122, v58, v56, v122
	v_add_f64 v[56:57], v[14:15], v[54:55]
	v_add_f64 v[58:59], v[12:13], v[52:53]
	v_cvt_f32_f64_e32 v58, v[58:59]
	v_cvt_f32_f64_e32 v56, v[56:57]
	v_min3_f32 v121, v58, v56, v121
	v_add_f64 v[56:57], v[10:11], v[54:55]
	v_add_f64 v[58:59], v[8:9], v[52:53]
	v_cvt_f32_f64_e32 v58, v[58:59]
	v_cvt_f32_f64_e32 v56, v[56:57]
	v_min3_f32 v120, v58, v56, v120
	v_add_f64 v[56:57], v[6:7], v[54:55]
	v_add_f64 v[58:59], v[4:5], v[52:53]
	v_add_f64 v[54:55], v[2:3], v[54:55]
	v_add_f64 v[52:53], v[0:1], v[52:53]
	v_cvt_f32_f64_e32 v52, v[52:53]
	v_cvt_f32_f64_e32 v53, v[54:55]
	v_min3_f32 v118, v52, v53, v118
	;; [unrolled: 38-line block ×5, first 2 shown]
	s_waitcnt lgkmcnt(1)
	v_add_f64 v[40:41], v[34:35], v[38:39]
	v_add_f64 v[42:43], v[32:33], v[36:37]
	v_cvt_f32_f64_e32 v42, v[42:43]
	v_cvt_f32_f64_e32 v40, v[40:41]
	v_min3_f32 v93, v42, v40, v93
	v_add_f64 v[40:41], v[30:31], v[38:39]
	v_add_f64 v[42:43], v[28:29], v[36:37]
	v_cvt_f32_f64_e32 v42, v[42:43]
	v_cvt_f32_f64_e32 v40, v[40:41]
	v_min3_f32 v92, v42, v40, v92
	;; [unrolled: 5-line block ×6, first 2 shown]
	v_add_f64 v[40:41], v[6:7], v[38:39]
	v_add_f64 v[42:43], v[4:5], v[36:37]
	;; [unrolled: 1-line block ×4, first 2 shown]
	s_waitcnt lgkmcnt(0)
	v_add_f64 v[34:35], v[34:35], v[22:23]
	v_add_f64 v[32:33], v[32:33], v[20:21]
	;; [unrolled: 1-line block ×16, first 2 shown]
	v_cvt_f32_f64_e32 v75, v[150:151]
	v_cvt_f32_f64_e32 v76, v[76:77]
	;; [unrolled: 1-line block ×30, first 2 shown]
	v_min3_f32 v127, v75, v76, v127
	v_min3_f32 v119, v58, v56, v119
	;; [unrolled: 1-line block ×15, first 2 shown]
	s_mov_b32 s22, 2
	s_mov_b64 s[2:3], 0
	s_cbranch_vccz .LBB105_22
; %bb.23:
	s_load_dword s23, s[0:1], 0x8
	v_lshlrev_b32_e32 v0, 5, v72
	v_lshl_add_u32 v0, v144, 3, v0
	s_mov_b32 s22, 8
	ds_write2st64_b64 v0, v[62:63], v[64:65] offset0:16 offset1:20
	ds_write2st64_b64 v0, v[66:67], v[68:69] offset0:24 offset1:28
	ds_write_b64 v74, v[70:71] offset:18432
	s_waitcnt lgkmcnt(0)
	s_cmp_gt_i32 s23, 8
	s_barrier
	s_cbranch_scc0 .LBB105_44
; %bb.24:
	v_add_u32_e32 v149, 0x2000, v0
	v_mad_i64_i32 v[0:1], s[2:3], v73, s26, 0
	v_lshl_add_u64 v[62:63], v[0:1], 3, s[20:21]
	v_add_u32_e32 v150, 0x4800, v74
	s_add_i32 s23, s23, -8
	v_lshl_add_u64 v[64:65], v[62:63], 0, 32
	s_mov_b32 s20, 0
	v_mov_b32_e32 v67, 0
.LBB105_25:                             ; =>This Loop Header: Depth=1
                                        ;     Child Loop BB105_33 Depth 2
                                        ;     Child Loop BB105_42 Depth 2
	v_add_u32_e32 v3, s22, v144
	v_mad_u64_u32 v[0:1], s[2:3], v3, s24, 0
	v_mov_b32_e32 v2, v1
	v_mad_u64_u32 v[2:3], s[2:3], v3, s25, v[2:3]
	v_mov_b32_e32 v1, v2
	v_lshl_add_u64 v[0:1], v[0:1], 3, s[18:19]
	s_and_b64 vcc, exec, s[4:5]
	v_lshl_add_u64 v[0:1], v[60:61], 3, v[0:1]
	s_cbranch_vccnz .LBB105_29
; %bb.26:                               ;   in Loop: Header=BB105_25 Depth=1
	flat_load_dwordx2 v[2:3], v[0:1]
	flat_load_dwordx2 v[4:5], v[0:1] offset:512
	s_waitcnt vmcnt(0) lgkmcnt(0)
	v_mul_f64 v[68:69], s[16:17], v[2:3]
	v_mul_f64 v[70:71], s[16:17], v[4:5]
	s_and_b64 vcc, exec, s[4:5]
	s_cbranch_vccnz .LBB105_30
.LBB105_27:                             ;   in Loop: Header=BB105_25 Depth=1
	flat_load_dwordx2 v[2:3], v[0:1] offset:1024
	flat_load_dwordx2 v[4:5], v[0:1] offset:1536
	s_waitcnt vmcnt(0) lgkmcnt(0)
	v_mul_f64 v[72:73], s[16:17], v[2:3]
	v_mul_f64 v[74:75], s[16:17], v[4:5]
	s_and_b64 vcc, exec, s[4:5]
	s_cbranch_vccnz .LBB105_31
.LBB105_28:                             ;   in Loop: Header=BB105_25 Depth=1
	v_or_b32_e32 v66, s22, v145
	v_lshl_add_u64 v[0:1], v[66:67], 3, v[62:63]
	flat_load_dwordx2 v[0:1], v[0:1]
	s_waitcnt vmcnt(0) lgkmcnt(0)
	v_mul_f64 v[76:77], s[16:17], v[0:1]
	s_branch .LBB105_32
.LBB105_29:                             ;   in Loop: Header=BB105_25 Depth=1
	v_mov_b64_e32 v[68:69], 0
	v_mov_b64_e32 v[70:71], 0
	s_and_b64 vcc, exec, s[4:5]
	s_cbranch_vccz .LBB105_27
.LBB105_30:                             ;   in Loop: Header=BB105_25 Depth=1
	v_mov_b64_e32 v[72:73], 0
	v_mov_b64_e32 v[74:75], 0
	s_and_b64 vcc, exec, s[4:5]
	s_cbranch_vccz .LBB105_28
.LBB105_31:                             ;   in Loop: Header=BB105_25 Depth=1
	v_mov_b64_e32 v[76:77], 0
.LBB105_32:                             ;   in Loop: Header=BB105_25 Depth=1
	s_mov_b32 s21, 0
	s_mov_b64 s[2:3], -1
.LBB105_33:                             ;   Parent Loop BB105_25 Depth=1
                                        ; =>  This Inner Loop Header: Depth=2
	v_cndmask_b32_e64 v0, 0, 1, s[2:3]
	s_lshl_b32 s2, s21, 3
	v_cmp_ne_u32_e32 vcc, 1, v0
	v_lshl_add_u32 v0, v135, 5, s2
	v_lshl_add_u32 v20, v136, 5, s2
	ds_read_b128 v[32:35], v0 offset:8192
	ds_read_b128 v[28:31], v0 offset:9216
	;; [unrolled: 1-line block ×16, first 2 shown]
	s_waitcnt lgkmcnt(7)
	v_add_f64 v[156:157], v[34:35], v[154:155]
	v_add_f64 v[158:159], v[32:33], v[152:153]
	v_cvt_f32_f64_e32 v66, v[158:159]
	v_cvt_f32_f64_e32 v151, v[156:157]
	v_add_f64 v[156:157], v[30:31], v[154:155]
	v_add_f64 v[158:159], v[28:29], v[152:153]
	v_min3_f32 v143, v66, v151, v143
	v_cvt_f32_f64_e32 v66, v[158:159]
	v_cvt_f32_f64_e32 v151, v[156:157]
	v_add_f64 v[156:157], v[26:27], v[154:155]
	v_add_f64 v[158:159], v[24:25], v[152:153]
	v_min3_f32 v142, v66, v151, v142
	v_cvt_f32_f64_e32 v66, v[158:159]
	v_cvt_f32_f64_e32 v151, v[156:157]
	v_add_f64 v[156:157], v[18:19], v[154:155]
	v_add_f64 v[158:159], v[16:17], v[152:153]
	v_min3_f32 v141, v66, v151, v141
	v_cvt_f32_f64_e32 v66, v[158:159]
	v_cvt_f32_f64_e32 v151, v[156:157]
	v_add_f64 v[156:157], v[14:15], v[154:155]
	v_add_f64 v[158:159], v[12:13], v[152:153]
	v_min3_f32 v140, v66, v151, v140
	v_cvt_f32_f64_e32 v66, v[158:159]
	v_cvt_f32_f64_e32 v151, v[156:157]
	v_add_f64 v[156:157], v[10:11], v[154:155]
	v_add_f64 v[158:159], v[8:9], v[152:153]
	v_min3_f32 v139, v66, v151, v139
	v_cvt_f32_f64_e32 v66, v[158:159]
	v_cvt_f32_f64_e32 v151, v[156:157]
	v_add_f64 v[156:157], v[6:7], v[154:155]
	v_add_f64 v[158:159], v[4:5], v[152:153]
	v_min3_f32 v138, v66, v151, v138
	v_cvt_f32_f64_e32 v66, v[158:159]
	v_cvt_f32_f64_e32 v151, v[156:157]
	v_add_f64 v[154:155], v[2:3], v[154:155]
	v_add_f64 v[152:153], v[0:1], v[152:153]
	v_min3_f32 v137, v66, v151, v137
	v_cvt_f32_f64_e32 v66, v[152:153]
	v_cvt_f32_f64_e32 v151, v[154:155]
	s_waitcnt lgkmcnt(6)
	v_add_f64 v[152:153], v[34:35], v[58:59]
	v_add_f64 v[154:155], v[32:33], v[56:57]
	v_min3_f32 v134, v66, v151, v134
	v_cvt_f32_f64_e32 v66, v[154:155]
	v_cvt_f32_f64_e32 v151, v[152:153]
	v_add_f64 v[152:153], v[30:31], v[58:59]
	v_add_f64 v[154:155], v[28:29], v[56:57]
	v_min3_f32 v133, v66, v151, v133
	v_cvt_f32_f64_e32 v66, v[154:155]
	v_cvt_f32_f64_e32 v151, v[152:153]
	;; [unrolled: 5-line block ×6, first 2 shown]
	v_add_f64 v[152:153], v[6:7], v[58:59]
	v_add_f64 v[154:155], v[4:5], v[56:57]
	v_add_f64 v[58:59], v[2:3], v[58:59]
	v_add_f64 v[56:57], v[0:1], v[56:57]
	v_cvt_f32_f64_e32 v56, v[56:57]
	v_cvt_f32_f64_e32 v57, v[58:59]
	v_min3_f32 v126, v56, v57, v126
	s_waitcnt lgkmcnt(5)
	v_add_f64 v[56:57], v[34:35], v[54:55]
	v_add_f64 v[58:59], v[32:33], v[52:53]
	v_cvt_f32_f64_e32 v58, v[58:59]
	v_cvt_f32_f64_e32 v56, v[56:57]
	v_min3_f32 v125, v58, v56, v125
	v_add_f64 v[56:57], v[30:31], v[54:55]
	v_add_f64 v[58:59], v[28:29], v[52:53]
	v_cvt_f32_f64_e32 v58, v[58:59]
	v_cvt_f32_f64_e32 v56, v[56:57]
	v_min3_f32 v124, v58, v56, v124
	v_add_f64 v[56:57], v[26:27], v[54:55]
	v_add_f64 v[58:59], v[24:25], v[52:53]
	v_cvt_f32_f64_e32 v58, v[58:59]
	v_cvt_f32_f64_e32 v56, v[56:57]
	v_min3_f32 v123, v58, v56, v123
	v_add_f64 v[56:57], v[18:19], v[54:55]
	v_add_f64 v[58:59], v[16:17], v[52:53]
	v_cvt_f32_f64_e32 v58, v[58:59]
	v_cvt_f32_f64_e32 v56, v[56:57]
	v_min3_f32 v122, v58, v56, v122
	v_add_f64 v[56:57], v[14:15], v[54:55]
	v_add_f64 v[58:59], v[12:13], v[52:53]
	v_cvt_f32_f64_e32 v58, v[58:59]
	v_cvt_f32_f64_e32 v56, v[56:57]
	v_min3_f32 v121, v58, v56, v121
	v_add_f64 v[56:57], v[10:11], v[54:55]
	v_add_f64 v[58:59], v[8:9], v[52:53]
	v_cvt_f32_f64_e32 v58, v[58:59]
	v_cvt_f32_f64_e32 v56, v[56:57]
	v_min3_f32 v120, v58, v56, v120
	v_add_f64 v[56:57], v[6:7], v[54:55]
	v_add_f64 v[58:59], v[4:5], v[52:53]
	v_add_f64 v[54:55], v[2:3], v[54:55]
	v_add_f64 v[52:53], v[0:1], v[52:53]
	v_cvt_f32_f64_e32 v52, v[52:53]
	v_cvt_f32_f64_e32 v53, v[54:55]
	v_min3_f32 v118, v52, v53, v118
	s_waitcnt lgkmcnt(4)
	v_add_f64 v[52:53], v[34:35], v[50:51]
	v_add_f64 v[54:55], v[32:33], v[48:49]
	v_cvt_f32_f64_e32 v54, v[54:55]
	v_cvt_f32_f64_e32 v52, v[52:53]
	v_min3_f32 v117, v54, v52, v117
	v_add_f64 v[52:53], v[30:31], v[50:51]
	v_add_f64 v[54:55], v[28:29], v[48:49]
	v_cvt_f32_f64_e32 v54, v[54:55]
	v_cvt_f32_f64_e32 v52, v[52:53]
	v_min3_f32 v116, v54, v52, v116
	v_add_f64 v[52:53], v[26:27], v[50:51]
	v_add_f64 v[54:55], v[24:25], v[48:49]
	v_cvt_f32_f64_e32 v54, v[54:55]
	v_cvt_f32_f64_e32 v52, v[52:53]
	v_min3_f32 v115, v54, v52, v115
	v_add_f64 v[52:53], v[18:19], v[50:51]
	v_add_f64 v[54:55], v[16:17], v[48:49]
	v_cvt_f32_f64_e32 v54, v[54:55]
	v_cvt_f32_f64_e32 v52, v[52:53]
	v_min3_f32 v114, v54, v52, v114
	v_add_f64 v[52:53], v[14:15], v[50:51]
	v_add_f64 v[54:55], v[12:13], v[48:49]
	v_cvt_f32_f64_e32 v54, v[54:55]
	v_cvt_f32_f64_e32 v52, v[52:53]
	v_min3_f32 v113, v54, v52, v113
	v_add_f64 v[52:53], v[10:11], v[50:51]
	v_add_f64 v[54:55], v[8:9], v[48:49]
	v_cvt_f32_f64_e32 v54, v[54:55]
	v_cvt_f32_f64_e32 v52, v[52:53]
	v_min3_f32 v112, v54, v52, v112
	;; [unrolled: 38-line block ×5, first 2 shown]
	v_add_f64 v[40:41], v[6:7], v[38:39]
	v_add_f64 v[42:43], v[4:5], v[36:37]
	;; [unrolled: 1-line block ×4, first 2 shown]
	s_waitcnt lgkmcnt(0)
	v_add_f64 v[34:35], v[34:35], v[22:23]
	v_add_f64 v[32:33], v[32:33], v[20:21]
	;; [unrolled: 1-line block ×16, first 2 shown]
	v_min3_f32 v128, v66, v151, v128
	v_cvt_f32_f64_e32 v66, v[154:155]
	v_cvt_f32_f64_e32 v151, v[152:153]
	;; [unrolled: 1-line block ×30, first 2 shown]
	v_min3_f32 v127, v66, v151, v127
	v_min3_f32 v119, v58, v56, v119
	;; [unrolled: 1-line block ×15, first 2 shown]
	s_mov_b32 s21, 2
	s_mov_b64 s[2:3], 0
	s_cbranch_vccz .LBB105_33
; %bb.34:                               ;   in Loop: Header=BB105_25 Depth=1
	v_add_u32_e32 v3, s22, v146
	v_mad_u64_u32 v[0:1], s[2:3], v3, s24, 0
	v_mov_b32_e32 v2, v1
	v_mad_u64_u32 v[2:3], s[2:3], v3, s25, v[2:3]
	v_mov_b32_e32 v1, v2
	v_lshl_add_u64 v[0:1], v[0:1], 3, s[18:19]
	s_and_b64 vcc, exec, s[4:5]
	v_lshl_add_u64 v[0:1], v[60:61], 3, v[0:1]
	ds_write2st64_b64 v147, v[68:69], v[70:71] offset1:4
	ds_write2st64_b64 v147, v[72:73], v[74:75] offset0:8 offset1:12
	ds_write_b64 v148, v[76:77]
	s_waitcnt lgkmcnt(0)
	s_barrier
	s_cbranch_vccnz .LBB105_38
; %bb.35:                               ;   in Loop: Header=BB105_25 Depth=1
	flat_load_dwordx2 v[2:3], v[0:1]
	flat_load_dwordx2 v[4:5], v[0:1] offset:512
	s_waitcnt vmcnt(0) lgkmcnt(0)
	v_mul_f64 v[68:69], s[16:17], v[2:3]
	v_mul_f64 v[70:71], s[16:17], v[4:5]
	s_and_b64 vcc, exec, s[4:5]
	s_cbranch_vccnz .LBB105_39
.LBB105_36:                             ;   in Loop: Header=BB105_25 Depth=1
	flat_load_dwordx2 v[2:3], v[0:1] offset:1024
	flat_load_dwordx2 v[4:5], v[0:1] offset:1536
	s_waitcnt vmcnt(0) lgkmcnt(0)
	v_mul_f64 v[72:73], s[16:17], v[2:3]
	v_mul_f64 v[74:75], s[16:17], v[4:5]
	s_and_b64 vcc, exec, s[4:5]
	s_cbranch_vccnz .LBB105_40
.LBB105_37:                             ;   in Loop: Header=BB105_25 Depth=1
	v_or_b32_e32 v66, s22, v145
	v_lshl_add_u64 v[0:1], v[66:67], 3, v[64:65]
	flat_load_dwordx2 v[0:1], v[0:1]
	s_waitcnt vmcnt(0) lgkmcnt(0)
	v_mul_f64 v[76:77], s[16:17], v[0:1]
	s_branch .LBB105_41
.LBB105_38:                             ;   in Loop: Header=BB105_25 Depth=1
	v_mov_b64_e32 v[68:69], 0
	v_mov_b64_e32 v[70:71], 0
	s_and_b64 vcc, exec, s[4:5]
	s_cbranch_vccz .LBB105_36
.LBB105_39:                             ;   in Loop: Header=BB105_25 Depth=1
	v_mov_b64_e32 v[72:73], 0
	v_mov_b64_e32 v[74:75], 0
	s_and_b64 vcc, exec, s[4:5]
	s_cbranch_vccz .LBB105_37
.LBB105_40:                             ;   in Loop: Header=BB105_25 Depth=1
	v_mov_b64_e32 v[76:77], 0
.LBB105_41:                             ;   in Loop: Header=BB105_25 Depth=1
	s_mov_b32 s21, 0
	s_mov_b64 s[2:3], -1
.LBB105_42:                             ;   Parent Loop BB105_25 Depth=1
                                        ; =>  This Inner Loop Header: Depth=2
	v_cndmask_b32_e64 v0, 0, 1, s[2:3]
	s_lshl_b32 s2, s21, 3
	v_cmp_ne_u32_e32 vcc, 1, v0
	v_lshl_add_u32 v0, v135, 5, s2
	v_lshl_add_u32 v20, v136, 5, s2
	ds_read_b128 v[32:35], v0
	ds_read_b128 v[28:31], v0 offset:1024
	ds_read_b128 v[24:27], v0 offset:2048
	;; [unrolled: 1-line block ×15, first 2 shown]
	s_waitcnt lgkmcnt(7)
	v_add_f64 v[156:157], v[34:35], v[154:155]
	v_add_f64 v[158:159], v[32:33], v[152:153]
	v_cvt_f32_f64_e32 v66, v[158:159]
	v_cvt_f32_f64_e32 v151, v[156:157]
	v_add_f64 v[156:157], v[30:31], v[154:155]
	v_add_f64 v[158:159], v[28:29], v[152:153]
	v_min3_f32 v143, v66, v151, v143
	v_cvt_f32_f64_e32 v66, v[158:159]
	v_cvt_f32_f64_e32 v151, v[156:157]
	v_add_f64 v[156:157], v[26:27], v[154:155]
	v_add_f64 v[158:159], v[24:25], v[152:153]
	v_min3_f32 v142, v66, v151, v142
	;; [unrolled: 5-line block ×7, first 2 shown]
	v_cvt_f32_f64_e32 v66, v[152:153]
	v_cvt_f32_f64_e32 v151, v[154:155]
	s_waitcnt lgkmcnt(6)
	v_add_f64 v[152:153], v[34:35], v[58:59]
	v_add_f64 v[154:155], v[32:33], v[56:57]
	v_min3_f32 v134, v66, v151, v134
	v_cvt_f32_f64_e32 v66, v[154:155]
	v_cvt_f32_f64_e32 v151, v[152:153]
	v_add_f64 v[152:153], v[30:31], v[58:59]
	v_add_f64 v[154:155], v[28:29], v[56:57]
	v_min3_f32 v133, v66, v151, v133
	v_cvt_f32_f64_e32 v66, v[154:155]
	v_cvt_f32_f64_e32 v151, v[152:153]
	;; [unrolled: 5-line block ×6, first 2 shown]
	v_add_f64 v[152:153], v[6:7], v[58:59]
	v_add_f64 v[154:155], v[4:5], v[56:57]
	v_add_f64 v[58:59], v[2:3], v[58:59]
	v_add_f64 v[56:57], v[0:1], v[56:57]
	v_cvt_f32_f64_e32 v56, v[56:57]
	v_cvt_f32_f64_e32 v57, v[58:59]
	v_min3_f32 v126, v56, v57, v126
	s_waitcnt lgkmcnt(5)
	v_add_f64 v[56:57], v[34:35], v[54:55]
	v_add_f64 v[58:59], v[32:33], v[52:53]
	v_cvt_f32_f64_e32 v58, v[58:59]
	v_cvt_f32_f64_e32 v56, v[56:57]
	v_min3_f32 v125, v58, v56, v125
	v_add_f64 v[56:57], v[30:31], v[54:55]
	v_add_f64 v[58:59], v[28:29], v[52:53]
	v_cvt_f32_f64_e32 v58, v[58:59]
	v_cvt_f32_f64_e32 v56, v[56:57]
	v_min3_f32 v124, v58, v56, v124
	v_add_f64 v[56:57], v[26:27], v[54:55]
	v_add_f64 v[58:59], v[24:25], v[52:53]
	v_cvt_f32_f64_e32 v58, v[58:59]
	v_cvt_f32_f64_e32 v56, v[56:57]
	v_min3_f32 v123, v58, v56, v123
	v_add_f64 v[56:57], v[18:19], v[54:55]
	v_add_f64 v[58:59], v[16:17], v[52:53]
	v_cvt_f32_f64_e32 v58, v[58:59]
	v_cvt_f32_f64_e32 v56, v[56:57]
	v_min3_f32 v122, v58, v56, v122
	v_add_f64 v[56:57], v[14:15], v[54:55]
	v_add_f64 v[58:59], v[12:13], v[52:53]
	v_cvt_f32_f64_e32 v58, v[58:59]
	v_cvt_f32_f64_e32 v56, v[56:57]
	v_min3_f32 v121, v58, v56, v121
	v_add_f64 v[56:57], v[10:11], v[54:55]
	v_add_f64 v[58:59], v[8:9], v[52:53]
	v_cvt_f32_f64_e32 v58, v[58:59]
	v_cvt_f32_f64_e32 v56, v[56:57]
	v_min3_f32 v120, v58, v56, v120
	v_add_f64 v[56:57], v[6:7], v[54:55]
	v_add_f64 v[58:59], v[4:5], v[52:53]
	v_add_f64 v[54:55], v[2:3], v[54:55]
	v_add_f64 v[52:53], v[0:1], v[52:53]
	v_cvt_f32_f64_e32 v52, v[52:53]
	v_cvt_f32_f64_e32 v53, v[54:55]
	v_min3_f32 v118, v52, v53, v118
	s_waitcnt lgkmcnt(4)
	v_add_f64 v[52:53], v[34:35], v[50:51]
	v_add_f64 v[54:55], v[32:33], v[48:49]
	v_cvt_f32_f64_e32 v54, v[54:55]
	v_cvt_f32_f64_e32 v52, v[52:53]
	v_min3_f32 v117, v54, v52, v117
	v_add_f64 v[52:53], v[30:31], v[50:51]
	v_add_f64 v[54:55], v[28:29], v[48:49]
	v_cvt_f32_f64_e32 v54, v[54:55]
	v_cvt_f32_f64_e32 v52, v[52:53]
	v_min3_f32 v116, v54, v52, v116
	v_add_f64 v[52:53], v[26:27], v[50:51]
	v_add_f64 v[54:55], v[24:25], v[48:49]
	v_cvt_f32_f64_e32 v54, v[54:55]
	v_cvt_f32_f64_e32 v52, v[52:53]
	v_min3_f32 v115, v54, v52, v115
	v_add_f64 v[52:53], v[18:19], v[50:51]
	v_add_f64 v[54:55], v[16:17], v[48:49]
	v_cvt_f32_f64_e32 v54, v[54:55]
	v_cvt_f32_f64_e32 v52, v[52:53]
	v_min3_f32 v114, v54, v52, v114
	v_add_f64 v[52:53], v[14:15], v[50:51]
	v_add_f64 v[54:55], v[12:13], v[48:49]
	v_cvt_f32_f64_e32 v54, v[54:55]
	v_cvt_f32_f64_e32 v52, v[52:53]
	v_min3_f32 v113, v54, v52, v113
	v_add_f64 v[52:53], v[10:11], v[50:51]
	v_add_f64 v[54:55], v[8:9], v[48:49]
	v_cvt_f32_f64_e32 v54, v[54:55]
	v_cvt_f32_f64_e32 v52, v[52:53]
	v_min3_f32 v112, v54, v52, v112
	;; [unrolled: 38-line block ×5, first 2 shown]
	v_add_f64 v[40:41], v[6:7], v[38:39]
	v_add_f64 v[42:43], v[4:5], v[36:37]
	;; [unrolled: 1-line block ×4, first 2 shown]
	s_waitcnt lgkmcnt(0)
	v_add_f64 v[34:35], v[34:35], v[22:23]
	v_add_f64 v[32:33], v[32:33], v[20:21]
	;; [unrolled: 1-line block ×16, first 2 shown]
	v_min3_f32 v128, v66, v151, v128
	v_cvt_f32_f64_e32 v66, v[154:155]
	v_cvt_f32_f64_e32 v151, v[152:153]
	v_cvt_f32_f64_e32 v58, v[58:59]
	v_cvt_f32_f64_e32 v56, v[56:57]
	v_cvt_f32_f64_e32 v54, v[54:55]
	v_cvt_f32_f64_e32 v52, v[52:53]
	v_cvt_f32_f64_e32 v50, v[50:51]
	v_cvt_f32_f64_e32 v48, v[48:49]
	v_cvt_f32_f64_e32 v46, v[46:47]
	v_cvt_f32_f64_e32 v44, v[44:45]
	v_cvt_f32_f64_e32 v42, v[42:43]
	v_cvt_f32_f64_e32 v40, v[40:41]
	v_cvt_f32_f64_e32 v36, v[36:37]
	v_cvt_f32_f64_e32 v37, v[38:39]
	v_cvt_f32_f64_e32 v32, v[32:33]
	v_cvt_f32_f64_e32 v33, v[34:35]
	v_cvt_f32_f64_e32 v28, v[28:29]
	v_cvt_f32_f64_e32 v29, v[30:31]
	v_cvt_f32_f64_e32 v24, v[24:25]
	v_cvt_f32_f64_e32 v25, v[26:27]
	v_cvt_f32_f64_e32 v16, v[16:17]
	v_cvt_f32_f64_e32 v17, v[18:19]
	v_cvt_f32_f64_e32 v12, v[12:13]
	v_cvt_f32_f64_e32 v13, v[14:15]
	v_cvt_f32_f64_e32 v8, v[8:9]
	v_cvt_f32_f64_e32 v9, v[10:11]
	v_cvt_f32_f64_e32 v4, v[4:5]
	v_cvt_f32_f64_e32 v5, v[6:7]
	v_cvt_f32_f64_e32 v0, v[0:1]
	v_cvt_f32_f64_e32 v1, v[2:3]
	v_min3_f32 v127, v66, v151, v127
	v_min3_f32 v119, v58, v56, v119
	;; [unrolled: 1-line block ×15, first 2 shown]
	s_mov_b32 s21, 2
	s_mov_b64 s[2:3], 0
	s_cbranch_vccz .LBB105_42
; %bb.43:                               ;   in Loop: Header=BB105_25 Depth=1
	s_add_i32 s22, s22, 8
	s_add_i32 s20, s20, 8
	s_cmp_ge_i32 s20, s23
	ds_write2st64_b64 v149, v[68:69], v[70:71] offset1:4
	ds_write2st64_b64 v149, v[72:73], v[74:75] offset0:8 offset1:12
	ds_write_b64 v150, v[76:77]
	s_waitcnt lgkmcnt(0)
	s_barrier
	s_cbranch_scc0 .LBB105_25
.LBB105_44:
	s_mov_b32 s4, 0
	s_mov_b64 s[2:3], -1
.LBB105_45:                             ; =>This Inner Loop Header: Depth=1
	v_cndmask_b32_e64 v0, 0, 1, s[2:3]
	s_lshl_b32 s2, s4, 3
	v_cmp_ne_u32_e32 vcc, 1, v0
	v_lshl_add_u32 v0, v135, 5, s2
	v_lshl_add_u32 v20, v136, 5, s2
	ds_read_b128 v[32:35], v0 offset:8192
	ds_read_b128 v[28:31], v0 offset:9216
	;; [unrolled: 1-line block ×16, first 2 shown]
	s_waitcnt lgkmcnt(7)
	v_add_f64 v[64:65], v[34:35], v[62:63]
	v_add_f64 v[66:67], v[32:33], v[60:61]
	v_cvt_f32_f64_e32 v66, v[66:67]
	v_cvt_f32_f64_e32 v64, v[64:65]
	v_min3_f32 v143, v66, v64, v143
	v_add_f64 v[64:65], v[30:31], v[62:63]
	v_add_f64 v[66:67], v[28:29], v[60:61]
	v_cvt_f32_f64_e32 v66, v[66:67]
	v_cvt_f32_f64_e32 v64, v[64:65]
	v_min3_f32 v142, v66, v64, v142
	v_add_f64 v[64:65], v[26:27], v[62:63]
	v_add_f64 v[66:67], v[24:25], v[60:61]
	v_cvt_f32_f64_e32 v66, v[66:67]
	v_cvt_f32_f64_e32 v64, v[64:65]
	v_min3_f32 v141, v66, v64, v141
	v_add_f64 v[64:65], v[18:19], v[62:63]
	v_add_f64 v[66:67], v[16:17], v[60:61]
	v_cvt_f32_f64_e32 v66, v[66:67]
	v_cvt_f32_f64_e32 v64, v[64:65]
	v_min3_f32 v140, v66, v64, v140
	v_add_f64 v[64:65], v[14:15], v[62:63]
	v_add_f64 v[66:67], v[12:13], v[60:61]
	v_cvt_f32_f64_e32 v66, v[66:67]
	v_cvt_f32_f64_e32 v64, v[64:65]
	v_min3_f32 v139, v66, v64, v139
	v_add_f64 v[64:65], v[10:11], v[62:63]
	v_add_f64 v[66:67], v[8:9], v[60:61]
	v_cvt_f32_f64_e32 v66, v[66:67]
	v_cvt_f32_f64_e32 v64, v[64:65]
	v_min3_f32 v138, v66, v64, v138
	v_add_f64 v[64:65], v[6:7], v[62:63]
	v_add_f64 v[66:67], v[4:5], v[60:61]
	v_add_f64 v[62:63], v[2:3], v[62:63]
	v_add_f64 v[60:61], v[0:1], v[60:61]
	v_cvt_f32_f64_e32 v60, v[60:61]
	v_cvt_f32_f64_e32 v61, v[62:63]
	v_min3_f32 v134, v60, v61, v134
	s_waitcnt lgkmcnt(6)
	v_add_f64 v[60:61], v[34:35], v[58:59]
	v_add_f64 v[62:63], v[32:33], v[56:57]
	v_cvt_f32_f64_e32 v62, v[62:63]
	v_cvt_f32_f64_e32 v60, v[60:61]
	v_min3_f32 v133, v62, v60, v133
	v_add_f64 v[60:61], v[30:31], v[58:59]
	v_add_f64 v[62:63], v[28:29], v[56:57]
	v_cvt_f32_f64_e32 v62, v[62:63]
	v_cvt_f32_f64_e32 v60, v[60:61]
	v_min3_f32 v132, v62, v60, v132
	v_add_f64 v[60:61], v[26:27], v[58:59]
	v_add_f64 v[62:63], v[24:25], v[56:57]
	v_cvt_f32_f64_e32 v62, v[62:63]
	v_cvt_f32_f64_e32 v60, v[60:61]
	v_min3_f32 v131, v62, v60, v131
	v_add_f64 v[60:61], v[18:19], v[58:59]
	v_add_f64 v[62:63], v[16:17], v[56:57]
	v_cvt_f32_f64_e32 v62, v[62:63]
	v_cvt_f32_f64_e32 v60, v[60:61]
	v_min3_f32 v130, v62, v60, v130
	v_add_f64 v[60:61], v[14:15], v[58:59]
	v_add_f64 v[62:63], v[12:13], v[56:57]
	v_cvt_f32_f64_e32 v62, v[62:63]
	v_cvt_f32_f64_e32 v60, v[60:61]
	v_min3_f32 v129, v62, v60, v129
	v_add_f64 v[60:61], v[10:11], v[58:59]
	v_add_f64 v[62:63], v[8:9], v[56:57]
	v_cvt_f32_f64_e32 v62, v[62:63]
	v_cvt_f32_f64_e32 v60, v[60:61]
	v_min3_f32 v128, v62, v60, v128
	v_add_f64 v[60:61], v[6:7], v[58:59]
	v_add_f64 v[62:63], v[4:5], v[56:57]
	v_add_f64 v[58:59], v[2:3], v[58:59]
	v_add_f64 v[56:57], v[0:1], v[56:57]
	v_cvt_f32_f64_e32 v56, v[56:57]
	v_cvt_f32_f64_e32 v57, v[58:59]
	v_min3_f32 v126, v56, v57, v126
	;; [unrolled: 38-line block ×6, first 2 shown]
	s_waitcnt lgkmcnt(1)
	v_add_f64 v[40:41], v[34:35], v[38:39]
	v_add_f64 v[42:43], v[32:33], v[36:37]
	v_cvt_f32_f64_e32 v42, v[42:43]
	v_cvt_f32_f64_e32 v40, v[40:41]
	v_min3_f32 v93, v42, v40, v93
	v_add_f64 v[40:41], v[30:31], v[38:39]
	v_add_f64 v[42:43], v[28:29], v[36:37]
	v_cvt_f32_f64_e32 v42, v[42:43]
	v_cvt_f32_f64_e32 v40, v[40:41]
	v_min3_f32 v92, v42, v40, v92
	v_add_f64 v[40:41], v[26:27], v[38:39]
	v_add_f64 v[42:43], v[24:25], v[36:37]
	v_cvt_f32_f64_e32 v42, v[42:43]
	v_cvt_f32_f64_e32 v40, v[40:41]
	v_min3_f32 v91, v42, v40, v91
	v_add_f64 v[40:41], v[18:19], v[38:39]
	v_add_f64 v[42:43], v[16:17], v[36:37]
	v_cvt_f32_f64_e32 v42, v[42:43]
	v_cvt_f32_f64_e32 v40, v[40:41]
	v_min3_f32 v90, v42, v40, v90
	v_add_f64 v[40:41], v[14:15], v[38:39]
	v_add_f64 v[42:43], v[12:13], v[36:37]
	v_cvt_f32_f64_e32 v42, v[42:43]
	v_cvt_f32_f64_e32 v40, v[40:41]
	v_min3_f32 v89, v42, v40, v89
	v_add_f64 v[40:41], v[10:11], v[38:39]
	v_add_f64 v[42:43], v[8:9], v[36:37]
	v_cvt_f32_f64_e32 v42, v[42:43]
	v_cvt_f32_f64_e32 v40, v[40:41]
	v_min3_f32 v88, v42, v40, v88
	v_add_f64 v[40:41], v[6:7], v[38:39]
	v_add_f64 v[42:43], v[4:5], v[36:37]
	;; [unrolled: 1-line block ×4, first 2 shown]
	s_waitcnt lgkmcnt(0)
	v_add_f64 v[34:35], v[34:35], v[22:23]
	v_add_f64 v[32:33], v[32:33], v[20:21]
	;; [unrolled: 1-line block ×16, first 2 shown]
	v_cvt_f32_f64_e32 v66, v[66:67]
	v_cvt_f32_f64_e32 v64, v[64:65]
	;; [unrolled: 1-line block ×32, first 2 shown]
	v_min3_f32 v137, v66, v64, v137
	v_min3_f32 v127, v62, v60, v127
	;; [unrolled: 1-line block ×16, first 2 shown]
	s_mov_b32 s4, 2
	s_mov_b64 s[2:3], 0
	s_cbranch_vccz .LBB105_45
; %bb.46:
	s_load_dwordx2 s[2:3], s[0:1], 0x78
	s_load_dword s16, s[0:1], 0x58
	s_load_dword s17, s[0:1], 0x70
	v_add_u32_e32 v8, s10, v135
	v_add_u32_e32 v30, s11, v136
	s_waitcnt lgkmcnt(0)
	s_lshl_b64 s[0:1], s[2:3], 3
	s_add_u32 s0, s8, s0
	s_addc_u32 s1, s9, s1
	v_add_u32_e32 v0, 32, v8
	v_mad_i64_i32 v[2:3], s[2:3], v30, s17, 0
	v_ashrrev_i32_e32 v9, 31, v8
	v_ashrrev_i32_e32 v1, 31, v0
	v_lshl_add_u64 v[24:25], v[2:3], 3, s[0:1]
	v_mad_i64_i32 v[2:3], s[2:3], v30, s16, 0
	v_max_f32_e32 v4, v143, v143
	s_mov_b64 vcc, s[6:7]
	s_cbranch_vccz .LBB105_49
; %bb.47:
	v_min_f32_e32 v5, 0, v4
	v_cvt_f64_f32_e32 v[6:7], v5
	v_lshl_add_u64 v[10:11], v[8:9], 3, v[24:25]
	global_store_dwordx2 v[10:11], v[6:7], off
	s_mov_b64 s[2:3], 0
	v_lshl_add_u64 v[26:27], v[2:3], 3, s[14:15]
	v_lshlrev_b64 v[12:13], 3, v[8:9]
	s_cbranch_execz .LBB105_50
; %bb.48:
	v_mov_b64_e32 v[4:5], s[2:3]
	s_branch .LBB105_51
.LBB105_49:
                                        ; implicit-def: $sgpr2_sgpr3
	v_lshl_add_u64 v[26:27], v[2:3], 3, s[14:15]
	v_lshlrev_b64 v[12:13], 3, v[8:9]
.LBB105_50:
	v_lshl_add_u64 v[2:3], v[26:27], 0, v[12:13]
	flat_load_dwordx2 v[2:3], v[2:3]
	v_lshl_add_u64 v[6:7], v[24:25], 0, v[12:13]
	s_waitcnt vmcnt(0) lgkmcnt(0)
	v_mul_f64 v[2:3], s[12:13], v[2:3]
	v_cvt_f32_f64_e32 v2, v[2:3]
	v_min_f32_e32 v2, v2, v4
	v_cvt_f64_f32_e32 v[2:3], v2
	global_store_dwordx2 v[6:7], v[2:3], off
	v_lshl_add_u64 v[2:3], v[0:1], 3, v[26:27]
	flat_load_dwordx2 v[2:3], v[2:3]
	s_waitcnt vmcnt(0) lgkmcnt(0)
	v_mul_f64 v[4:5], s[12:13], v[2:3]
.LBB105_51:
	v_cvt_f32_f64_e32 v4, v[4:5]
	v_max_f32_e32 v5, v142, v142
	v_min_f32_e32 v4, v4, v5
	v_add_u32_e32 v10, 64, v8
	v_add_u32_e32 v2, 0x60, v8
	v_cvt_f64_f32_e32 v[4:5], v4
	v_lshl_add_u64 v[6:7], v[0:1], 3, v[24:25]
	v_ashrrev_i32_e32 v11, 31, v10
	v_ashrrev_i32_e32 v3, 31, v2
	global_store_dwordx2 v[6:7], v[4:5], off
	v_max_f32_e32 v4, v141, v141
	s_mov_b64 vcc, s[6:7]
	s_cbranch_vccz .LBB105_54
; %bb.52:
	v_min_f32_e32 v5, 0, v4
	v_cvt_f64_f32_e32 v[6:7], v5
	v_lshl_add_u64 v[14:15], v[10:11], 3, v[24:25]
	global_store_dwordx2 v[14:15], v[6:7], off
	s_mov_b64 s[2:3], 0
	v_lshlrev_b64 v[16:17], 3, v[10:11]
	s_cbranch_execz .LBB105_55
; %bb.53:
	v_mov_b64_e32 v[6:7], s[2:3]
	s_branch .LBB105_56
.LBB105_54:
                                        ; implicit-def: $sgpr2_sgpr3
	v_lshlrev_b64 v[16:17], 3, v[10:11]
.LBB105_55:
	v_lshl_add_u64 v[6:7], v[26:27], 0, v[16:17]
	flat_load_dwordx2 v[6:7], v[6:7]
	v_lshl_add_u64 v[14:15], v[24:25], 0, v[16:17]
	s_waitcnt vmcnt(0) lgkmcnt(0)
	v_mul_f64 v[6:7], s[12:13], v[6:7]
	v_cvt_f32_f64_e32 v5, v[6:7]
	v_min_f32_e32 v4, v5, v4
	v_cvt_f64_f32_e32 v[4:5], v4
	global_store_dwordx2 v[14:15], v[4:5], off
	v_lshl_add_u64 v[4:5], v[2:3], 3, v[26:27]
	flat_load_dwordx2 v[4:5], v[4:5]
	s_waitcnt vmcnt(0) lgkmcnt(0)
	v_mul_f64 v[6:7], s[12:13], v[4:5]
.LBB105_56:
	v_cvt_f32_f64_e32 v6, v[6:7]
	v_max_f32_e32 v7, v140, v140
	v_min_f32_e32 v6, v6, v7
	v_add_u32_e32 v14, 0x80, v8
	v_add_u32_e32 v4, 0xa0, v8
	v_cvt_f64_f32_e32 v[6:7], v6
	v_lshl_add_u64 v[18:19], v[2:3], 3, v[24:25]
	v_ashrrev_i32_e32 v15, 31, v14
	v_ashrrev_i32_e32 v5, 31, v4
	global_store_dwordx2 v[18:19], v[6:7], off
	v_max_f32_e32 v6, v139, v139
	s_mov_b64 vcc, s[6:7]
	s_cbranch_vccz .LBB105_59
; %bb.57:
	v_min_f32_e32 v7, 0, v6
	v_cvt_f64_f32_e32 v[18:19], v7
	v_lshl_add_u64 v[20:21], v[14:15], 3, v[24:25]
	global_store_dwordx2 v[20:21], v[18:19], off
	s_mov_b64 s[2:3], 0
	v_lshlrev_b64 v[20:21], 3, v[14:15]
	s_cbranch_execz .LBB105_60
; %bb.58:
	v_mov_b64_e32 v[22:23], s[2:3]
	s_branch .LBB105_61
.LBB105_59:
                                        ; implicit-def: $sgpr2_sgpr3
	v_lshlrev_b64 v[20:21], 3, v[14:15]
.LBB105_60:
	v_lshl_add_u64 v[18:19], v[26:27], 0, v[20:21]
	flat_load_dwordx2 v[18:19], v[18:19]
	v_lshl_add_u64 v[22:23], v[24:25], 0, v[20:21]
	s_waitcnt vmcnt(0) lgkmcnt(0)
	v_mul_f64 v[18:19], s[12:13], v[18:19]
	v_cvt_f32_f64_e32 v7, v[18:19]
	v_min_f32_e32 v6, v7, v6
	v_cvt_f64_f32_e32 v[6:7], v6
	global_store_dwordx2 v[22:23], v[6:7], off
	v_lshl_add_u64 v[6:7], v[4:5], 3, v[26:27]
	flat_load_dwordx2 v[6:7], v[6:7]
	s_waitcnt vmcnt(0) lgkmcnt(0)
	v_mul_f64 v[22:23], s[12:13], v[6:7]
.LBB105_61:
	v_cvt_f32_f64_e32 v22, v[22:23]
	v_max_f32_e32 v23, v138, v138
	v_min_f32_e32 v22, v22, v23
	v_add_u32_e32 v18, 0xc0, v8
	v_add_u32_e32 v6, 0xe0, v8
	v_cvt_f64_f32_e32 v[22:23], v22
	v_lshl_add_u64 v[28:29], v[4:5], 3, v[24:25]
	v_ashrrev_i32_e32 v19, 31, v18
	v_ashrrev_i32_e32 v7, 31, v6
	global_store_dwordx2 v[28:29], v[22:23], off
	v_max_f32_e32 v28, v137, v137
	s_mov_b64 vcc, s[6:7]
	s_cbranch_vccz .LBB105_64
; %bb.62:
	v_min_f32_e32 v22, 0, v28
	v_cvt_f64_f32_e32 v[22:23], v22
	v_lshl_add_u64 v[32:33], v[18:19], 3, v[24:25]
	global_store_dwordx2 v[32:33], v[22:23], off
	s_mov_b64 s[2:3], 0
	v_lshlrev_b64 v[22:23], 3, v[18:19]
	s_cbranch_execz .LBB105_65
; %bb.63:
	v_mov_b64_e32 v[26:27], s[2:3]
	s_branch .LBB105_66
.LBB105_64:
                                        ; implicit-def: $sgpr2_sgpr3
	v_lshlrev_b64 v[22:23], 3, v[18:19]
.LBB105_65:
	v_lshl_add_u64 v[32:33], v[26:27], 0, v[22:23]
	flat_load_dwordx2 v[32:33], v[32:33]
	v_lshl_add_u64 v[34:35], v[24:25], 0, v[22:23]
	v_lshl_add_u64 v[26:27], v[6:7], 3, v[26:27]
	s_waitcnt vmcnt(0) lgkmcnt(0)
	v_mul_f64 v[32:33], s[12:13], v[32:33]
	v_cvt_f32_f64_e32 v29, v[32:33]
	v_min_f32_e32 v28, v29, v28
	v_cvt_f64_f32_e32 v[28:29], v28
	global_store_dwordx2 v[34:35], v[28:29], off
	flat_load_dwordx2 v[26:27], v[26:27]
	s_waitcnt vmcnt(0) lgkmcnt(0)
	v_mul_f64 v[26:27], s[12:13], v[26:27]
.LBB105_66:
	v_cvt_f32_f64_e32 v26, v[26:27]
	v_max_f32_e32 v27, v134, v134
	v_min_f32_e32 v26, v26, v27
	v_cvt_f64_f32_e32 v[26:27], v26
	v_lshl_add_u64 v[24:25], v[6:7], 3, v[24:25]
	global_store_dwordx2 v[24:25], v[26:27], off
	v_add_u32_e32 v26, 8, v30
	v_mad_i64_i32 v[24:25], s[2:3], v26, s17, 0
	v_lshl_add_u64 v[24:25], v[24:25], 3, s[0:1]
	v_mad_i64_i32 v[26:27], s[2:3], v26, s16, 0
	v_max_f32_e32 v28, v133, v133
	s_mov_b64 vcc, s[6:7]
	s_cbranch_vccz .LBB105_69
; %bb.67:
	v_min_f32_e32 v29, 0, v28
	v_cvt_f64_f32_e32 v[32:33], v29
	v_lshl_add_u64 v[34:35], v[8:9], 3, v[24:25]
	global_store_dwordx2 v[34:35], v[32:33], off
	s_mov_b64 s[2:3], 0
	v_lshl_add_u64 v[26:27], v[26:27], 3, s[14:15]
	s_cbranch_execz .LBB105_70
; %bb.68:
	v_mov_b64_e32 v[28:29], s[2:3]
	s_branch .LBB105_71
.LBB105_69:
                                        ; implicit-def: $sgpr2_sgpr3
	v_lshl_add_u64 v[26:27], v[26:27], 3, s[14:15]
.LBB105_70:
	v_lshl_add_u64 v[32:33], v[26:27], 0, v[12:13]
	flat_load_dwordx2 v[32:33], v[32:33]
	v_lshl_add_u64 v[34:35], v[24:25], 0, v[12:13]
	s_waitcnt vmcnt(0) lgkmcnt(0)
	v_mul_f64 v[32:33], s[12:13], v[32:33]
	v_cvt_f32_f64_e32 v29, v[32:33]
	v_min_f32_e32 v28, v29, v28
	v_cvt_f64_f32_e32 v[28:29], v28
	global_store_dwordx2 v[34:35], v[28:29], off
	v_lshl_add_u64 v[28:29], v[0:1], 3, v[26:27]
	flat_load_dwordx2 v[28:29], v[28:29]
	s_waitcnt vmcnt(0) lgkmcnt(0)
	v_mul_f64 v[28:29], s[12:13], v[28:29]
.LBB105_71:
	v_cvt_f32_f64_e32 v28, v[28:29]
	v_max_f32_e32 v29, v132, v132
	v_min_f32_e32 v28, v28, v29
	v_cvt_f64_f32_e32 v[28:29], v28
	v_lshl_add_u64 v[32:33], v[0:1], 3, v[24:25]
	global_store_dwordx2 v[32:33], v[28:29], off
	v_max_f32_e32 v28, v131, v131
	s_mov_b64 vcc, s[6:7]
	s_cbranch_vccz .LBB105_74
; %bb.72:
	v_min_f32_e32 v29, 0, v28
	v_cvt_f64_f32_e32 v[32:33], v29
	v_lshl_add_u64 v[34:35], v[10:11], 3, v[24:25]
	global_store_dwordx2 v[34:35], v[32:33], off
	s_mov_b64 s[2:3], 0
	s_cbranch_execz .LBB105_75
; %bb.73:
	v_mov_b64_e32 v[28:29], s[2:3]
	s_branch .LBB105_76
.LBB105_74:
                                        ; implicit-def: $sgpr2_sgpr3
.LBB105_75:
	v_lshl_add_u64 v[32:33], v[26:27], 0, v[16:17]
	flat_load_dwordx2 v[32:33], v[32:33]
	v_lshl_add_u64 v[34:35], v[24:25], 0, v[16:17]
	s_waitcnt vmcnt(0) lgkmcnt(0)
	v_mul_f64 v[32:33], s[12:13], v[32:33]
	v_cvt_f32_f64_e32 v29, v[32:33]
	v_min_f32_e32 v28, v29, v28
	v_cvt_f64_f32_e32 v[28:29], v28
	global_store_dwordx2 v[34:35], v[28:29], off
	v_lshl_add_u64 v[28:29], v[2:3], 3, v[26:27]
	flat_load_dwordx2 v[28:29], v[28:29]
	s_waitcnt vmcnt(0) lgkmcnt(0)
	v_mul_f64 v[28:29], s[12:13], v[28:29]
.LBB105_76:
	v_cvt_f32_f64_e32 v28, v[28:29]
	v_max_f32_e32 v29, v130, v130
	v_min_f32_e32 v28, v28, v29
	v_cvt_f64_f32_e32 v[28:29], v28
	v_lshl_add_u64 v[32:33], v[2:3], 3, v[24:25]
	global_store_dwordx2 v[32:33], v[28:29], off
	v_max_f32_e32 v28, v129, v129
	s_mov_b64 vcc, s[6:7]
	s_cbranch_vccz .LBB105_79
; %bb.77:
	v_min_f32_e32 v29, 0, v28
	v_cvt_f64_f32_e32 v[32:33], v29
	v_lshl_add_u64 v[34:35], v[14:15], 3, v[24:25]
	global_store_dwordx2 v[34:35], v[32:33], off
	s_mov_b64 s[2:3], 0
	s_cbranch_execz .LBB105_80
; %bb.78:
	v_mov_b64_e32 v[28:29], s[2:3]
	s_branch .LBB105_81
.LBB105_79:
                                        ; implicit-def: $sgpr2_sgpr3
.LBB105_80:
	v_lshl_add_u64 v[32:33], v[26:27], 0, v[20:21]
	flat_load_dwordx2 v[32:33], v[32:33]
	v_lshl_add_u64 v[34:35], v[24:25], 0, v[20:21]
	s_waitcnt vmcnt(0) lgkmcnt(0)
	v_mul_f64 v[32:33], s[12:13], v[32:33]
	v_cvt_f32_f64_e32 v29, v[32:33]
	v_min_f32_e32 v28, v29, v28
	v_cvt_f64_f32_e32 v[28:29], v28
	global_store_dwordx2 v[34:35], v[28:29], off
	v_lshl_add_u64 v[28:29], v[4:5], 3, v[26:27]
	flat_load_dwordx2 v[28:29], v[28:29]
	s_waitcnt vmcnt(0) lgkmcnt(0)
	v_mul_f64 v[28:29], s[12:13], v[28:29]
.LBB105_81:
	v_cvt_f32_f64_e32 v28, v[28:29]
	v_max_f32_e32 v29, v128, v128
	v_min_f32_e32 v28, v28, v29
	v_cvt_f64_f32_e32 v[28:29], v28
	v_lshl_add_u64 v[32:33], v[4:5], 3, v[24:25]
	global_store_dwordx2 v[32:33], v[28:29], off
	v_max_f32_e32 v28, v127, v127
	s_mov_b64 vcc, s[6:7]
	s_cbranch_vccz .LBB105_84
; %bb.82:
	v_min_f32_e32 v29, 0, v28
	v_cvt_f64_f32_e32 v[32:33], v29
	v_lshl_add_u64 v[34:35], v[18:19], 3, v[24:25]
	global_store_dwordx2 v[34:35], v[32:33], off
	s_mov_b64 s[2:3], 0
	s_cbranch_execz .LBB105_85
; %bb.83:
	v_mov_b64_e32 v[26:27], s[2:3]
	s_branch .LBB105_86
.LBB105_84:
                                        ; implicit-def: $sgpr2_sgpr3
.LBB105_85:
	v_lshl_add_u64 v[32:33], v[26:27], 0, v[22:23]
	flat_load_dwordx2 v[32:33], v[32:33]
	v_lshl_add_u64 v[34:35], v[24:25], 0, v[22:23]
	v_lshl_add_u64 v[26:27], v[6:7], 3, v[26:27]
	s_waitcnt vmcnt(0) lgkmcnt(0)
	v_mul_f64 v[32:33], s[12:13], v[32:33]
	v_cvt_f32_f64_e32 v29, v[32:33]
	v_min_f32_e32 v28, v29, v28
	v_cvt_f64_f32_e32 v[28:29], v28
	global_store_dwordx2 v[34:35], v[28:29], off
	flat_load_dwordx2 v[26:27], v[26:27]
	s_waitcnt vmcnt(0) lgkmcnt(0)
	v_mul_f64 v[26:27], s[12:13], v[26:27]
.LBB105_86:
	v_cvt_f32_f64_e32 v26, v[26:27]
	v_max_f32_e32 v27, v126, v126
	v_min_f32_e32 v26, v26, v27
	v_cvt_f64_f32_e32 v[26:27], v26
	v_lshl_add_u64 v[24:25], v[6:7], 3, v[24:25]
	global_store_dwordx2 v[24:25], v[26:27], off
	v_add_u32_e32 v26, 16, v30
	v_mad_i64_i32 v[24:25], s[2:3], v26, s17, 0
	v_lshl_add_u64 v[24:25], v[24:25], 3, s[0:1]
	v_mad_i64_i32 v[26:27], s[2:3], v26, s16, 0
	v_max_f32_e32 v28, v125, v125
	s_mov_b64 vcc, s[6:7]
	s_cbranch_vccz .LBB105_89
; %bb.87:
	v_min_f32_e32 v29, 0, v28
	v_cvt_f64_f32_e32 v[32:33], v29
	v_lshl_add_u64 v[34:35], v[8:9], 3, v[24:25]
	global_store_dwordx2 v[34:35], v[32:33], off
	s_mov_b64 s[2:3], 0
	v_lshl_add_u64 v[26:27], v[26:27], 3, s[14:15]
	s_cbranch_execz .LBB105_90
; %bb.88:
	v_mov_b64_e32 v[28:29], s[2:3]
	s_branch .LBB105_91
.LBB105_89:
                                        ; implicit-def: $sgpr2_sgpr3
	v_lshl_add_u64 v[26:27], v[26:27], 3, s[14:15]
.LBB105_90:
	v_lshl_add_u64 v[32:33], v[26:27], 0, v[12:13]
	flat_load_dwordx2 v[32:33], v[32:33]
	v_lshl_add_u64 v[34:35], v[24:25], 0, v[12:13]
	s_waitcnt vmcnt(0) lgkmcnt(0)
	v_mul_f64 v[32:33], s[12:13], v[32:33]
	v_cvt_f32_f64_e32 v29, v[32:33]
	v_min_f32_e32 v28, v29, v28
	v_cvt_f64_f32_e32 v[28:29], v28
	global_store_dwordx2 v[34:35], v[28:29], off
	v_lshl_add_u64 v[28:29], v[0:1], 3, v[26:27]
	flat_load_dwordx2 v[28:29], v[28:29]
	s_waitcnt vmcnt(0) lgkmcnt(0)
	v_mul_f64 v[28:29], s[12:13], v[28:29]
.LBB105_91:
	v_cvt_f32_f64_e32 v28, v[28:29]
	v_max_f32_e32 v29, v124, v124
	v_min_f32_e32 v28, v28, v29
	v_cvt_f64_f32_e32 v[28:29], v28
	v_lshl_add_u64 v[32:33], v[0:1], 3, v[24:25]
	global_store_dwordx2 v[32:33], v[28:29], off
	v_max_f32_e32 v28, v123, v123
	s_mov_b64 vcc, s[6:7]
	s_cbranch_vccz .LBB105_94
; %bb.92:
	v_min_f32_e32 v29, 0, v28
	v_cvt_f64_f32_e32 v[32:33], v29
	v_lshl_add_u64 v[34:35], v[10:11], 3, v[24:25]
	global_store_dwordx2 v[34:35], v[32:33], off
	s_mov_b64 s[2:3], 0
	s_cbranch_execz .LBB105_95
; %bb.93:
	v_mov_b64_e32 v[28:29], s[2:3]
	s_branch .LBB105_96
.LBB105_94:
                                        ; implicit-def: $sgpr2_sgpr3
.LBB105_95:
	v_lshl_add_u64 v[32:33], v[26:27], 0, v[16:17]
	flat_load_dwordx2 v[32:33], v[32:33]
	v_lshl_add_u64 v[34:35], v[24:25], 0, v[16:17]
	s_waitcnt vmcnt(0) lgkmcnt(0)
	v_mul_f64 v[32:33], s[12:13], v[32:33]
	v_cvt_f32_f64_e32 v29, v[32:33]
	v_min_f32_e32 v28, v29, v28
	v_cvt_f64_f32_e32 v[28:29], v28
	global_store_dwordx2 v[34:35], v[28:29], off
	v_lshl_add_u64 v[28:29], v[2:3], 3, v[26:27]
	flat_load_dwordx2 v[28:29], v[28:29]
	s_waitcnt vmcnt(0) lgkmcnt(0)
	v_mul_f64 v[28:29], s[12:13], v[28:29]
.LBB105_96:
	v_cvt_f32_f64_e32 v28, v[28:29]
	v_max_f32_e32 v29, v122, v122
	v_min_f32_e32 v28, v28, v29
	v_cvt_f64_f32_e32 v[28:29], v28
	v_lshl_add_u64 v[32:33], v[2:3], 3, v[24:25]
	global_store_dwordx2 v[32:33], v[28:29], off
	v_max_f32_e32 v28, v121, v121
	s_mov_b64 vcc, s[6:7]
	s_cbranch_vccz .LBB105_99
; %bb.97:
	v_min_f32_e32 v29, 0, v28
	v_cvt_f64_f32_e32 v[32:33], v29
	v_lshl_add_u64 v[34:35], v[14:15], 3, v[24:25]
	global_store_dwordx2 v[34:35], v[32:33], off
	s_mov_b64 s[2:3], 0
	s_cbranch_execz .LBB105_100
; %bb.98:
	v_mov_b64_e32 v[28:29], s[2:3]
	s_branch .LBB105_101
.LBB105_99:
                                        ; implicit-def: $sgpr2_sgpr3
.LBB105_100:
	v_lshl_add_u64 v[32:33], v[26:27], 0, v[20:21]
	flat_load_dwordx2 v[32:33], v[32:33]
	v_lshl_add_u64 v[34:35], v[24:25], 0, v[20:21]
	s_waitcnt vmcnt(0) lgkmcnt(0)
	v_mul_f64 v[32:33], s[12:13], v[32:33]
	v_cvt_f32_f64_e32 v29, v[32:33]
	v_min_f32_e32 v28, v29, v28
	v_cvt_f64_f32_e32 v[28:29], v28
	global_store_dwordx2 v[34:35], v[28:29], off
	v_lshl_add_u64 v[28:29], v[4:5], 3, v[26:27]
	flat_load_dwordx2 v[28:29], v[28:29]
	s_waitcnt vmcnt(0) lgkmcnt(0)
	v_mul_f64 v[28:29], s[12:13], v[28:29]
.LBB105_101:
	v_cvt_f32_f64_e32 v28, v[28:29]
	v_max_f32_e32 v29, v120, v120
	v_min_f32_e32 v28, v28, v29
	v_cvt_f64_f32_e32 v[28:29], v28
	v_lshl_add_u64 v[32:33], v[4:5], 3, v[24:25]
	global_store_dwordx2 v[32:33], v[28:29], off
	v_max_f32_e32 v28, v119, v119
	s_mov_b64 vcc, s[6:7]
	s_cbranch_vccz .LBB105_104
; %bb.102:
	v_min_f32_e32 v29, 0, v28
	v_cvt_f64_f32_e32 v[32:33], v29
	v_lshl_add_u64 v[34:35], v[18:19], 3, v[24:25]
	global_store_dwordx2 v[34:35], v[32:33], off
	s_mov_b64 s[2:3], 0
	s_cbranch_execz .LBB105_105
; %bb.103:
	v_mov_b64_e32 v[26:27], s[2:3]
	s_branch .LBB105_106
.LBB105_104:
                                        ; implicit-def: $sgpr2_sgpr3
.LBB105_105:
	v_lshl_add_u64 v[32:33], v[26:27], 0, v[22:23]
	flat_load_dwordx2 v[32:33], v[32:33]
	v_lshl_add_u64 v[34:35], v[24:25], 0, v[22:23]
	v_lshl_add_u64 v[26:27], v[6:7], 3, v[26:27]
	s_waitcnt vmcnt(0) lgkmcnt(0)
	v_mul_f64 v[32:33], s[12:13], v[32:33]
	v_cvt_f32_f64_e32 v29, v[32:33]
	v_min_f32_e32 v28, v29, v28
	v_cvt_f64_f32_e32 v[28:29], v28
	global_store_dwordx2 v[34:35], v[28:29], off
	flat_load_dwordx2 v[26:27], v[26:27]
	s_waitcnt vmcnt(0) lgkmcnt(0)
	v_mul_f64 v[26:27], s[12:13], v[26:27]
.LBB105_106:
	v_cvt_f32_f64_e32 v26, v[26:27]
	v_max_f32_e32 v27, v118, v118
	v_min_f32_e32 v26, v26, v27
	v_cvt_f64_f32_e32 v[26:27], v26
	v_lshl_add_u64 v[24:25], v[6:7], 3, v[24:25]
	global_store_dwordx2 v[24:25], v[26:27], off
	v_add_u32_e32 v26, 24, v30
	v_mad_i64_i32 v[24:25], s[2:3], v26, s17, 0
	v_lshl_add_u64 v[24:25], v[24:25], 3, s[0:1]
	v_mad_i64_i32 v[26:27], s[2:3], v26, s16, 0
	v_max_f32_e32 v28, v117, v117
	s_mov_b64 vcc, s[6:7]
	s_cbranch_vccz .LBB105_109
; %bb.107:
	v_min_f32_e32 v29, 0, v28
	v_cvt_f64_f32_e32 v[32:33], v29
	v_lshl_add_u64 v[34:35], v[8:9], 3, v[24:25]
	global_store_dwordx2 v[34:35], v[32:33], off
	s_mov_b64 s[2:3], 0
	v_lshl_add_u64 v[26:27], v[26:27], 3, s[14:15]
	s_cbranch_execz .LBB105_110
; %bb.108:
	v_mov_b64_e32 v[28:29], s[2:3]
	s_branch .LBB105_111
.LBB105_109:
                                        ; implicit-def: $sgpr2_sgpr3
	v_lshl_add_u64 v[26:27], v[26:27], 3, s[14:15]
.LBB105_110:
	v_lshl_add_u64 v[32:33], v[26:27], 0, v[12:13]
	flat_load_dwordx2 v[32:33], v[32:33]
	v_lshl_add_u64 v[34:35], v[24:25], 0, v[12:13]
	s_waitcnt vmcnt(0) lgkmcnt(0)
	v_mul_f64 v[32:33], s[12:13], v[32:33]
	v_cvt_f32_f64_e32 v29, v[32:33]
	v_min_f32_e32 v28, v29, v28
	v_cvt_f64_f32_e32 v[28:29], v28
	global_store_dwordx2 v[34:35], v[28:29], off
	v_lshl_add_u64 v[28:29], v[0:1], 3, v[26:27]
	flat_load_dwordx2 v[28:29], v[28:29]
	s_waitcnt vmcnt(0) lgkmcnt(0)
	v_mul_f64 v[28:29], s[12:13], v[28:29]
.LBB105_111:
	v_cvt_f32_f64_e32 v28, v[28:29]
	v_max_f32_e32 v29, v116, v116
	v_min_f32_e32 v28, v28, v29
	v_cvt_f64_f32_e32 v[28:29], v28
	v_lshl_add_u64 v[32:33], v[0:1], 3, v[24:25]
	global_store_dwordx2 v[32:33], v[28:29], off
	v_max_f32_e32 v28, v115, v115
	s_mov_b64 vcc, s[6:7]
	s_cbranch_vccz .LBB105_114
; %bb.112:
	v_min_f32_e32 v29, 0, v28
	v_cvt_f64_f32_e32 v[32:33], v29
	v_lshl_add_u64 v[34:35], v[10:11], 3, v[24:25]
	global_store_dwordx2 v[34:35], v[32:33], off
	s_mov_b64 s[2:3], 0
	s_cbranch_execz .LBB105_115
; %bb.113:
	v_mov_b64_e32 v[28:29], s[2:3]
	s_branch .LBB105_116
.LBB105_114:
                                        ; implicit-def: $sgpr2_sgpr3
.LBB105_115:
	v_lshl_add_u64 v[32:33], v[26:27], 0, v[16:17]
	flat_load_dwordx2 v[32:33], v[32:33]
	v_lshl_add_u64 v[34:35], v[24:25], 0, v[16:17]
	s_waitcnt vmcnt(0) lgkmcnt(0)
	v_mul_f64 v[32:33], s[12:13], v[32:33]
	v_cvt_f32_f64_e32 v29, v[32:33]
	v_min_f32_e32 v28, v29, v28
	v_cvt_f64_f32_e32 v[28:29], v28
	global_store_dwordx2 v[34:35], v[28:29], off
	v_lshl_add_u64 v[28:29], v[2:3], 3, v[26:27]
	flat_load_dwordx2 v[28:29], v[28:29]
	s_waitcnt vmcnt(0) lgkmcnt(0)
	v_mul_f64 v[28:29], s[12:13], v[28:29]
.LBB105_116:
	v_cvt_f32_f64_e32 v28, v[28:29]
	v_max_f32_e32 v29, v114, v114
	v_min_f32_e32 v28, v28, v29
	v_cvt_f64_f32_e32 v[28:29], v28
	v_lshl_add_u64 v[32:33], v[2:3], 3, v[24:25]
	global_store_dwordx2 v[32:33], v[28:29], off
	v_max_f32_e32 v28, v113, v113
	s_mov_b64 vcc, s[6:7]
	s_cbranch_vccz .LBB105_119
; %bb.117:
	v_min_f32_e32 v29, 0, v28
	v_cvt_f64_f32_e32 v[32:33], v29
	v_lshl_add_u64 v[34:35], v[14:15], 3, v[24:25]
	global_store_dwordx2 v[34:35], v[32:33], off
	s_mov_b64 s[2:3], 0
	s_cbranch_execz .LBB105_120
; %bb.118:
	v_mov_b64_e32 v[28:29], s[2:3]
	s_branch .LBB105_121
.LBB105_119:
                                        ; implicit-def: $sgpr2_sgpr3
.LBB105_120:
	v_lshl_add_u64 v[32:33], v[26:27], 0, v[20:21]
	flat_load_dwordx2 v[32:33], v[32:33]
	v_lshl_add_u64 v[34:35], v[24:25], 0, v[20:21]
	s_waitcnt vmcnt(0) lgkmcnt(0)
	v_mul_f64 v[32:33], s[12:13], v[32:33]
	v_cvt_f32_f64_e32 v29, v[32:33]
	v_min_f32_e32 v28, v29, v28
	v_cvt_f64_f32_e32 v[28:29], v28
	global_store_dwordx2 v[34:35], v[28:29], off
	v_lshl_add_u64 v[28:29], v[4:5], 3, v[26:27]
	flat_load_dwordx2 v[28:29], v[28:29]
	s_waitcnt vmcnt(0) lgkmcnt(0)
	v_mul_f64 v[28:29], s[12:13], v[28:29]
.LBB105_121:
	v_cvt_f32_f64_e32 v28, v[28:29]
	v_max_f32_e32 v29, v112, v112
	v_min_f32_e32 v28, v28, v29
	v_cvt_f64_f32_e32 v[28:29], v28
	v_lshl_add_u64 v[32:33], v[4:5], 3, v[24:25]
	global_store_dwordx2 v[32:33], v[28:29], off
	v_max_f32_e32 v28, v111, v111
	s_mov_b64 vcc, s[6:7]
	s_cbranch_vccz .LBB105_124
; %bb.122:
	v_min_f32_e32 v29, 0, v28
	v_cvt_f64_f32_e32 v[32:33], v29
	v_lshl_add_u64 v[34:35], v[18:19], 3, v[24:25]
	global_store_dwordx2 v[34:35], v[32:33], off
	s_mov_b64 s[2:3], 0
	s_cbranch_execz .LBB105_125
; %bb.123:
	v_mov_b64_e32 v[26:27], s[2:3]
	s_branch .LBB105_126
.LBB105_124:
                                        ; implicit-def: $sgpr2_sgpr3
.LBB105_125:
	v_lshl_add_u64 v[32:33], v[26:27], 0, v[22:23]
	flat_load_dwordx2 v[32:33], v[32:33]
	v_lshl_add_u64 v[34:35], v[24:25], 0, v[22:23]
	v_lshl_add_u64 v[26:27], v[6:7], 3, v[26:27]
	s_waitcnt vmcnt(0) lgkmcnt(0)
	v_mul_f64 v[32:33], s[12:13], v[32:33]
	v_cvt_f32_f64_e32 v29, v[32:33]
	v_min_f32_e32 v28, v29, v28
	v_cvt_f64_f32_e32 v[28:29], v28
	global_store_dwordx2 v[34:35], v[28:29], off
	flat_load_dwordx2 v[26:27], v[26:27]
	s_waitcnt vmcnt(0) lgkmcnt(0)
	v_mul_f64 v[26:27], s[12:13], v[26:27]
.LBB105_126:
	v_cvt_f32_f64_e32 v26, v[26:27]
	v_max_f32_e32 v27, v110, v110
	v_min_f32_e32 v26, v26, v27
	v_cvt_f64_f32_e32 v[26:27], v26
	v_lshl_add_u64 v[24:25], v[6:7], 3, v[24:25]
	global_store_dwordx2 v[24:25], v[26:27], off
	v_add_u32_e32 v26, 32, v30
	v_mad_i64_i32 v[24:25], s[2:3], v26, s17, 0
	v_lshl_add_u64 v[24:25], v[24:25], 3, s[0:1]
	v_mad_i64_i32 v[26:27], s[2:3], v26, s16, 0
	v_max_f32_e32 v28, v109, v109
	s_mov_b64 vcc, s[6:7]
	s_cbranch_vccz .LBB105_129
; %bb.127:
	v_min_f32_e32 v29, 0, v28
	v_cvt_f64_f32_e32 v[32:33], v29
	v_lshl_add_u64 v[34:35], v[8:9], 3, v[24:25]
	global_store_dwordx2 v[34:35], v[32:33], off
	s_mov_b64 s[2:3], 0
	v_lshl_add_u64 v[26:27], v[26:27], 3, s[14:15]
	s_cbranch_execz .LBB105_130
; %bb.128:
	v_mov_b64_e32 v[28:29], s[2:3]
	s_branch .LBB105_131
.LBB105_129:
                                        ; implicit-def: $sgpr2_sgpr3
	v_lshl_add_u64 v[26:27], v[26:27], 3, s[14:15]
.LBB105_130:
	v_lshl_add_u64 v[32:33], v[26:27], 0, v[12:13]
	flat_load_dwordx2 v[32:33], v[32:33]
	v_lshl_add_u64 v[34:35], v[24:25], 0, v[12:13]
	s_waitcnt vmcnt(0) lgkmcnt(0)
	v_mul_f64 v[32:33], s[12:13], v[32:33]
	v_cvt_f32_f64_e32 v29, v[32:33]
	v_min_f32_e32 v28, v29, v28
	v_cvt_f64_f32_e32 v[28:29], v28
	global_store_dwordx2 v[34:35], v[28:29], off
	v_lshl_add_u64 v[28:29], v[0:1], 3, v[26:27]
	flat_load_dwordx2 v[28:29], v[28:29]
	s_waitcnt vmcnt(0) lgkmcnt(0)
	v_mul_f64 v[28:29], s[12:13], v[28:29]
.LBB105_131:
	v_cvt_f32_f64_e32 v28, v[28:29]
	v_max_f32_e32 v29, v108, v108
	v_min_f32_e32 v28, v28, v29
	v_cvt_f64_f32_e32 v[28:29], v28
	v_lshl_add_u64 v[32:33], v[0:1], 3, v[24:25]
	global_store_dwordx2 v[32:33], v[28:29], off
	v_max_f32_e32 v28, v107, v107
	s_mov_b64 vcc, s[6:7]
	s_cbranch_vccz .LBB105_134
; %bb.132:
	v_min_f32_e32 v29, 0, v28
	v_cvt_f64_f32_e32 v[32:33], v29
	v_lshl_add_u64 v[34:35], v[10:11], 3, v[24:25]
	global_store_dwordx2 v[34:35], v[32:33], off
	s_mov_b64 s[2:3], 0
	s_cbranch_execz .LBB105_135
; %bb.133:
	v_mov_b64_e32 v[28:29], s[2:3]
	s_branch .LBB105_136
.LBB105_134:
                                        ; implicit-def: $sgpr2_sgpr3
.LBB105_135:
	v_lshl_add_u64 v[32:33], v[26:27], 0, v[16:17]
	flat_load_dwordx2 v[32:33], v[32:33]
	v_lshl_add_u64 v[34:35], v[24:25], 0, v[16:17]
	s_waitcnt vmcnt(0) lgkmcnt(0)
	v_mul_f64 v[32:33], s[12:13], v[32:33]
	v_cvt_f32_f64_e32 v29, v[32:33]
	v_min_f32_e32 v28, v29, v28
	v_cvt_f64_f32_e32 v[28:29], v28
	global_store_dwordx2 v[34:35], v[28:29], off
	v_lshl_add_u64 v[28:29], v[2:3], 3, v[26:27]
	flat_load_dwordx2 v[28:29], v[28:29]
	s_waitcnt vmcnt(0) lgkmcnt(0)
	v_mul_f64 v[28:29], s[12:13], v[28:29]
.LBB105_136:
	v_cvt_f32_f64_e32 v28, v[28:29]
	v_max_f32_e32 v29, v106, v106
	v_min_f32_e32 v28, v28, v29
	v_cvt_f64_f32_e32 v[28:29], v28
	v_lshl_add_u64 v[32:33], v[2:3], 3, v[24:25]
	global_store_dwordx2 v[32:33], v[28:29], off
	v_max_f32_e32 v28, v105, v105
	s_mov_b64 vcc, s[6:7]
	s_cbranch_vccz .LBB105_139
; %bb.137:
	v_min_f32_e32 v29, 0, v28
	v_cvt_f64_f32_e32 v[32:33], v29
	v_lshl_add_u64 v[34:35], v[14:15], 3, v[24:25]
	global_store_dwordx2 v[34:35], v[32:33], off
	s_mov_b64 s[2:3], 0
	s_cbranch_execz .LBB105_140
; %bb.138:
	v_mov_b64_e32 v[28:29], s[2:3]
	s_branch .LBB105_141
.LBB105_139:
                                        ; implicit-def: $sgpr2_sgpr3
.LBB105_140:
	v_lshl_add_u64 v[32:33], v[26:27], 0, v[20:21]
	flat_load_dwordx2 v[32:33], v[32:33]
	v_lshl_add_u64 v[34:35], v[24:25], 0, v[20:21]
	s_waitcnt vmcnt(0) lgkmcnt(0)
	v_mul_f64 v[32:33], s[12:13], v[32:33]
	v_cvt_f32_f64_e32 v29, v[32:33]
	v_min_f32_e32 v28, v29, v28
	v_cvt_f64_f32_e32 v[28:29], v28
	global_store_dwordx2 v[34:35], v[28:29], off
	v_lshl_add_u64 v[28:29], v[4:5], 3, v[26:27]
	flat_load_dwordx2 v[28:29], v[28:29]
	s_waitcnt vmcnt(0) lgkmcnt(0)
	v_mul_f64 v[28:29], s[12:13], v[28:29]
.LBB105_141:
	v_cvt_f32_f64_e32 v28, v[28:29]
	v_max_f32_e32 v29, v104, v104
	v_min_f32_e32 v28, v28, v29
	v_cvt_f64_f32_e32 v[28:29], v28
	v_lshl_add_u64 v[32:33], v[4:5], 3, v[24:25]
	global_store_dwordx2 v[32:33], v[28:29], off
	v_max_f32_e32 v28, v103, v103
	s_mov_b64 vcc, s[6:7]
	s_cbranch_vccz .LBB105_144
; %bb.142:
	v_min_f32_e32 v29, 0, v28
	v_cvt_f64_f32_e32 v[32:33], v29
	v_lshl_add_u64 v[34:35], v[18:19], 3, v[24:25]
	global_store_dwordx2 v[34:35], v[32:33], off
	s_mov_b64 s[2:3], 0
	s_cbranch_execz .LBB105_145
; %bb.143:
	v_mov_b64_e32 v[26:27], s[2:3]
	s_branch .LBB105_146
.LBB105_144:
                                        ; implicit-def: $sgpr2_sgpr3
.LBB105_145:
	v_lshl_add_u64 v[32:33], v[26:27], 0, v[22:23]
	flat_load_dwordx2 v[32:33], v[32:33]
	v_lshl_add_u64 v[34:35], v[24:25], 0, v[22:23]
	v_lshl_add_u64 v[26:27], v[6:7], 3, v[26:27]
	s_waitcnt vmcnt(0) lgkmcnt(0)
	v_mul_f64 v[32:33], s[12:13], v[32:33]
	v_cvt_f32_f64_e32 v29, v[32:33]
	v_min_f32_e32 v28, v29, v28
	v_cvt_f64_f32_e32 v[28:29], v28
	global_store_dwordx2 v[34:35], v[28:29], off
	flat_load_dwordx2 v[26:27], v[26:27]
	s_waitcnt vmcnt(0) lgkmcnt(0)
	v_mul_f64 v[26:27], s[12:13], v[26:27]
.LBB105_146:
	v_cvt_f32_f64_e32 v26, v[26:27]
	v_max_f32_e32 v27, v102, v102
	v_min_f32_e32 v26, v26, v27
	v_cvt_f64_f32_e32 v[26:27], v26
	v_lshl_add_u64 v[24:25], v[6:7], 3, v[24:25]
	global_store_dwordx2 v[24:25], v[26:27], off
	v_add_u32_e32 v26, 40, v30
	v_mad_i64_i32 v[24:25], s[2:3], v26, s17, 0
	v_lshl_add_u64 v[24:25], v[24:25], 3, s[0:1]
	v_mad_i64_i32 v[26:27], s[2:3], v26, s16, 0
	v_max_f32_e32 v28, v101, v101
	s_mov_b64 vcc, s[6:7]
	s_cbranch_vccz .LBB105_149
; %bb.147:
	v_min_f32_e32 v29, 0, v28
	v_cvt_f64_f32_e32 v[32:33], v29
	v_lshl_add_u64 v[34:35], v[8:9], 3, v[24:25]
	global_store_dwordx2 v[34:35], v[32:33], off
	s_mov_b64 s[2:3], 0
	v_lshl_add_u64 v[26:27], v[26:27], 3, s[14:15]
	s_cbranch_execz .LBB105_150
; %bb.148:
	v_mov_b64_e32 v[28:29], s[2:3]
	s_branch .LBB105_151
.LBB105_149:
                                        ; implicit-def: $sgpr2_sgpr3
	v_lshl_add_u64 v[26:27], v[26:27], 3, s[14:15]
.LBB105_150:
	v_lshl_add_u64 v[32:33], v[26:27], 0, v[12:13]
	flat_load_dwordx2 v[32:33], v[32:33]
	v_lshl_add_u64 v[34:35], v[24:25], 0, v[12:13]
	s_waitcnt vmcnt(0) lgkmcnt(0)
	v_mul_f64 v[32:33], s[12:13], v[32:33]
	v_cvt_f32_f64_e32 v29, v[32:33]
	v_min_f32_e32 v28, v29, v28
	v_cvt_f64_f32_e32 v[28:29], v28
	global_store_dwordx2 v[34:35], v[28:29], off
	v_lshl_add_u64 v[28:29], v[0:1], 3, v[26:27]
	flat_load_dwordx2 v[28:29], v[28:29]
	s_waitcnt vmcnt(0) lgkmcnt(0)
	v_mul_f64 v[28:29], s[12:13], v[28:29]
.LBB105_151:
	v_cvt_f32_f64_e32 v28, v[28:29]
	v_max_f32_e32 v29, v100, v100
	v_min_f32_e32 v28, v28, v29
	v_cvt_f64_f32_e32 v[28:29], v28
	v_lshl_add_u64 v[32:33], v[0:1], 3, v[24:25]
	global_store_dwordx2 v[32:33], v[28:29], off
	v_max_f32_e32 v28, v99, v99
	s_mov_b64 vcc, s[6:7]
	s_cbranch_vccz .LBB105_154
; %bb.152:
	v_min_f32_e32 v29, 0, v28
	v_cvt_f64_f32_e32 v[32:33], v29
	v_lshl_add_u64 v[34:35], v[10:11], 3, v[24:25]
	s_mov_b32 s4, 0
	global_store_dwordx2 v[34:35], v[32:33], off
	s_cbranch_execz .LBB105_155
; %bb.153:
	v_mov_b32_e32 v28, s4
	s_branch .LBB105_156
.LBB105_154:
                                        ; implicit-def: $sgpr4
.LBB105_155:
	v_lshl_add_u64 v[32:33], v[26:27], 0, v[16:17]
	flat_load_dwordx2 v[32:33], v[32:33]
	v_lshl_add_u64 v[34:35], v[24:25], 0, v[16:17]
	s_waitcnt vmcnt(0) lgkmcnt(0)
	v_mul_f64 v[32:33], s[12:13], v[32:33]
	v_cvt_f32_f64_e32 v29, v[32:33]
	v_min_f32_e32 v28, v29, v28
	v_cvt_f64_f32_e32 v[28:29], v28
	global_store_dwordx2 v[34:35], v[28:29], off
	v_lshl_add_u64 v[28:29], v[2:3], 3, v[26:27]
	flat_load_dwordx2 v[28:29], v[28:29]
	s_waitcnt vmcnt(0) lgkmcnt(0)
	v_mul_f64 v[28:29], s[12:13], v[28:29]
	v_cvt_f32_f64_e32 v28, v[28:29]
.LBB105_156:
	v_max_f32_e32 v29, v98, v98
	v_max_f32_e32 v28, v28, v28
	v_min_f32_e32 v28, v28, v29
	v_cvt_f64_f32_e32 v[28:29], v28
	v_lshl_add_u64 v[32:33], v[2:3], 3, v[24:25]
	global_store_dwordx2 v[32:33], v[28:29], off
	v_max_f32_e32 v28, v97, v97
	s_mov_b64 vcc, s[6:7]
	s_cbranch_vccz .LBB105_159
; %bb.157:
	v_min_f32_e32 v29, 0, v28
	v_cvt_f64_f32_e32 v[32:33], v29
	v_lshl_add_u64 v[34:35], v[14:15], 3, v[24:25]
	s_mov_b32 s4, 0
	global_store_dwordx2 v[34:35], v[32:33], off
	s_cbranch_execz .LBB105_160
; %bb.158:
	v_mov_b32_e32 v28, s4
	s_branch .LBB105_161
.LBB105_159:
                                        ; implicit-def: $sgpr4
.LBB105_160:
	v_lshl_add_u64 v[32:33], v[26:27], 0, v[20:21]
	flat_load_dwordx2 v[32:33], v[32:33]
	v_lshl_add_u64 v[34:35], v[24:25], 0, v[20:21]
	s_waitcnt vmcnt(0) lgkmcnt(0)
	v_mul_f64 v[32:33], s[12:13], v[32:33]
	v_cvt_f32_f64_e32 v29, v[32:33]
	v_min_f32_e32 v28, v29, v28
	v_cvt_f64_f32_e32 v[28:29], v28
	global_store_dwordx2 v[34:35], v[28:29], off
	v_lshl_add_u64 v[28:29], v[4:5], 3, v[26:27]
	flat_load_dwordx2 v[28:29], v[28:29]
	s_waitcnt vmcnt(0) lgkmcnt(0)
	v_mul_f64 v[28:29], s[12:13], v[28:29]
	v_cvt_f32_f64_e32 v28, v[28:29]
.LBB105_161:
	v_max_f32_e32 v29, v96, v96
	v_max_f32_e32 v28, v28, v28
	v_min_f32_e32 v28, v28, v29
	v_cvt_f64_f32_e32 v[28:29], v28
	v_lshl_add_u64 v[32:33], v[4:5], 3, v[24:25]
	global_store_dwordx2 v[32:33], v[28:29], off
	v_max_f32_e32 v28, v95, v95
	s_mov_b64 vcc, s[6:7]
	s_cbranch_vccz .LBB105_164
; %bb.162:
	v_min_f32_e32 v29, 0, v28
	v_cvt_f64_f32_e32 v[32:33], v29
	v_lshl_add_u64 v[34:35], v[18:19], 3, v[24:25]
	s_mov_b32 s4, 0
	global_store_dwordx2 v[34:35], v[32:33], off
	s_cbranch_execz .LBB105_165
; %bb.163:
	v_mov_b32_e32 v26, s4
	s_branch .LBB105_166
.LBB105_164:
                                        ; implicit-def: $sgpr4
.LBB105_165:
	v_lshl_add_u64 v[32:33], v[26:27], 0, v[22:23]
	flat_load_dwordx2 v[32:33], v[32:33]
	v_lshl_add_u64 v[34:35], v[24:25], 0, v[22:23]
	v_lshl_add_u64 v[26:27], v[6:7], 3, v[26:27]
	s_waitcnt vmcnt(0) lgkmcnt(0)
	v_mul_f64 v[32:33], s[12:13], v[32:33]
	v_cvt_f32_f64_e32 v29, v[32:33]
	v_min_f32_e32 v28, v29, v28
	v_cvt_f64_f32_e32 v[28:29], v28
	global_store_dwordx2 v[34:35], v[28:29], off
	flat_load_dwordx2 v[26:27], v[26:27]
	s_waitcnt vmcnt(0) lgkmcnt(0)
	v_mul_f64 v[26:27], s[12:13], v[26:27]
	v_cvt_f32_f64_e32 v26, v[26:27]
.LBB105_166:
	v_max_f32_e32 v27, v94, v94
	v_max_f32_e32 v26, v26, v26
	v_min_f32_e32 v26, v26, v27
	v_cvt_f64_f32_e32 v[26:27], v26
	v_lshl_add_u64 v[24:25], v[6:7], 3, v[24:25]
	global_store_dwordx2 v[24:25], v[26:27], off
	v_add_u32_e32 v26, 48, v30
	v_mad_i64_i32 v[24:25], s[2:3], v26, s17, 0
	v_lshl_add_u64 v[24:25], v[24:25], 3, s[0:1]
	v_mad_i64_i32 v[26:27], s[2:3], v26, s16, 0
	v_max_f32_e32 v28, v93, v93
	s_mov_b64 vcc, s[6:7]
	s_cbranch_vccz .LBB105_169
; %bb.167:
	v_min_f32_e32 v29, 0, v28
	v_cvt_f64_f32_e32 v[32:33], v29
	v_lshl_add_u64 v[34:35], v[8:9], 3, v[24:25]
	s_mov_b32 s4, 0
	global_store_dwordx2 v[34:35], v[32:33], off
	v_lshl_add_u64 v[26:27], v[26:27], 3, s[14:15]
	s_cbranch_execz .LBB105_170
; %bb.168:
	v_mov_b32_e32 v28, s4
	s_branch .LBB105_171
.LBB105_169:
                                        ; implicit-def: $sgpr4
	v_lshl_add_u64 v[26:27], v[26:27], 3, s[14:15]
.LBB105_170:
	v_lshl_add_u64 v[32:33], v[26:27], 0, v[12:13]
	flat_load_dwordx2 v[32:33], v[32:33]
	v_lshl_add_u64 v[34:35], v[24:25], 0, v[12:13]
	s_waitcnt vmcnt(0) lgkmcnt(0)
	v_mul_f64 v[32:33], s[12:13], v[32:33]
	v_cvt_f32_f64_e32 v29, v[32:33]
	v_min_f32_e32 v28, v29, v28
	v_cvt_f64_f32_e32 v[28:29], v28
	global_store_dwordx2 v[34:35], v[28:29], off
	v_lshl_add_u64 v[28:29], v[0:1], 3, v[26:27]
	flat_load_dwordx2 v[28:29], v[28:29]
	s_waitcnt vmcnt(0) lgkmcnt(0)
	v_mul_f64 v[28:29], s[12:13], v[28:29]
	v_cvt_f32_f64_e32 v28, v[28:29]
.LBB105_171:
	v_max_f32_e32 v29, v92, v92
	v_max_f32_e32 v28, v28, v28
	v_min_f32_e32 v28, v28, v29
	v_cvt_f64_f32_e32 v[28:29], v28
	v_lshl_add_u64 v[32:33], v[0:1], 3, v[24:25]
	global_store_dwordx2 v[32:33], v[28:29], off
	v_max_f32_e32 v28, v91, v91
	s_mov_b64 vcc, s[6:7]
	s_cbranch_vccz .LBB105_174
; %bb.172:
	v_min_f32_e32 v29, 0, v28
	v_cvt_f64_f32_e32 v[32:33], v29
	v_lshl_add_u64 v[34:35], v[10:11], 3, v[24:25]
	s_mov_b32 s4, 0
	global_store_dwordx2 v[34:35], v[32:33], off
	s_cbranch_execz .LBB105_175
; %bb.173:
	v_mov_b32_e32 v28, s4
	s_branch .LBB105_176
.LBB105_174:
                                        ; implicit-def: $sgpr4
.LBB105_175:
	v_lshl_add_u64 v[32:33], v[26:27], 0, v[16:17]
	flat_load_dwordx2 v[32:33], v[32:33]
	v_lshl_add_u64 v[34:35], v[24:25], 0, v[16:17]
	s_waitcnt vmcnt(0) lgkmcnt(0)
	v_mul_f64 v[32:33], s[12:13], v[32:33]
	v_cvt_f32_f64_e32 v29, v[32:33]
	v_min_f32_e32 v28, v29, v28
	v_cvt_f64_f32_e32 v[28:29], v28
	global_store_dwordx2 v[34:35], v[28:29], off
	v_lshl_add_u64 v[28:29], v[2:3], 3, v[26:27]
	flat_load_dwordx2 v[28:29], v[28:29]
	s_waitcnt vmcnt(0) lgkmcnt(0)
	v_mul_f64 v[28:29], s[12:13], v[28:29]
	v_cvt_f32_f64_e32 v28, v[28:29]
.LBB105_176:
	v_max_f32_e32 v29, v90, v90
	v_max_f32_e32 v28, v28, v28
	v_min_f32_e32 v28, v28, v29
	v_cvt_f64_f32_e32 v[28:29], v28
	v_lshl_add_u64 v[32:33], v[2:3], 3, v[24:25]
	global_store_dwordx2 v[32:33], v[28:29], off
	v_max_f32_e32 v28, v89, v89
	s_mov_b64 vcc, s[6:7]
	s_cbranch_vccz .LBB105_179
; %bb.177:
	v_min_f32_e32 v29, 0, v28
	v_cvt_f64_f32_e32 v[32:33], v29
	v_lshl_add_u64 v[34:35], v[14:15], 3, v[24:25]
	s_mov_b32 s4, 0
	global_store_dwordx2 v[34:35], v[32:33], off
	s_cbranch_execz .LBB105_180
; %bb.178:
	v_mov_b32_e32 v28, s4
	s_branch .LBB105_181
.LBB105_179:
                                        ; implicit-def: $sgpr4
.LBB105_180:
	v_lshl_add_u64 v[32:33], v[26:27], 0, v[20:21]
	flat_load_dwordx2 v[32:33], v[32:33]
	v_lshl_add_u64 v[34:35], v[24:25], 0, v[20:21]
	s_waitcnt vmcnt(0) lgkmcnt(0)
	v_mul_f64 v[32:33], s[12:13], v[32:33]
	v_cvt_f32_f64_e32 v29, v[32:33]
	v_min_f32_e32 v28, v29, v28
	v_cvt_f64_f32_e32 v[28:29], v28
	global_store_dwordx2 v[34:35], v[28:29], off
	v_lshl_add_u64 v[28:29], v[4:5], 3, v[26:27]
	flat_load_dwordx2 v[28:29], v[28:29]
	s_waitcnt vmcnt(0) lgkmcnt(0)
	v_mul_f64 v[28:29], s[12:13], v[28:29]
	v_cvt_f32_f64_e32 v28, v[28:29]
.LBB105_181:
	v_max_f32_e32 v29, v88, v88
	v_max_f32_e32 v28, v28, v28
	v_min_f32_e32 v28, v28, v29
	v_cvt_f64_f32_e32 v[28:29], v28
	v_lshl_add_u64 v[32:33], v[4:5], 3, v[24:25]
	global_store_dwordx2 v[32:33], v[28:29], off
	v_max_f32_e32 v28, v87, v87
	s_mov_b64 vcc, s[6:7]
	s_cbranch_vccz .LBB105_184
; %bb.182:
	v_min_f32_e32 v29, 0, v28
	v_cvt_f64_f32_e32 v[32:33], v29
	v_lshl_add_u64 v[34:35], v[18:19], 3, v[24:25]
	s_mov_b32 s4, 0
	global_store_dwordx2 v[34:35], v[32:33], off
	s_cbranch_execz .LBB105_185
; %bb.183:
	v_mov_b32_e32 v26, s4
	s_branch .LBB105_186
.LBB105_184:
                                        ; implicit-def: $sgpr4
.LBB105_185:
	v_lshl_add_u64 v[32:33], v[26:27], 0, v[22:23]
	flat_load_dwordx2 v[32:33], v[32:33]
	v_lshl_add_u64 v[34:35], v[24:25], 0, v[22:23]
	v_lshl_add_u64 v[26:27], v[6:7], 3, v[26:27]
	s_waitcnt vmcnt(0) lgkmcnt(0)
	v_mul_f64 v[32:33], s[12:13], v[32:33]
	v_cvt_f32_f64_e32 v29, v[32:33]
	v_min_f32_e32 v28, v29, v28
	v_cvt_f64_f32_e32 v[28:29], v28
	global_store_dwordx2 v[34:35], v[28:29], off
	flat_load_dwordx2 v[26:27], v[26:27]
	s_waitcnt vmcnt(0) lgkmcnt(0)
	v_mul_f64 v[26:27], s[12:13], v[26:27]
	v_cvt_f32_f64_e32 v26, v[26:27]
.LBB105_186:
	v_max_f32_e32 v27, v86, v86
	v_max_f32_e32 v26, v26, v26
	v_min_f32_e32 v26, v26, v27
	v_cvt_f64_f32_e32 v[26:27], v26
	v_lshl_add_u64 v[24:25], v[6:7], 3, v[24:25]
	global_store_dwordx2 v[24:25], v[26:27], off
	v_add_u32_e32 v26, 56, v30
	v_mad_i64_i32 v[24:25], s[2:3], v26, s17, 0
	v_lshl_add_u64 v[24:25], v[24:25], 3, s[0:1]
	v_mad_i64_i32 v[26:27], s[0:1], v26, s16, 0
	v_max_f32_e32 v28, v85, v85
	s_mov_b64 vcc, s[6:7]
	s_cbranch_vccz .LBB105_189
; %bb.187:
	v_min_f32_e32 v29, 0, v28
	v_cvt_f64_f32_e32 v[30:31], v29
	v_lshl_add_u64 v[8:9], v[8:9], 3, v[24:25]
	s_mov_b32 s2, 0
	global_store_dwordx2 v[8:9], v[30:31], off
	v_lshl_add_u64 v[8:9], v[26:27], 3, s[14:15]
	s_cbranch_execz .LBB105_190
; %bb.188:
	v_mov_b32_e32 v12, s2
	s_branch .LBB105_191
.LBB105_189:
                                        ; implicit-def: $sgpr2
	v_lshl_add_u64 v[8:9], v[26:27], 3, s[14:15]
.LBB105_190:
	v_lshl_add_u64 v[26:27], v[8:9], 0, v[12:13]
	flat_load_dwordx2 v[26:27], v[26:27]
	v_lshl_add_u64 v[12:13], v[24:25], 0, v[12:13]
	s_waitcnt vmcnt(0) lgkmcnt(0)
	v_mul_f64 v[26:27], s[12:13], v[26:27]
	v_cvt_f32_f64_e32 v26, v[26:27]
	v_min_f32_e32 v26, v26, v28
	v_cvt_f64_f32_e32 v[26:27], v26
	global_store_dwordx2 v[12:13], v[26:27], off
	v_lshl_add_u64 v[12:13], v[0:1], 3, v[8:9]
	flat_load_dwordx2 v[12:13], v[12:13]
	s_waitcnt vmcnt(0) lgkmcnt(0)
	v_mul_f64 v[12:13], s[12:13], v[12:13]
	v_cvt_f32_f64_e32 v12, v[12:13]
.LBB105_191:
	v_max_f32_e32 v13, v84, v84
	v_max_f32_e32 v12, v12, v12
	v_min_f32_e32 v12, v12, v13
	v_cvt_f64_f32_e32 v[12:13], v12
	v_lshl_add_u64 v[0:1], v[0:1], 3, v[24:25]
	global_store_dwordx2 v[0:1], v[12:13], off
	v_max_f32_e32 v0, v83, v83
	s_mov_b64 vcc, s[6:7]
	s_cbranch_vccz .LBB105_194
; %bb.192:
	v_min_f32_e32 v1, 0, v0
	v_cvt_f64_f32_e32 v[12:13], v1
	v_lshl_add_u64 v[10:11], v[10:11], 3, v[24:25]
	s_mov_b32 s2, 0
	global_store_dwordx2 v[10:11], v[12:13], off
	s_cbranch_execz .LBB105_195
; %bb.193:
	v_mov_b32_e32 v0, s2
	s_branch .LBB105_196
.LBB105_194:
                                        ; implicit-def: $sgpr2
.LBB105_195:
	v_lshl_add_u64 v[10:11], v[8:9], 0, v[16:17]
	flat_load_dwordx2 v[10:11], v[10:11]
	v_lshl_add_u64 v[12:13], v[24:25], 0, v[16:17]
	s_waitcnt vmcnt(0) lgkmcnt(0)
	v_mul_f64 v[10:11], s[12:13], v[10:11]
	v_cvt_f32_f64_e32 v1, v[10:11]
	v_min_f32_e32 v0, v1, v0
	v_cvt_f64_f32_e32 v[0:1], v0
	global_store_dwordx2 v[12:13], v[0:1], off
	v_lshl_add_u64 v[0:1], v[2:3], 3, v[8:9]
	flat_load_dwordx2 v[0:1], v[0:1]
	s_waitcnt vmcnt(0) lgkmcnt(0)
	v_mul_f64 v[0:1], s[12:13], v[0:1]
	v_cvt_f32_f64_e32 v0, v[0:1]
.LBB105_196:
	v_max_f32_e32 v1, v82, v82
	v_max_f32_e32 v0, v0, v0
	v_min_f32_e32 v0, v0, v1
	v_cvt_f64_f32_e32 v[0:1], v0
	v_lshl_add_u64 v[2:3], v[2:3], 3, v[24:25]
	global_store_dwordx2 v[2:3], v[0:1], off
	v_max_f32_e32 v0, v81, v81
	s_mov_b64 vcc, s[6:7]
	s_cbranch_vccz .LBB105_199
; %bb.197:
	v_min_f32_e32 v1, 0, v0
	v_cvt_f64_f32_e32 v[2:3], v1
	v_lshl_add_u64 v[10:11], v[14:15], 3, v[24:25]
	s_mov_b32 s2, 0
	global_store_dwordx2 v[10:11], v[2:3], off
	s_cbranch_execz .LBB105_200
; %bb.198:
	v_mov_b32_e32 v0, s2
	s_branch .LBB105_201
.LBB105_199:
                                        ; implicit-def: $sgpr2
.LBB105_200:
	v_lshl_add_u64 v[2:3], v[8:9], 0, v[20:21]
	flat_load_dwordx2 v[2:3], v[2:3]
	v_lshl_add_u64 v[10:11], v[24:25], 0, v[20:21]
	s_waitcnt vmcnt(0) lgkmcnt(0)
	v_mul_f64 v[2:3], s[12:13], v[2:3]
	v_cvt_f32_f64_e32 v1, v[2:3]
	v_min_f32_e32 v0, v1, v0
	v_cvt_f64_f32_e32 v[0:1], v0
	global_store_dwordx2 v[10:11], v[0:1], off
	v_lshl_add_u64 v[0:1], v[4:5], 3, v[8:9]
	flat_load_dwordx2 v[0:1], v[0:1]
	s_waitcnt vmcnt(0) lgkmcnt(0)
	v_mul_f64 v[0:1], s[12:13], v[0:1]
	v_cvt_f32_f64_e32 v0, v[0:1]
.LBB105_201:
	;; [unrolled: 37-line block ×3, first 2 shown]
	v_max_f32_e32 v1, v78, v78
	v_max_f32_e32 v0, v0, v0
	v_min_f32_e32 v0, v0, v1
	v_cvt_f64_f32_e32 v[0:1], v0
	v_lshl_add_u64 v[2:3], v[6:7], 3, v[24:25]
	global_store_dwordx2 v[2:3], v[0:1], off
	s_endpgm
	.section	.rodata,"a",@progbits
	.p2align	6, 0x0
	.amdhsa_kernel _ZN12_GLOBAL__N_120geam_min_plus_kernelId15HIP_vector_typeIdLj2EEdLi32ELi8ELi256ELi64ELi4ELi64ELi4ELi4ELi64ELc78ELc78ELb0ELb0ELb1EPKdKS4_KPdEEviiiT16_PT17_ilSA_ilS8_SA_ilPT18_ili26rocblas_geam_ex_operation_
		.amdhsa_group_segment_fixed_size 20480
		.amdhsa_private_segment_fixed_size 0
		.amdhsa_kernarg_size 136
		.amdhsa_user_sgpr_count 2
		.amdhsa_user_sgpr_dispatch_ptr 0
		.amdhsa_user_sgpr_queue_ptr 0
		.amdhsa_user_sgpr_kernarg_segment_ptr 1
		.amdhsa_user_sgpr_dispatch_id 0
		.amdhsa_user_sgpr_kernarg_preload_length 0
		.amdhsa_user_sgpr_kernarg_preload_offset 0
		.amdhsa_user_sgpr_private_segment_size 0
		.amdhsa_uses_dynamic_stack 0
		.amdhsa_enable_private_segment 0
		.amdhsa_system_sgpr_workgroup_id_x 1
		.amdhsa_system_sgpr_workgroup_id_y 0
		.amdhsa_system_sgpr_workgroup_id_z 1
		.amdhsa_system_sgpr_workgroup_info 0
		.amdhsa_system_vgpr_workitem_id 1
		.amdhsa_next_free_vgpr 160
		.amdhsa_next_free_sgpr 28
		.amdhsa_accum_offset 160
		.amdhsa_reserve_vcc 1
		.amdhsa_float_round_mode_32 0
		.amdhsa_float_round_mode_16_64 0
		.amdhsa_float_denorm_mode_32 3
		.amdhsa_float_denorm_mode_16_64 3
		.amdhsa_dx10_clamp 1
		.amdhsa_ieee_mode 1
		.amdhsa_fp16_overflow 0
		.amdhsa_tg_split 0
		.amdhsa_exception_fp_ieee_invalid_op 0
		.amdhsa_exception_fp_denorm_src 0
		.amdhsa_exception_fp_ieee_div_zero 0
		.amdhsa_exception_fp_ieee_overflow 0
		.amdhsa_exception_fp_ieee_underflow 0
		.amdhsa_exception_fp_ieee_inexact 0
		.amdhsa_exception_int_div_zero 0
	.end_amdhsa_kernel
	.section	.text._ZN12_GLOBAL__N_120geam_min_plus_kernelId15HIP_vector_typeIdLj2EEdLi32ELi8ELi256ELi64ELi4ELi64ELi4ELi4ELi64ELc78ELc78ELb0ELb0ELb1EPKdKS4_KPdEEviiiT16_PT17_ilSA_ilS8_SA_ilPT18_ili26rocblas_geam_ex_operation_,"axG",@progbits,_ZN12_GLOBAL__N_120geam_min_plus_kernelId15HIP_vector_typeIdLj2EEdLi32ELi8ELi256ELi64ELi4ELi64ELi4ELi4ELi64ELc78ELc78ELb0ELb0ELb1EPKdKS4_KPdEEviiiT16_PT17_ilSA_ilS8_SA_ilPT18_ili26rocblas_geam_ex_operation_,comdat
.Lfunc_end105:
	.size	_ZN12_GLOBAL__N_120geam_min_plus_kernelId15HIP_vector_typeIdLj2EEdLi32ELi8ELi256ELi64ELi4ELi64ELi4ELi4ELi64ELc78ELc78ELb0ELb0ELb1EPKdKS4_KPdEEviiiT16_PT17_ilSA_ilS8_SA_ilPT18_ili26rocblas_geam_ex_operation_, .Lfunc_end105-_ZN12_GLOBAL__N_120geam_min_plus_kernelId15HIP_vector_typeIdLj2EEdLi32ELi8ELi256ELi64ELi4ELi64ELi4ELi4ELi64ELc78ELc78ELb0ELb0ELb1EPKdKS4_KPdEEviiiT16_PT17_ilSA_ilS8_SA_ilPT18_ili26rocblas_geam_ex_operation_
                                        ; -- End function
	.section	.AMDGPU.csdata,"",@progbits
; Kernel info:
; codeLenInByte = 17136
; NumSgprs: 34
; NumVgprs: 160
; NumAgprs: 0
; TotalNumVgprs: 160
; ScratchSize: 0
; MemoryBound: 1
; FloatMode: 240
; IeeeMode: 1
; LDSByteSize: 20480 bytes/workgroup (compile time only)
; SGPRBlocks: 4
; VGPRBlocks: 19
; NumSGPRsForWavesPerEU: 34
; NumVGPRsForWavesPerEU: 160
; AccumOffset: 160
; Occupancy: 3
; WaveLimiterHint : 1
; COMPUTE_PGM_RSRC2:SCRATCH_EN: 0
; COMPUTE_PGM_RSRC2:USER_SGPR: 2
; COMPUTE_PGM_RSRC2:TRAP_HANDLER: 0
; COMPUTE_PGM_RSRC2:TGID_X_EN: 1
; COMPUTE_PGM_RSRC2:TGID_Y_EN: 0
; COMPUTE_PGM_RSRC2:TGID_Z_EN: 1
; COMPUTE_PGM_RSRC2:TIDIG_COMP_CNT: 1
; COMPUTE_PGM_RSRC3_GFX90A:ACCUM_OFFSET: 39
; COMPUTE_PGM_RSRC3_GFX90A:TG_SPLIT: 0
	.section	.text._ZN12_GLOBAL__N_120geam_min_plus_kernelId15HIP_vector_typeIdLj2EEdLi32ELi8ELi256ELi64ELi4ELi64ELi4ELi4ELi64ELc78ELc78ELb1ELb0ELb1EdKPKdKPdEEviiiT16_PT17_ilSA_ilS8_SA_ilPT18_ili26rocblas_geam_ex_operation_,"axG",@progbits,_ZN12_GLOBAL__N_120geam_min_plus_kernelId15HIP_vector_typeIdLj2EEdLi32ELi8ELi256ELi64ELi4ELi64ELi4ELi4ELi64ELc78ELc78ELb1ELb0ELb1EdKPKdKPdEEviiiT16_PT17_ilSA_ilS8_SA_ilPT18_ili26rocblas_geam_ex_operation_,comdat
	.globl	_ZN12_GLOBAL__N_120geam_min_plus_kernelId15HIP_vector_typeIdLj2EEdLi32ELi8ELi256ELi64ELi4ELi64ELi4ELi4ELi64ELc78ELc78ELb1ELb0ELb1EdKPKdKPdEEviiiT16_PT17_ilSA_ilS8_SA_ilPT18_ili26rocblas_geam_ex_operation_ ; -- Begin function _ZN12_GLOBAL__N_120geam_min_plus_kernelId15HIP_vector_typeIdLj2EEdLi32ELi8ELi256ELi64ELi4ELi64ELi4ELi4ELi64ELc78ELc78ELb1ELb0ELb1EdKPKdKPdEEviiiT16_PT17_ilSA_ilS8_SA_ilPT18_ili26rocblas_geam_ex_operation_
	.p2align	8
	.type	_ZN12_GLOBAL__N_120geam_min_plus_kernelId15HIP_vector_typeIdLj2EEdLi32ELi8ELi256ELi64ELi4ELi64ELi4ELi4ELi64ELc78ELc78ELb1ELb0ELb1EdKPKdKPdEEviiiT16_PT17_ilSA_ilS8_SA_ilPT18_ili26rocblas_geam_ex_operation_,@function
_ZN12_GLOBAL__N_120geam_min_plus_kernelId15HIP_vector_typeIdLj2EEdLi32ELi8ELi256ELi64ELi4ELi64ELi4ELi4ELi64ELc78ELc78ELb1ELb0ELb1EdKPKdKPdEEviiiT16_PT17_ilSA_ilS8_SA_ilPT18_ili26rocblas_geam_ex_operation_: ; @_ZN12_GLOBAL__N_120geam_min_plus_kernelId15HIP_vector_typeIdLj2EEdLi32ELi8ELi256ELi64ELi4ELi64ELi4ELi4ELi64ELc78ELc78ELb1ELb0ELb1EdKPKdKPdEEviiiT16_PT17_ilSA_ilS8_SA_ilPT18_ili26rocblas_geam_ex_operation_
; %bb.0:
	s_load_dwordx4 s[4:7], s[0:1], 0x10
	s_load_dwordx4 s[8:11], s[0:1], 0x28
	s_mov_b32 s18, s3
	s_mov_b64 s[14:15], 0
	s_waitcnt lgkmcnt(0)
	v_cmp_eq_f64_e64 s[12:13], s[4:5], 0
	s_and_b64 vcc, exec, s[12:13]
	s_cbranch_vccnz .LBB106_2
; %bb.1:
	s_mov_b32 s19, 0
	s_lshl_b64 s[4:5], s[18:19], 3
	s_add_u32 s4, s6, s4
	s_addc_u32 s5, s7, s5
	s_load_dwordx2 s[4:5], s[4:5], 0x0
	s_lshl_b64 s[6:7], s[8:9], 3
	s_waitcnt lgkmcnt(0)
	s_add_u32 s14, s4, s6
	s_addc_u32 s15, s5, s7
.LBB106_2:
	s_load_dwordx4 s[4:7], s[0:1], 0x40
	s_load_dwordx2 s[20:21], s[0:1], 0x50
	s_andn2_b64 vcc, exec, s[12:13]
	s_cbranch_vccnz .LBB106_4
; %bb.3:
	s_mov_b32 s19, 0
	s_mov_b64 s[16:17], 0
	s_cbranch_execz .LBB106_5
	s_branch .LBB106_6
.LBB106_4:
                                        ; implicit-def: $sgpr16_sgpr17
.LBB106_5:
	s_mov_b32 s19, 0
	s_lshl_b64 s[8:9], s[18:19], 3
	s_add_u32 s8, s10, s8
	s_addc_u32 s9, s11, s9
	s_load_dwordx2 s[8:9], s[8:9], 0x0
	s_waitcnt lgkmcnt(0)
	s_lshl_b64 s[4:5], s[4:5], 3
	s_add_u32 s16, s8, s4
	s_addc_u32 s17, s9, s5
.LBB106_6:
	s_load_dwordx4 s[8:11], s[0:1], 0x60
	s_waitcnt lgkmcnt(0)
	v_cmp_eq_f64_e64 s[4:5], s[6:7], 0
	s_and_b64 s[4:5], exec, s[4:5]
	s_mov_b64 s[12:13], 0
	s_mov_b64 vcc, s[4:5]
	s_cbranch_vccnz .LBB106_8
; %bb.7:
	s_lshl_b64 s[12:13], s[18:19], 3
	s_add_u32 s12, s20, s12
	s_addc_u32 s13, s21, s13
	s_load_dwordx2 s[12:13], s[12:13], 0x0
	s_lshl_b64 s[8:9], s[8:9], 3
	s_waitcnt lgkmcnt(0)
	s_add_u32 s12, s12, s8
	s_addc_u32 s13, s13, s9
.LBB106_8:
	s_load_dword s20, s[0:1], 0x20
	s_load_dword s3, s[0:1], 0x0
	;; [unrolled: 1-line block ×3, first 2 shown]
	s_lshl_b64 s[8:9], s[18:19], 3
	v_and_b32_e32 v137, 0x3ff, v0
	s_waitcnt lgkmcnt(0)
	s_ashr_i32 s21, s20, 31
	s_add_u32 s10, s10, s8
	s_addc_u32 s11, s11, s9
	s_add_i32 s3, s3, -1
	s_ashr_i32 s8, s3, 31
	s_lshr_b32 s8, s8, 24
	s_add_i32 s3, s3, s8
	s_ashr_i32 s3, s3, 8
	s_add_i32 s8, s3, 1
	v_cvt_f32_u32_e32 v1, s8
	s_not_b32 s3, s3
	v_bfe_u32 v138, v0, 10, 10
	v_lshl_add_u32 v0, v138, 5, v137
	v_rcp_iflag_f32_e32 v1, v1
	v_and_b32_e32 v74, 63, v0
	v_lshrrev_b32_e32 v18, 2, v0
	v_lshrrev_b32_e32 v145, 6, v0
	v_mul_f32_e32 v1, 0x4f7ffffe, v1
	v_cvt_u32_f32_e32 v1, v1
	v_and_b32_e32 v144, 3, v137
	v_add_u32_e32 v146, 4, v145
	v_mov_b32_e32 v78, 0x7f800000
	v_readfirstlane_b32 s9, v1
	s_mul_i32 s3, s3, s9
	s_mul_hi_u32 s3, s9, s3
	s_add_i32 s9, s9, s3
	s_mul_hi_u32 s3, s2, s9
	s_mul_i32 s9, s3, s8
	s_sub_i32 s9, s2, s9
	s_add_i32 s18, s3, 1
	s_sub_i32 s19, s9, s8
	s_cmp_ge_u32 s9, s8
	s_cselect_b32 s3, s18, s3
	s_cselect_b32 s9, s19, s9
	s_add_i32 s18, s3, 1
	s_cmp_ge_u32 s9, s8
	s_cselect_b32 s3, s18, s3
	s_mul_i32 s8, s3, s8
	s_sub_i32 s2, s2, s8
	s_lshl_b32 s18, s2, 8
	s_lshl_b32 s19, s3, 6
	v_or_b32_e32 v62, s18, v74
	v_add_u32_e32 v4, s19, v18
	v_mad_i64_i32 v[0:1], s[2:3], s20, v145, 0
	v_ashrrev_i32_e32 v63, 31, v62
	v_mad_i64_i32 v[4:5], s[2:3], v4, s22, 0
	v_lshl_add_u64 v[0:1], v[0:1], 3, s[14:15]
	v_lshlrev_b64 v[2:3], 3, v[62:63]
	v_lshl_add_u64 v[60:61], v[4:5], 3, s[16:17]
	v_lshlrev_b32_e32 v4, 3, v144
	v_mov_b32_e32 v5, 0
	v_lshl_add_u64 v[0:1], v[0:1], 0, v[2:3]
	v_lshl_add_u64 v[6:7], v[60:61], 0, v[4:5]
	flat_load_dwordx2 v[8:9], v[6:7]
	flat_load_dwordx2 v[10:11], v[0:1]
	flat_load_dwordx2 v[12:13], v[0:1] offset:512
	flat_load_dwordx2 v[14:15], v[0:1] offset:1024
	;; [unrolled: 1-line block ×3, first 2 shown]
	v_mad_i64_i32 v[0:1], s[2:3], s20, v146, 0
	v_lshl_add_u64 v[0:1], v[0:1], 3, s[14:15]
	v_lshl_add_u64 v[0:1], v[0:1], 0, v[2:3]
	flat_load_dwordx2 v[64:65], v[6:7] offset:32
	flat_load_dwordx2 v[66:67], v[0:1]
	flat_load_dwordx2 v[68:69], v[0:1] offset:512
	flat_load_dwordx2 v[70:71], v[0:1] offset:1024
	;; [unrolled: 1-line block ×3, first 2 shown]
	s_load_dwordx2 s[2:3], s[10:11], 0x0
	v_lshlrev_b32_e32 v0, 3, v145
	v_lshl_or_b32 v75, v18, 5, v4
	s_mov_b32 s16, 0
	s_mov_b64 s[8:9], -1
	v_mov_b32_e32 v79, 0x7f800000
	v_mov_b32_e32 v80, 0x7f800000
	;; [unrolled: 1-line block ×40, first 2 shown]
	v_lshl_add_u32 v147, v74, 5, v0
	v_add_u32_e32 v148, 0x4000, v75
	v_mov_b32_e32 v119, 0x7f800000
	v_mov_b32_e32 v120, 0x7f800000
	;; [unrolled: 1-line block ×23, first 2 shown]
	s_waitcnt vmcnt(0) lgkmcnt(0)
	ds_write_b64 v75, v[8:9] offset:16384
	ds_write2st64_b64 v147, v[10:11], v[12:13] offset1:4
	ds_write2st64_b64 v147, v[14:15], v[16:17] offset0:8 offset1:12
	s_waitcnt lgkmcnt(0)
	s_barrier
.LBB106_9:                              ; =>This Inner Loop Header: Depth=1
	v_cndmask_b32_e64 v0, 0, 1, s[8:9]
	s_lshl_b32 s8, s16, 3
	v_cmp_ne_u32_e32 vcc, 1, v0
	v_lshl_add_u32 v0, v137, 5, s8
	v_lshl_add_u32 v20, v138, 5, s8
	ds_read_b128 v[32:35], v0
	ds_read_b128 v[28:31], v0 offset:1024
	ds_read_b128 v[24:27], v0 offset:2048
	;; [unrolled: 1-line block ×15, first 2 shown]
	s_waitcnt lgkmcnt(7)
	v_add_f64 v[76:77], v[34:35], v[152:153]
	v_add_f64 v[154:155], v[32:33], v[150:151]
	v_cvt_f32_f64_e32 v149, v[154:155]
	v_cvt_f32_f64_e32 v76, v[76:77]
	v_min3_f32 v143, v149, v76, v143
	v_add_f64 v[76:77], v[30:31], v[152:153]
	v_add_f64 v[154:155], v[28:29], v[150:151]
	v_cvt_f32_f64_e32 v149, v[154:155]
	v_cvt_f32_f64_e32 v76, v[76:77]
	v_min3_f32 v142, v149, v76, v142
	;; [unrolled: 5-line block ×8, first 2 shown]
	s_waitcnt lgkmcnt(6)
	v_add_f64 v[76:77], v[34:35], v[58:59]
	v_add_f64 v[150:151], v[32:33], v[56:57]
	v_cvt_f32_f64_e32 v149, v[150:151]
	v_cvt_f32_f64_e32 v76, v[76:77]
	v_min3_f32 v133, v149, v76, v133
	v_add_f64 v[76:77], v[30:31], v[58:59]
	v_add_f64 v[150:151], v[28:29], v[56:57]
	v_cvt_f32_f64_e32 v149, v[150:151]
	v_cvt_f32_f64_e32 v76, v[76:77]
	v_min3_f32 v132, v149, v76, v132
	v_add_f64 v[76:77], v[26:27], v[58:59]
	v_add_f64 v[150:151], v[24:25], v[56:57]
	v_cvt_f32_f64_e32 v149, v[150:151]
	v_cvt_f32_f64_e32 v76, v[76:77]
	v_min3_f32 v131, v149, v76, v131
	v_add_f64 v[76:77], v[18:19], v[58:59]
	v_add_f64 v[150:151], v[16:17], v[56:57]
	v_cvt_f32_f64_e32 v149, v[150:151]
	v_cvt_f32_f64_e32 v76, v[76:77]
	v_min3_f32 v130, v149, v76, v130
	v_add_f64 v[76:77], v[14:15], v[58:59]
	v_add_f64 v[150:151], v[12:13], v[56:57]
	v_cvt_f32_f64_e32 v149, v[150:151]
	v_cvt_f32_f64_e32 v76, v[76:77]
	v_min3_f32 v129, v149, v76, v129
	v_add_f64 v[76:77], v[10:11], v[58:59]
	v_add_f64 v[150:151], v[8:9], v[56:57]
	v_cvt_f32_f64_e32 v149, v[150:151]
	v_cvt_f32_f64_e32 v76, v[76:77]
	v_min3_f32 v128, v149, v76, v128
	v_add_f64 v[76:77], v[6:7], v[58:59]
	v_add_f64 v[150:151], v[4:5], v[56:57]
	v_add_f64 v[58:59], v[2:3], v[58:59]
	v_add_f64 v[56:57], v[0:1], v[56:57]
	v_cvt_f32_f64_e32 v56, v[56:57]
	v_cvt_f32_f64_e32 v57, v[58:59]
	v_min3_f32 v126, v56, v57, v126
	s_waitcnt lgkmcnt(5)
	v_add_f64 v[56:57], v[34:35], v[54:55]
	v_add_f64 v[58:59], v[32:33], v[52:53]
	v_cvt_f32_f64_e32 v58, v[58:59]
	v_cvt_f32_f64_e32 v56, v[56:57]
	v_min3_f32 v125, v58, v56, v125
	v_add_f64 v[56:57], v[30:31], v[54:55]
	v_add_f64 v[58:59], v[28:29], v[52:53]
	v_cvt_f32_f64_e32 v58, v[58:59]
	v_cvt_f32_f64_e32 v56, v[56:57]
	v_min3_f32 v124, v58, v56, v124
	v_add_f64 v[56:57], v[26:27], v[54:55]
	v_add_f64 v[58:59], v[24:25], v[52:53]
	v_cvt_f32_f64_e32 v58, v[58:59]
	v_cvt_f32_f64_e32 v56, v[56:57]
	v_min3_f32 v123, v58, v56, v123
	v_add_f64 v[56:57], v[18:19], v[54:55]
	v_add_f64 v[58:59], v[16:17], v[52:53]
	v_cvt_f32_f64_e32 v58, v[58:59]
	v_cvt_f32_f64_e32 v56, v[56:57]
	v_min3_f32 v122, v58, v56, v122
	v_add_f64 v[56:57], v[14:15], v[54:55]
	v_add_f64 v[58:59], v[12:13], v[52:53]
	v_cvt_f32_f64_e32 v58, v[58:59]
	v_cvt_f32_f64_e32 v56, v[56:57]
	v_min3_f32 v121, v58, v56, v121
	v_add_f64 v[56:57], v[10:11], v[54:55]
	v_add_f64 v[58:59], v[8:9], v[52:53]
	v_cvt_f32_f64_e32 v58, v[58:59]
	v_cvt_f32_f64_e32 v56, v[56:57]
	v_min3_f32 v120, v58, v56, v120
	v_add_f64 v[56:57], v[6:7], v[54:55]
	v_add_f64 v[58:59], v[4:5], v[52:53]
	v_add_f64 v[54:55], v[2:3], v[54:55]
	v_add_f64 v[52:53], v[0:1], v[52:53]
	v_cvt_f32_f64_e32 v52, v[52:53]
	v_cvt_f32_f64_e32 v53, v[54:55]
	v_min3_f32 v118, v52, v53, v118
	;; [unrolled: 38-line block ×5, first 2 shown]
	s_waitcnt lgkmcnt(1)
	v_add_f64 v[40:41], v[34:35], v[38:39]
	v_add_f64 v[42:43], v[32:33], v[36:37]
	v_cvt_f32_f64_e32 v42, v[42:43]
	v_cvt_f32_f64_e32 v40, v[40:41]
	v_min3_f32 v93, v42, v40, v93
	v_add_f64 v[40:41], v[30:31], v[38:39]
	v_add_f64 v[42:43], v[28:29], v[36:37]
	v_cvt_f32_f64_e32 v42, v[42:43]
	v_cvt_f32_f64_e32 v40, v[40:41]
	v_min3_f32 v92, v42, v40, v92
	v_add_f64 v[40:41], v[26:27], v[38:39]
	v_add_f64 v[42:43], v[24:25], v[36:37]
	v_cvt_f32_f64_e32 v42, v[42:43]
	v_cvt_f32_f64_e32 v40, v[40:41]
	v_min3_f32 v91, v42, v40, v91
	v_add_f64 v[40:41], v[18:19], v[38:39]
	v_add_f64 v[42:43], v[16:17], v[36:37]
	v_cvt_f32_f64_e32 v42, v[42:43]
	v_cvt_f32_f64_e32 v40, v[40:41]
	v_min3_f32 v90, v42, v40, v90
	v_add_f64 v[40:41], v[14:15], v[38:39]
	v_add_f64 v[42:43], v[12:13], v[36:37]
	v_cvt_f32_f64_e32 v42, v[42:43]
	v_cvt_f32_f64_e32 v40, v[40:41]
	v_min3_f32 v89, v42, v40, v89
	v_add_f64 v[40:41], v[10:11], v[38:39]
	v_add_f64 v[42:43], v[8:9], v[36:37]
	v_cvt_f32_f64_e32 v42, v[42:43]
	v_cvt_f32_f64_e32 v40, v[40:41]
	v_min3_f32 v88, v42, v40, v88
	v_add_f64 v[40:41], v[6:7], v[38:39]
	v_add_f64 v[42:43], v[4:5], v[36:37]
	;; [unrolled: 1-line block ×4, first 2 shown]
	s_waitcnt lgkmcnt(0)
	v_add_f64 v[34:35], v[34:35], v[22:23]
	v_add_f64 v[32:33], v[32:33], v[20:21]
	;; [unrolled: 1-line block ×16, first 2 shown]
	v_cvt_f32_f64_e32 v149, v[150:151]
	v_cvt_f32_f64_e32 v76, v[76:77]
	;; [unrolled: 1-line block ×30, first 2 shown]
	v_min3_f32 v127, v149, v76, v127
	v_min3_f32 v119, v58, v56, v119
	v_min3_f32 v111, v54, v52, v111
	v_min3_f32 v103, v50, v48, v103
	v_min3_f32 v95, v46, v44, v95
	v_min3_f32 v87, v42, v40, v87
	v_min3_f32 v86, v36, v37, v86
	v_min3_f32 v85, v32, v33, v85
	v_min3_f32 v84, v28, v29, v84
	v_min3_f32 v83, v24, v25, v83
	v_min3_f32 v82, v16, v17, v82
	v_min3_f32 v81, v12, v13, v81
	v_min3_f32 v80, v8, v9, v80
	v_min3_f32 v79, v4, v5, v79
	v_min3_f32 v78, v0, v1, v78
	s_mov_b64 s[8:9], 0
	s_mov_b32 s16, 2
	s_cbranch_vccz .LBB106_9
; %bb.10:
	s_load_dword s10, s[0:1], 0x8
	v_lshlrev_b32_e32 v0, 5, v74
	v_lshl_add_u32 v0, v145, 3, v0
	ds_write2st64_b64 v0, v[66:67], v[68:69] offset0:16 offset1:20
	ds_write2st64_b64 v0, v[70:71], v[72:73] offset0:24 offset1:28
	ds_write_b64 v75, v[64:65] offset:18432
	s_waitcnt lgkmcnt(0)
	s_cmp_lt_i32 s10, 9
	s_barrier
	s_cbranch_scc1 .LBB106_17
; %bb.11:
	v_add_u32_e32 v149, 0x2000, v0
	v_add_u32_e32 v150, 0x4800, v75
	s_add_i32 s10, s10, -8
	v_lshl_add_u64 v[62:63], v[62:63], 3, s[14:15]
	s_mov_b32 s11, 8
	s_mov_b32 s14, 0
	v_mov_b32_e32 v65, 0
.LBB106_12:                             ; =>This Loop Header: Depth=1
                                        ;     Child Loop BB106_13 Depth 2
                                        ;     Child Loop BB106_15 Depth 2
	v_add_u32_e32 v3, s11, v145
	v_mad_u64_u32 v[0:1], s[8:9], v3, s20, 0
	v_mov_b32_e32 v2, v1
	v_mad_u64_u32 v[2:3], s[8:9], v3, s21, v[2:3]
	v_mov_b32_e32 v1, v2
	v_lshl_add_u64 v[0:1], v[0:1], 3, v[62:63]
	flat_load_dwordx2 v[68:69], v[0:1]
	flat_load_dwordx2 v[70:71], v[0:1] offset:512
	flat_load_dwordx2 v[72:73], v[0:1] offset:1024
	;; [unrolled: 1-line block ×3, first 2 shown]
	v_or_b32_e32 v64, s11, v144
	v_lshl_add_u64 v[66:67], v[64:65], 3, v[60:61]
	flat_load_dwordx2 v[76:77], v[66:67]
	s_mov_b64 s[8:9], -1
	s_mov_b32 s15, 0
.LBB106_13:                             ;   Parent Loop BB106_12 Depth=1
                                        ; =>  This Inner Loop Header: Depth=2
	v_cndmask_b32_e64 v0, 0, 1, s[8:9]
	s_lshl_b32 s8, s15, 3
	v_cmp_ne_u32_e32 vcc, 1, v0
	v_lshl_add_u32 v0, v137, 5, s8
	v_lshl_add_u32 v20, v138, 5, s8
	ds_read_b128 v[32:35], v0 offset:8192
	ds_read_b128 v[28:31], v0 offset:9216
	;; [unrolled: 1-line block ×16, first 2 shown]
	s_waitcnt lgkmcnt(0)
	v_add_f64 v[156:157], v[34:35], v[154:155]
	v_add_f64 v[158:159], v[32:33], v[152:153]
	v_cvt_f32_f64_e32 v64, v[158:159]
	v_cvt_f32_f64_e32 v151, v[156:157]
	v_add_f64 v[156:157], v[30:31], v[154:155]
	v_add_f64 v[158:159], v[28:29], v[152:153]
	v_min3_f32 v143, v64, v151, v143
	v_cvt_f32_f64_e32 v64, v[158:159]
	v_cvt_f32_f64_e32 v151, v[156:157]
	v_add_f64 v[156:157], v[26:27], v[154:155]
	v_add_f64 v[158:159], v[24:25], v[152:153]
	v_min3_f32 v142, v64, v151, v142
	;; [unrolled: 5-line block ×13, first 2 shown]
	v_cvt_f32_f64_e32 v64, v[154:155]
	v_cvt_f32_f64_e32 v151, v[152:153]
	v_add_f64 v[152:153], v[6:7], v[58:59]
	v_add_f64 v[154:155], v[4:5], v[56:57]
	v_add_f64 v[58:59], v[2:3], v[58:59]
	v_add_f64 v[56:57], v[0:1], v[56:57]
	v_cvt_f32_f64_e32 v56, v[56:57]
	v_cvt_f32_f64_e32 v57, v[58:59]
	v_min3_f32 v126, v56, v57, v126
	v_add_f64 v[56:57], v[34:35], v[54:55]
	v_add_f64 v[58:59], v[32:33], v[52:53]
	v_cvt_f32_f64_e32 v58, v[58:59]
	v_cvt_f32_f64_e32 v56, v[56:57]
	v_min3_f32 v125, v58, v56, v125
	v_add_f64 v[56:57], v[30:31], v[54:55]
	v_add_f64 v[58:59], v[28:29], v[52:53]
	v_cvt_f32_f64_e32 v58, v[58:59]
	v_cvt_f32_f64_e32 v56, v[56:57]
	v_min3_f32 v124, v58, v56, v124
	v_add_f64 v[56:57], v[26:27], v[54:55]
	v_add_f64 v[58:59], v[24:25], v[52:53]
	v_cvt_f32_f64_e32 v58, v[58:59]
	v_cvt_f32_f64_e32 v56, v[56:57]
	v_min3_f32 v123, v58, v56, v123
	v_add_f64 v[56:57], v[18:19], v[54:55]
	v_add_f64 v[58:59], v[16:17], v[52:53]
	v_cvt_f32_f64_e32 v58, v[58:59]
	v_cvt_f32_f64_e32 v56, v[56:57]
	v_min3_f32 v122, v58, v56, v122
	v_add_f64 v[56:57], v[14:15], v[54:55]
	v_add_f64 v[58:59], v[12:13], v[52:53]
	v_cvt_f32_f64_e32 v58, v[58:59]
	v_cvt_f32_f64_e32 v56, v[56:57]
	v_min3_f32 v121, v58, v56, v121
	v_add_f64 v[56:57], v[10:11], v[54:55]
	v_add_f64 v[58:59], v[8:9], v[52:53]
	v_cvt_f32_f64_e32 v58, v[58:59]
	v_cvt_f32_f64_e32 v56, v[56:57]
	v_min3_f32 v120, v58, v56, v120
	v_add_f64 v[56:57], v[6:7], v[54:55]
	v_add_f64 v[58:59], v[4:5], v[52:53]
	v_add_f64 v[54:55], v[2:3], v[54:55]
	v_add_f64 v[52:53], v[0:1], v[52:53]
	v_cvt_f32_f64_e32 v52, v[52:53]
	v_cvt_f32_f64_e32 v53, v[54:55]
	v_min3_f32 v118, v52, v53, v118
	v_add_f64 v[52:53], v[34:35], v[50:51]
	v_add_f64 v[54:55], v[32:33], v[48:49]
	v_cvt_f32_f64_e32 v54, v[54:55]
	v_cvt_f32_f64_e32 v52, v[52:53]
	v_min3_f32 v117, v54, v52, v117
	v_add_f64 v[52:53], v[30:31], v[50:51]
	v_add_f64 v[54:55], v[28:29], v[48:49]
	v_cvt_f32_f64_e32 v54, v[54:55]
	v_cvt_f32_f64_e32 v52, v[52:53]
	v_min3_f32 v116, v54, v52, v116
	v_add_f64 v[52:53], v[26:27], v[50:51]
	v_add_f64 v[54:55], v[24:25], v[48:49]
	v_cvt_f32_f64_e32 v54, v[54:55]
	v_cvt_f32_f64_e32 v52, v[52:53]
	v_min3_f32 v115, v54, v52, v115
	v_add_f64 v[52:53], v[18:19], v[50:51]
	v_add_f64 v[54:55], v[16:17], v[48:49]
	v_cvt_f32_f64_e32 v54, v[54:55]
	v_cvt_f32_f64_e32 v52, v[52:53]
	v_min3_f32 v114, v54, v52, v114
	v_add_f64 v[52:53], v[14:15], v[50:51]
	v_add_f64 v[54:55], v[12:13], v[48:49]
	v_cvt_f32_f64_e32 v54, v[54:55]
	v_cvt_f32_f64_e32 v52, v[52:53]
	v_min3_f32 v113, v54, v52, v113
	v_add_f64 v[52:53], v[10:11], v[50:51]
	v_add_f64 v[54:55], v[8:9], v[48:49]
	v_cvt_f32_f64_e32 v54, v[54:55]
	v_cvt_f32_f64_e32 v52, v[52:53]
	v_min3_f32 v112, v54, v52, v112
	;; [unrolled: 37-line block ×5, first 2 shown]
	v_add_f64 v[40:41], v[6:7], v[38:39]
	v_add_f64 v[42:43], v[4:5], v[36:37]
	;; [unrolled: 1-line block ×20, first 2 shown]
	v_min3_f32 v128, v64, v151, v128
	v_cvt_f32_f64_e32 v64, v[154:155]
	v_cvt_f32_f64_e32 v151, v[152:153]
	;; [unrolled: 1-line block ×30, first 2 shown]
	v_min3_f32 v127, v64, v151, v127
	v_min3_f32 v119, v58, v56, v119
	;; [unrolled: 1-line block ×15, first 2 shown]
	s_mov_b32 s15, 2
	s_mov_b64 s[8:9], 0
	s_cbranch_vccz .LBB106_13
; %bb.14:                               ;   in Loop: Header=BB106_12 Depth=1
	v_add_u32_e32 v3, s11, v146
	v_mad_u64_u32 v[0:1], s[8:9], v3, s20, 0
	v_mov_b32_e32 v2, v1
	v_mad_u64_u32 v[2:3], s[8:9], v3, s21, v[2:3]
	v_mov_b32_e32 v1, v2
	v_lshl_add_u64 v[0:1], v[0:1], 3, v[62:63]
	s_waitcnt vmcnt(0)
	ds_write2st64_b64 v147, v[68:69], v[70:71] offset1:4
	ds_write2st64_b64 v147, v[72:73], v[74:75] offset0:8 offset1:12
	ds_write_b64 v148, v[76:77]
	s_waitcnt lgkmcnt(0)
	s_barrier
	flat_load_dwordx2 v[68:69], v[0:1]
	flat_load_dwordx2 v[70:71], v[0:1] offset:512
	flat_load_dwordx2 v[72:73], v[0:1] offset:1024
	;; [unrolled: 1-line block ×4, first 2 shown]
	s_mov_b32 s15, 0
	s_mov_b64 s[8:9], -1
.LBB106_15:                             ;   Parent Loop BB106_12 Depth=1
                                        ; =>  This Inner Loop Header: Depth=2
	v_cndmask_b32_e64 v0, 0, 1, s[8:9]
	s_lshl_b32 s8, s15, 3
	v_cmp_ne_u32_e32 vcc, 1, v0
	v_lshl_add_u32 v0, v137, 5, s8
	v_lshl_add_u32 v20, v138, 5, s8
	ds_read_b128 v[32:35], v0
	ds_read_b128 v[28:31], v0 offset:1024
	ds_read_b128 v[24:27], v0 offset:2048
	;; [unrolled: 1-line block ×15, first 2 shown]
	s_waitcnt lgkmcnt(0)
	v_add_f64 v[66:67], v[34:35], v[154:155]
	v_add_f64 v[156:157], v[32:33], v[152:153]
	v_cvt_f32_f64_e32 v64, v[156:157]
	v_cvt_f32_f64_e32 v66, v[66:67]
	v_min3_f32 v143, v64, v66, v143
	v_add_f64 v[66:67], v[30:31], v[154:155]
	v_add_f64 v[156:157], v[28:29], v[152:153]
	v_cvt_f32_f64_e32 v64, v[156:157]
	v_cvt_f32_f64_e32 v66, v[66:67]
	v_min3_f32 v142, v64, v66, v142
	;; [unrolled: 5-line block ×14, first 2 shown]
	v_add_f64 v[66:67], v[6:7], v[58:59]
	v_add_f64 v[152:153], v[4:5], v[56:57]
	v_add_f64 v[58:59], v[2:3], v[58:59]
	v_add_f64 v[56:57], v[0:1], v[56:57]
	v_cvt_f32_f64_e32 v56, v[56:57]
	v_cvt_f32_f64_e32 v57, v[58:59]
	v_min3_f32 v126, v56, v57, v126
	v_add_f64 v[56:57], v[34:35], v[54:55]
	v_add_f64 v[58:59], v[32:33], v[52:53]
	v_cvt_f32_f64_e32 v58, v[58:59]
	v_cvt_f32_f64_e32 v56, v[56:57]
	v_min3_f32 v125, v58, v56, v125
	v_add_f64 v[56:57], v[30:31], v[54:55]
	v_add_f64 v[58:59], v[28:29], v[52:53]
	v_cvt_f32_f64_e32 v58, v[58:59]
	v_cvt_f32_f64_e32 v56, v[56:57]
	v_min3_f32 v124, v58, v56, v124
	v_add_f64 v[56:57], v[26:27], v[54:55]
	v_add_f64 v[58:59], v[24:25], v[52:53]
	v_cvt_f32_f64_e32 v58, v[58:59]
	v_cvt_f32_f64_e32 v56, v[56:57]
	v_min3_f32 v123, v58, v56, v123
	v_add_f64 v[56:57], v[18:19], v[54:55]
	v_add_f64 v[58:59], v[16:17], v[52:53]
	v_cvt_f32_f64_e32 v58, v[58:59]
	v_cvt_f32_f64_e32 v56, v[56:57]
	v_min3_f32 v122, v58, v56, v122
	v_add_f64 v[56:57], v[14:15], v[54:55]
	v_add_f64 v[58:59], v[12:13], v[52:53]
	v_cvt_f32_f64_e32 v58, v[58:59]
	v_cvt_f32_f64_e32 v56, v[56:57]
	v_min3_f32 v121, v58, v56, v121
	v_add_f64 v[56:57], v[10:11], v[54:55]
	v_add_f64 v[58:59], v[8:9], v[52:53]
	v_cvt_f32_f64_e32 v58, v[58:59]
	v_cvt_f32_f64_e32 v56, v[56:57]
	v_min3_f32 v120, v58, v56, v120
	v_add_f64 v[56:57], v[6:7], v[54:55]
	v_add_f64 v[58:59], v[4:5], v[52:53]
	v_add_f64 v[54:55], v[2:3], v[54:55]
	v_add_f64 v[52:53], v[0:1], v[52:53]
	v_cvt_f32_f64_e32 v52, v[52:53]
	v_cvt_f32_f64_e32 v53, v[54:55]
	v_min3_f32 v118, v52, v53, v118
	v_add_f64 v[52:53], v[34:35], v[50:51]
	v_add_f64 v[54:55], v[32:33], v[48:49]
	v_cvt_f32_f64_e32 v54, v[54:55]
	v_cvt_f32_f64_e32 v52, v[52:53]
	v_min3_f32 v117, v54, v52, v117
	v_add_f64 v[52:53], v[30:31], v[50:51]
	v_add_f64 v[54:55], v[28:29], v[48:49]
	v_cvt_f32_f64_e32 v54, v[54:55]
	v_cvt_f32_f64_e32 v52, v[52:53]
	v_min3_f32 v116, v54, v52, v116
	v_add_f64 v[52:53], v[26:27], v[50:51]
	v_add_f64 v[54:55], v[24:25], v[48:49]
	v_cvt_f32_f64_e32 v54, v[54:55]
	v_cvt_f32_f64_e32 v52, v[52:53]
	v_min3_f32 v115, v54, v52, v115
	v_add_f64 v[52:53], v[18:19], v[50:51]
	v_add_f64 v[54:55], v[16:17], v[48:49]
	v_cvt_f32_f64_e32 v54, v[54:55]
	v_cvt_f32_f64_e32 v52, v[52:53]
	v_min3_f32 v114, v54, v52, v114
	v_add_f64 v[52:53], v[14:15], v[50:51]
	v_add_f64 v[54:55], v[12:13], v[48:49]
	v_cvt_f32_f64_e32 v54, v[54:55]
	v_cvt_f32_f64_e32 v52, v[52:53]
	v_min3_f32 v113, v54, v52, v113
	v_add_f64 v[52:53], v[10:11], v[50:51]
	v_add_f64 v[54:55], v[8:9], v[48:49]
	v_cvt_f32_f64_e32 v54, v[54:55]
	v_cvt_f32_f64_e32 v52, v[52:53]
	v_min3_f32 v112, v54, v52, v112
	;; [unrolled: 37-line block ×5, first 2 shown]
	v_add_f64 v[40:41], v[6:7], v[38:39]
	v_add_f64 v[42:43], v[4:5], v[36:37]
	;; [unrolled: 1-line block ×20, first 2 shown]
	v_cvt_f32_f64_e32 v64, v[152:153]
	v_cvt_f32_f64_e32 v66, v[66:67]
	;; [unrolled: 1-line block ×30, first 2 shown]
	v_min3_f32 v127, v64, v66, v127
	v_min3_f32 v119, v58, v56, v119
	;; [unrolled: 1-line block ×15, first 2 shown]
	s_mov_b32 s15, 2
	s_mov_b64 s[8:9], 0
	s_cbranch_vccz .LBB106_15
; %bb.16:                               ;   in Loop: Header=BB106_12 Depth=1
	s_add_i32 s11, s11, 8
	s_add_i32 s14, s14, 8
	s_cmp_ge_i32 s14, s10
	s_waitcnt vmcnt(0)
	ds_write2st64_b64 v149, v[68:69], v[70:71] offset1:4
	ds_write2st64_b64 v149, v[72:73], v[74:75] offset0:8 offset1:12
	ds_write_b64 v150, v[76:77]
	s_waitcnt lgkmcnt(0)
	s_barrier
	s_cbranch_scc0 .LBB106_12
.LBB106_17:
	s_mov_b32 s10, 0
	s_mov_b64 s[8:9], -1
.LBB106_18:                             ; =>This Inner Loop Header: Depth=1
	v_cndmask_b32_e64 v0, 0, 1, s[8:9]
	s_lshl_b32 s8, s10, 3
	v_cmp_ne_u32_e32 vcc, 1, v0
	v_lshl_add_u32 v0, v137, 5, s8
	v_lshl_add_u32 v20, v138, 5, s8
	ds_read_b128 v[32:35], v0 offset:8192
	ds_read_b128 v[28:31], v0 offset:9216
	;; [unrolled: 1-line block ×16, first 2 shown]
	s_waitcnt lgkmcnt(7)
	v_add_f64 v[64:65], v[34:35], v[62:63]
	v_add_f64 v[66:67], v[32:33], v[60:61]
	v_cvt_f32_f64_e32 v66, v[66:67]
	v_cvt_f32_f64_e32 v64, v[64:65]
	v_min3_f32 v143, v66, v64, v143
	v_add_f64 v[64:65], v[30:31], v[62:63]
	v_add_f64 v[66:67], v[28:29], v[60:61]
	v_cvt_f32_f64_e32 v66, v[66:67]
	v_cvt_f32_f64_e32 v64, v[64:65]
	v_min3_f32 v142, v66, v64, v142
	v_add_f64 v[64:65], v[26:27], v[62:63]
	v_add_f64 v[66:67], v[24:25], v[60:61]
	v_cvt_f32_f64_e32 v66, v[66:67]
	v_cvt_f32_f64_e32 v64, v[64:65]
	v_min3_f32 v141, v66, v64, v141
	v_add_f64 v[64:65], v[18:19], v[62:63]
	v_add_f64 v[66:67], v[16:17], v[60:61]
	v_cvt_f32_f64_e32 v66, v[66:67]
	v_cvt_f32_f64_e32 v64, v[64:65]
	v_min3_f32 v140, v66, v64, v140
	v_add_f64 v[64:65], v[14:15], v[62:63]
	v_add_f64 v[66:67], v[12:13], v[60:61]
	v_cvt_f32_f64_e32 v66, v[66:67]
	v_cvt_f32_f64_e32 v64, v[64:65]
	v_min3_f32 v139, v66, v64, v139
	v_add_f64 v[64:65], v[10:11], v[62:63]
	v_add_f64 v[66:67], v[8:9], v[60:61]
	v_cvt_f32_f64_e32 v66, v[66:67]
	v_cvt_f32_f64_e32 v64, v[64:65]
	v_min3_f32 v136, v66, v64, v136
	v_add_f64 v[64:65], v[6:7], v[62:63]
	v_add_f64 v[66:67], v[4:5], v[60:61]
	v_add_f64 v[62:63], v[2:3], v[62:63]
	v_add_f64 v[60:61], v[0:1], v[60:61]
	v_cvt_f32_f64_e32 v60, v[60:61]
	v_cvt_f32_f64_e32 v61, v[62:63]
	v_min3_f32 v134, v60, v61, v134
	s_waitcnt lgkmcnt(6)
	v_add_f64 v[60:61], v[34:35], v[58:59]
	v_add_f64 v[62:63], v[32:33], v[56:57]
	v_cvt_f32_f64_e32 v62, v[62:63]
	v_cvt_f32_f64_e32 v60, v[60:61]
	v_min3_f32 v133, v62, v60, v133
	v_add_f64 v[60:61], v[30:31], v[58:59]
	v_add_f64 v[62:63], v[28:29], v[56:57]
	v_cvt_f32_f64_e32 v62, v[62:63]
	v_cvt_f32_f64_e32 v60, v[60:61]
	v_min3_f32 v132, v62, v60, v132
	v_add_f64 v[60:61], v[26:27], v[58:59]
	v_add_f64 v[62:63], v[24:25], v[56:57]
	v_cvt_f32_f64_e32 v62, v[62:63]
	v_cvt_f32_f64_e32 v60, v[60:61]
	v_min3_f32 v131, v62, v60, v131
	v_add_f64 v[60:61], v[18:19], v[58:59]
	v_add_f64 v[62:63], v[16:17], v[56:57]
	v_cvt_f32_f64_e32 v62, v[62:63]
	v_cvt_f32_f64_e32 v60, v[60:61]
	v_min3_f32 v130, v62, v60, v130
	v_add_f64 v[60:61], v[14:15], v[58:59]
	v_add_f64 v[62:63], v[12:13], v[56:57]
	v_cvt_f32_f64_e32 v62, v[62:63]
	v_cvt_f32_f64_e32 v60, v[60:61]
	v_min3_f32 v129, v62, v60, v129
	v_add_f64 v[60:61], v[10:11], v[58:59]
	v_add_f64 v[62:63], v[8:9], v[56:57]
	v_cvt_f32_f64_e32 v62, v[62:63]
	v_cvt_f32_f64_e32 v60, v[60:61]
	v_min3_f32 v128, v62, v60, v128
	v_add_f64 v[60:61], v[6:7], v[58:59]
	v_add_f64 v[62:63], v[4:5], v[56:57]
	v_add_f64 v[58:59], v[2:3], v[58:59]
	v_add_f64 v[56:57], v[0:1], v[56:57]
	v_cvt_f32_f64_e32 v56, v[56:57]
	v_cvt_f32_f64_e32 v57, v[58:59]
	v_min3_f32 v126, v56, v57, v126
	;; [unrolled: 38-line block ×6, first 2 shown]
	s_waitcnt lgkmcnt(1)
	v_add_f64 v[40:41], v[34:35], v[38:39]
	v_add_f64 v[42:43], v[32:33], v[36:37]
	v_cvt_f32_f64_e32 v42, v[42:43]
	v_cvt_f32_f64_e32 v40, v[40:41]
	v_min3_f32 v93, v42, v40, v93
	v_add_f64 v[40:41], v[30:31], v[38:39]
	v_add_f64 v[42:43], v[28:29], v[36:37]
	v_cvt_f32_f64_e32 v42, v[42:43]
	v_cvt_f32_f64_e32 v40, v[40:41]
	v_min3_f32 v92, v42, v40, v92
	;; [unrolled: 5-line block ×6, first 2 shown]
	v_add_f64 v[40:41], v[6:7], v[38:39]
	v_add_f64 v[42:43], v[4:5], v[36:37]
	;; [unrolled: 1-line block ×4, first 2 shown]
	s_waitcnt lgkmcnt(0)
	v_add_f64 v[34:35], v[34:35], v[22:23]
	v_add_f64 v[32:33], v[32:33], v[20:21]
	;; [unrolled: 1-line block ×16, first 2 shown]
	v_cvt_f32_f64_e32 v66, v[66:67]
	v_cvt_f32_f64_e32 v64, v[64:65]
	;; [unrolled: 1-line block ×32, first 2 shown]
	v_min3_f32 v135, v66, v64, v135
	v_min3_f32 v127, v62, v60, v127
	;; [unrolled: 1-line block ×16, first 2 shown]
	s_mov_b32 s10, 2
	s_mov_b64 s[8:9], 0
	s_cbranch_vccz .LBB106_18
; %bb.19:
	s_load_dwordx2 s[8:9], s[0:1], 0x78
	s_load_dword s10, s[0:1], 0x58
	s_load_dword s11, s[0:1], 0x70
	v_add_u32_e32 v8, s18, v137
	v_add_u32_e32 v30, s19, v138
	s_waitcnt lgkmcnt(0)
	s_lshl_b64 s[0:1], s[8:9], 3
	s_add_u32 s0, s2, s0
	s_addc_u32 s1, s3, s1
	v_add_u32_e32 v0, 32, v8
	v_mad_i64_i32 v[2:3], s[2:3], v30, s11, 0
	v_ashrrev_i32_e32 v9, 31, v8
	v_ashrrev_i32_e32 v1, 31, v0
	v_lshl_add_u64 v[24:25], v[2:3], 3, s[0:1]
	v_mad_i64_i32 v[2:3], s[2:3], v30, s10, 0
	v_max_f32_e32 v4, v143, v143
	s_mov_b64 vcc, s[4:5]
	s_cbranch_vccz .LBB106_22
; %bb.20:
	v_min_f32_e32 v5, 0, v4
	v_cvt_f64_f32_e32 v[6:7], v5
	v_lshl_add_u64 v[10:11], v[8:9], 3, v[24:25]
	global_store_dwordx2 v[10:11], v[6:7], off
	s_mov_b64 s[2:3], 0
	v_lshl_add_u64 v[26:27], v[2:3], 3, s[12:13]
	v_lshlrev_b64 v[12:13], 3, v[8:9]
	s_cbranch_execz .LBB106_23
; %bb.21:
	v_mov_b64_e32 v[4:5], s[2:3]
	s_branch .LBB106_24
.LBB106_22:
                                        ; implicit-def: $sgpr2_sgpr3
	v_lshl_add_u64 v[26:27], v[2:3], 3, s[12:13]
	v_lshlrev_b64 v[12:13], 3, v[8:9]
.LBB106_23:
	v_lshl_add_u64 v[2:3], v[26:27], 0, v[12:13]
	flat_load_dwordx2 v[2:3], v[2:3]
	v_lshl_add_u64 v[6:7], v[24:25], 0, v[12:13]
	s_waitcnt vmcnt(0) lgkmcnt(0)
	v_mul_f64 v[2:3], v[2:3], s[6:7]
	v_cvt_f32_f64_e32 v2, v[2:3]
	v_min_f32_e32 v2, v2, v4
	v_cvt_f64_f32_e32 v[2:3], v2
	global_store_dwordx2 v[6:7], v[2:3], off
	v_lshl_add_u64 v[2:3], v[0:1], 3, v[26:27]
	flat_load_dwordx2 v[2:3], v[2:3]
	s_waitcnt vmcnt(0) lgkmcnt(0)
	v_mul_f64 v[4:5], v[2:3], s[6:7]
.LBB106_24:
	v_cvt_f32_f64_e32 v4, v[4:5]
	v_max_f32_e32 v5, v142, v142
	v_min_f32_e32 v4, v4, v5
	v_add_u32_e32 v10, 64, v8
	v_add_u32_e32 v2, 0x60, v8
	v_cvt_f64_f32_e32 v[4:5], v4
	v_lshl_add_u64 v[6:7], v[0:1], 3, v[24:25]
	v_ashrrev_i32_e32 v11, 31, v10
	v_ashrrev_i32_e32 v3, 31, v2
	global_store_dwordx2 v[6:7], v[4:5], off
	v_max_f32_e32 v4, v141, v141
	s_mov_b64 vcc, s[4:5]
	s_cbranch_vccz .LBB106_27
; %bb.25:
	v_min_f32_e32 v5, 0, v4
	v_cvt_f64_f32_e32 v[6:7], v5
	v_lshl_add_u64 v[14:15], v[10:11], 3, v[24:25]
	global_store_dwordx2 v[14:15], v[6:7], off
	s_mov_b64 s[2:3], 0
	v_lshlrev_b64 v[16:17], 3, v[10:11]
	s_cbranch_execz .LBB106_28
; %bb.26:
	v_mov_b64_e32 v[6:7], s[2:3]
	s_branch .LBB106_29
.LBB106_27:
                                        ; implicit-def: $sgpr2_sgpr3
	v_lshlrev_b64 v[16:17], 3, v[10:11]
.LBB106_28:
	v_lshl_add_u64 v[6:7], v[26:27], 0, v[16:17]
	flat_load_dwordx2 v[6:7], v[6:7]
	v_lshl_add_u64 v[14:15], v[24:25], 0, v[16:17]
	s_waitcnt vmcnt(0) lgkmcnt(0)
	v_mul_f64 v[6:7], v[6:7], s[6:7]
	v_cvt_f32_f64_e32 v5, v[6:7]
	v_min_f32_e32 v4, v5, v4
	v_cvt_f64_f32_e32 v[4:5], v4
	global_store_dwordx2 v[14:15], v[4:5], off
	v_lshl_add_u64 v[4:5], v[2:3], 3, v[26:27]
	flat_load_dwordx2 v[4:5], v[4:5]
	s_waitcnt vmcnt(0) lgkmcnt(0)
	v_mul_f64 v[6:7], v[4:5], s[6:7]
.LBB106_29:
	v_cvt_f32_f64_e32 v6, v[6:7]
	v_max_f32_e32 v7, v140, v140
	v_min_f32_e32 v6, v6, v7
	v_add_u32_e32 v14, 0x80, v8
	v_add_u32_e32 v4, 0xa0, v8
	v_cvt_f64_f32_e32 v[6:7], v6
	v_lshl_add_u64 v[18:19], v[2:3], 3, v[24:25]
	v_ashrrev_i32_e32 v15, 31, v14
	v_ashrrev_i32_e32 v5, 31, v4
	global_store_dwordx2 v[18:19], v[6:7], off
	v_max_f32_e32 v6, v139, v139
	s_mov_b64 vcc, s[4:5]
	s_cbranch_vccz .LBB106_32
; %bb.30:
	v_min_f32_e32 v7, 0, v6
	v_cvt_f64_f32_e32 v[18:19], v7
	v_lshl_add_u64 v[20:21], v[14:15], 3, v[24:25]
	global_store_dwordx2 v[20:21], v[18:19], off
	s_mov_b64 s[2:3], 0
	v_lshlrev_b64 v[20:21], 3, v[14:15]
	s_cbranch_execz .LBB106_33
; %bb.31:
	v_mov_b64_e32 v[22:23], s[2:3]
	s_branch .LBB106_34
.LBB106_32:
                                        ; implicit-def: $sgpr2_sgpr3
	v_lshlrev_b64 v[20:21], 3, v[14:15]
.LBB106_33:
	v_lshl_add_u64 v[18:19], v[26:27], 0, v[20:21]
	flat_load_dwordx2 v[18:19], v[18:19]
	v_lshl_add_u64 v[22:23], v[24:25], 0, v[20:21]
	s_waitcnt vmcnt(0) lgkmcnt(0)
	v_mul_f64 v[18:19], v[18:19], s[6:7]
	v_cvt_f32_f64_e32 v7, v[18:19]
	v_min_f32_e32 v6, v7, v6
	v_cvt_f64_f32_e32 v[6:7], v6
	global_store_dwordx2 v[22:23], v[6:7], off
	v_lshl_add_u64 v[6:7], v[4:5], 3, v[26:27]
	flat_load_dwordx2 v[6:7], v[6:7]
	s_waitcnt vmcnt(0) lgkmcnt(0)
	v_mul_f64 v[22:23], v[6:7], s[6:7]
.LBB106_34:
	v_cvt_f32_f64_e32 v22, v[22:23]
	v_max_f32_e32 v23, v136, v136
	v_min_f32_e32 v22, v22, v23
	v_add_u32_e32 v18, 0xc0, v8
	v_add_u32_e32 v6, 0xe0, v8
	v_cvt_f64_f32_e32 v[22:23], v22
	v_lshl_add_u64 v[28:29], v[4:5], 3, v[24:25]
	v_ashrrev_i32_e32 v19, 31, v18
	v_ashrrev_i32_e32 v7, 31, v6
	global_store_dwordx2 v[28:29], v[22:23], off
	v_max_f32_e32 v28, v135, v135
	s_mov_b64 vcc, s[4:5]
	s_cbranch_vccz .LBB106_37
; %bb.35:
	v_min_f32_e32 v22, 0, v28
	v_cvt_f64_f32_e32 v[22:23], v22
	v_lshl_add_u64 v[32:33], v[18:19], 3, v[24:25]
	global_store_dwordx2 v[32:33], v[22:23], off
	s_mov_b64 s[2:3], 0
	v_lshlrev_b64 v[22:23], 3, v[18:19]
	s_cbranch_execz .LBB106_38
; %bb.36:
	v_mov_b64_e32 v[26:27], s[2:3]
	s_branch .LBB106_39
.LBB106_37:
                                        ; implicit-def: $sgpr2_sgpr3
	v_lshlrev_b64 v[22:23], 3, v[18:19]
.LBB106_38:
	v_lshl_add_u64 v[32:33], v[26:27], 0, v[22:23]
	flat_load_dwordx2 v[32:33], v[32:33]
	v_lshl_add_u64 v[34:35], v[24:25], 0, v[22:23]
	v_lshl_add_u64 v[26:27], v[6:7], 3, v[26:27]
	s_waitcnt vmcnt(0) lgkmcnt(0)
	v_mul_f64 v[32:33], v[32:33], s[6:7]
	v_cvt_f32_f64_e32 v29, v[32:33]
	v_min_f32_e32 v28, v29, v28
	v_cvt_f64_f32_e32 v[28:29], v28
	global_store_dwordx2 v[34:35], v[28:29], off
	flat_load_dwordx2 v[26:27], v[26:27]
	s_waitcnt vmcnt(0) lgkmcnt(0)
	v_mul_f64 v[26:27], v[26:27], s[6:7]
.LBB106_39:
	v_cvt_f32_f64_e32 v26, v[26:27]
	v_max_f32_e32 v27, v134, v134
	v_min_f32_e32 v26, v26, v27
	v_cvt_f64_f32_e32 v[26:27], v26
	v_lshl_add_u64 v[24:25], v[6:7], 3, v[24:25]
	global_store_dwordx2 v[24:25], v[26:27], off
	v_add_u32_e32 v26, 8, v30
	v_mad_i64_i32 v[24:25], s[2:3], v26, s11, 0
	v_lshl_add_u64 v[24:25], v[24:25], 3, s[0:1]
	v_mad_i64_i32 v[26:27], s[2:3], v26, s10, 0
	v_max_f32_e32 v28, v133, v133
	s_mov_b64 vcc, s[4:5]
	s_cbranch_vccz .LBB106_42
; %bb.40:
	v_min_f32_e32 v29, 0, v28
	v_cvt_f64_f32_e32 v[32:33], v29
	v_lshl_add_u64 v[34:35], v[8:9], 3, v[24:25]
	global_store_dwordx2 v[34:35], v[32:33], off
	s_mov_b64 s[2:3], 0
	v_lshl_add_u64 v[26:27], v[26:27], 3, s[12:13]
	s_cbranch_execz .LBB106_43
; %bb.41:
	v_mov_b64_e32 v[28:29], s[2:3]
	s_branch .LBB106_44
.LBB106_42:
                                        ; implicit-def: $sgpr2_sgpr3
	v_lshl_add_u64 v[26:27], v[26:27], 3, s[12:13]
.LBB106_43:
	v_lshl_add_u64 v[32:33], v[26:27], 0, v[12:13]
	flat_load_dwordx2 v[32:33], v[32:33]
	v_lshl_add_u64 v[34:35], v[24:25], 0, v[12:13]
	s_waitcnt vmcnt(0) lgkmcnt(0)
	v_mul_f64 v[32:33], v[32:33], s[6:7]
	v_cvt_f32_f64_e32 v29, v[32:33]
	v_min_f32_e32 v28, v29, v28
	v_cvt_f64_f32_e32 v[28:29], v28
	global_store_dwordx2 v[34:35], v[28:29], off
	v_lshl_add_u64 v[28:29], v[0:1], 3, v[26:27]
	flat_load_dwordx2 v[28:29], v[28:29]
	s_waitcnt vmcnt(0) lgkmcnt(0)
	v_mul_f64 v[28:29], v[28:29], s[6:7]
.LBB106_44:
	v_cvt_f32_f64_e32 v28, v[28:29]
	v_max_f32_e32 v29, v132, v132
	v_min_f32_e32 v28, v28, v29
	v_cvt_f64_f32_e32 v[28:29], v28
	v_lshl_add_u64 v[32:33], v[0:1], 3, v[24:25]
	global_store_dwordx2 v[32:33], v[28:29], off
	v_max_f32_e32 v28, v131, v131
	s_mov_b64 vcc, s[4:5]
	s_cbranch_vccz .LBB106_47
; %bb.45:
	v_min_f32_e32 v29, 0, v28
	v_cvt_f64_f32_e32 v[32:33], v29
	v_lshl_add_u64 v[34:35], v[10:11], 3, v[24:25]
	global_store_dwordx2 v[34:35], v[32:33], off
	s_mov_b64 s[2:3], 0
	s_cbranch_execz .LBB106_48
; %bb.46:
	v_mov_b64_e32 v[28:29], s[2:3]
	s_branch .LBB106_49
.LBB106_47:
                                        ; implicit-def: $sgpr2_sgpr3
.LBB106_48:
	v_lshl_add_u64 v[32:33], v[26:27], 0, v[16:17]
	flat_load_dwordx2 v[32:33], v[32:33]
	v_lshl_add_u64 v[34:35], v[24:25], 0, v[16:17]
	s_waitcnt vmcnt(0) lgkmcnt(0)
	v_mul_f64 v[32:33], v[32:33], s[6:7]
	v_cvt_f32_f64_e32 v29, v[32:33]
	v_min_f32_e32 v28, v29, v28
	v_cvt_f64_f32_e32 v[28:29], v28
	global_store_dwordx2 v[34:35], v[28:29], off
	v_lshl_add_u64 v[28:29], v[2:3], 3, v[26:27]
	flat_load_dwordx2 v[28:29], v[28:29]
	s_waitcnt vmcnt(0) lgkmcnt(0)
	v_mul_f64 v[28:29], v[28:29], s[6:7]
.LBB106_49:
	v_cvt_f32_f64_e32 v28, v[28:29]
	v_max_f32_e32 v29, v130, v130
	v_min_f32_e32 v28, v28, v29
	v_cvt_f64_f32_e32 v[28:29], v28
	v_lshl_add_u64 v[32:33], v[2:3], 3, v[24:25]
	global_store_dwordx2 v[32:33], v[28:29], off
	v_max_f32_e32 v28, v129, v129
	s_mov_b64 vcc, s[4:5]
	s_cbranch_vccz .LBB106_52
; %bb.50:
	v_min_f32_e32 v29, 0, v28
	v_cvt_f64_f32_e32 v[32:33], v29
	v_lshl_add_u64 v[34:35], v[14:15], 3, v[24:25]
	global_store_dwordx2 v[34:35], v[32:33], off
	s_mov_b64 s[2:3], 0
	s_cbranch_execz .LBB106_53
; %bb.51:
	v_mov_b64_e32 v[28:29], s[2:3]
	s_branch .LBB106_54
.LBB106_52:
                                        ; implicit-def: $sgpr2_sgpr3
.LBB106_53:
	v_lshl_add_u64 v[32:33], v[26:27], 0, v[20:21]
	flat_load_dwordx2 v[32:33], v[32:33]
	v_lshl_add_u64 v[34:35], v[24:25], 0, v[20:21]
	s_waitcnt vmcnt(0) lgkmcnt(0)
	v_mul_f64 v[32:33], v[32:33], s[6:7]
	v_cvt_f32_f64_e32 v29, v[32:33]
	v_min_f32_e32 v28, v29, v28
	v_cvt_f64_f32_e32 v[28:29], v28
	global_store_dwordx2 v[34:35], v[28:29], off
	v_lshl_add_u64 v[28:29], v[4:5], 3, v[26:27]
	flat_load_dwordx2 v[28:29], v[28:29]
	s_waitcnt vmcnt(0) lgkmcnt(0)
	v_mul_f64 v[28:29], v[28:29], s[6:7]
.LBB106_54:
	v_cvt_f32_f64_e32 v28, v[28:29]
	v_max_f32_e32 v29, v128, v128
	v_min_f32_e32 v28, v28, v29
	v_cvt_f64_f32_e32 v[28:29], v28
	v_lshl_add_u64 v[32:33], v[4:5], 3, v[24:25]
	global_store_dwordx2 v[32:33], v[28:29], off
	v_max_f32_e32 v28, v127, v127
	s_mov_b64 vcc, s[4:5]
	s_cbranch_vccz .LBB106_57
; %bb.55:
	v_min_f32_e32 v29, 0, v28
	v_cvt_f64_f32_e32 v[32:33], v29
	v_lshl_add_u64 v[34:35], v[18:19], 3, v[24:25]
	global_store_dwordx2 v[34:35], v[32:33], off
	s_mov_b64 s[2:3], 0
	s_cbranch_execz .LBB106_58
; %bb.56:
	v_mov_b64_e32 v[26:27], s[2:3]
	s_branch .LBB106_59
.LBB106_57:
                                        ; implicit-def: $sgpr2_sgpr3
.LBB106_58:
	v_lshl_add_u64 v[32:33], v[26:27], 0, v[22:23]
	flat_load_dwordx2 v[32:33], v[32:33]
	v_lshl_add_u64 v[34:35], v[24:25], 0, v[22:23]
	v_lshl_add_u64 v[26:27], v[6:7], 3, v[26:27]
	s_waitcnt vmcnt(0) lgkmcnt(0)
	v_mul_f64 v[32:33], v[32:33], s[6:7]
	v_cvt_f32_f64_e32 v29, v[32:33]
	v_min_f32_e32 v28, v29, v28
	v_cvt_f64_f32_e32 v[28:29], v28
	global_store_dwordx2 v[34:35], v[28:29], off
	flat_load_dwordx2 v[26:27], v[26:27]
	s_waitcnt vmcnt(0) lgkmcnt(0)
	v_mul_f64 v[26:27], v[26:27], s[6:7]
.LBB106_59:
	v_cvt_f32_f64_e32 v26, v[26:27]
	v_max_f32_e32 v27, v126, v126
	v_min_f32_e32 v26, v26, v27
	v_cvt_f64_f32_e32 v[26:27], v26
	v_lshl_add_u64 v[24:25], v[6:7], 3, v[24:25]
	global_store_dwordx2 v[24:25], v[26:27], off
	v_add_u32_e32 v26, 16, v30
	v_mad_i64_i32 v[24:25], s[2:3], v26, s11, 0
	v_lshl_add_u64 v[24:25], v[24:25], 3, s[0:1]
	v_mad_i64_i32 v[26:27], s[2:3], v26, s10, 0
	v_max_f32_e32 v28, v125, v125
	s_mov_b64 vcc, s[4:5]
	s_cbranch_vccz .LBB106_62
; %bb.60:
	v_min_f32_e32 v29, 0, v28
	v_cvt_f64_f32_e32 v[32:33], v29
	v_lshl_add_u64 v[34:35], v[8:9], 3, v[24:25]
	global_store_dwordx2 v[34:35], v[32:33], off
	s_mov_b64 s[2:3], 0
	v_lshl_add_u64 v[26:27], v[26:27], 3, s[12:13]
	s_cbranch_execz .LBB106_63
; %bb.61:
	v_mov_b64_e32 v[28:29], s[2:3]
	s_branch .LBB106_64
.LBB106_62:
                                        ; implicit-def: $sgpr2_sgpr3
	v_lshl_add_u64 v[26:27], v[26:27], 3, s[12:13]
.LBB106_63:
	v_lshl_add_u64 v[32:33], v[26:27], 0, v[12:13]
	flat_load_dwordx2 v[32:33], v[32:33]
	v_lshl_add_u64 v[34:35], v[24:25], 0, v[12:13]
	s_waitcnt vmcnt(0) lgkmcnt(0)
	v_mul_f64 v[32:33], v[32:33], s[6:7]
	v_cvt_f32_f64_e32 v29, v[32:33]
	v_min_f32_e32 v28, v29, v28
	v_cvt_f64_f32_e32 v[28:29], v28
	global_store_dwordx2 v[34:35], v[28:29], off
	v_lshl_add_u64 v[28:29], v[0:1], 3, v[26:27]
	flat_load_dwordx2 v[28:29], v[28:29]
	s_waitcnt vmcnt(0) lgkmcnt(0)
	v_mul_f64 v[28:29], v[28:29], s[6:7]
.LBB106_64:
	v_cvt_f32_f64_e32 v28, v[28:29]
	v_max_f32_e32 v29, v124, v124
	v_min_f32_e32 v28, v28, v29
	v_cvt_f64_f32_e32 v[28:29], v28
	v_lshl_add_u64 v[32:33], v[0:1], 3, v[24:25]
	global_store_dwordx2 v[32:33], v[28:29], off
	v_max_f32_e32 v28, v123, v123
	s_mov_b64 vcc, s[4:5]
	s_cbranch_vccz .LBB106_67
; %bb.65:
	v_min_f32_e32 v29, 0, v28
	v_cvt_f64_f32_e32 v[32:33], v29
	v_lshl_add_u64 v[34:35], v[10:11], 3, v[24:25]
	global_store_dwordx2 v[34:35], v[32:33], off
	s_mov_b64 s[2:3], 0
	s_cbranch_execz .LBB106_68
; %bb.66:
	v_mov_b64_e32 v[28:29], s[2:3]
	s_branch .LBB106_69
.LBB106_67:
                                        ; implicit-def: $sgpr2_sgpr3
.LBB106_68:
	v_lshl_add_u64 v[32:33], v[26:27], 0, v[16:17]
	flat_load_dwordx2 v[32:33], v[32:33]
	v_lshl_add_u64 v[34:35], v[24:25], 0, v[16:17]
	s_waitcnt vmcnt(0) lgkmcnt(0)
	v_mul_f64 v[32:33], v[32:33], s[6:7]
	v_cvt_f32_f64_e32 v29, v[32:33]
	v_min_f32_e32 v28, v29, v28
	v_cvt_f64_f32_e32 v[28:29], v28
	global_store_dwordx2 v[34:35], v[28:29], off
	v_lshl_add_u64 v[28:29], v[2:3], 3, v[26:27]
	flat_load_dwordx2 v[28:29], v[28:29]
	s_waitcnt vmcnt(0) lgkmcnt(0)
	v_mul_f64 v[28:29], v[28:29], s[6:7]
.LBB106_69:
	v_cvt_f32_f64_e32 v28, v[28:29]
	v_max_f32_e32 v29, v122, v122
	v_min_f32_e32 v28, v28, v29
	v_cvt_f64_f32_e32 v[28:29], v28
	v_lshl_add_u64 v[32:33], v[2:3], 3, v[24:25]
	global_store_dwordx2 v[32:33], v[28:29], off
	v_max_f32_e32 v28, v121, v121
	s_mov_b64 vcc, s[4:5]
	s_cbranch_vccz .LBB106_72
; %bb.70:
	v_min_f32_e32 v29, 0, v28
	v_cvt_f64_f32_e32 v[32:33], v29
	v_lshl_add_u64 v[34:35], v[14:15], 3, v[24:25]
	global_store_dwordx2 v[34:35], v[32:33], off
	s_mov_b64 s[2:3], 0
	s_cbranch_execz .LBB106_73
; %bb.71:
	v_mov_b64_e32 v[28:29], s[2:3]
	s_branch .LBB106_74
.LBB106_72:
                                        ; implicit-def: $sgpr2_sgpr3
.LBB106_73:
	v_lshl_add_u64 v[32:33], v[26:27], 0, v[20:21]
	flat_load_dwordx2 v[32:33], v[32:33]
	v_lshl_add_u64 v[34:35], v[24:25], 0, v[20:21]
	s_waitcnt vmcnt(0) lgkmcnt(0)
	v_mul_f64 v[32:33], v[32:33], s[6:7]
	v_cvt_f32_f64_e32 v29, v[32:33]
	v_min_f32_e32 v28, v29, v28
	v_cvt_f64_f32_e32 v[28:29], v28
	global_store_dwordx2 v[34:35], v[28:29], off
	v_lshl_add_u64 v[28:29], v[4:5], 3, v[26:27]
	flat_load_dwordx2 v[28:29], v[28:29]
	s_waitcnt vmcnt(0) lgkmcnt(0)
	v_mul_f64 v[28:29], v[28:29], s[6:7]
.LBB106_74:
	v_cvt_f32_f64_e32 v28, v[28:29]
	v_max_f32_e32 v29, v120, v120
	v_min_f32_e32 v28, v28, v29
	v_cvt_f64_f32_e32 v[28:29], v28
	v_lshl_add_u64 v[32:33], v[4:5], 3, v[24:25]
	global_store_dwordx2 v[32:33], v[28:29], off
	v_max_f32_e32 v28, v119, v119
	s_mov_b64 vcc, s[4:5]
	s_cbranch_vccz .LBB106_77
; %bb.75:
	v_min_f32_e32 v29, 0, v28
	v_cvt_f64_f32_e32 v[32:33], v29
	v_lshl_add_u64 v[34:35], v[18:19], 3, v[24:25]
	global_store_dwordx2 v[34:35], v[32:33], off
	s_mov_b64 s[2:3], 0
	s_cbranch_execz .LBB106_78
; %bb.76:
	v_mov_b64_e32 v[26:27], s[2:3]
	s_branch .LBB106_79
.LBB106_77:
                                        ; implicit-def: $sgpr2_sgpr3
.LBB106_78:
	v_lshl_add_u64 v[32:33], v[26:27], 0, v[22:23]
	flat_load_dwordx2 v[32:33], v[32:33]
	v_lshl_add_u64 v[34:35], v[24:25], 0, v[22:23]
	v_lshl_add_u64 v[26:27], v[6:7], 3, v[26:27]
	s_waitcnt vmcnt(0) lgkmcnt(0)
	v_mul_f64 v[32:33], v[32:33], s[6:7]
	v_cvt_f32_f64_e32 v29, v[32:33]
	v_min_f32_e32 v28, v29, v28
	v_cvt_f64_f32_e32 v[28:29], v28
	global_store_dwordx2 v[34:35], v[28:29], off
	flat_load_dwordx2 v[26:27], v[26:27]
	s_waitcnt vmcnt(0) lgkmcnt(0)
	v_mul_f64 v[26:27], v[26:27], s[6:7]
.LBB106_79:
	v_cvt_f32_f64_e32 v26, v[26:27]
	v_max_f32_e32 v27, v118, v118
	v_min_f32_e32 v26, v26, v27
	v_cvt_f64_f32_e32 v[26:27], v26
	v_lshl_add_u64 v[24:25], v[6:7], 3, v[24:25]
	global_store_dwordx2 v[24:25], v[26:27], off
	v_add_u32_e32 v26, 24, v30
	v_mad_i64_i32 v[24:25], s[2:3], v26, s11, 0
	v_lshl_add_u64 v[24:25], v[24:25], 3, s[0:1]
	v_mad_i64_i32 v[26:27], s[2:3], v26, s10, 0
	v_max_f32_e32 v28, v117, v117
	s_mov_b64 vcc, s[4:5]
	s_cbranch_vccz .LBB106_82
; %bb.80:
	v_min_f32_e32 v29, 0, v28
	v_cvt_f64_f32_e32 v[32:33], v29
	v_lshl_add_u64 v[34:35], v[8:9], 3, v[24:25]
	global_store_dwordx2 v[34:35], v[32:33], off
	s_mov_b64 s[2:3], 0
	v_lshl_add_u64 v[26:27], v[26:27], 3, s[12:13]
	s_cbranch_execz .LBB106_83
; %bb.81:
	v_mov_b64_e32 v[28:29], s[2:3]
	s_branch .LBB106_84
.LBB106_82:
                                        ; implicit-def: $sgpr2_sgpr3
	v_lshl_add_u64 v[26:27], v[26:27], 3, s[12:13]
.LBB106_83:
	v_lshl_add_u64 v[32:33], v[26:27], 0, v[12:13]
	flat_load_dwordx2 v[32:33], v[32:33]
	v_lshl_add_u64 v[34:35], v[24:25], 0, v[12:13]
	s_waitcnt vmcnt(0) lgkmcnt(0)
	v_mul_f64 v[32:33], v[32:33], s[6:7]
	v_cvt_f32_f64_e32 v29, v[32:33]
	v_min_f32_e32 v28, v29, v28
	v_cvt_f64_f32_e32 v[28:29], v28
	global_store_dwordx2 v[34:35], v[28:29], off
	v_lshl_add_u64 v[28:29], v[0:1], 3, v[26:27]
	flat_load_dwordx2 v[28:29], v[28:29]
	s_waitcnt vmcnt(0) lgkmcnt(0)
	v_mul_f64 v[28:29], v[28:29], s[6:7]
.LBB106_84:
	v_cvt_f32_f64_e32 v28, v[28:29]
	v_max_f32_e32 v29, v116, v116
	v_min_f32_e32 v28, v28, v29
	v_cvt_f64_f32_e32 v[28:29], v28
	v_lshl_add_u64 v[32:33], v[0:1], 3, v[24:25]
	global_store_dwordx2 v[32:33], v[28:29], off
	v_max_f32_e32 v28, v115, v115
	s_mov_b64 vcc, s[4:5]
	s_cbranch_vccz .LBB106_87
; %bb.85:
	v_min_f32_e32 v29, 0, v28
	v_cvt_f64_f32_e32 v[32:33], v29
	v_lshl_add_u64 v[34:35], v[10:11], 3, v[24:25]
	global_store_dwordx2 v[34:35], v[32:33], off
	s_mov_b64 s[2:3], 0
	s_cbranch_execz .LBB106_88
; %bb.86:
	v_mov_b64_e32 v[28:29], s[2:3]
	s_branch .LBB106_89
.LBB106_87:
                                        ; implicit-def: $sgpr2_sgpr3
.LBB106_88:
	v_lshl_add_u64 v[32:33], v[26:27], 0, v[16:17]
	flat_load_dwordx2 v[32:33], v[32:33]
	v_lshl_add_u64 v[34:35], v[24:25], 0, v[16:17]
	s_waitcnt vmcnt(0) lgkmcnt(0)
	v_mul_f64 v[32:33], v[32:33], s[6:7]
	v_cvt_f32_f64_e32 v29, v[32:33]
	v_min_f32_e32 v28, v29, v28
	v_cvt_f64_f32_e32 v[28:29], v28
	global_store_dwordx2 v[34:35], v[28:29], off
	v_lshl_add_u64 v[28:29], v[2:3], 3, v[26:27]
	flat_load_dwordx2 v[28:29], v[28:29]
	s_waitcnt vmcnt(0) lgkmcnt(0)
	v_mul_f64 v[28:29], v[28:29], s[6:7]
.LBB106_89:
	v_cvt_f32_f64_e32 v28, v[28:29]
	v_max_f32_e32 v29, v114, v114
	v_min_f32_e32 v28, v28, v29
	v_cvt_f64_f32_e32 v[28:29], v28
	v_lshl_add_u64 v[32:33], v[2:3], 3, v[24:25]
	global_store_dwordx2 v[32:33], v[28:29], off
	v_max_f32_e32 v28, v113, v113
	s_mov_b64 vcc, s[4:5]
	s_cbranch_vccz .LBB106_92
; %bb.90:
	v_min_f32_e32 v29, 0, v28
	v_cvt_f64_f32_e32 v[32:33], v29
	v_lshl_add_u64 v[34:35], v[14:15], 3, v[24:25]
	global_store_dwordx2 v[34:35], v[32:33], off
	s_mov_b64 s[2:3], 0
	s_cbranch_execz .LBB106_93
; %bb.91:
	v_mov_b64_e32 v[28:29], s[2:3]
	s_branch .LBB106_94
.LBB106_92:
                                        ; implicit-def: $sgpr2_sgpr3
.LBB106_93:
	v_lshl_add_u64 v[32:33], v[26:27], 0, v[20:21]
	flat_load_dwordx2 v[32:33], v[32:33]
	v_lshl_add_u64 v[34:35], v[24:25], 0, v[20:21]
	s_waitcnt vmcnt(0) lgkmcnt(0)
	v_mul_f64 v[32:33], v[32:33], s[6:7]
	v_cvt_f32_f64_e32 v29, v[32:33]
	v_min_f32_e32 v28, v29, v28
	v_cvt_f64_f32_e32 v[28:29], v28
	global_store_dwordx2 v[34:35], v[28:29], off
	v_lshl_add_u64 v[28:29], v[4:5], 3, v[26:27]
	flat_load_dwordx2 v[28:29], v[28:29]
	s_waitcnt vmcnt(0) lgkmcnt(0)
	v_mul_f64 v[28:29], v[28:29], s[6:7]
.LBB106_94:
	v_cvt_f32_f64_e32 v28, v[28:29]
	v_max_f32_e32 v29, v112, v112
	v_min_f32_e32 v28, v28, v29
	v_cvt_f64_f32_e32 v[28:29], v28
	v_lshl_add_u64 v[32:33], v[4:5], 3, v[24:25]
	global_store_dwordx2 v[32:33], v[28:29], off
	v_max_f32_e32 v28, v111, v111
	s_mov_b64 vcc, s[4:5]
	s_cbranch_vccz .LBB106_97
; %bb.95:
	v_min_f32_e32 v29, 0, v28
	v_cvt_f64_f32_e32 v[32:33], v29
	v_lshl_add_u64 v[34:35], v[18:19], 3, v[24:25]
	global_store_dwordx2 v[34:35], v[32:33], off
	s_mov_b64 s[2:3], 0
	s_cbranch_execz .LBB106_98
; %bb.96:
	v_mov_b64_e32 v[26:27], s[2:3]
	s_branch .LBB106_99
.LBB106_97:
                                        ; implicit-def: $sgpr2_sgpr3
.LBB106_98:
	v_lshl_add_u64 v[32:33], v[26:27], 0, v[22:23]
	flat_load_dwordx2 v[32:33], v[32:33]
	v_lshl_add_u64 v[34:35], v[24:25], 0, v[22:23]
	v_lshl_add_u64 v[26:27], v[6:7], 3, v[26:27]
	s_waitcnt vmcnt(0) lgkmcnt(0)
	v_mul_f64 v[32:33], v[32:33], s[6:7]
	v_cvt_f32_f64_e32 v29, v[32:33]
	v_min_f32_e32 v28, v29, v28
	v_cvt_f64_f32_e32 v[28:29], v28
	global_store_dwordx2 v[34:35], v[28:29], off
	flat_load_dwordx2 v[26:27], v[26:27]
	s_waitcnt vmcnt(0) lgkmcnt(0)
	v_mul_f64 v[26:27], v[26:27], s[6:7]
.LBB106_99:
	v_cvt_f32_f64_e32 v26, v[26:27]
	v_max_f32_e32 v27, v110, v110
	v_min_f32_e32 v26, v26, v27
	v_cvt_f64_f32_e32 v[26:27], v26
	v_lshl_add_u64 v[24:25], v[6:7], 3, v[24:25]
	global_store_dwordx2 v[24:25], v[26:27], off
	v_add_u32_e32 v26, 32, v30
	v_mad_i64_i32 v[24:25], s[2:3], v26, s11, 0
	v_lshl_add_u64 v[24:25], v[24:25], 3, s[0:1]
	v_mad_i64_i32 v[26:27], s[2:3], v26, s10, 0
	v_max_f32_e32 v28, v109, v109
	s_mov_b64 vcc, s[4:5]
	s_cbranch_vccz .LBB106_102
; %bb.100:
	v_min_f32_e32 v29, 0, v28
	v_cvt_f64_f32_e32 v[32:33], v29
	v_lshl_add_u64 v[34:35], v[8:9], 3, v[24:25]
	global_store_dwordx2 v[34:35], v[32:33], off
	s_mov_b64 s[2:3], 0
	v_lshl_add_u64 v[26:27], v[26:27], 3, s[12:13]
	s_cbranch_execz .LBB106_103
; %bb.101:
	v_mov_b64_e32 v[28:29], s[2:3]
	s_branch .LBB106_104
.LBB106_102:
                                        ; implicit-def: $sgpr2_sgpr3
	v_lshl_add_u64 v[26:27], v[26:27], 3, s[12:13]
.LBB106_103:
	v_lshl_add_u64 v[32:33], v[26:27], 0, v[12:13]
	flat_load_dwordx2 v[32:33], v[32:33]
	v_lshl_add_u64 v[34:35], v[24:25], 0, v[12:13]
	s_waitcnt vmcnt(0) lgkmcnt(0)
	v_mul_f64 v[32:33], v[32:33], s[6:7]
	v_cvt_f32_f64_e32 v29, v[32:33]
	v_min_f32_e32 v28, v29, v28
	v_cvt_f64_f32_e32 v[28:29], v28
	global_store_dwordx2 v[34:35], v[28:29], off
	v_lshl_add_u64 v[28:29], v[0:1], 3, v[26:27]
	flat_load_dwordx2 v[28:29], v[28:29]
	s_waitcnt vmcnt(0) lgkmcnt(0)
	v_mul_f64 v[28:29], v[28:29], s[6:7]
.LBB106_104:
	v_cvt_f32_f64_e32 v28, v[28:29]
	v_max_f32_e32 v29, v108, v108
	v_min_f32_e32 v28, v28, v29
	v_cvt_f64_f32_e32 v[28:29], v28
	v_lshl_add_u64 v[32:33], v[0:1], 3, v[24:25]
	global_store_dwordx2 v[32:33], v[28:29], off
	v_max_f32_e32 v28, v107, v107
	s_mov_b64 vcc, s[4:5]
	s_cbranch_vccz .LBB106_107
; %bb.105:
	v_min_f32_e32 v29, 0, v28
	v_cvt_f64_f32_e32 v[32:33], v29
	v_lshl_add_u64 v[34:35], v[10:11], 3, v[24:25]
	global_store_dwordx2 v[34:35], v[32:33], off
	s_mov_b64 s[2:3], 0
	s_cbranch_execz .LBB106_108
; %bb.106:
	v_mov_b64_e32 v[28:29], s[2:3]
	s_branch .LBB106_109
.LBB106_107:
                                        ; implicit-def: $sgpr2_sgpr3
.LBB106_108:
	v_lshl_add_u64 v[32:33], v[26:27], 0, v[16:17]
	flat_load_dwordx2 v[32:33], v[32:33]
	v_lshl_add_u64 v[34:35], v[24:25], 0, v[16:17]
	s_waitcnt vmcnt(0) lgkmcnt(0)
	v_mul_f64 v[32:33], v[32:33], s[6:7]
	v_cvt_f32_f64_e32 v29, v[32:33]
	v_min_f32_e32 v28, v29, v28
	v_cvt_f64_f32_e32 v[28:29], v28
	global_store_dwordx2 v[34:35], v[28:29], off
	v_lshl_add_u64 v[28:29], v[2:3], 3, v[26:27]
	flat_load_dwordx2 v[28:29], v[28:29]
	s_waitcnt vmcnt(0) lgkmcnt(0)
	v_mul_f64 v[28:29], v[28:29], s[6:7]
.LBB106_109:
	v_cvt_f32_f64_e32 v28, v[28:29]
	v_max_f32_e32 v29, v106, v106
	v_min_f32_e32 v28, v28, v29
	v_cvt_f64_f32_e32 v[28:29], v28
	v_lshl_add_u64 v[32:33], v[2:3], 3, v[24:25]
	global_store_dwordx2 v[32:33], v[28:29], off
	v_max_f32_e32 v28, v105, v105
	s_mov_b64 vcc, s[4:5]
	s_cbranch_vccz .LBB106_112
; %bb.110:
	v_min_f32_e32 v29, 0, v28
	v_cvt_f64_f32_e32 v[32:33], v29
	v_lshl_add_u64 v[34:35], v[14:15], 3, v[24:25]
	global_store_dwordx2 v[34:35], v[32:33], off
	s_mov_b64 s[2:3], 0
	s_cbranch_execz .LBB106_113
; %bb.111:
	v_mov_b64_e32 v[28:29], s[2:3]
	s_branch .LBB106_114
.LBB106_112:
                                        ; implicit-def: $sgpr2_sgpr3
.LBB106_113:
	v_lshl_add_u64 v[32:33], v[26:27], 0, v[20:21]
	flat_load_dwordx2 v[32:33], v[32:33]
	v_lshl_add_u64 v[34:35], v[24:25], 0, v[20:21]
	s_waitcnt vmcnt(0) lgkmcnt(0)
	v_mul_f64 v[32:33], v[32:33], s[6:7]
	v_cvt_f32_f64_e32 v29, v[32:33]
	v_min_f32_e32 v28, v29, v28
	v_cvt_f64_f32_e32 v[28:29], v28
	global_store_dwordx2 v[34:35], v[28:29], off
	v_lshl_add_u64 v[28:29], v[4:5], 3, v[26:27]
	flat_load_dwordx2 v[28:29], v[28:29]
	s_waitcnt vmcnt(0) lgkmcnt(0)
	v_mul_f64 v[28:29], v[28:29], s[6:7]
.LBB106_114:
	v_cvt_f32_f64_e32 v28, v[28:29]
	v_max_f32_e32 v29, v104, v104
	v_min_f32_e32 v28, v28, v29
	v_cvt_f64_f32_e32 v[28:29], v28
	v_lshl_add_u64 v[32:33], v[4:5], 3, v[24:25]
	global_store_dwordx2 v[32:33], v[28:29], off
	v_max_f32_e32 v28, v103, v103
	s_mov_b64 vcc, s[4:5]
	s_cbranch_vccz .LBB106_117
; %bb.115:
	v_min_f32_e32 v29, 0, v28
	v_cvt_f64_f32_e32 v[32:33], v29
	v_lshl_add_u64 v[34:35], v[18:19], 3, v[24:25]
	global_store_dwordx2 v[34:35], v[32:33], off
	s_mov_b64 s[2:3], 0
	s_cbranch_execz .LBB106_118
; %bb.116:
	v_mov_b64_e32 v[26:27], s[2:3]
	s_branch .LBB106_119
.LBB106_117:
                                        ; implicit-def: $sgpr2_sgpr3
.LBB106_118:
	v_lshl_add_u64 v[32:33], v[26:27], 0, v[22:23]
	flat_load_dwordx2 v[32:33], v[32:33]
	v_lshl_add_u64 v[34:35], v[24:25], 0, v[22:23]
	v_lshl_add_u64 v[26:27], v[6:7], 3, v[26:27]
	s_waitcnt vmcnt(0) lgkmcnt(0)
	v_mul_f64 v[32:33], v[32:33], s[6:7]
	v_cvt_f32_f64_e32 v29, v[32:33]
	v_min_f32_e32 v28, v29, v28
	v_cvt_f64_f32_e32 v[28:29], v28
	global_store_dwordx2 v[34:35], v[28:29], off
	flat_load_dwordx2 v[26:27], v[26:27]
	s_waitcnt vmcnt(0) lgkmcnt(0)
	v_mul_f64 v[26:27], v[26:27], s[6:7]
.LBB106_119:
	v_cvt_f32_f64_e32 v26, v[26:27]
	v_max_f32_e32 v27, v102, v102
	v_min_f32_e32 v26, v26, v27
	v_cvt_f64_f32_e32 v[26:27], v26
	v_lshl_add_u64 v[24:25], v[6:7], 3, v[24:25]
	global_store_dwordx2 v[24:25], v[26:27], off
	v_add_u32_e32 v26, 40, v30
	v_mad_i64_i32 v[24:25], s[2:3], v26, s11, 0
	v_lshl_add_u64 v[24:25], v[24:25], 3, s[0:1]
	v_mad_i64_i32 v[26:27], s[2:3], v26, s10, 0
	v_max_f32_e32 v28, v101, v101
	s_mov_b64 vcc, s[4:5]
	s_cbranch_vccz .LBB106_122
; %bb.120:
	v_min_f32_e32 v29, 0, v28
	v_cvt_f64_f32_e32 v[32:33], v29
	v_lshl_add_u64 v[34:35], v[8:9], 3, v[24:25]
	global_store_dwordx2 v[34:35], v[32:33], off
	s_mov_b64 s[2:3], 0
	v_lshl_add_u64 v[26:27], v[26:27], 3, s[12:13]
	s_cbranch_execz .LBB106_123
; %bb.121:
	v_mov_b64_e32 v[28:29], s[2:3]
	s_branch .LBB106_124
.LBB106_122:
                                        ; implicit-def: $sgpr2_sgpr3
	v_lshl_add_u64 v[26:27], v[26:27], 3, s[12:13]
.LBB106_123:
	v_lshl_add_u64 v[32:33], v[26:27], 0, v[12:13]
	flat_load_dwordx2 v[32:33], v[32:33]
	v_lshl_add_u64 v[34:35], v[24:25], 0, v[12:13]
	s_waitcnt vmcnt(0) lgkmcnt(0)
	v_mul_f64 v[32:33], v[32:33], s[6:7]
	v_cvt_f32_f64_e32 v29, v[32:33]
	v_min_f32_e32 v28, v29, v28
	v_cvt_f64_f32_e32 v[28:29], v28
	global_store_dwordx2 v[34:35], v[28:29], off
	v_lshl_add_u64 v[28:29], v[0:1], 3, v[26:27]
	flat_load_dwordx2 v[28:29], v[28:29]
	s_waitcnt vmcnt(0) lgkmcnt(0)
	v_mul_f64 v[28:29], v[28:29], s[6:7]
.LBB106_124:
	v_cvt_f32_f64_e32 v28, v[28:29]
	v_max_f32_e32 v29, v100, v100
	v_min_f32_e32 v28, v28, v29
	v_cvt_f64_f32_e32 v[28:29], v28
	v_lshl_add_u64 v[32:33], v[0:1], 3, v[24:25]
	global_store_dwordx2 v[32:33], v[28:29], off
	v_max_f32_e32 v28, v99, v99
	s_mov_b64 vcc, s[4:5]
	s_cbranch_vccz .LBB106_127
; %bb.125:
	v_min_f32_e32 v29, 0, v28
	v_cvt_f64_f32_e32 v[32:33], v29
	v_lshl_add_u64 v[34:35], v[10:11], 3, v[24:25]
	s_mov_b32 s8, 0
	global_store_dwordx2 v[34:35], v[32:33], off
	s_cbranch_execz .LBB106_128
; %bb.126:
	v_mov_b32_e32 v28, s8
	s_branch .LBB106_129
.LBB106_127:
                                        ; implicit-def: $sgpr8
.LBB106_128:
	v_lshl_add_u64 v[32:33], v[26:27], 0, v[16:17]
	flat_load_dwordx2 v[32:33], v[32:33]
	v_lshl_add_u64 v[34:35], v[24:25], 0, v[16:17]
	s_waitcnt vmcnt(0) lgkmcnt(0)
	v_mul_f64 v[32:33], v[32:33], s[6:7]
	v_cvt_f32_f64_e32 v29, v[32:33]
	v_min_f32_e32 v28, v29, v28
	v_cvt_f64_f32_e32 v[28:29], v28
	global_store_dwordx2 v[34:35], v[28:29], off
	v_lshl_add_u64 v[28:29], v[2:3], 3, v[26:27]
	flat_load_dwordx2 v[28:29], v[28:29]
	s_waitcnt vmcnt(0) lgkmcnt(0)
	v_mul_f64 v[28:29], v[28:29], s[6:7]
	v_cvt_f32_f64_e32 v28, v[28:29]
.LBB106_129:
	v_max_f32_e32 v29, v98, v98
	v_max_f32_e32 v28, v28, v28
	v_min_f32_e32 v28, v28, v29
	v_cvt_f64_f32_e32 v[28:29], v28
	v_lshl_add_u64 v[32:33], v[2:3], 3, v[24:25]
	global_store_dwordx2 v[32:33], v[28:29], off
	v_max_f32_e32 v28, v97, v97
	s_mov_b64 vcc, s[4:5]
	s_cbranch_vccz .LBB106_132
; %bb.130:
	v_min_f32_e32 v29, 0, v28
	v_cvt_f64_f32_e32 v[32:33], v29
	v_lshl_add_u64 v[34:35], v[14:15], 3, v[24:25]
	s_mov_b32 s8, 0
	global_store_dwordx2 v[34:35], v[32:33], off
	s_cbranch_execz .LBB106_133
; %bb.131:
	v_mov_b32_e32 v28, s8
	s_branch .LBB106_134
.LBB106_132:
                                        ; implicit-def: $sgpr8
.LBB106_133:
	v_lshl_add_u64 v[32:33], v[26:27], 0, v[20:21]
	flat_load_dwordx2 v[32:33], v[32:33]
	v_lshl_add_u64 v[34:35], v[24:25], 0, v[20:21]
	s_waitcnt vmcnt(0) lgkmcnt(0)
	v_mul_f64 v[32:33], v[32:33], s[6:7]
	v_cvt_f32_f64_e32 v29, v[32:33]
	v_min_f32_e32 v28, v29, v28
	v_cvt_f64_f32_e32 v[28:29], v28
	global_store_dwordx2 v[34:35], v[28:29], off
	v_lshl_add_u64 v[28:29], v[4:5], 3, v[26:27]
	flat_load_dwordx2 v[28:29], v[28:29]
	s_waitcnt vmcnt(0) lgkmcnt(0)
	v_mul_f64 v[28:29], v[28:29], s[6:7]
	v_cvt_f32_f64_e32 v28, v[28:29]
.LBB106_134:
	v_max_f32_e32 v29, v96, v96
	v_max_f32_e32 v28, v28, v28
	v_min_f32_e32 v28, v28, v29
	v_cvt_f64_f32_e32 v[28:29], v28
	v_lshl_add_u64 v[32:33], v[4:5], 3, v[24:25]
	global_store_dwordx2 v[32:33], v[28:29], off
	v_max_f32_e32 v28, v95, v95
	s_mov_b64 vcc, s[4:5]
	s_cbranch_vccz .LBB106_137
; %bb.135:
	v_min_f32_e32 v29, 0, v28
	v_cvt_f64_f32_e32 v[32:33], v29
	v_lshl_add_u64 v[34:35], v[18:19], 3, v[24:25]
	s_mov_b32 s8, 0
	global_store_dwordx2 v[34:35], v[32:33], off
	s_cbranch_execz .LBB106_138
; %bb.136:
	v_mov_b32_e32 v26, s8
	s_branch .LBB106_139
.LBB106_137:
                                        ; implicit-def: $sgpr8
.LBB106_138:
	v_lshl_add_u64 v[32:33], v[26:27], 0, v[22:23]
	flat_load_dwordx2 v[32:33], v[32:33]
	v_lshl_add_u64 v[34:35], v[24:25], 0, v[22:23]
	v_lshl_add_u64 v[26:27], v[6:7], 3, v[26:27]
	s_waitcnt vmcnt(0) lgkmcnt(0)
	v_mul_f64 v[32:33], v[32:33], s[6:7]
	v_cvt_f32_f64_e32 v29, v[32:33]
	v_min_f32_e32 v28, v29, v28
	v_cvt_f64_f32_e32 v[28:29], v28
	global_store_dwordx2 v[34:35], v[28:29], off
	flat_load_dwordx2 v[26:27], v[26:27]
	s_waitcnt vmcnt(0) lgkmcnt(0)
	v_mul_f64 v[26:27], v[26:27], s[6:7]
	v_cvt_f32_f64_e32 v26, v[26:27]
.LBB106_139:
	v_max_f32_e32 v27, v94, v94
	v_max_f32_e32 v26, v26, v26
	v_min_f32_e32 v26, v26, v27
	v_cvt_f64_f32_e32 v[26:27], v26
	v_lshl_add_u64 v[24:25], v[6:7], 3, v[24:25]
	global_store_dwordx2 v[24:25], v[26:27], off
	v_add_u32_e32 v26, 48, v30
	v_mad_i64_i32 v[24:25], s[2:3], v26, s11, 0
	v_lshl_add_u64 v[24:25], v[24:25], 3, s[0:1]
	v_mad_i64_i32 v[26:27], s[2:3], v26, s10, 0
	v_max_f32_e32 v28, v93, v93
	s_mov_b64 vcc, s[4:5]
	s_cbranch_vccz .LBB106_142
; %bb.140:
	v_min_f32_e32 v29, 0, v28
	v_cvt_f64_f32_e32 v[32:33], v29
	v_lshl_add_u64 v[34:35], v[8:9], 3, v[24:25]
	s_mov_b32 s8, 0
	global_store_dwordx2 v[34:35], v[32:33], off
	v_lshl_add_u64 v[26:27], v[26:27], 3, s[12:13]
	s_cbranch_execz .LBB106_143
; %bb.141:
	v_mov_b32_e32 v28, s8
	s_branch .LBB106_144
.LBB106_142:
                                        ; implicit-def: $sgpr8
	v_lshl_add_u64 v[26:27], v[26:27], 3, s[12:13]
.LBB106_143:
	v_lshl_add_u64 v[32:33], v[26:27], 0, v[12:13]
	flat_load_dwordx2 v[32:33], v[32:33]
	v_lshl_add_u64 v[34:35], v[24:25], 0, v[12:13]
	s_waitcnt vmcnt(0) lgkmcnt(0)
	v_mul_f64 v[32:33], v[32:33], s[6:7]
	v_cvt_f32_f64_e32 v29, v[32:33]
	v_min_f32_e32 v28, v29, v28
	v_cvt_f64_f32_e32 v[28:29], v28
	global_store_dwordx2 v[34:35], v[28:29], off
	v_lshl_add_u64 v[28:29], v[0:1], 3, v[26:27]
	flat_load_dwordx2 v[28:29], v[28:29]
	s_waitcnt vmcnt(0) lgkmcnt(0)
	v_mul_f64 v[28:29], v[28:29], s[6:7]
	v_cvt_f32_f64_e32 v28, v[28:29]
.LBB106_144:
	v_max_f32_e32 v29, v92, v92
	v_max_f32_e32 v28, v28, v28
	v_min_f32_e32 v28, v28, v29
	v_cvt_f64_f32_e32 v[28:29], v28
	v_lshl_add_u64 v[32:33], v[0:1], 3, v[24:25]
	global_store_dwordx2 v[32:33], v[28:29], off
	v_max_f32_e32 v28, v91, v91
	s_mov_b64 vcc, s[4:5]
	s_cbranch_vccz .LBB106_147
; %bb.145:
	v_min_f32_e32 v29, 0, v28
	v_cvt_f64_f32_e32 v[32:33], v29
	v_lshl_add_u64 v[34:35], v[10:11], 3, v[24:25]
	s_mov_b32 s8, 0
	global_store_dwordx2 v[34:35], v[32:33], off
	s_cbranch_execz .LBB106_148
; %bb.146:
	v_mov_b32_e32 v28, s8
	s_branch .LBB106_149
.LBB106_147:
                                        ; implicit-def: $sgpr8
.LBB106_148:
	v_lshl_add_u64 v[32:33], v[26:27], 0, v[16:17]
	flat_load_dwordx2 v[32:33], v[32:33]
	v_lshl_add_u64 v[34:35], v[24:25], 0, v[16:17]
	s_waitcnt vmcnt(0) lgkmcnt(0)
	v_mul_f64 v[32:33], v[32:33], s[6:7]
	v_cvt_f32_f64_e32 v29, v[32:33]
	v_min_f32_e32 v28, v29, v28
	v_cvt_f64_f32_e32 v[28:29], v28
	global_store_dwordx2 v[34:35], v[28:29], off
	v_lshl_add_u64 v[28:29], v[2:3], 3, v[26:27]
	flat_load_dwordx2 v[28:29], v[28:29]
	s_waitcnt vmcnt(0) lgkmcnt(0)
	v_mul_f64 v[28:29], v[28:29], s[6:7]
	v_cvt_f32_f64_e32 v28, v[28:29]
.LBB106_149:
	v_max_f32_e32 v29, v90, v90
	v_max_f32_e32 v28, v28, v28
	v_min_f32_e32 v28, v28, v29
	v_cvt_f64_f32_e32 v[28:29], v28
	v_lshl_add_u64 v[32:33], v[2:3], 3, v[24:25]
	global_store_dwordx2 v[32:33], v[28:29], off
	v_max_f32_e32 v28, v89, v89
	s_mov_b64 vcc, s[4:5]
	s_cbranch_vccz .LBB106_152
; %bb.150:
	v_min_f32_e32 v29, 0, v28
	v_cvt_f64_f32_e32 v[32:33], v29
	v_lshl_add_u64 v[34:35], v[14:15], 3, v[24:25]
	s_mov_b32 s8, 0
	global_store_dwordx2 v[34:35], v[32:33], off
	s_cbranch_execz .LBB106_153
; %bb.151:
	v_mov_b32_e32 v28, s8
	s_branch .LBB106_154
.LBB106_152:
                                        ; implicit-def: $sgpr8
.LBB106_153:
	v_lshl_add_u64 v[32:33], v[26:27], 0, v[20:21]
	flat_load_dwordx2 v[32:33], v[32:33]
	v_lshl_add_u64 v[34:35], v[24:25], 0, v[20:21]
	s_waitcnt vmcnt(0) lgkmcnt(0)
	v_mul_f64 v[32:33], v[32:33], s[6:7]
	v_cvt_f32_f64_e32 v29, v[32:33]
	v_min_f32_e32 v28, v29, v28
	v_cvt_f64_f32_e32 v[28:29], v28
	global_store_dwordx2 v[34:35], v[28:29], off
	v_lshl_add_u64 v[28:29], v[4:5], 3, v[26:27]
	flat_load_dwordx2 v[28:29], v[28:29]
	s_waitcnt vmcnt(0) lgkmcnt(0)
	v_mul_f64 v[28:29], v[28:29], s[6:7]
	v_cvt_f32_f64_e32 v28, v[28:29]
.LBB106_154:
	v_max_f32_e32 v29, v88, v88
	v_max_f32_e32 v28, v28, v28
	v_min_f32_e32 v28, v28, v29
	v_cvt_f64_f32_e32 v[28:29], v28
	v_lshl_add_u64 v[32:33], v[4:5], 3, v[24:25]
	global_store_dwordx2 v[32:33], v[28:29], off
	v_max_f32_e32 v28, v87, v87
	s_mov_b64 vcc, s[4:5]
	s_cbranch_vccz .LBB106_157
; %bb.155:
	v_min_f32_e32 v29, 0, v28
	v_cvt_f64_f32_e32 v[32:33], v29
	v_lshl_add_u64 v[34:35], v[18:19], 3, v[24:25]
	s_mov_b32 s8, 0
	global_store_dwordx2 v[34:35], v[32:33], off
	s_cbranch_execz .LBB106_158
; %bb.156:
	v_mov_b32_e32 v26, s8
	s_branch .LBB106_159
.LBB106_157:
                                        ; implicit-def: $sgpr8
.LBB106_158:
	v_lshl_add_u64 v[32:33], v[26:27], 0, v[22:23]
	flat_load_dwordx2 v[32:33], v[32:33]
	v_lshl_add_u64 v[34:35], v[24:25], 0, v[22:23]
	v_lshl_add_u64 v[26:27], v[6:7], 3, v[26:27]
	s_waitcnt vmcnt(0) lgkmcnt(0)
	v_mul_f64 v[32:33], v[32:33], s[6:7]
	v_cvt_f32_f64_e32 v29, v[32:33]
	v_min_f32_e32 v28, v29, v28
	v_cvt_f64_f32_e32 v[28:29], v28
	global_store_dwordx2 v[34:35], v[28:29], off
	flat_load_dwordx2 v[26:27], v[26:27]
	s_waitcnt vmcnt(0) lgkmcnt(0)
	v_mul_f64 v[26:27], v[26:27], s[6:7]
	v_cvt_f32_f64_e32 v26, v[26:27]
.LBB106_159:
	v_max_f32_e32 v27, v86, v86
	v_max_f32_e32 v26, v26, v26
	v_min_f32_e32 v26, v26, v27
	v_cvt_f64_f32_e32 v[26:27], v26
	v_lshl_add_u64 v[24:25], v[6:7], 3, v[24:25]
	global_store_dwordx2 v[24:25], v[26:27], off
	v_add_u32_e32 v26, 56, v30
	v_mad_i64_i32 v[24:25], s[2:3], v26, s11, 0
	v_lshl_add_u64 v[24:25], v[24:25], 3, s[0:1]
	v_mad_i64_i32 v[26:27], s[0:1], v26, s10, 0
	v_max_f32_e32 v28, v85, v85
	s_mov_b64 vcc, s[4:5]
	s_cbranch_vccz .LBB106_162
; %bb.160:
	v_min_f32_e32 v29, 0, v28
	v_cvt_f64_f32_e32 v[30:31], v29
	v_lshl_add_u64 v[8:9], v[8:9], 3, v[24:25]
	s_mov_b32 s2, 0
	global_store_dwordx2 v[8:9], v[30:31], off
	v_lshl_add_u64 v[8:9], v[26:27], 3, s[12:13]
	s_cbranch_execz .LBB106_163
; %bb.161:
	v_mov_b32_e32 v12, s2
	s_branch .LBB106_164
.LBB106_162:
                                        ; implicit-def: $sgpr2
	v_lshl_add_u64 v[8:9], v[26:27], 3, s[12:13]
.LBB106_163:
	v_lshl_add_u64 v[26:27], v[8:9], 0, v[12:13]
	flat_load_dwordx2 v[26:27], v[26:27]
	v_lshl_add_u64 v[12:13], v[24:25], 0, v[12:13]
	s_waitcnt vmcnt(0) lgkmcnt(0)
	v_mul_f64 v[26:27], v[26:27], s[6:7]
	v_cvt_f32_f64_e32 v26, v[26:27]
	v_min_f32_e32 v26, v26, v28
	v_cvt_f64_f32_e32 v[26:27], v26
	global_store_dwordx2 v[12:13], v[26:27], off
	v_lshl_add_u64 v[12:13], v[0:1], 3, v[8:9]
	flat_load_dwordx2 v[12:13], v[12:13]
	s_waitcnt vmcnt(0) lgkmcnt(0)
	v_mul_f64 v[12:13], v[12:13], s[6:7]
	v_cvt_f32_f64_e32 v12, v[12:13]
.LBB106_164:
	v_max_f32_e32 v13, v84, v84
	v_max_f32_e32 v12, v12, v12
	v_min_f32_e32 v12, v12, v13
	v_cvt_f64_f32_e32 v[12:13], v12
	v_lshl_add_u64 v[0:1], v[0:1], 3, v[24:25]
	global_store_dwordx2 v[0:1], v[12:13], off
	v_max_f32_e32 v0, v83, v83
	s_mov_b64 vcc, s[4:5]
	s_cbranch_vccz .LBB106_167
; %bb.165:
	v_min_f32_e32 v1, 0, v0
	v_cvt_f64_f32_e32 v[12:13], v1
	v_lshl_add_u64 v[10:11], v[10:11], 3, v[24:25]
	s_mov_b32 s2, 0
	global_store_dwordx2 v[10:11], v[12:13], off
	s_cbranch_execz .LBB106_168
; %bb.166:
	v_mov_b32_e32 v0, s2
	s_branch .LBB106_169
.LBB106_167:
                                        ; implicit-def: $sgpr2
.LBB106_168:
	v_lshl_add_u64 v[10:11], v[8:9], 0, v[16:17]
	flat_load_dwordx2 v[10:11], v[10:11]
	v_lshl_add_u64 v[12:13], v[24:25], 0, v[16:17]
	s_waitcnt vmcnt(0) lgkmcnt(0)
	v_mul_f64 v[10:11], v[10:11], s[6:7]
	v_cvt_f32_f64_e32 v1, v[10:11]
	v_min_f32_e32 v0, v1, v0
	v_cvt_f64_f32_e32 v[0:1], v0
	global_store_dwordx2 v[12:13], v[0:1], off
	v_lshl_add_u64 v[0:1], v[2:3], 3, v[8:9]
	flat_load_dwordx2 v[0:1], v[0:1]
	s_waitcnt vmcnt(0) lgkmcnt(0)
	v_mul_f64 v[0:1], v[0:1], s[6:7]
	v_cvt_f32_f64_e32 v0, v[0:1]
.LBB106_169:
	v_max_f32_e32 v1, v82, v82
	v_max_f32_e32 v0, v0, v0
	v_min_f32_e32 v0, v0, v1
	v_cvt_f64_f32_e32 v[0:1], v0
	v_lshl_add_u64 v[2:3], v[2:3], 3, v[24:25]
	global_store_dwordx2 v[2:3], v[0:1], off
	v_max_f32_e32 v0, v81, v81
	s_mov_b64 vcc, s[4:5]
	s_cbranch_vccz .LBB106_172
; %bb.170:
	v_min_f32_e32 v1, 0, v0
	v_cvt_f64_f32_e32 v[2:3], v1
	v_lshl_add_u64 v[10:11], v[14:15], 3, v[24:25]
	s_mov_b32 s2, 0
	global_store_dwordx2 v[10:11], v[2:3], off
	s_cbranch_execz .LBB106_173
; %bb.171:
	v_mov_b32_e32 v0, s2
	s_branch .LBB106_174
.LBB106_172:
                                        ; implicit-def: $sgpr2
.LBB106_173:
	v_lshl_add_u64 v[2:3], v[8:9], 0, v[20:21]
	flat_load_dwordx2 v[2:3], v[2:3]
	v_lshl_add_u64 v[10:11], v[24:25], 0, v[20:21]
	s_waitcnt vmcnt(0) lgkmcnt(0)
	v_mul_f64 v[2:3], v[2:3], s[6:7]
	v_cvt_f32_f64_e32 v1, v[2:3]
	v_min_f32_e32 v0, v1, v0
	v_cvt_f64_f32_e32 v[0:1], v0
	global_store_dwordx2 v[10:11], v[0:1], off
	v_lshl_add_u64 v[0:1], v[4:5], 3, v[8:9]
	flat_load_dwordx2 v[0:1], v[0:1]
	s_waitcnt vmcnt(0) lgkmcnt(0)
	v_mul_f64 v[0:1], v[0:1], s[6:7]
	v_cvt_f32_f64_e32 v0, v[0:1]
.LBB106_174:
	;; [unrolled: 37-line block ×3, first 2 shown]
	v_max_f32_e32 v1, v78, v78
	v_max_f32_e32 v0, v0, v0
	v_min_f32_e32 v0, v0, v1
	v_cvt_f64_f32_e32 v[0:1], v0
	v_lshl_add_u64 v[2:3], v[6:7], 3, v[24:25]
	global_store_dwordx2 v[2:3], v[0:1], off
	s_endpgm
	.section	.rodata,"a",@progbits
	.p2align	6, 0x0
	.amdhsa_kernel _ZN12_GLOBAL__N_120geam_min_plus_kernelId15HIP_vector_typeIdLj2EEdLi32ELi8ELi256ELi64ELi4ELi64ELi4ELi4ELi64ELc78ELc78ELb1ELb0ELb1EdKPKdKPdEEviiiT16_PT17_ilSA_ilS8_SA_ilPT18_ili26rocblas_geam_ex_operation_
		.amdhsa_group_segment_fixed_size 20480
		.amdhsa_private_segment_fixed_size 0
		.amdhsa_kernarg_size 136
		.amdhsa_user_sgpr_count 2
		.amdhsa_user_sgpr_dispatch_ptr 0
		.amdhsa_user_sgpr_queue_ptr 0
		.amdhsa_user_sgpr_kernarg_segment_ptr 1
		.amdhsa_user_sgpr_dispatch_id 0
		.amdhsa_user_sgpr_kernarg_preload_length 0
		.amdhsa_user_sgpr_kernarg_preload_offset 0
		.amdhsa_user_sgpr_private_segment_size 0
		.amdhsa_uses_dynamic_stack 0
		.amdhsa_enable_private_segment 0
		.amdhsa_system_sgpr_workgroup_id_x 1
		.amdhsa_system_sgpr_workgroup_id_y 0
		.amdhsa_system_sgpr_workgroup_id_z 1
		.amdhsa_system_sgpr_workgroup_info 0
		.amdhsa_system_vgpr_workitem_id 1
		.amdhsa_next_free_vgpr 160
		.amdhsa_next_free_sgpr 23
		.amdhsa_accum_offset 160
		.amdhsa_reserve_vcc 1
		.amdhsa_float_round_mode_32 0
		.amdhsa_float_round_mode_16_64 0
		.amdhsa_float_denorm_mode_32 3
		.amdhsa_float_denorm_mode_16_64 3
		.amdhsa_dx10_clamp 1
		.amdhsa_ieee_mode 1
		.amdhsa_fp16_overflow 0
		.amdhsa_tg_split 0
		.amdhsa_exception_fp_ieee_invalid_op 0
		.amdhsa_exception_fp_denorm_src 0
		.amdhsa_exception_fp_ieee_div_zero 0
		.amdhsa_exception_fp_ieee_overflow 0
		.amdhsa_exception_fp_ieee_underflow 0
		.amdhsa_exception_fp_ieee_inexact 0
		.amdhsa_exception_int_div_zero 0
	.end_amdhsa_kernel
	.section	.text._ZN12_GLOBAL__N_120geam_min_plus_kernelId15HIP_vector_typeIdLj2EEdLi32ELi8ELi256ELi64ELi4ELi64ELi4ELi4ELi64ELc78ELc78ELb1ELb0ELb1EdKPKdKPdEEviiiT16_PT17_ilSA_ilS8_SA_ilPT18_ili26rocblas_geam_ex_operation_,"axG",@progbits,_ZN12_GLOBAL__N_120geam_min_plus_kernelId15HIP_vector_typeIdLj2EEdLi32ELi8ELi256ELi64ELi4ELi64ELi4ELi4ELi64ELc78ELc78ELb1ELb0ELb1EdKPKdKPdEEviiiT16_PT17_ilSA_ilS8_SA_ilPT18_ili26rocblas_geam_ex_operation_,comdat
.Lfunc_end106:
	.size	_ZN12_GLOBAL__N_120geam_min_plus_kernelId15HIP_vector_typeIdLj2EEdLi32ELi8ELi256ELi64ELi4ELi64ELi4ELi4ELi64ELc78ELc78ELb1ELb0ELb1EdKPKdKPdEEviiiT16_PT17_ilSA_ilS8_SA_ilPT18_ili26rocblas_geam_ex_operation_, .Lfunc_end106-_ZN12_GLOBAL__N_120geam_min_plus_kernelId15HIP_vector_typeIdLj2EEdLi32ELi8ELi256ELi64ELi4ELi64ELi4ELi4ELi64ELc78ELc78ELb1ELb0ELb1EdKPKdKPdEEviiiT16_PT17_ilSA_ilS8_SA_ilPT18_ili26rocblas_geam_ex_operation_
                                        ; -- End function
	.section	.AMDGPU.csdata,"",@progbits
; Kernel info:
; codeLenInByte = 16512
; NumSgprs: 29
; NumVgprs: 160
; NumAgprs: 0
; TotalNumVgprs: 160
; ScratchSize: 0
; MemoryBound: 0
; FloatMode: 240
; IeeeMode: 1
; LDSByteSize: 20480 bytes/workgroup (compile time only)
; SGPRBlocks: 3
; VGPRBlocks: 19
; NumSGPRsForWavesPerEU: 29
; NumVGPRsForWavesPerEU: 160
; AccumOffset: 160
; Occupancy: 3
; WaveLimiterHint : 1
; COMPUTE_PGM_RSRC2:SCRATCH_EN: 0
; COMPUTE_PGM_RSRC2:USER_SGPR: 2
; COMPUTE_PGM_RSRC2:TRAP_HANDLER: 0
; COMPUTE_PGM_RSRC2:TGID_X_EN: 1
; COMPUTE_PGM_RSRC2:TGID_Y_EN: 0
; COMPUTE_PGM_RSRC2:TGID_Z_EN: 1
; COMPUTE_PGM_RSRC2:TIDIG_COMP_CNT: 1
; COMPUTE_PGM_RSRC3_GFX90A:ACCUM_OFFSET: 39
; COMPUTE_PGM_RSRC3_GFX90A:TG_SPLIT: 0
	.section	.text._ZN12_GLOBAL__N_120geam_min_plus_kernelId15HIP_vector_typeIdLj2EEdLi32ELi8ELi256ELi64ELi4ELi64ELi4ELi4ELi64ELc78ELc78ELb0ELb0ELb1EdKPKdKPdEEviiiT16_PT17_ilSA_ilS8_SA_ilPT18_ili26rocblas_geam_ex_operation_,"axG",@progbits,_ZN12_GLOBAL__N_120geam_min_plus_kernelId15HIP_vector_typeIdLj2EEdLi32ELi8ELi256ELi64ELi4ELi64ELi4ELi4ELi64ELc78ELc78ELb0ELb0ELb1EdKPKdKPdEEviiiT16_PT17_ilSA_ilS8_SA_ilPT18_ili26rocblas_geam_ex_operation_,comdat
	.globl	_ZN12_GLOBAL__N_120geam_min_plus_kernelId15HIP_vector_typeIdLj2EEdLi32ELi8ELi256ELi64ELi4ELi64ELi4ELi4ELi64ELc78ELc78ELb0ELb0ELb1EdKPKdKPdEEviiiT16_PT17_ilSA_ilS8_SA_ilPT18_ili26rocblas_geam_ex_operation_ ; -- Begin function _ZN12_GLOBAL__N_120geam_min_plus_kernelId15HIP_vector_typeIdLj2EEdLi32ELi8ELi256ELi64ELi4ELi64ELi4ELi4ELi64ELc78ELc78ELb0ELb0ELb1EdKPKdKPdEEviiiT16_PT17_ilSA_ilS8_SA_ilPT18_ili26rocblas_geam_ex_operation_
	.p2align	8
	.type	_ZN12_GLOBAL__N_120geam_min_plus_kernelId15HIP_vector_typeIdLj2EEdLi32ELi8ELi256ELi64ELi4ELi64ELi4ELi4ELi64ELc78ELc78ELb0ELb0ELb1EdKPKdKPdEEviiiT16_PT17_ilSA_ilS8_SA_ilPT18_ili26rocblas_geam_ex_operation_,@function
_ZN12_GLOBAL__N_120geam_min_plus_kernelId15HIP_vector_typeIdLj2EEdLi32ELi8ELi256ELi64ELi4ELi64ELi4ELi4ELi64ELc78ELc78ELb0ELb0ELb1EdKPKdKPdEEviiiT16_PT17_ilSA_ilS8_SA_ilPT18_ili26rocblas_geam_ex_operation_: ; @_ZN12_GLOBAL__N_120geam_min_plus_kernelId15HIP_vector_typeIdLj2EEdLi32ELi8ELi256ELi64ELi4ELi64ELi4ELi4ELi64ELc78ELc78ELb0ELb0ELb1EdKPKdKPdEEviiiT16_PT17_ilSA_ilS8_SA_ilPT18_ili26rocblas_geam_ex_operation_
; %bb.0:
	s_load_dwordx4 s[12:15], s[0:1], 0x10
	s_load_dwordx4 s[4:7], s[0:1], 0x28
	s_mov_b32 s24, s3
	s_mov_b64 s[20:21], 0
	s_waitcnt lgkmcnt(0)
	v_cmp_eq_f64_e64 s[16:17], s[12:13], 0
	s_and_b64 vcc, exec, s[16:17]
	s_cbranch_vccnz .LBB107_2
; %bb.1:
	s_mov_b32 s25, 0
	s_lshl_b64 s[8:9], s[24:25], 3
	s_add_u32 s8, s14, s8
	s_addc_u32 s9, s15, s9
	s_load_dwordx2 s[8:9], s[8:9], 0x0
	s_lshl_b64 s[4:5], s[4:5], 3
	s_waitcnt lgkmcnt(0)
	s_add_u32 s20, s8, s4
	s_addc_u32 s21, s9, s5
.LBB107_2:
	s_load_dwordx4 s[8:11], s[0:1], 0x40
	s_load_dwordx2 s[4:5], s[0:1], 0x50
	s_andn2_b64 vcc, exec, s[16:17]
	s_cbranch_vccnz .LBB107_4
; %bb.3:
	s_mov_b32 s25, 0
	s_mov_b64 s[22:23], 0
	s_cbranch_execz .LBB107_5
	s_branch .LBB107_6
.LBB107_4:
                                        ; implicit-def: $sgpr22_sgpr23
.LBB107_5:
	s_mov_b32 s25, 0
	s_lshl_b64 s[14:15], s[24:25], 3
	s_add_u32 s6, s6, s14
	s_addc_u32 s7, s7, s15
	s_load_dwordx2 s[6:7], s[6:7], 0x0
	s_waitcnt lgkmcnt(0)
	s_lshl_b64 s[8:9], s[8:9], 3
	s_add_u32 s22, s6, s8
	s_addc_u32 s23, s7, s9
.LBB107_6:
	s_load_dwordx4 s[16:19], s[0:1], 0x60
	s_waitcnt lgkmcnt(0)
	v_cmp_eq_f64_e64 s[6:7], s[10:11], 0
	s_and_b64 s[6:7], exec, s[6:7]
	v_cmp_neq_f64_e64 s[26:27], s[12:13], 0
	s_mov_b64 s[8:9], 0
	s_mov_b64 vcc, s[6:7]
	s_cbranch_vccnz .LBB107_8
; %bb.7:
	s_lshl_b64 s[8:9], s[24:25], 3
	s_add_u32 s4, s4, s8
	s_addc_u32 s5, s5, s9
	s_load_dwordx2 s[4:5], s[4:5], 0x0
	s_lshl_b64 s[8:9], s[16:17], 3
	s_waitcnt lgkmcnt(0)
	s_add_u32 s8, s4, s8
	s_addc_u32 s9, s5, s9
.LBB107_8:
	s_load_dword s28, s[0:1], 0x20
	s_load_dword s3, s[0:1], 0x0
	s_lshl_b64 s[4:5], s[24:25], 3
	v_and_b32_e32 v135, 0x3ff, v0
	v_bfe_u32 v136, v0, 10, 10
	s_waitcnt lgkmcnt(0)
	s_ashr_i32 s24, s28, 31
	s_add_u32 s4, s18, s4
	s_addc_u32 s5, s19, s5
	s_add_i32 s3, s3, -1
	s_ashr_i32 s14, s3, 31
	s_lshr_b32 s14, s14, 24
	s_add_i32 s3, s3, s14
	s_ashr_i32 s3, s3, 8
	s_add_i32 s16, s3, 1
	v_cvt_f32_u32_e32 v1, s16
	s_load_dwordx2 s[14:15], s[4:5], 0x0
	s_not_b32 s3, s3
	v_lshl_add_u32 v8, v136, 5, v135
	v_rcp_iflag_f32_e32 v1, v1
	v_lshrrev_b32_e32 v144, 6, v8
	v_and_b32_e32 v72, 63, v8
	v_mul_f32_e32 v0, 0x4f7ffffe, v1
	v_cvt_u32_f32_e32 v0, v0
	s_nop 0
	v_readfirstlane_b32 s4, v0
	s_mul_i32 s3, s3, s4
	s_mul_hi_u32 s3, s4, s3
	s_add_i32 s4, s4, s3
	s_mul_hi_u32 s3, s2, s4
	s_mul_i32 s4, s3, s16
	s_sub_i32 s4, s2, s4
	s_add_i32 s5, s3, 1
	s_sub_i32 s17, s4, s16
	s_cmp_ge_u32 s4, s16
	s_cselect_b32 s3, s5, s3
	s_cselect_b32 s4, s17, s4
	s_add_i32 s5, s3, 1
	s_cmp_ge_u32 s4, s16
	s_cselect_b32 s3, s5, s3
	s_mul_i32 s4, s3, s16
	s_sub_i32 s2, s2, s4
	s_lshl_b32 s16, s2, 8
	v_mad_i64_i32 v[0:1], s[4:5], s28, v144, 0
	v_or_b32_e32 v60, s16, v72
	v_lshl_add_u64 v[4:5], v[0:1], 3, s[20:21]
	v_cndmask_b32_e64 v0, 0, 1, s[26:27]
	v_cmp_ne_u32_e64 s[4:5], 1, v0
	s_andn2_b64 vcc, exec, s[26:27]
	v_ashrrev_i32_e32 v61, 31, v60
	s_cbranch_vccnz .LBB107_11
; %bb.9:
	v_lshl_add_u64 v[0:1], v[60:61], 3, v[4:5]
	flat_load_dwordx2 v[2:3], v[0:1]
	flat_load_dwordx2 v[6:7], v[0:1] offset:512
	s_waitcnt vmcnt(0) lgkmcnt(0)
	v_mul_f64 v[0:1], v[2:3], s[12:13]
	v_mul_f64 v[2:3], v[6:7], s[12:13]
	s_and_b64 vcc, exec, s[4:5]
	s_cbranch_vccnz .LBB107_12
.LBB107_10:
	v_lshl_add_u64 v[4:5], v[60:61], 3, v[4:5]
	flat_load_dwordx2 v[6:7], v[4:5] offset:1024
	flat_load_dwordx2 v[10:11], v[4:5] offset:1536
	s_waitcnt vmcnt(0) lgkmcnt(0)
	v_mul_f64 v[4:5], v[6:7], s[12:13]
	v_mul_f64 v[6:7], v[10:11], s[12:13]
	s_branch .LBB107_13
.LBB107_11:
	v_mov_b64_e32 v[0:1], 0
	v_mov_b64_e32 v[2:3], 0
	s_and_b64 vcc, exec, s[4:5]
	s_cbranch_vccz .LBB107_10
.LBB107_12:
	v_mov_b64_e32 v[4:5], 0
	v_mov_b64_e32 v[6:7], 0
.LBB107_13:
	s_load_dword s25, s[0:1], 0x38
	v_and_b32_e32 v145, 3, v135
	v_lshrrev_b32_e32 v14, 2, v8
	s_lshl_b32 s17, s3, 6
	s_and_b64 vcc, exec, s[4:5]
	v_add_u32_e32 v73, s17, v14
	v_lshlrev_b32_e32 v8, 3, v145
	s_cbranch_vccnz .LBB107_15
; %bb.14:
	s_waitcnt lgkmcnt(0)
	v_mad_i64_i32 v[10:11], s[2:3], v73, s25, 0
	v_lshl_add_u64 v[10:11], v[10:11], 3, s[22:23]
	v_mov_b32_e32 v9, 0
	v_lshl_add_u64 v[10:11], v[10:11], 0, v[8:9]
	flat_load_dwordx2 v[10:11], v[10:11]
	s_waitcnt vmcnt(0) lgkmcnt(0)
	v_mul_f64 v[10:11], v[10:11], s[12:13]
	s_branch .LBB107_16
.LBB107_15:
	v_mov_b64_e32 v[10:11], 0
.LBB107_16:
	v_add_u32_e32 v146, 4, v144
	v_mad_i64_i32 v[12:13], s[2:3], s28, v146, 0
	s_and_b64 vcc, exec, s[4:5]
	v_lshl_add_u64 v[12:13], v[12:13], 3, s[20:21]
	s_cbranch_vccnz .LBB107_20
; %bb.17:
	v_lshl_add_u64 v[16:17], v[60:61], 3, v[12:13]
	flat_load_dwordx2 v[18:19], v[16:17]
	flat_load_dwordx2 v[20:21], v[16:17] offset:512
	s_waitcnt vmcnt(0) lgkmcnt(0)
	v_mul_f64 v[62:63], v[18:19], s[12:13]
	v_mul_f64 v[64:65], v[20:21], s[12:13]
	s_and_b64 vcc, exec, s[4:5]
	s_cbranch_vccnz .LBB107_21
.LBB107_18:
	v_lshl_add_u64 v[12:13], v[60:61], 3, v[12:13]
	flat_load_dwordx2 v[16:17], v[12:13] offset:1024
	flat_load_dwordx2 v[18:19], v[12:13] offset:1536
	s_waitcnt vmcnt(0) lgkmcnt(0)
	v_mul_f64 v[66:67], v[16:17], s[12:13]
	v_mul_f64 v[68:69], v[18:19], s[12:13]
	s_and_b64 vcc, exec, s[4:5]
	s_cbranch_vccnz .LBB107_22
.LBB107_19:
	s_waitcnt lgkmcnt(0)
	v_mad_i64_i32 v[12:13], s[2:3], v73, s25, 0
	v_lshl_add_u64 v[12:13], v[12:13], 3, s[22:23]
	v_mov_b32_e32 v9, 0
	v_lshl_add_u64 v[12:13], v[12:13], 0, v[8:9]
	flat_load_dwordx2 v[12:13], v[12:13] offset:32
	s_waitcnt vmcnt(0) lgkmcnt(0)
	v_mul_f64 v[70:71], v[12:13], s[12:13]
	s_branch .LBB107_23
.LBB107_20:
	v_mov_b64_e32 v[62:63], 0
	v_mov_b64_e32 v[64:65], 0
	s_and_b64 vcc, exec, s[4:5]
	s_cbranch_vccz .LBB107_18
.LBB107_21:
	v_mov_b64_e32 v[66:67], 0
	v_mov_b64_e32 v[68:69], 0
	s_and_b64 vcc, exec, s[4:5]
	s_cbranch_vccz .LBB107_19
.LBB107_22:
	v_mov_b64_e32 v[70:71], 0
.LBB107_23:
	v_lshlrev_b32_e32 v9, 3, v144
	v_lshl_or_b32 v74, v14, 5, v8
	v_lshl_add_u32 v147, v72, 5, v9
	v_add_u32_e32 v148, 0x4000, v74
	s_mov_b32 s18, 0
	s_mov_b64 s[2:3], -1
	v_mov_b32_e32 v78, 0x7f800000
	v_mov_b32_e32 v79, 0x7f800000
	;; [unrolled: 1-line block ×64, first 2 shown]
	ds_write2st64_b64 v147, v[0:1], v[2:3] offset1:4
	ds_write2st64_b64 v147, v[4:5], v[6:7] offset0:8 offset1:12
	ds_write_b64 v74, v[10:11] offset:16384
	s_waitcnt lgkmcnt(0)
	s_barrier
.LBB107_24:                             ; =>This Inner Loop Header: Depth=1
	v_cndmask_b32_e64 v0, 0, 1, s[2:3]
	s_lshl_b32 s2, s18, 3
	v_cmp_ne_u32_e32 vcc, 1, v0
	v_lshl_add_u32 v0, v135, 5, s2
	v_lshl_add_u32 v20, v136, 5, s2
	ds_read_b128 v[32:35], v0
	ds_read_b128 v[28:31], v0 offset:1024
	ds_read_b128 v[24:27], v0 offset:2048
	ds_read_b128 v[16:19], v0 offset:3072
	ds_read_b128 v[12:15], v0 offset:4096
	ds_read_b128 v[8:11], v0 offset:5120
	ds_read_b128 v[4:7], v0 offset:6144
	ds_read_b128 v[0:3], v0 offset:7168
	ds_read_b128 v[150:153], v20 offset:16384
	ds_read_b128 v[56:59], v20 offset:16640
	ds_read_b128 v[52:55], v20 offset:16896
	ds_read_b128 v[48:51], v20 offset:17152
	ds_read_b128 v[44:47], v20 offset:17408
	ds_read_b128 v[40:43], v20 offset:17664
	ds_read_b128 v[36:39], v20 offset:17920
	ds_read_b128 v[20:23], v20 offset:18176
	s_waitcnt lgkmcnt(7)
	v_add_f64 v[76:77], v[34:35], v[152:153]
	v_add_f64 v[154:155], v[32:33], v[150:151]
	v_cvt_f32_f64_e32 v75, v[154:155]
	v_cvt_f32_f64_e32 v76, v[76:77]
	v_min3_f32 v143, v75, v76, v143
	v_add_f64 v[76:77], v[30:31], v[152:153]
	v_add_f64 v[154:155], v[28:29], v[150:151]
	v_cvt_f32_f64_e32 v75, v[154:155]
	v_cvt_f32_f64_e32 v76, v[76:77]
	v_min3_f32 v142, v75, v76, v142
	v_add_f64 v[76:77], v[26:27], v[152:153]
	v_add_f64 v[154:155], v[24:25], v[150:151]
	v_cvt_f32_f64_e32 v75, v[154:155]
	v_cvt_f32_f64_e32 v76, v[76:77]
	v_min3_f32 v141, v75, v76, v141
	v_add_f64 v[76:77], v[18:19], v[152:153]
	v_add_f64 v[154:155], v[16:17], v[150:151]
	v_cvt_f32_f64_e32 v75, v[154:155]
	v_cvt_f32_f64_e32 v76, v[76:77]
	v_min3_f32 v140, v75, v76, v140
	v_add_f64 v[76:77], v[14:15], v[152:153]
	v_add_f64 v[154:155], v[12:13], v[150:151]
	v_cvt_f32_f64_e32 v75, v[154:155]
	v_cvt_f32_f64_e32 v76, v[76:77]
	v_min3_f32 v139, v75, v76, v139
	v_add_f64 v[76:77], v[10:11], v[152:153]
	v_add_f64 v[154:155], v[8:9], v[150:151]
	v_cvt_f32_f64_e32 v75, v[154:155]
	v_cvt_f32_f64_e32 v76, v[76:77]
	v_min3_f32 v138, v75, v76, v138
	v_add_f64 v[76:77], v[6:7], v[152:153]
	v_add_f64 v[154:155], v[4:5], v[150:151]
	v_cvt_f32_f64_e32 v75, v[154:155]
	v_cvt_f32_f64_e32 v76, v[76:77]
	v_min3_f32 v137, v75, v76, v137
	v_add_f64 v[76:77], v[2:3], v[152:153]
	v_add_f64 v[150:151], v[0:1], v[150:151]
	v_cvt_f32_f64_e32 v75, v[150:151]
	v_cvt_f32_f64_e32 v76, v[76:77]
	v_min3_f32 v134, v75, v76, v134
	s_waitcnt lgkmcnt(6)
	v_add_f64 v[76:77], v[34:35], v[58:59]
	v_add_f64 v[150:151], v[32:33], v[56:57]
	v_cvt_f32_f64_e32 v75, v[150:151]
	v_cvt_f32_f64_e32 v76, v[76:77]
	v_min3_f32 v133, v75, v76, v133
	v_add_f64 v[76:77], v[30:31], v[58:59]
	v_add_f64 v[150:151], v[28:29], v[56:57]
	v_cvt_f32_f64_e32 v75, v[150:151]
	v_cvt_f32_f64_e32 v76, v[76:77]
	v_min3_f32 v132, v75, v76, v132
	v_add_f64 v[76:77], v[26:27], v[58:59]
	v_add_f64 v[150:151], v[24:25], v[56:57]
	v_cvt_f32_f64_e32 v75, v[150:151]
	v_cvt_f32_f64_e32 v76, v[76:77]
	v_min3_f32 v131, v75, v76, v131
	v_add_f64 v[76:77], v[18:19], v[58:59]
	v_add_f64 v[150:151], v[16:17], v[56:57]
	v_cvt_f32_f64_e32 v75, v[150:151]
	v_cvt_f32_f64_e32 v76, v[76:77]
	v_min3_f32 v130, v75, v76, v130
	v_add_f64 v[76:77], v[14:15], v[58:59]
	v_add_f64 v[150:151], v[12:13], v[56:57]
	v_cvt_f32_f64_e32 v75, v[150:151]
	v_cvt_f32_f64_e32 v76, v[76:77]
	v_min3_f32 v129, v75, v76, v129
	v_add_f64 v[76:77], v[10:11], v[58:59]
	v_add_f64 v[150:151], v[8:9], v[56:57]
	v_cvt_f32_f64_e32 v75, v[150:151]
	v_cvt_f32_f64_e32 v76, v[76:77]
	v_min3_f32 v128, v75, v76, v128
	v_add_f64 v[76:77], v[6:7], v[58:59]
	v_add_f64 v[150:151], v[4:5], v[56:57]
	v_add_f64 v[58:59], v[2:3], v[58:59]
	v_add_f64 v[56:57], v[0:1], v[56:57]
	v_cvt_f32_f64_e32 v56, v[56:57]
	v_cvt_f32_f64_e32 v57, v[58:59]
	v_min3_f32 v126, v56, v57, v126
	s_waitcnt lgkmcnt(5)
	v_add_f64 v[56:57], v[34:35], v[54:55]
	v_add_f64 v[58:59], v[32:33], v[52:53]
	v_cvt_f32_f64_e32 v58, v[58:59]
	v_cvt_f32_f64_e32 v56, v[56:57]
	v_min3_f32 v125, v58, v56, v125
	v_add_f64 v[56:57], v[30:31], v[54:55]
	v_add_f64 v[58:59], v[28:29], v[52:53]
	v_cvt_f32_f64_e32 v58, v[58:59]
	v_cvt_f32_f64_e32 v56, v[56:57]
	v_min3_f32 v124, v58, v56, v124
	v_add_f64 v[56:57], v[26:27], v[54:55]
	v_add_f64 v[58:59], v[24:25], v[52:53]
	v_cvt_f32_f64_e32 v58, v[58:59]
	v_cvt_f32_f64_e32 v56, v[56:57]
	v_min3_f32 v123, v58, v56, v123
	v_add_f64 v[56:57], v[18:19], v[54:55]
	v_add_f64 v[58:59], v[16:17], v[52:53]
	v_cvt_f32_f64_e32 v58, v[58:59]
	v_cvt_f32_f64_e32 v56, v[56:57]
	v_min3_f32 v122, v58, v56, v122
	v_add_f64 v[56:57], v[14:15], v[54:55]
	v_add_f64 v[58:59], v[12:13], v[52:53]
	v_cvt_f32_f64_e32 v58, v[58:59]
	v_cvt_f32_f64_e32 v56, v[56:57]
	v_min3_f32 v121, v58, v56, v121
	v_add_f64 v[56:57], v[10:11], v[54:55]
	v_add_f64 v[58:59], v[8:9], v[52:53]
	v_cvt_f32_f64_e32 v58, v[58:59]
	v_cvt_f32_f64_e32 v56, v[56:57]
	v_min3_f32 v120, v58, v56, v120
	v_add_f64 v[56:57], v[6:7], v[54:55]
	v_add_f64 v[58:59], v[4:5], v[52:53]
	v_add_f64 v[54:55], v[2:3], v[54:55]
	v_add_f64 v[52:53], v[0:1], v[52:53]
	v_cvt_f32_f64_e32 v52, v[52:53]
	v_cvt_f32_f64_e32 v53, v[54:55]
	v_min3_f32 v118, v52, v53, v118
	;; [unrolled: 38-line block ×5, first 2 shown]
	s_waitcnt lgkmcnt(1)
	v_add_f64 v[40:41], v[34:35], v[38:39]
	v_add_f64 v[42:43], v[32:33], v[36:37]
	v_cvt_f32_f64_e32 v42, v[42:43]
	v_cvt_f32_f64_e32 v40, v[40:41]
	v_min3_f32 v93, v42, v40, v93
	v_add_f64 v[40:41], v[30:31], v[38:39]
	v_add_f64 v[42:43], v[28:29], v[36:37]
	v_cvt_f32_f64_e32 v42, v[42:43]
	v_cvt_f32_f64_e32 v40, v[40:41]
	v_min3_f32 v92, v42, v40, v92
	;; [unrolled: 5-line block ×6, first 2 shown]
	v_add_f64 v[40:41], v[6:7], v[38:39]
	v_add_f64 v[42:43], v[4:5], v[36:37]
	;; [unrolled: 1-line block ×4, first 2 shown]
	s_waitcnt lgkmcnt(0)
	v_add_f64 v[34:35], v[34:35], v[22:23]
	v_add_f64 v[32:33], v[32:33], v[20:21]
	;; [unrolled: 1-line block ×16, first 2 shown]
	v_cvt_f32_f64_e32 v75, v[150:151]
	v_cvt_f32_f64_e32 v76, v[76:77]
	;; [unrolled: 1-line block ×30, first 2 shown]
	v_min3_f32 v127, v75, v76, v127
	v_min3_f32 v119, v58, v56, v119
	;; [unrolled: 1-line block ×15, first 2 shown]
	s_mov_b32 s18, 2
	s_mov_b64 s[2:3], 0
	s_cbranch_vccz .LBB107_24
; %bb.25:
	s_load_dword s19, s[0:1], 0x8
	v_lshlrev_b32_e32 v0, 5, v72
	v_lshl_add_u32 v0, v144, 3, v0
	s_mov_b32 s18, 8
	ds_write2st64_b64 v0, v[62:63], v[64:65] offset0:16 offset1:20
	ds_write2st64_b64 v0, v[66:67], v[68:69] offset0:24 offset1:28
	ds_write_b64 v74, v[70:71] offset:18432
	s_waitcnt lgkmcnt(0)
	s_cmp_gt_i32 s19, 8
	s_barrier
	s_cbranch_scc0 .LBB107_46
; %bb.26:
	v_add_u32_e32 v149, 0x2000, v0
	v_mad_i64_i32 v[0:1], s[2:3], v73, s25, 0
	v_lshl_add_u64 v[62:63], v[0:1], 3, s[22:23]
	v_add_u32_e32 v150, 0x4800, v74
	s_add_i32 s19, s19, -8
	v_lshl_add_u64 v[64:65], v[62:63], 0, 32
	s_mov_b32 s22, 0
	v_mov_b32_e32 v67, 0
.LBB107_27:                             ; =>This Loop Header: Depth=1
                                        ;     Child Loop BB107_35 Depth 2
                                        ;     Child Loop BB107_44 Depth 2
	v_add_u32_e32 v3, s18, v144
	v_mad_u64_u32 v[0:1], s[2:3], v3, s28, 0
	v_mov_b32_e32 v2, v1
	v_mad_u64_u32 v[2:3], s[2:3], v3, s24, v[2:3]
	v_mov_b32_e32 v1, v2
	v_lshl_add_u64 v[0:1], v[0:1], 3, s[20:21]
	s_and_b64 vcc, exec, s[4:5]
	v_lshl_add_u64 v[0:1], v[60:61], 3, v[0:1]
	s_cbranch_vccnz .LBB107_31
; %bb.28:                               ;   in Loop: Header=BB107_27 Depth=1
	flat_load_dwordx2 v[2:3], v[0:1]
	flat_load_dwordx2 v[4:5], v[0:1] offset:512
	s_waitcnt vmcnt(0) lgkmcnt(0)
	v_mul_f64 v[68:69], v[2:3], s[12:13]
	v_mul_f64 v[70:71], v[4:5], s[12:13]
	s_and_b64 vcc, exec, s[4:5]
	s_cbranch_vccnz .LBB107_32
.LBB107_29:                             ;   in Loop: Header=BB107_27 Depth=1
	flat_load_dwordx2 v[2:3], v[0:1] offset:1024
	flat_load_dwordx2 v[4:5], v[0:1] offset:1536
	s_waitcnt vmcnt(0) lgkmcnt(0)
	v_mul_f64 v[72:73], v[2:3], s[12:13]
	v_mul_f64 v[74:75], v[4:5], s[12:13]
	s_and_b64 vcc, exec, s[4:5]
	s_cbranch_vccnz .LBB107_33
.LBB107_30:                             ;   in Loop: Header=BB107_27 Depth=1
	v_or_b32_e32 v66, s18, v145
	v_lshl_add_u64 v[0:1], v[66:67], 3, v[62:63]
	flat_load_dwordx2 v[0:1], v[0:1]
	s_waitcnt vmcnt(0) lgkmcnt(0)
	v_mul_f64 v[76:77], v[0:1], s[12:13]
	s_branch .LBB107_34
.LBB107_31:                             ;   in Loop: Header=BB107_27 Depth=1
	v_mov_b64_e32 v[68:69], 0
	v_mov_b64_e32 v[70:71], 0
	s_and_b64 vcc, exec, s[4:5]
	s_cbranch_vccz .LBB107_29
.LBB107_32:                             ;   in Loop: Header=BB107_27 Depth=1
	v_mov_b64_e32 v[72:73], 0
	v_mov_b64_e32 v[74:75], 0
	s_and_b64 vcc, exec, s[4:5]
	s_cbranch_vccz .LBB107_30
.LBB107_33:                             ;   in Loop: Header=BB107_27 Depth=1
	v_mov_b64_e32 v[76:77], 0
.LBB107_34:                             ;   in Loop: Header=BB107_27 Depth=1
	s_mov_b32 s23, 0
	s_mov_b64 s[2:3], -1
.LBB107_35:                             ;   Parent Loop BB107_27 Depth=1
                                        ; =>  This Inner Loop Header: Depth=2
	v_cndmask_b32_e64 v0, 0, 1, s[2:3]
	s_lshl_b32 s2, s23, 3
	v_cmp_ne_u32_e32 vcc, 1, v0
	v_lshl_add_u32 v0, v135, 5, s2
	v_lshl_add_u32 v20, v136, 5, s2
	ds_read_b128 v[32:35], v0 offset:8192
	ds_read_b128 v[28:31], v0 offset:9216
	;; [unrolled: 1-line block ×16, first 2 shown]
	s_waitcnt lgkmcnt(7)
	v_add_f64 v[156:157], v[34:35], v[154:155]
	v_add_f64 v[158:159], v[32:33], v[152:153]
	v_cvt_f32_f64_e32 v66, v[158:159]
	v_cvt_f32_f64_e32 v151, v[156:157]
	v_add_f64 v[156:157], v[30:31], v[154:155]
	v_add_f64 v[158:159], v[28:29], v[152:153]
	v_min3_f32 v143, v66, v151, v143
	v_cvt_f32_f64_e32 v66, v[158:159]
	v_cvt_f32_f64_e32 v151, v[156:157]
	v_add_f64 v[156:157], v[26:27], v[154:155]
	v_add_f64 v[158:159], v[24:25], v[152:153]
	v_min3_f32 v142, v66, v151, v142
	;; [unrolled: 5-line block ×7, first 2 shown]
	v_cvt_f32_f64_e32 v66, v[152:153]
	v_cvt_f32_f64_e32 v151, v[154:155]
	s_waitcnt lgkmcnt(6)
	v_add_f64 v[152:153], v[34:35], v[58:59]
	v_add_f64 v[154:155], v[32:33], v[56:57]
	v_min3_f32 v134, v66, v151, v134
	v_cvt_f32_f64_e32 v66, v[154:155]
	v_cvt_f32_f64_e32 v151, v[152:153]
	v_add_f64 v[152:153], v[30:31], v[58:59]
	v_add_f64 v[154:155], v[28:29], v[56:57]
	v_min3_f32 v133, v66, v151, v133
	v_cvt_f32_f64_e32 v66, v[154:155]
	v_cvt_f32_f64_e32 v151, v[152:153]
	;; [unrolled: 5-line block ×6, first 2 shown]
	v_add_f64 v[152:153], v[6:7], v[58:59]
	v_add_f64 v[154:155], v[4:5], v[56:57]
	v_add_f64 v[58:59], v[2:3], v[58:59]
	v_add_f64 v[56:57], v[0:1], v[56:57]
	v_cvt_f32_f64_e32 v56, v[56:57]
	v_cvt_f32_f64_e32 v57, v[58:59]
	v_min3_f32 v126, v56, v57, v126
	s_waitcnt lgkmcnt(5)
	v_add_f64 v[56:57], v[34:35], v[54:55]
	v_add_f64 v[58:59], v[32:33], v[52:53]
	v_cvt_f32_f64_e32 v58, v[58:59]
	v_cvt_f32_f64_e32 v56, v[56:57]
	v_min3_f32 v125, v58, v56, v125
	v_add_f64 v[56:57], v[30:31], v[54:55]
	v_add_f64 v[58:59], v[28:29], v[52:53]
	v_cvt_f32_f64_e32 v58, v[58:59]
	v_cvt_f32_f64_e32 v56, v[56:57]
	v_min3_f32 v124, v58, v56, v124
	v_add_f64 v[56:57], v[26:27], v[54:55]
	v_add_f64 v[58:59], v[24:25], v[52:53]
	v_cvt_f32_f64_e32 v58, v[58:59]
	v_cvt_f32_f64_e32 v56, v[56:57]
	v_min3_f32 v123, v58, v56, v123
	v_add_f64 v[56:57], v[18:19], v[54:55]
	v_add_f64 v[58:59], v[16:17], v[52:53]
	v_cvt_f32_f64_e32 v58, v[58:59]
	v_cvt_f32_f64_e32 v56, v[56:57]
	v_min3_f32 v122, v58, v56, v122
	v_add_f64 v[56:57], v[14:15], v[54:55]
	v_add_f64 v[58:59], v[12:13], v[52:53]
	v_cvt_f32_f64_e32 v58, v[58:59]
	v_cvt_f32_f64_e32 v56, v[56:57]
	v_min3_f32 v121, v58, v56, v121
	v_add_f64 v[56:57], v[10:11], v[54:55]
	v_add_f64 v[58:59], v[8:9], v[52:53]
	v_cvt_f32_f64_e32 v58, v[58:59]
	v_cvt_f32_f64_e32 v56, v[56:57]
	v_min3_f32 v120, v58, v56, v120
	v_add_f64 v[56:57], v[6:7], v[54:55]
	v_add_f64 v[58:59], v[4:5], v[52:53]
	v_add_f64 v[54:55], v[2:3], v[54:55]
	v_add_f64 v[52:53], v[0:1], v[52:53]
	v_cvt_f32_f64_e32 v52, v[52:53]
	v_cvt_f32_f64_e32 v53, v[54:55]
	v_min3_f32 v118, v52, v53, v118
	s_waitcnt lgkmcnt(4)
	v_add_f64 v[52:53], v[34:35], v[50:51]
	v_add_f64 v[54:55], v[32:33], v[48:49]
	v_cvt_f32_f64_e32 v54, v[54:55]
	v_cvt_f32_f64_e32 v52, v[52:53]
	v_min3_f32 v117, v54, v52, v117
	v_add_f64 v[52:53], v[30:31], v[50:51]
	v_add_f64 v[54:55], v[28:29], v[48:49]
	v_cvt_f32_f64_e32 v54, v[54:55]
	v_cvt_f32_f64_e32 v52, v[52:53]
	v_min3_f32 v116, v54, v52, v116
	v_add_f64 v[52:53], v[26:27], v[50:51]
	v_add_f64 v[54:55], v[24:25], v[48:49]
	v_cvt_f32_f64_e32 v54, v[54:55]
	v_cvt_f32_f64_e32 v52, v[52:53]
	v_min3_f32 v115, v54, v52, v115
	v_add_f64 v[52:53], v[18:19], v[50:51]
	v_add_f64 v[54:55], v[16:17], v[48:49]
	v_cvt_f32_f64_e32 v54, v[54:55]
	v_cvt_f32_f64_e32 v52, v[52:53]
	v_min3_f32 v114, v54, v52, v114
	v_add_f64 v[52:53], v[14:15], v[50:51]
	v_add_f64 v[54:55], v[12:13], v[48:49]
	v_cvt_f32_f64_e32 v54, v[54:55]
	v_cvt_f32_f64_e32 v52, v[52:53]
	v_min3_f32 v113, v54, v52, v113
	v_add_f64 v[52:53], v[10:11], v[50:51]
	v_add_f64 v[54:55], v[8:9], v[48:49]
	v_cvt_f32_f64_e32 v54, v[54:55]
	v_cvt_f32_f64_e32 v52, v[52:53]
	v_min3_f32 v112, v54, v52, v112
	v_add_f64 v[52:53], v[6:7], v[50:51]
	v_add_f64 v[54:55], v[4:5], v[48:49]
	v_add_f64 v[50:51], v[2:3], v[50:51]
	v_add_f64 v[48:49], v[0:1], v[48:49]
	v_cvt_f32_f64_e32 v48, v[48:49]
	v_cvt_f32_f64_e32 v49, v[50:51]
	v_min3_f32 v110, v48, v49, v110
	s_waitcnt lgkmcnt(3)
	v_add_f64 v[48:49], v[34:35], v[46:47]
	v_add_f64 v[50:51], v[32:33], v[44:45]
	v_cvt_f32_f64_e32 v50, v[50:51]
	v_cvt_f32_f64_e32 v48, v[48:49]
	v_min3_f32 v109, v50, v48, v109
	v_add_f64 v[48:49], v[30:31], v[46:47]
	v_add_f64 v[50:51], v[28:29], v[44:45]
	v_cvt_f32_f64_e32 v50, v[50:51]
	v_cvt_f32_f64_e32 v48, v[48:49]
	v_min3_f32 v108, v50, v48, v108
	v_add_f64 v[48:49], v[26:27], v[46:47]
	v_add_f64 v[50:51], v[24:25], v[44:45]
	v_cvt_f32_f64_e32 v50, v[50:51]
	v_cvt_f32_f64_e32 v48, v[48:49]
	v_min3_f32 v107, v50, v48, v107
	v_add_f64 v[48:49], v[18:19], v[46:47]
	v_add_f64 v[50:51], v[16:17], v[44:45]
	v_cvt_f32_f64_e32 v50, v[50:51]
	v_cvt_f32_f64_e32 v48, v[48:49]
	v_min3_f32 v106, v50, v48, v106
	v_add_f64 v[48:49], v[14:15], v[46:47]
	v_add_f64 v[50:51], v[12:13], v[44:45]
	v_cvt_f32_f64_e32 v50, v[50:51]
	v_cvt_f32_f64_e32 v48, v[48:49]
	v_min3_f32 v105, v50, v48, v105
	v_add_f64 v[48:49], v[10:11], v[46:47]
	v_add_f64 v[50:51], v[8:9], v[44:45]
	v_cvt_f32_f64_e32 v50, v[50:51]
	v_cvt_f32_f64_e32 v48, v[48:49]
	v_min3_f32 v104, v50, v48, v104
	v_add_f64 v[48:49], v[6:7], v[46:47]
	v_add_f64 v[50:51], v[4:5], v[44:45]
	v_add_f64 v[46:47], v[2:3], v[46:47]
	v_add_f64 v[44:45], v[0:1], v[44:45]
	v_cvt_f32_f64_e32 v44, v[44:45]
	v_cvt_f32_f64_e32 v45, v[46:47]
	v_min3_f32 v102, v44, v45, v102
	s_waitcnt lgkmcnt(2)
	v_add_f64 v[44:45], v[34:35], v[42:43]
	v_add_f64 v[46:47], v[32:33], v[40:41]
	v_cvt_f32_f64_e32 v46, v[46:47]
	v_cvt_f32_f64_e32 v44, v[44:45]
	v_min3_f32 v101, v46, v44, v101
	v_add_f64 v[44:45], v[30:31], v[42:43]
	v_add_f64 v[46:47], v[28:29], v[40:41]
	v_cvt_f32_f64_e32 v46, v[46:47]
	v_cvt_f32_f64_e32 v44, v[44:45]
	v_min3_f32 v100, v46, v44, v100
	v_add_f64 v[44:45], v[26:27], v[42:43]
	v_add_f64 v[46:47], v[24:25], v[40:41]
	v_cvt_f32_f64_e32 v46, v[46:47]
	v_cvt_f32_f64_e32 v44, v[44:45]
	v_min3_f32 v99, v46, v44, v99
	v_add_f64 v[44:45], v[18:19], v[42:43]
	v_add_f64 v[46:47], v[16:17], v[40:41]
	v_cvt_f32_f64_e32 v46, v[46:47]
	v_cvt_f32_f64_e32 v44, v[44:45]
	v_min3_f32 v98, v46, v44, v98
	v_add_f64 v[44:45], v[14:15], v[42:43]
	v_add_f64 v[46:47], v[12:13], v[40:41]
	v_cvt_f32_f64_e32 v46, v[46:47]
	v_cvt_f32_f64_e32 v44, v[44:45]
	v_min3_f32 v97, v46, v44, v97
	v_add_f64 v[44:45], v[10:11], v[42:43]
	v_add_f64 v[46:47], v[8:9], v[40:41]
	v_cvt_f32_f64_e32 v46, v[46:47]
	v_cvt_f32_f64_e32 v44, v[44:45]
	v_min3_f32 v96, v46, v44, v96
	v_add_f64 v[44:45], v[6:7], v[42:43]
	v_add_f64 v[46:47], v[4:5], v[40:41]
	v_add_f64 v[42:43], v[2:3], v[42:43]
	v_add_f64 v[40:41], v[0:1], v[40:41]
	v_cvt_f32_f64_e32 v40, v[40:41]
	v_cvt_f32_f64_e32 v41, v[42:43]
	v_min3_f32 v94, v40, v41, v94
	s_waitcnt lgkmcnt(1)
	v_add_f64 v[40:41], v[34:35], v[38:39]
	v_add_f64 v[42:43], v[32:33], v[36:37]
	v_cvt_f32_f64_e32 v42, v[42:43]
	v_cvt_f32_f64_e32 v40, v[40:41]
	v_min3_f32 v93, v42, v40, v93
	v_add_f64 v[40:41], v[30:31], v[38:39]
	v_add_f64 v[42:43], v[28:29], v[36:37]
	v_cvt_f32_f64_e32 v42, v[42:43]
	v_cvt_f32_f64_e32 v40, v[40:41]
	v_min3_f32 v92, v42, v40, v92
	v_add_f64 v[40:41], v[26:27], v[38:39]
	v_add_f64 v[42:43], v[24:25], v[36:37]
	v_cvt_f32_f64_e32 v42, v[42:43]
	v_cvt_f32_f64_e32 v40, v[40:41]
	v_min3_f32 v91, v42, v40, v91
	v_add_f64 v[40:41], v[18:19], v[38:39]
	v_add_f64 v[42:43], v[16:17], v[36:37]
	v_cvt_f32_f64_e32 v42, v[42:43]
	v_cvt_f32_f64_e32 v40, v[40:41]
	v_min3_f32 v90, v42, v40, v90
	v_add_f64 v[40:41], v[14:15], v[38:39]
	v_add_f64 v[42:43], v[12:13], v[36:37]
	v_cvt_f32_f64_e32 v42, v[42:43]
	v_cvt_f32_f64_e32 v40, v[40:41]
	v_min3_f32 v89, v42, v40, v89
	v_add_f64 v[40:41], v[10:11], v[38:39]
	v_add_f64 v[42:43], v[8:9], v[36:37]
	v_cvt_f32_f64_e32 v42, v[42:43]
	v_cvt_f32_f64_e32 v40, v[40:41]
	v_min3_f32 v88, v42, v40, v88
	v_add_f64 v[40:41], v[6:7], v[38:39]
	v_add_f64 v[42:43], v[4:5], v[36:37]
	;; [unrolled: 1-line block ×4, first 2 shown]
	s_waitcnt lgkmcnt(0)
	v_add_f64 v[34:35], v[34:35], v[22:23]
	v_add_f64 v[32:33], v[32:33], v[20:21]
	;; [unrolled: 1-line block ×16, first 2 shown]
	v_min3_f32 v128, v66, v151, v128
	v_cvt_f32_f64_e32 v66, v[154:155]
	v_cvt_f32_f64_e32 v151, v[152:153]
	;; [unrolled: 1-line block ×30, first 2 shown]
	v_min3_f32 v127, v66, v151, v127
	v_min3_f32 v119, v58, v56, v119
	;; [unrolled: 1-line block ×15, first 2 shown]
	s_mov_b32 s23, 2
	s_mov_b64 s[2:3], 0
	s_cbranch_vccz .LBB107_35
; %bb.36:                               ;   in Loop: Header=BB107_27 Depth=1
	v_add_u32_e32 v3, s18, v146
	v_mad_u64_u32 v[0:1], s[2:3], v3, s28, 0
	v_mov_b32_e32 v2, v1
	v_mad_u64_u32 v[2:3], s[2:3], v3, s24, v[2:3]
	v_mov_b32_e32 v1, v2
	v_lshl_add_u64 v[0:1], v[0:1], 3, s[20:21]
	s_and_b64 vcc, exec, s[4:5]
	v_lshl_add_u64 v[0:1], v[60:61], 3, v[0:1]
	ds_write2st64_b64 v147, v[68:69], v[70:71] offset1:4
	ds_write2st64_b64 v147, v[72:73], v[74:75] offset0:8 offset1:12
	ds_write_b64 v148, v[76:77]
	s_waitcnt lgkmcnt(0)
	s_barrier
	s_cbranch_vccnz .LBB107_40
; %bb.37:                               ;   in Loop: Header=BB107_27 Depth=1
	flat_load_dwordx2 v[2:3], v[0:1]
	flat_load_dwordx2 v[4:5], v[0:1] offset:512
	s_waitcnt vmcnt(0) lgkmcnt(0)
	v_mul_f64 v[68:69], v[2:3], s[12:13]
	v_mul_f64 v[70:71], v[4:5], s[12:13]
	s_and_b64 vcc, exec, s[4:5]
	s_cbranch_vccnz .LBB107_41
.LBB107_38:                             ;   in Loop: Header=BB107_27 Depth=1
	flat_load_dwordx2 v[2:3], v[0:1] offset:1024
	flat_load_dwordx2 v[4:5], v[0:1] offset:1536
	s_waitcnt vmcnt(0) lgkmcnt(0)
	v_mul_f64 v[72:73], v[2:3], s[12:13]
	v_mul_f64 v[74:75], v[4:5], s[12:13]
	s_and_b64 vcc, exec, s[4:5]
	s_cbranch_vccnz .LBB107_42
.LBB107_39:                             ;   in Loop: Header=BB107_27 Depth=1
	v_or_b32_e32 v66, s18, v145
	v_lshl_add_u64 v[0:1], v[66:67], 3, v[64:65]
	flat_load_dwordx2 v[0:1], v[0:1]
	s_waitcnt vmcnt(0) lgkmcnt(0)
	v_mul_f64 v[76:77], v[0:1], s[12:13]
	s_branch .LBB107_43
.LBB107_40:                             ;   in Loop: Header=BB107_27 Depth=1
	v_mov_b64_e32 v[68:69], 0
	v_mov_b64_e32 v[70:71], 0
	s_and_b64 vcc, exec, s[4:5]
	s_cbranch_vccz .LBB107_38
.LBB107_41:                             ;   in Loop: Header=BB107_27 Depth=1
	v_mov_b64_e32 v[72:73], 0
	v_mov_b64_e32 v[74:75], 0
	s_and_b64 vcc, exec, s[4:5]
	s_cbranch_vccz .LBB107_39
.LBB107_42:                             ;   in Loop: Header=BB107_27 Depth=1
	v_mov_b64_e32 v[76:77], 0
.LBB107_43:                             ;   in Loop: Header=BB107_27 Depth=1
	s_mov_b32 s23, 0
	s_mov_b64 s[2:3], -1
.LBB107_44:                             ;   Parent Loop BB107_27 Depth=1
                                        ; =>  This Inner Loop Header: Depth=2
	v_cndmask_b32_e64 v0, 0, 1, s[2:3]
	s_lshl_b32 s2, s23, 3
	v_cmp_ne_u32_e32 vcc, 1, v0
	v_lshl_add_u32 v0, v135, 5, s2
	v_lshl_add_u32 v20, v136, 5, s2
	ds_read_b128 v[32:35], v0
	ds_read_b128 v[28:31], v0 offset:1024
	ds_read_b128 v[24:27], v0 offset:2048
	;; [unrolled: 1-line block ×15, first 2 shown]
	s_waitcnt lgkmcnt(7)
	v_add_f64 v[156:157], v[34:35], v[154:155]
	v_add_f64 v[158:159], v[32:33], v[152:153]
	v_cvt_f32_f64_e32 v66, v[158:159]
	v_cvt_f32_f64_e32 v151, v[156:157]
	v_add_f64 v[156:157], v[30:31], v[154:155]
	v_add_f64 v[158:159], v[28:29], v[152:153]
	v_min3_f32 v143, v66, v151, v143
	v_cvt_f32_f64_e32 v66, v[158:159]
	v_cvt_f32_f64_e32 v151, v[156:157]
	v_add_f64 v[156:157], v[26:27], v[154:155]
	v_add_f64 v[158:159], v[24:25], v[152:153]
	v_min3_f32 v142, v66, v151, v142
	;; [unrolled: 5-line block ×7, first 2 shown]
	v_cvt_f32_f64_e32 v66, v[152:153]
	v_cvt_f32_f64_e32 v151, v[154:155]
	s_waitcnt lgkmcnt(6)
	v_add_f64 v[152:153], v[34:35], v[58:59]
	v_add_f64 v[154:155], v[32:33], v[56:57]
	v_min3_f32 v134, v66, v151, v134
	v_cvt_f32_f64_e32 v66, v[154:155]
	v_cvt_f32_f64_e32 v151, v[152:153]
	v_add_f64 v[152:153], v[30:31], v[58:59]
	v_add_f64 v[154:155], v[28:29], v[56:57]
	v_min3_f32 v133, v66, v151, v133
	v_cvt_f32_f64_e32 v66, v[154:155]
	v_cvt_f32_f64_e32 v151, v[152:153]
	;; [unrolled: 5-line block ×6, first 2 shown]
	v_add_f64 v[152:153], v[6:7], v[58:59]
	v_add_f64 v[154:155], v[4:5], v[56:57]
	v_add_f64 v[58:59], v[2:3], v[58:59]
	v_add_f64 v[56:57], v[0:1], v[56:57]
	v_cvt_f32_f64_e32 v56, v[56:57]
	v_cvt_f32_f64_e32 v57, v[58:59]
	v_min3_f32 v126, v56, v57, v126
	s_waitcnt lgkmcnt(5)
	v_add_f64 v[56:57], v[34:35], v[54:55]
	v_add_f64 v[58:59], v[32:33], v[52:53]
	v_cvt_f32_f64_e32 v58, v[58:59]
	v_cvt_f32_f64_e32 v56, v[56:57]
	v_min3_f32 v125, v58, v56, v125
	v_add_f64 v[56:57], v[30:31], v[54:55]
	v_add_f64 v[58:59], v[28:29], v[52:53]
	v_cvt_f32_f64_e32 v58, v[58:59]
	v_cvt_f32_f64_e32 v56, v[56:57]
	v_min3_f32 v124, v58, v56, v124
	v_add_f64 v[56:57], v[26:27], v[54:55]
	v_add_f64 v[58:59], v[24:25], v[52:53]
	v_cvt_f32_f64_e32 v58, v[58:59]
	v_cvt_f32_f64_e32 v56, v[56:57]
	v_min3_f32 v123, v58, v56, v123
	v_add_f64 v[56:57], v[18:19], v[54:55]
	v_add_f64 v[58:59], v[16:17], v[52:53]
	v_cvt_f32_f64_e32 v58, v[58:59]
	v_cvt_f32_f64_e32 v56, v[56:57]
	v_min3_f32 v122, v58, v56, v122
	v_add_f64 v[56:57], v[14:15], v[54:55]
	v_add_f64 v[58:59], v[12:13], v[52:53]
	v_cvt_f32_f64_e32 v58, v[58:59]
	v_cvt_f32_f64_e32 v56, v[56:57]
	v_min3_f32 v121, v58, v56, v121
	v_add_f64 v[56:57], v[10:11], v[54:55]
	v_add_f64 v[58:59], v[8:9], v[52:53]
	v_cvt_f32_f64_e32 v58, v[58:59]
	v_cvt_f32_f64_e32 v56, v[56:57]
	v_min3_f32 v120, v58, v56, v120
	v_add_f64 v[56:57], v[6:7], v[54:55]
	v_add_f64 v[58:59], v[4:5], v[52:53]
	v_add_f64 v[54:55], v[2:3], v[54:55]
	v_add_f64 v[52:53], v[0:1], v[52:53]
	v_cvt_f32_f64_e32 v52, v[52:53]
	v_cvt_f32_f64_e32 v53, v[54:55]
	v_min3_f32 v118, v52, v53, v118
	s_waitcnt lgkmcnt(4)
	v_add_f64 v[52:53], v[34:35], v[50:51]
	v_add_f64 v[54:55], v[32:33], v[48:49]
	v_cvt_f32_f64_e32 v54, v[54:55]
	v_cvt_f32_f64_e32 v52, v[52:53]
	v_min3_f32 v117, v54, v52, v117
	v_add_f64 v[52:53], v[30:31], v[50:51]
	v_add_f64 v[54:55], v[28:29], v[48:49]
	v_cvt_f32_f64_e32 v54, v[54:55]
	v_cvt_f32_f64_e32 v52, v[52:53]
	v_min3_f32 v116, v54, v52, v116
	v_add_f64 v[52:53], v[26:27], v[50:51]
	v_add_f64 v[54:55], v[24:25], v[48:49]
	v_cvt_f32_f64_e32 v54, v[54:55]
	v_cvt_f32_f64_e32 v52, v[52:53]
	v_min3_f32 v115, v54, v52, v115
	v_add_f64 v[52:53], v[18:19], v[50:51]
	v_add_f64 v[54:55], v[16:17], v[48:49]
	v_cvt_f32_f64_e32 v54, v[54:55]
	v_cvt_f32_f64_e32 v52, v[52:53]
	v_min3_f32 v114, v54, v52, v114
	v_add_f64 v[52:53], v[14:15], v[50:51]
	v_add_f64 v[54:55], v[12:13], v[48:49]
	v_cvt_f32_f64_e32 v54, v[54:55]
	v_cvt_f32_f64_e32 v52, v[52:53]
	v_min3_f32 v113, v54, v52, v113
	v_add_f64 v[52:53], v[10:11], v[50:51]
	v_add_f64 v[54:55], v[8:9], v[48:49]
	v_cvt_f32_f64_e32 v54, v[54:55]
	v_cvt_f32_f64_e32 v52, v[52:53]
	v_min3_f32 v112, v54, v52, v112
	v_add_f64 v[52:53], v[6:7], v[50:51]
	v_add_f64 v[54:55], v[4:5], v[48:49]
	v_add_f64 v[50:51], v[2:3], v[50:51]
	v_add_f64 v[48:49], v[0:1], v[48:49]
	v_cvt_f32_f64_e32 v48, v[48:49]
	v_cvt_f32_f64_e32 v49, v[50:51]
	v_min3_f32 v110, v48, v49, v110
	s_waitcnt lgkmcnt(3)
	v_add_f64 v[48:49], v[34:35], v[46:47]
	v_add_f64 v[50:51], v[32:33], v[44:45]
	v_cvt_f32_f64_e32 v50, v[50:51]
	v_cvt_f32_f64_e32 v48, v[48:49]
	v_min3_f32 v109, v50, v48, v109
	v_add_f64 v[48:49], v[30:31], v[46:47]
	v_add_f64 v[50:51], v[28:29], v[44:45]
	v_cvt_f32_f64_e32 v50, v[50:51]
	v_cvt_f32_f64_e32 v48, v[48:49]
	v_min3_f32 v108, v50, v48, v108
	v_add_f64 v[48:49], v[26:27], v[46:47]
	v_add_f64 v[50:51], v[24:25], v[44:45]
	v_cvt_f32_f64_e32 v50, v[50:51]
	v_cvt_f32_f64_e32 v48, v[48:49]
	v_min3_f32 v107, v50, v48, v107
	v_add_f64 v[48:49], v[18:19], v[46:47]
	v_add_f64 v[50:51], v[16:17], v[44:45]
	v_cvt_f32_f64_e32 v50, v[50:51]
	v_cvt_f32_f64_e32 v48, v[48:49]
	v_min3_f32 v106, v50, v48, v106
	v_add_f64 v[48:49], v[14:15], v[46:47]
	v_add_f64 v[50:51], v[12:13], v[44:45]
	v_cvt_f32_f64_e32 v50, v[50:51]
	v_cvt_f32_f64_e32 v48, v[48:49]
	v_min3_f32 v105, v50, v48, v105
	v_add_f64 v[48:49], v[10:11], v[46:47]
	v_add_f64 v[50:51], v[8:9], v[44:45]
	v_cvt_f32_f64_e32 v50, v[50:51]
	v_cvt_f32_f64_e32 v48, v[48:49]
	v_min3_f32 v104, v50, v48, v104
	v_add_f64 v[48:49], v[6:7], v[46:47]
	v_add_f64 v[50:51], v[4:5], v[44:45]
	v_add_f64 v[46:47], v[2:3], v[46:47]
	v_add_f64 v[44:45], v[0:1], v[44:45]
	v_cvt_f32_f64_e32 v44, v[44:45]
	v_cvt_f32_f64_e32 v45, v[46:47]
	v_min3_f32 v102, v44, v45, v102
	s_waitcnt lgkmcnt(2)
	v_add_f64 v[44:45], v[34:35], v[42:43]
	v_add_f64 v[46:47], v[32:33], v[40:41]
	v_cvt_f32_f64_e32 v46, v[46:47]
	v_cvt_f32_f64_e32 v44, v[44:45]
	v_min3_f32 v101, v46, v44, v101
	v_add_f64 v[44:45], v[30:31], v[42:43]
	v_add_f64 v[46:47], v[28:29], v[40:41]
	v_cvt_f32_f64_e32 v46, v[46:47]
	v_cvt_f32_f64_e32 v44, v[44:45]
	v_min3_f32 v100, v46, v44, v100
	v_add_f64 v[44:45], v[26:27], v[42:43]
	v_add_f64 v[46:47], v[24:25], v[40:41]
	v_cvt_f32_f64_e32 v46, v[46:47]
	v_cvt_f32_f64_e32 v44, v[44:45]
	v_min3_f32 v99, v46, v44, v99
	v_add_f64 v[44:45], v[18:19], v[42:43]
	v_add_f64 v[46:47], v[16:17], v[40:41]
	v_cvt_f32_f64_e32 v46, v[46:47]
	v_cvt_f32_f64_e32 v44, v[44:45]
	v_min3_f32 v98, v46, v44, v98
	v_add_f64 v[44:45], v[14:15], v[42:43]
	v_add_f64 v[46:47], v[12:13], v[40:41]
	v_cvt_f32_f64_e32 v46, v[46:47]
	v_cvt_f32_f64_e32 v44, v[44:45]
	v_min3_f32 v97, v46, v44, v97
	v_add_f64 v[44:45], v[10:11], v[42:43]
	v_add_f64 v[46:47], v[8:9], v[40:41]
	v_cvt_f32_f64_e32 v46, v[46:47]
	v_cvt_f32_f64_e32 v44, v[44:45]
	v_min3_f32 v96, v46, v44, v96
	v_add_f64 v[44:45], v[6:7], v[42:43]
	v_add_f64 v[46:47], v[4:5], v[40:41]
	v_add_f64 v[42:43], v[2:3], v[42:43]
	v_add_f64 v[40:41], v[0:1], v[40:41]
	v_cvt_f32_f64_e32 v40, v[40:41]
	v_cvt_f32_f64_e32 v41, v[42:43]
	v_min3_f32 v94, v40, v41, v94
	s_waitcnt lgkmcnt(1)
	v_add_f64 v[40:41], v[34:35], v[38:39]
	v_add_f64 v[42:43], v[32:33], v[36:37]
	v_cvt_f32_f64_e32 v42, v[42:43]
	v_cvt_f32_f64_e32 v40, v[40:41]
	v_min3_f32 v93, v42, v40, v93
	v_add_f64 v[40:41], v[30:31], v[38:39]
	v_add_f64 v[42:43], v[28:29], v[36:37]
	v_cvt_f32_f64_e32 v42, v[42:43]
	v_cvt_f32_f64_e32 v40, v[40:41]
	v_min3_f32 v92, v42, v40, v92
	v_add_f64 v[40:41], v[26:27], v[38:39]
	v_add_f64 v[42:43], v[24:25], v[36:37]
	v_cvt_f32_f64_e32 v42, v[42:43]
	v_cvt_f32_f64_e32 v40, v[40:41]
	v_min3_f32 v91, v42, v40, v91
	v_add_f64 v[40:41], v[18:19], v[38:39]
	v_add_f64 v[42:43], v[16:17], v[36:37]
	v_cvt_f32_f64_e32 v42, v[42:43]
	v_cvt_f32_f64_e32 v40, v[40:41]
	v_min3_f32 v90, v42, v40, v90
	v_add_f64 v[40:41], v[14:15], v[38:39]
	v_add_f64 v[42:43], v[12:13], v[36:37]
	v_cvt_f32_f64_e32 v42, v[42:43]
	v_cvt_f32_f64_e32 v40, v[40:41]
	v_min3_f32 v89, v42, v40, v89
	v_add_f64 v[40:41], v[10:11], v[38:39]
	v_add_f64 v[42:43], v[8:9], v[36:37]
	v_cvt_f32_f64_e32 v42, v[42:43]
	v_cvt_f32_f64_e32 v40, v[40:41]
	v_min3_f32 v88, v42, v40, v88
	v_add_f64 v[40:41], v[6:7], v[38:39]
	v_add_f64 v[42:43], v[4:5], v[36:37]
	;; [unrolled: 1-line block ×4, first 2 shown]
	s_waitcnt lgkmcnt(0)
	v_add_f64 v[34:35], v[34:35], v[22:23]
	v_add_f64 v[32:33], v[32:33], v[20:21]
	;; [unrolled: 1-line block ×16, first 2 shown]
	v_min3_f32 v128, v66, v151, v128
	v_cvt_f32_f64_e32 v66, v[154:155]
	v_cvt_f32_f64_e32 v151, v[152:153]
	v_cvt_f32_f64_e32 v58, v[58:59]
	v_cvt_f32_f64_e32 v56, v[56:57]
	v_cvt_f32_f64_e32 v54, v[54:55]
	v_cvt_f32_f64_e32 v52, v[52:53]
	v_cvt_f32_f64_e32 v50, v[50:51]
	v_cvt_f32_f64_e32 v48, v[48:49]
	v_cvt_f32_f64_e32 v46, v[46:47]
	v_cvt_f32_f64_e32 v44, v[44:45]
	v_cvt_f32_f64_e32 v42, v[42:43]
	v_cvt_f32_f64_e32 v40, v[40:41]
	v_cvt_f32_f64_e32 v36, v[36:37]
	v_cvt_f32_f64_e32 v37, v[38:39]
	v_cvt_f32_f64_e32 v32, v[32:33]
	v_cvt_f32_f64_e32 v33, v[34:35]
	v_cvt_f32_f64_e32 v28, v[28:29]
	v_cvt_f32_f64_e32 v29, v[30:31]
	v_cvt_f32_f64_e32 v24, v[24:25]
	v_cvt_f32_f64_e32 v25, v[26:27]
	v_cvt_f32_f64_e32 v16, v[16:17]
	v_cvt_f32_f64_e32 v17, v[18:19]
	v_cvt_f32_f64_e32 v12, v[12:13]
	v_cvt_f32_f64_e32 v13, v[14:15]
	v_cvt_f32_f64_e32 v8, v[8:9]
	v_cvt_f32_f64_e32 v9, v[10:11]
	v_cvt_f32_f64_e32 v4, v[4:5]
	v_cvt_f32_f64_e32 v5, v[6:7]
	v_cvt_f32_f64_e32 v0, v[0:1]
	v_cvt_f32_f64_e32 v1, v[2:3]
	v_min3_f32 v127, v66, v151, v127
	v_min3_f32 v119, v58, v56, v119
	;; [unrolled: 1-line block ×15, first 2 shown]
	s_mov_b32 s23, 2
	s_mov_b64 s[2:3], 0
	s_cbranch_vccz .LBB107_44
; %bb.45:                               ;   in Loop: Header=BB107_27 Depth=1
	s_add_i32 s18, s18, 8
	s_add_i32 s22, s22, 8
	s_cmp_ge_i32 s22, s19
	ds_write2st64_b64 v149, v[68:69], v[70:71] offset1:4
	ds_write2st64_b64 v149, v[72:73], v[74:75] offset0:8 offset1:12
	ds_write_b64 v150, v[76:77]
	s_waitcnt lgkmcnt(0)
	s_barrier
	s_cbranch_scc0 .LBB107_27
.LBB107_46:
	s_mov_b32 s4, 0
	s_mov_b64 s[2:3], -1
.LBB107_47:                             ; =>This Inner Loop Header: Depth=1
	v_cndmask_b32_e64 v0, 0, 1, s[2:3]
	s_lshl_b32 s2, s4, 3
	v_cmp_ne_u32_e32 vcc, 1, v0
	v_lshl_add_u32 v0, v135, 5, s2
	v_lshl_add_u32 v20, v136, 5, s2
	ds_read_b128 v[32:35], v0 offset:8192
	ds_read_b128 v[28:31], v0 offset:9216
	;; [unrolled: 1-line block ×16, first 2 shown]
	s_waitcnt lgkmcnt(7)
	v_add_f64 v[64:65], v[34:35], v[62:63]
	v_add_f64 v[66:67], v[32:33], v[60:61]
	v_cvt_f32_f64_e32 v66, v[66:67]
	v_cvt_f32_f64_e32 v64, v[64:65]
	v_min3_f32 v143, v66, v64, v143
	v_add_f64 v[64:65], v[30:31], v[62:63]
	v_add_f64 v[66:67], v[28:29], v[60:61]
	v_cvt_f32_f64_e32 v66, v[66:67]
	v_cvt_f32_f64_e32 v64, v[64:65]
	v_min3_f32 v142, v66, v64, v142
	v_add_f64 v[64:65], v[26:27], v[62:63]
	v_add_f64 v[66:67], v[24:25], v[60:61]
	v_cvt_f32_f64_e32 v66, v[66:67]
	v_cvt_f32_f64_e32 v64, v[64:65]
	v_min3_f32 v141, v66, v64, v141
	v_add_f64 v[64:65], v[18:19], v[62:63]
	v_add_f64 v[66:67], v[16:17], v[60:61]
	v_cvt_f32_f64_e32 v66, v[66:67]
	v_cvt_f32_f64_e32 v64, v[64:65]
	v_min3_f32 v140, v66, v64, v140
	v_add_f64 v[64:65], v[14:15], v[62:63]
	v_add_f64 v[66:67], v[12:13], v[60:61]
	v_cvt_f32_f64_e32 v66, v[66:67]
	v_cvt_f32_f64_e32 v64, v[64:65]
	v_min3_f32 v139, v66, v64, v139
	v_add_f64 v[64:65], v[10:11], v[62:63]
	v_add_f64 v[66:67], v[8:9], v[60:61]
	v_cvt_f32_f64_e32 v66, v[66:67]
	v_cvt_f32_f64_e32 v64, v[64:65]
	v_min3_f32 v138, v66, v64, v138
	v_add_f64 v[64:65], v[6:7], v[62:63]
	v_add_f64 v[66:67], v[4:5], v[60:61]
	v_add_f64 v[62:63], v[2:3], v[62:63]
	v_add_f64 v[60:61], v[0:1], v[60:61]
	v_cvt_f32_f64_e32 v60, v[60:61]
	v_cvt_f32_f64_e32 v61, v[62:63]
	v_min3_f32 v134, v60, v61, v134
	s_waitcnt lgkmcnt(6)
	v_add_f64 v[60:61], v[34:35], v[58:59]
	v_add_f64 v[62:63], v[32:33], v[56:57]
	v_cvt_f32_f64_e32 v62, v[62:63]
	v_cvt_f32_f64_e32 v60, v[60:61]
	v_min3_f32 v133, v62, v60, v133
	v_add_f64 v[60:61], v[30:31], v[58:59]
	v_add_f64 v[62:63], v[28:29], v[56:57]
	v_cvt_f32_f64_e32 v62, v[62:63]
	v_cvt_f32_f64_e32 v60, v[60:61]
	v_min3_f32 v132, v62, v60, v132
	v_add_f64 v[60:61], v[26:27], v[58:59]
	v_add_f64 v[62:63], v[24:25], v[56:57]
	v_cvt_f32_f64_e32 v62, v[62:63]
	v_cvt_f32_f64_e32 v60, v[60:61]
	v_min3_f32 v131, v62, v60, v131
	v_add_f64 v[60:61], v[18:19], v[58:59]
	v_add_f64 v[62:63], v[16:17], v[56:57]
	v_cvt_f32_f64_e32 v62, v[62:63]
	v_cvt_f32_f64_e32 v60, v[60:61]
	v_min3_f32 v130, v62, v60, v130
	v_add_f64 v[60:61], v[14:15], v[58:59]
	v_add_f64 v[62:63], v[12:13], v[56:57]
	v_cvt_f32_f64_e32 v62, v[62:63]
	v_cvt_f32_f64_e32 v60, v[60:61]
	v_min3_f32 v129, v62, v60, v129
	v_add_f64 v[60:61], v[10:11], v[58:59]
	v_add_f64 v[62:63], v[8:9], v[56:57]
	v_cvt_f32_f64_e32 v62, v[62:63]
	v_cvt_f32_f64_e32 v60, v[60:61]
	v_min3_f32 v128, v62, v60, v128
	v_add_f64 v[60:61], v[6:7], v[58:59]
	v_add_f64 v[62:63], v[4:5], v[56:57]
	v_add_f64 v[58:59], v[2:3], v[58:59]
	v_add_f64 v[56:57], v[0:1], v[56:57]
	v_cvt_f32_f64_e32 v56, v[56:57]
	v_cvt_f32_f64_e32 v57, v[58:59]
	v_min3_f32 v126, v56, v57, v126
	s_waitcnt lgkmcnt(5)
	v_add_f64 v[56:57], v[34:35], v[54:55]
	v_add_f64 v[58:59], v[32:33], v[52:53]
	v_cvt_f32_f64_e32 v58, v[58:59]
	v_cvt_f32_f64_e32 v56, v[56:57]
	v_min3_f32 v125, v58, v56, v125
	v_add_f64 v[56:57], v[30:31], v[54:55]
	v_add_f64 v[58:59], v[28:29], v[52:53]
	v_cvt_f32_f64_e32 v58, v[58:59]
	v_cvt_f32_f64_e32 v56, v[56:57]
	v_min3_f32 v124, v58, v56, v124
	v_add_f64 v[56:57], v[26:27], v[54:55]
	v_add_f64 v[58:59], v[24:25], v[52:53]
	v_cvt_f32_f64_e32 v58, v[58:59]
	v_cvt_f32_f64_e32 v56, v[56:57]
	v_min3_f32 v123, v58, v56, v123
	v_add_f64 v[56:57], v[18:19], v[54:55]
	v_add_f64 v[58:59], v[16:17], v[52:53]
	v_cvt_f32_f64_e32 v58, v[58:59]
	v_cvt_f32_f64_e32 v56, v[56:57]
	v_min3_f32 v122, v58, v56, v122
	v_add_f64 v[56:57], v[14:15], v[54:55]
	v_add_f64 v[58:59], v[12:13], v[52:53]
	v_cvt_f32_f64_e32 v58, v[58:59]
	v_cvt_f32_f64_e32 v56, v[56:57]
	v_min3_f32 v121, v58, v56, v121
	v_add_f64 v[56:57], v[10:11], v[54:55]
	v_add_f64 v[58:59], v[8:9], v[52:53]
	v_cvt_f32_f64_e32 v58, v[58:59]
	v_cvt_f32_f64_e32 v56, v[56:57]
	v_min3_f32 v120, v58, v56, v120
	v_add_f64 v[56:57], v[6:7], v[54:55]
	v_add_f64 v[58:59], v[4:5], v[52:53]
	v_add_f64 v[54:55], v[2:3], v[54:55]
	v_add_f64 v[52:53], v[0:1], v[52:53]
	v_cvt_f32_f64_e32 v52, v[52:53]
	v_cvt_f32_f64_e32 v53, v[54:55]
	v_min3_f32 v118, v52, v53, v118
	s_waitcnt lgkmcnt(4)
	v_add_f64 v[52:53], v[34:35], v[50:51]
	v_add_f64 v[54:55], v[32:33], v[48:49]
	v_cvt_f32_f64_e32 v54, v[54:55]
	v_cvt_f32_f64_e32 v52, v[52:53]
	v_min3_f32 v117, v54, v52, v117
	v_add_f64 v[52:53], v[30:31], v[50:51]
	v_add_f64 v[54:55], v[28:29], v[48:49]
	v_cvt_f32_f64_e32 v54, v[54:55]
	v_cvt_f32_f64_e32 v52, v[52:53]
	v_min3_f32 v116, v54, v52, v116
	v_add_f64 v[52:53], v[26:27], v[50:51]
	v_add_f64 v[54:55], v[24:25], v[48:49]
	v_cvt_f32_f64_e32 v54, v[54:55]
	v_cvt_f32_f64_e32 v52, v[52:53]
	v_min3_f32 v115, v54, v52, v115
	v_add_f64 v[52:53], v[18:19], v[50:51]
	v_add_f64 v[54:55], v[16:17], v[48:49]
	v_cvt_f32_f64_e32 v54, v[54:55]
	v_cvt_f32_f64_e32 v52, v[52:53]
	v_min3_f32 v114, v54, v52, v114
	v_add_f64 v[52:53], v[14:15], v[50:51]
	v_add_f64 v[54:55], v[12:13], v[48:49]
	v_cvt_f32_f64_e32 v54, v[54:55]
	v_cvt_f32_f64_e32 v52, v[52:53]
	v_min3_f32 v113, v54, v52, v113
	v_add_f64 v[52:53], v[10:11], v[50:51]
	v_add_f64 v[54:55], v[8:9], v[48:49]
	v_cvt_f32_f64_e32 v54, v[54:55]
	v_cvt_f32_f64_e32 v52, v[52:53]
	v_min3_f32 v112, v54, v52, v112
	v_add_f64 v[52:53], v[6:7], v[50:51]
	v_add_f64 v[54:55], v[4:5], v[48:49]
	v_add_f64 v[50:51], v[2:3], v[50:51]
	v_add_f64 v[48:49], v[0:1], v[48:49]
	v_cvt_f32_f64_e32 v48, v[48:49]
	v_cvt_f32_f64_e32 v49, v[50:51]
	v_min3_f32 v110, v48, v49, v110
	s_waitcnt lgkmcnt(3)
	v_add_f64 v[48:49], v[34:35], v[46:47]
	v_add_f64 v[50:51], v[32:33], v[44:45]
	v_cvt_f32_f64_e32 v50, v[50:51]
	v_cvt_f32_f64_e32 v48, v[48:49]
	v_min3_f32 v109, v50, v48, v109
	v_add_f64 v[48:49], v[30:31], v[46:47]
	v_add_f64 v[50:51], v[28:29], v[44:45]
	v_cvt_f32_f64_e32 v50, v[50:51]
	v_cvt_f32_f64_e32 v48, v[48:49]
	v_min3_f32 v108, v50, v48, v108
	v_add_f64 v[48:49], v[26:27], v[46:47]
	v_add_f64 v[50:51], v[24:25], v[44:45]
	v_cvt_f32_f64_e32 v50, v[50:51]
	v_cvt_f32_f64_e32 v48, v[48:49]
	v_min3_f32 v107, v50, v48, v107
	v_add_f64 v[48:49], v[18:19], v[46:47]
	v_add_f64 v[50:51], v[16:17], v[44:45]
	v_cvt_f32_f64_e32 v50, v[50:51]
	v_cvt_f32_f64_e32 v48, v[48:49]
	v_min3_f32 v106, v50, v48, v106
	v_add_f64 v[48:49], v[14:15], v[46:47]
	v_add_f64 v[50:51], v[12:13], v[44:45]
	v_cvt_f32_f64_e32 v50, v[50:51]
	v_cvt_f32_f64_e32 v48, v[48:49]
	v_min3_f32 v105, v50, v48, v105
	v_add_f64 v[48:49], v[10:11], v[46:47]
	v_add_f64 v[50:51], v[8:9], v[44:45]
	v_cvt_f32_f64_e32 v50, v[50:51]
	v_cvt_f32_f64_e32 v48, v[48:49]
	v_min3_f32 v104, v50, v48, v104
	v_add_f64 v[48:49], v[6:7], v[46:47]
	v_add_f64 v[50:51], v[4:5], v[44:45]
	v_add_f64 v[46:47], v[2:3], v[46:47]
	v_add_f64 v[44:45], v[0:1], v[44:45]
	v_cvt_f32_f64_e32 v44, v[44:45]
	v_cvt_f32_f64_e32 v45, v[46:47]
	v_min3_f32 v102, v44, v45, v102
	s_waitcnt lgkmcnt(2)
	v_add_f64 v[44:45], v[34:35], v[42:43]
	v_add_f64 v[46:47], v[32:33], v[40:41]
	v_cvt_f32_f64_e32 v46, v[46:47]
	v_cvt_f32_f64_e32 v44, v[44:45]
	v_min3_f32 v101, v46, v44, v101
	v_add_f64 v[44:45], v[30:31], v[42:43]
	v_add_f64 v[46:47], v[28:29], v[40:41]
	v_cvt_f32_f64_e32 v46, v[46:47]
	v_cvt_f32_f64_e32 v44, v[44:45]
	v_min3_f32 v100, v46, v44, v100
	v_add_f64 v[44:45], v[26:27], v[42:43]
	v_add_f64 v[46:47], v[24:25], v[40:41]
	v_cvt_f32_f64_e32 v46, v[46:47]
	v_cvt_f32_f64_e32 v44, v[44:45]
	v_min3_f32 v99, v46, v44, v99
	v_add_f64 v[44:45], v[18:19], v[42:43]
	v_add_f64 v[46:47], v[16:17], v[40:41]
	v_cvt_f32_f64_e32 v46, v[46:47]
	v_cvt_f32_f64_e32 v44, v[44:45]
	v_min3_f32 v98, v46, v44, v98
	v_add_f64 v[44:45], v[14:15], v[42:43]
	v_add_f64 v[46:47], v[12:13], v[40:41]
	v_cvt_f32_f64_e32 v46, v[46:47]
	v_cvt_f32_f64_e32 v44, v[44:45]
	v_min3_f32 v97, v46, v44, v97
	v_add_f64 v[44:45], v[10:11], v[42:43]
	v_add_f64 v[46:47], v[8:9], v[40:41]
	v_cvt_f32_f64_e32 v46, v[46:47]
	v_cvt_f32_f64_e32 v44, v[44:45]
	v_min3_f32 v96, v46, v44, v96
	v_add_f64 v[44:45], v[6:7], v[42:43]
	v_add_f64 v[46:47], v[4:5], v[40:41]
	v_add_f64 v[42:43], v[2:3], v[42:43]
	v_add_f64 v[40:41], v[0:1], v[40:41]
	v_cvt_f32_f64_e32 v40, v[40:41]
	v_cvt_f32_f64_e32 v41, v[42:43]
	v_min3_f32 v94, v40, v41, v94
	s_waitcnt lgkmcnt(1)
	v_add_f64 v[40:41], v[34:35], v[38:39]
	v_add_f64 v[42:43], v[32:33], v[36:37]
	v_cvt_f32_f64_e32 v42, v[42:43]
	v_cvt_f32_f64_e32 v40, v[40:41]
	v_min3_f32 v93, v42, v40, v93
	v_add_f64 v[40:41], v[30:31], v[38:39]
	v_add_f64 v[42:43], v[28:29], v[36:37]
	v_cvt_f32_f64_e32 v42, v[42:43]
	v_cvt_f32_f64_e32 v40, v[40:41]
	v_min3_f32 v92, v42, v40, v92
	;; [unrolled: 5-line block ×6, first 2 shown]
	v_add_f64 v[40:41], v[6:7], v[38:39]
	v_add_f64 v[42:43], v[4:5], v[36:37]
	;; [unrolled: 1-line block ×4, first 2 shown]
	s_waitcnt lgkmcnt(0)
	v_add_f64 v[34:35], v[34:35], v[22:23]
	v_add_f64 v[32:33], v[32:33], v[20:21]
	;; [unrolled: 1-line block ×16, first 2 shown]
	v_cvt_f32_f64_e32 v66, v[66:67]
	v_cvt_f32_f64_e32 v64, v[64:65]
	;; [unrolled: 1-line block ×32, first 2 shown]
	v_min3_f32 v137, v66, v64, v137
	v_min3_f32 v127, v62, v60, v127
	;; [unrolled: 1-line block ×16, first 2 shown]
	s_mov_b32 s4, 2
	s_mov_b64 s[2:3], 0
	s_cbranch_vccz .LBB107_47
; %bb.48:
	s_load_dwordx2 s[2:3], s[0:1], 0x78
	s_load_dword s12, s[0:1], 0x58
	s_load_dword s13, s[0:1], 0x70
	v_add_u32_e32 v8, s16, v135
	v_add_u32_e32 v30, s17, v136
	s_waitcnt lgkmcnt(0)
	s_lshl_b64 s[0:1], s[2:3], 3
	s_add_u32 s0, s14, s0
	s_addc_u32 s1, s15, s1
	v_add_u32_e32 v0, 32, v8
	v_mad_i64_i32 v[2:3], s[2:3], v30, s13, 0
	v_ashrrev_i32_e32 v9, 31, v8
	v_ashrrev_i32_e32 v1, 31, v0
	v_lshl_add_u64 v[24:25], v[2:3], 3, s[0:1]
	v_mad_i64_i32 v[2:3], s[2:3], v30, s12, 0
	v_max_f32_e32 v4, v143, v143
	s_mov_b64 vcc, s[6:7]
	s_cbranch_vccz .LBB107_51
; %bb.49:
	v_min_f32_e32 v5, 0, v4
	v_cvt_f64_f32_e32 v[6:7], v5
	v_lshl_add_u64 v[10:11], v[8:9], 3, v[24:25]
	global_store_dwordx2 v[10:11], v[6:7], off
	s_mov_b64 s[2:3], 0
	v_lshl_add_u64 v[26:27], v[2:3], 3, s[8:9]
	v_lshlrev_b64 v[12:13], 3, v[8:9]
	s_cbranch_execz .LBB107_52
; %bb.50:
	v_mov_b64_e32 v[4:5], s[2:3]
	s_branch .LBB107_53
.LBB107_51:
                                        ; implicit-def: $sgpr2_sgpr3
	v_lshl_add_u64 v[26:27], v[2:3], 3, s[8:9]
	v_lshlrev_b64 v[12:13], 3, v[8:9]
.LBB107_52:
	v_lshl_add_u64 v[2:3], v[26:27], 0, v[12:13]
	flat_load_dwordx2 v[2:3], v[2:3]
	v_lshl_add_u64 v[6:7], v[24:25], 0, v[12:13]
	s_waitcnt vmcnt(0) lgkmcnt(0)
	v_mul_f64 v[2:3], v[2:3], s[10:11]
	v_cvt_f32_f64_e32 v2, v[2:3]
	v_min_f32_e32 v2, v2, v4
	v_cvt_f64_f32_e32 v[2:3], v2
	global_store_dwordx2 v[6:7], v[2:3], off
	v_lshl_add_u64 v[2:3], v[0:1], 3, v[26:27]
	flat_load_dwordx2 v[2:3], v[2:3]
	s_waitcnt vmcnt(0) lgkmcnt(0)
	v_mul_f64 v[4:5], v[2:3], s[10:11]
.LBB107_53:
	v_cvt_f32_f64_e32 v4, v[4:5]
	v_max_f32_e32 v5, v142, v142
	v_min_f32_e32 v4, v4, v5
	v_add_u32_e32 v10, 64, v8
	v_add_u32_e32 v2, 0x60, v8
	v_cvt_f64_f32_e32 v[4:5], v4
	v_lshl_add_u64 v[6:7], v[0:1], 3, v[24:25]
	v_ashrrev_i32_e32 v11, 31, v10
	v_ashrrev_i32_e32 v3, 31, v2
	global_store_dwordx2 v[6:7], v[4:5], off
	v_max_f32_e32 v4, v141, v141
	s_mov_b64 vcc, s[6:7]
	s_cbranch_vccz .LBB107_56
; %bb.54:
	v_min_f32_e32 v5, 0, v4
	v_cvt_f64_f32_e32 v[6:7], v5
	v_lshl_add_u64 v[14:15], v[10:11], 3, v[24:25]
	global_store_dwordx2 v[14:15], v[6:7], off
	s_mov_b64 s[2:3], 0
	v_lshlrev_b64 v[16:17], 3, v[10:11]
	s_cbranch_execz .LBB107_57
; %bb.55:
	v_mov_b64_e32 v[6:7], s[2:3]
	s_branch .LBB107_58
.LBB107_56:
                                        ; implicit-def: $sgpr2_sgpr3
	v_lshlrev_b64 v[16:17], 3, v[10:11]
.LBB107_57:
	v_lshl_add_u64 v[6:7], v[26:27], 0, v[16:17]
	flat_load_dwordx2 v[6:7], v[6:7]
	v_lshl_add_u64 v[14:15], v[24:25], 0, v[16:17]
	s_waitcnt vmcnt(0) lgkmcnt(0)
	v_mul_f64 v[6:7], v[6:7], s[10:11]
	v_cvt_f32_f64_e32 v5, v[6:7]
	v_min_f32_e32 v4, v5, v4
	v_cvt_f64_f32_e32 v[4:5], v4
	global_store_dwordx2 v[14:15], v[4:5], off
	v_lshl_add_u64 v[4:5], v[2:3], 3, v[26:27]
	flat_load_dwordx2 v[4:5], v[4:5]
	s_waitcnt vmcnt(0) lgkmcnt(0)
	v_mul_f64 v[6:7], v[4:5], s[10:11]
.LBB107_58:
	v_cvt_f32_f64_e32 v6, v[6:7]
	v_max_f32_e32 v7, v140, v140
	v_min_f32_e32 v6, v6, v7
	v_add_u32_e32 v14, 0x80, v8
	v_add_u32_e32 v4, 0xa0, v8
	v_cvt_f64_f32_e32 v[6:7], v6
	v_lshl_add_u64 v[18:19], v[2:3], 3, v[24:25]
	v_ashrrev_i32_e32 v15, 31, v14
	v_ashrrev_i32_e32 v5, 31, v4
	global_store_dwordx2 v[18:19], v[6:7], off
	v_max_f32_e32 v6, v139, v139
	s_mov_b64 vcc, s[6:7]
	s_cbranch_vccz .LBB107_61
; %bb.59:
	v_min_f32_e32 v7, 0, v6
	v_cvt_f64_f32_e32 v[18:19], v7
	v_lshl_add_u64 v[20:21], v[14:15], 3, v[24:25]
	global_store_dwordx2 v[20:21], v[18:19], off
	s_mov_b64 s[2:3], 0
	v_lshlrev_b64 v[20:21], 3, v[14:15]
	s_cbranch_execz .LBB107_62
; %bb.60:
	v_mov_b64_e32 v[22:23], s[2:3]
	s_branch .LBB107_63
.LBB107_61:
                                        ; implicit-def: $sgpr2_sgpr3
	v_lshlrev_b64 v[20:21], 3, v[14:15]
.LBB107_62:
	v_lshl_add_u64 v[18:19], v[26:27], 0, v[20:21]
	flat_load_dwordx2 v[18:19], v[18:19]
	v_lshl_add_u64 v[22:23], v[24:25], 0, v[20:21]
	s_waitcnt vmcnt(0) lgkmcnt(0)
	v_mul_f64 v[18:19], v[18:19], s[10:11]
	v_cvt_f32_f64_e32 v7, v[18:19]
	v_min_f32_e32 v6, v7, v6
	v_cvt_f64_f32_e32 v[6:7], v6
	global_store_dwordx2 v[22:23], v[6:7], off
	v_lshl_add_u64 v[6:7], v[4:5], 3, v[26:27]
	flat_load_dwordx2 v[6:7], v[6:7]
	s_waitcnt vmcnt(0) lgkmcnt(0)
	v_mul_f64 v[22:23], v[6:7], s[10:11]
.LBB107_63:
	v_cvt_f32_f64_e32 v22, v[22:23]
	v_max_f32_e32 v23, v138, v138
	v_min_f32_e32 v22, v22, v23
	v_add_u32_e32 v18, 0xc0, v8
	v_add_u32_e32 v6, 0xe0, v8
	v_cvt_f64_f32_e32 v[22:23], v22
	v_lshl_add_u64 v[28:29], v[4:5], 3, v[24:25]
	v_ashrrev_i32_e32 v19, 31, v18
	v_ashrrev_i32_e32 v7, 31, v6
	global_store_dwordx2 v[28:29], v[22:23], off
	v_max_f32_e32 v28, v137, v137
	s_mov_b64 vcc, s[6:7]
	s_cbranch_vccz .LBB107_66
; %bb.64:
	v_min_f32_e32 v22, 0, v28
	v_cvt_f64_f32_e32 v[22:23], v22
	v_lshl_add_u64 v[32:33], v[18:19], 3, v[24:25]
	global_store_dwordx2 v[32:33], v[22:23], off
	s_mov_b64 s[2:3], 0
	v_lshlrev_b64 v[22:23], 3, v[18:19]
	s_cbranch_execz .LBB107_67
; %bb.65:
	v_mov_b64_e32 v[26:27], s[2:3]
	s_branch .LBB107_68
.LBB107_66:
                                        ; implicit-def: $sgpr2_sgpr3
	v_lshlrev_b64 v[22:23], 3, v[18:19]
.LBB107_67:
	v_lshl_add_u64 v[32:33], v[26:27], 0, v[22:23]
	flat_load_dwordx2 v[32:33], v[32:33]
	v_lshl_add_u64 v[34:35], v[24:25], 0, v[22:23]
	v_lshl_add_u64 v[26:27], v[6:7], 3, v[26:27]
	s_waitcnt vmcnt(0) lgkmcnt(0)
	v_mul_f64 v[32:33], v[32:33], s[10:11]
	v_cvt_f32_f64_e32 v29, v[32:33]
	v_min_f32_e32 v28, v29, v28
	v_cvt_f64_f32_e32 v[28:29], v28
	global_store_dwordx2 v[34:35], v[28:29], off
	flat_load_dwordx2 v[26:27], v[26:27]
	s_waitcnt vmcnt(0) lgkmcnt(0)
	v_mul_f64 v[26:27], v[26:27], s[10:11]
.LBB107_68:
	v_cvt_f32_f64_e32 v26, v[26:27]
	v_max_f32_e32 v27, v134, v134
	v_min_f32_e32 v26, v26, v27
	v_cvt_f64_f32_e32 v[26:27], v26
	v_lshl_add_u64 v[24:25], v[6:7], 3, v[24:25]
	global_store_dwordx2 v[24:25], v[26:27], off
	v_add_u32_e32 v26, 8, v30
	v_mad_i64_i32 v[24:25], s[2:3], v26, s13, 0
	v_lshl_add_u64 v[24:25], v[24:25], 3, s[0:1]
	v_mad_i64_i32 v[26:27], s[2:3], v26, s12, 0
	v_max_f32_e32 v28, v133, v133
	s_mov_b64 vcc, s[6:7]
	s_cbranch_vccz .LBB107_71
; %bb.69:
	v_min_f32_e32 v29, 0, v28
	v_cvt_f64_f32_e32 v[32:33], v29
	v_lshl_add_u64 v[34:35], v[8:9], 3, v[24:25]
	global_store_dwordx2 v[34:35], v[32:33], off
	s_mov_b64 s[2:3], 0
	v_lshl_add_u64 v[26:27], v[26:27], 3, s[8:9]
	s_cbranch_execz .LBB107_72
; %bb.70:
	v_mov_b64_e32 v[28:29], s[2:3]
	s_branch .LBB107_73
.LBB107_71:
                                        ; implicit-def: $sgpr2_sgpr3
	v_lshl_add_u64 v[26:27], v[26:27], 3, s[8:9]
.LBB107_72:
	v_lshl_add_u64 v[32:33], v[26:27], 0, v[12:13]
	flat_load_dwordx2 v[32:33], v[32:33]
	v_lshl_add_u64 v[34:35], v[24:25], 0, v[12:13]
	s_waitcnt vmcnt(0) lgkmcnt(0)
	v_mul_f64 v[32:33], v[32:33], s[10:11]
	v_cvt_f32_f64_e32 v29, v[32:33]
	v_min_f32_e32 v28, v29, v28
	v_cvt_f64_f32_e32 v[28:29], v28
	global_store_dwordx2 v[34:35], v[28:29], off
	v_lshl_add_u64 v[28:29], v[0:1], 3, v[26:27]
	flat_load_dwordx2 v[28:29], v[28:29]
	s_waitcnt vmcnt(0) lgkmcnt(0)
	v_mul_f64 v[28:29], v[28:29], s[10:11]
.LBB107_73:
	v_cvt_f32_f64_e32 v28, v[28:29]
	v_max_f32_e32 v29, v132, v132
	v_min_f32_e32 v28, v28, v29
	v_cvt_f64_f32_e32 v[28:29], v28
	v_lshl_add_u64 v[32:33], v[0:1], 3, v[24:25]
	global_store_dwordx2 v[32:33], v[28:29], off
	v_max_f32_e32 v28, v131, v131
	s_mov_b64 vcc, s[6:7]
	s_cbranch_vccz .LBB107_76
; %bb.74:
	v_min_f32_e32 v29, 0, v28
	v_cvt_f64_f32_e32 v[32:33], v29
	v_lshl_add_u64 v[34:35], v[10:11], 3, v[24:25]
	global_store_dwordx2 v[34:35], v[32:33], off
	s_mov_b64 s[2:3], 0
	s_cbranch_execz .LBB107_77
; %bb.75:
	v_mov_b64_e32 v[28:29], s[2:3]
	s_branch .LBB107_78
.LBB107_76:
                                        ; implicit-def: $sgpr2_sgpr3
.LBB107_77:
	v_lshl_add_u64 v[32:33], v[26:27], 0, v[16:17]
	flat_load_dwordx2 v[32:33], v[32:33]
	v_lshl_add_u64 v[34:35], v[24:25], 0, v[16:17]
	s_waitcnt vmcnt(0) lgkmcnt(0)
	v_mul_f64 v[32:33], v[32:33], s[10:11]
	v_cvt_f32_f64_e32 v29, v[32:33]
	v_min_f32_e32 v28, v29, v28
	v_cvt_f64_f32_e32 v[28:29], v28
	global_store_dwordx2 v[34:35], v[28:29], off
	v_lshl_add_u64 v[28:29], v[2:3], 3, v[26:27]
	flat_load_dwordx2 v[28:29], v[28:29]
	s_waitcnt vmcnt(0) lgkmcnt(0)
	v_mul_f64 v[28:29], v[28:29], s[10:11]
.LBB107_78:
	v_cvt_f32_f64_e32 v28, v[28:29]
	v_max_f32_e32 v29, v130, v130
	v_min_f32_e32 v28, v28, v29
	v_cvt_f64_f32_e32 v[28:29], v28
	v_lshl_add_u64 v[32:33], v[2:3], 3, v[24:25]
	global_store_dwordx2 v[32:33], v[28:29], off
	v_max_f32_e32 v28, v129, v129
	s_mov_b64 vcc, s[6:7]
	s_cbranch_vccz .LBB107_81
; %bb.79:
	v_min_f32_e32 v29, 0, v28
	v_cvt_f64_f32_e32 v[32:33], v29
	v_lshl_add_u64 v[34:35], v[14:15], 3, v[24:25]
	global_store_dwordx2 v[34:35], v[32:33], off
	s_mov_b64 s[2:3], 0
	s_cbranch_execz .LBB107_82
; %bb.80:
	v_mov_b64_e32 v[28:29], s[2:3]
	s_branch .LBB107_83
.LBB107_81:
                                        ; implicit-def: $sgpr2_sgpr3
.LBB107_82:
	v_lshl_add_u64 v[32:33], v[26:27], 0, v[20:21]
	flat_load_dwordx2 v[32:33], v[32:33]
	v_lshl_add_u64 v[34:35], v[24:25], 0, v[20:21]
	s_waitcnt vmcnt(0) lgkmcnt(0)
	v_mul_f64 v[32:33], v[32:33], s[10:11]
	v_cvt_f32_f64_e32 v29, v[32:33]
	v_min_f32_e32 v28, v29, v28
	v_cvt_f64_f32_e32 v[28:29], v28
	global_store_dwordx2 v[34:35], v[28:29], off
	v_lshl_add_u64 v[28:29], v[4:5], 3, v[26:27]
	flat_load_dwordx2 v[28:29], v[28:29]
	s_waitcnt vmcnt(0) lgkmcnt(0)
	v_mul_f64 v[28:29], v[28:29], s[10:11]
.LBB107_83:
	v_cvt_f32_f64_e32 v28, v[28:29]
	v_max_f32_e32 v29, v128, v128
	v_min_f32_e32 v28, v28, v29
	v_cvt_f64_f32_e32 v[28:29], v28
	v_lshl_add_u64 v[32:33], v[4:5], 3, v[24:25]
	global_store_dwordx2 v[32:33], v[28:29], off
	v_max_f32_e32 v28, v127, v127
	s_mov_b64 vcc, s[6:7]
	s_cbranch_vccz .LBB107_86
; %bb.84:
	v_min_f32_e32 v29, 0, v28
	v_cvt_f64_f32_e32 v[32:33], v29
	v_lshl_add_u64 v[34:35], v[18:19], 3, v[24:25]
	global_store_dwordx2 v[34:35], v[32:33], off
	s_mov_b64 s[2:3], 0
	s_cbranch_execz .LBB107_87
; %bb.85:
	v_mov_b64_e32 v[26:27], s[2:3]
	s_branch .LBB107_88
.LBB107_86:
                                        ; implicit-def: $sgpr2_sgpr3
.LBB107_87:
	v_lshl_add_u64 v[32:33], v[26:27], 0, v[22:23]
	flat_load_dwordx2 v[32:33], v[32:33]
	v_lshl_add_u64 v[34:35], v[24:25], 0, v[22:23]
	v_lshl_add_u64 v[26:27], v[6:7], 3, v[26:27]
	s_waitcnt vmcnt(0) lgkmcnt(0)
	v_mul_f64 v[32:33], v[32:33], s[10:11]
	v_cvt_f32_f64_e32 v29, v[32:33]
	v_min_f32_e32 v28, v29, v28
	v_cvt_f64_f32_e32 v[28:29], v28
	global_store_dwordx2 v[34:35], v[28:29], off
	flat_load_dwordx2 v[26:27], v[26:27]
	s_waitcnt vmcnt(0) lgkmcnt(0)
	v_mul_f64 v[26:27], v[26:27], s[10:11]
.LBB107_88:
	v_cvt_f32_f64_e32 v26, v[26:27]
	v_max_f32_e32 v27, v126, v126
	v_min_f32_e32 v26, v26, v27
	v_cvt_f64_f32_e32 v[26:27], v26
	v_lshl_add_u64 v[24:25], v[6:7], 3, v[24:25]
	global_store_dwordx2 v[24:25], v[26:27], off
	v_add_u32_e32 v26, 16, v30
	v_mad_i64_i32 v[24:25], s[2:3], v26, s13, 0
	v_lshl_add_u64 v[24:25], v[24:25], 3, s[0:1]
	v_mad_i64_i32 v[26:27], s[2:3], v26, s12, 0
	v_max_f32_e32 v28, v125, v125
	s_mov_b64 vcc, s[6:7]
	s_cbranch_vccz .LBB107_91
; %bb.89:
	v_min_f32_e32 v29, 0, v28
	v_cvt_f64_f32_e32 v[32:33], v29
	v_lshl_add_u64 v[34:35], v[8:9], 3, v[24:25]
	global_store_dwordx2 v[34:35], v[32:33], off
	s_mov_b64 s[2:3], 0
	v_lshl_add_u64 v[26:27], v[26:27], 3, s[8:9]
	s_cbranch_execz .LBB107_92
; %bb.90:
	v_mov_b64_e32 v[28:29], s[2:3]
	s_branch .LBB107_93
.LBB107_91:
                                        ; implicit-def: $sgpr2_sgpr3
	v_lshl_add_u64 v[26:27], v[26:27], 3, s[8:9]
.LBB107_92:
	v_lshl_add_u64 v[32:33], v[26:27], 0, v[12:13]
	flat_load_dwordx2 v[32:33], v[32:33]
	v_lshl_add_u64 v[34:35], v[24:25], 0, v[12:13]
	s_waitcnt vmcnt(0) lgkmcnt(0)
	v_mul_f64 v[32:33], v[32:33], s[10:11]
	v_cvt_f32_f64_e32 v29, v[32:33]
	v_min_f32_e32 v28, v29, v28
	v_cvt_f64_f32_e32 v[28:29], v28
	global_store_dwordx2 v[34:35], v[28:29], off
	v_lshl_add_u64 v[28:29], v[0:1], 3, v[26:27]
	flat_load_dwordx2 v[28:29], v[28:29]
	s_waitcnt vmcnt(0) lgkmcnt(0)
	v_mul_f64 v[28:29], v[28:29], s[10:11]
.LBB107_93:
	v_cvt_f32_f64_e32 v28, v[28:29]
	v_max_f32_e32 v29, v124, v124
	v_min_f32_e32 v28, v28, v29
	v_cvt_f64_f32_e32 v[28:29], v28
	v_lshl_add_u64 v[32:33], v[0:1], 3, v[24:25]
	global_store_dwordx2 v[32:33], v[28:29], off
	v_max_f32_e32 v28, v123, v123
	s_mov_b64 vcc, s[6:7]
	s_cbranch_vccz .LBB107_96
; %bb.94:
	v_min_f32_e32 v29, 0, v28
	v_cvt_f64_f32_e32 v[32:33], v29
	v_lshl_add_u64 v[34:35], v[10:11], 3, v[24:25]
	global_store_dwordx2 v[34:35], v[32:33], off
	s_mov_b64 s[2:3], 0
	s_cbranch_execz .LBB107_97
; %bb.95:
	v_mov_b64_e32 v[28:29], s[2:3]
	s_branch .LBB107_98
.LBB107_96:
                                        ; implicit-def: $sgpr2_sgpr3
.LBB107_97:
	v_lshl_add_u64 v[32:33], v[26:27], 0, v[16:17]
	flat_load_dwordx2 v[32:33], v[32:33]
	v_lshl_add_u64 v[34:35], v[24:25], 0, v[16:17]
	s_waitcnt vmcnt(0) lgkmcnt(0)
	v_mul_f64 v[32:33], v[32:33], s[10:11]
	v_cvt_f32_f64_e32 v29, v[32:33]
	v_min_f32_e32 v28, v29, v28
	v_cvt_f64_f32_e32 v[28:29], v28
	global_store_dwordx2 v[34:35], v[28:29], off
	v_lshl_add_u64 v[28:29], v[2:3], 3, v[26:27]
	flat_load_dwordx2 v[28:29], v[28:29]
	s_waitcnt vmcnt(0) lgkmcnt(0)
	v_mul_f64 v[28:29], v[28:29], s[10:11]
.LBB107_98:
	v_cvt_f32_f64_e32 v28, v[28:29]
	v_max_f32_e32 v29, v122, v122
	v_min_f32_e32 v28, v28, v29
	v_cvt_f64_f32_e32 v[28:29], v28
	v_lshl_add_u64 v[32:33], v[2:3], 3, v[24:25]
	global_store_dwordx2 v[32:33], v[28:29], off
	v_max_f32_e32 v28, v121, v121
	s_mov_b64 vcc, s[6:7]
	s_cbranch_vccz .LBB107_101
; %bb.99:
	v_min_f32_e32 v29, 0, v28
	v_cvt_f64_f32_e32 v[32:33], v29
	v_lshl_add_u64 v[34:35], v[14:15], 3, v[24:25]
	global_store_dwordx2 v[34:35], v[32:33], off
	s_mov_b64 s[2:3], 0
	s_cbranch_execz .LBB107_102
; %bb.100:
	v_mov_b64_e32 v[28:29], s[2:3]
	s_branch .LBB107_103
.LBB107_101:
                                        ; implicit-def: $sgpr2_sgpr3
.LBB107_102:
	v_lshl_add_u64 v[32:33], v[26:27], 0, v[20:21]
	flat_load_dwordx2 v[32:33], v[32:33]
	v_lshl_add_u64 v[34:35], v[24:25], 0, v[20:21]
	s_waitcnt vmcnt(0) lgkmcnt(0)
	v_mul_f64 v[32:33], v[32:33], s[10:11]
	v_cvt_f32_f64_e32 v29, v[32:33]
	v_min_f32_e32 v28, v29, v28
	v_cvt_f64_f32_e32 v[28:29], v28
	global_store_dwordx2 v[34:35], v[28:29], off
	v_lshl_add_u64 v[28:29], v[4:5], 3, v[26:27]
	flat_load_dwordx2 v[28:29], v[28:29]
	s_waitcnt vmcnt(0) lgkmcnt(0)
	v_mul_f64 v[28:29], v[28:29], s[10:11]
.LBB107_103:
	v_cvt_f32_f64_e32 v28, v[28:29]
	v_max_f32_e32 v29, v120, v120
	v_min_f32_e32 v28, v28, v29
	v_cvt_f64_f32_e32 v[28:29], v28
	v_lshl_add_u64 v[32:33], v[4:5], 3, v[24:25]
	global_store_dwordx2 v[32:33], v[28:29], off
	v_max_f32_e32 v28, v119, v119
	s_mov_b64 vcc, s[6:7]
	s_cbranch_vccz .LBB107_106
; %bb.104:
	v_min_f32_e32 v29, 0, v28
	v_cvt_f64_f32_e32 v[32:33], v29
	v_lshl_add_u64 v[34:35], v[18:19], 3, v[24:25]
	global_store_dwordx2 v[34:35], v[32:33], off
	s_mov_b64 s[2:3], 0
	s_cbranch_execz .LBB107_107
; %bb.105:
	v_mov_b64_e32 v[26:27], s[2:3]
	s_branch .LBB107_108
.LBB107_106:
                                        ; implicit-def: $sgpr2_sgpr3
.LBB107_107:
	v_lshl_add_u64 v[32:33], v[26:27], 0, v[22:23]
	flat_load_dwordx2 v[32:33], v[32:33]
	v_lshl_add_u64 v[34:35], v[24:25], 0, v[22:23]
	v_lshl_add_u64 v[26:27], v[6:7], 3, v[26:27]
	s_waitcnt vmcnt(0) lgkmcnt(0)
	v_mul_f64 v[32:33], v[32:33], s[10:11]
	v_cvt_f32_f64_e32 v29, v[32:33]
	v_min_f32_e32 v28, v29, v28
	v_cvt_f64_f32_e32 v[28:29], v28
	global_store_dwordx2 v[34:35], v[28:29], off
	flat_load_dwordx2 v[26:27], v[26:27]
	s_waitcnt vmcnt(0) lgkmcnt(0)
	v_mul_f64 v[26:27], v[26:27], s[10:11]
.LBB107_108:
	v_cvt_f32_f64_e32 v26, v[26:27]
	v_max_f32_e32 v27, v118, v118
	v_min_f32_e32 v26, v26, v27
	v_cvt_f64_f32_e32 v[26:27], v26
	v_lshl_add_u64 v[24:25], v[6:7], 3, v[24:25]
	global_store_dwordx2 v[24:25], v[26:27], off
	v_add_u32_e32 v26, 24, v30
	v_mad_i64_i32 v[24:25], s[2:3], v26, s13, 0
	v_lshl_add_u64 v[24:25], v[24:25], 3, s[0:1]
	v_mad_i64_i32 v[26:27], s[2:3], v26, s12, 0
	v_max_f32_e32 v28, v117, v117
	s_mov_b64 vcc, s[6:7]
	s_cbranch_vccz .LBB107_111
; %bb.109:
	v_min_f32_e32 v29, 0, v28
	v_cvt_f64_f32_e32 v[32:33], v29
	v_lshl_add_u64 v[34:35], v[8:9], 3, v[24:25]
	global_store_dwordx2 v[34:35], v[32:33], off
	s_mov_b64 s[2:3], 0
	v_lshl_add_u64 v[26:27], v[26:27], 3, s[8:9]
	s_cbranch_execz .LBB107_112
; %bb.110:
	v_mov_b64_e32 v[28:29], s[2:3]
	s_branch .LBB107_113
.LBB107_111:
                                        ; implicit-def: $sgpr2_sgpr3
	v_lshl_add_u64 v[26:27], v[26:27], 3, s[8:9]
.LBB107_112:
	v_lshl_add_u64 v[32:33], v[26:27], 0, v[12:13]
	flat_load_dwordx2 v[32:33], v[32:33]
	v_lshl_add_u64 v[34:35], v[24:25], 0, v[12:13]
	s_waitcnt vmcnt(0) lgkmcnt(0)
	v_mul_f64 v[32:33], v[32:33], s[10:11]
	v_cvt_f32_f64_e32 v29, v[32:33]
	v_min_f32_e32 v28, v29, v28
	v_cvt_f64_f32_e32 v[28:29], v28
	global_store_dwordx2 v[34:35], v[28:29], off
	v_lshl_add_u64 v[28:29], v[0:1], 3, v[26:27]
	flat_load_dwordx2 v[28:29], v[28:29]
	s_waitcnt vmcnt(0) lgkmcnt(0)
	v_mul_f64 v[28:29], v[28:29], s[10:11]
.LBB107_113:
	v_cvt_f32_f64_e32 v28, v[28:29]
	v_max_f32_e32 v29, v116, v116
	v_min_f32_e32 v28, v28, v29
	v_cvt_f64_f32_e32 v[28:29], v28
	v_lshl_add_u64 v[32:33], v[0:1], 3, v[24:25]
	global_store_dwordx2 v[32:33], v[28:29], off
	v_max_f32_e32 v28, v115, v115
	s_mov_b64 vcc, s[6:7]
	s_cbranch_vccz .LBB107_116
; %bb.114:
	v_min_f32_e32 v29, 0, v28
	v_cvt_f64_f32_e32 v[32:33], v29
	v_lshl_add_u64 v[34:35], v[10:11], 3, v[24:25]
	global_store_dwordx2 v[34:35], v[32:33], off
	s_mov_b64 s[2:3], 0
	s_cbranch_execz .LBB107_117
; %bb.115:
	v_mov_b64_e32 v[28:29], s[2:3]
	s_branch .LBB107_118
.LBB107_116:
                                        ; implicit-def: $sgpr2_sgpr3
.LBB107_117:
	v_lshl_add_u64 v[32:33], v[26:27], 0, v[16:17]
	flat_load_dwordx2 v[32:33], v[32:33]
	v_lshl_add_u64 v[34:35], v[24:25], 0, v[16:17]
	s_waitcnt vmcnt(0) lgkmcnt(0)
	v_mul_f64 v[32:33], v[32:33], s[10:11]
	v_cvt_f32_f64_e32 v29, v[32:33]
	v_min_f32_e32 v28, v29, v28
	v_cvt_f64_f32_e32 v[28:29], v28
	global_store_dwordx2 v[34:35], v[28:29], off
	v_lshl_add_u64 v[28:29], v[2:3], 3, v[26:27]
	flat_load_dwordx2 v[28:29], v[28:29]
	s_waitcnt vmcnt(0) lgkmcnt(0)
	v_mul_f64 v[28:29], v[28:29], s[10:11]
.LBB107_118:
	v_cvt_f32_f64_e32 v28, v[28:29]
	v_max_f32_e32 v29, v114, v114
	v_min_f32_e32 v28, v28, v29
	v_cvt_f64_f32_e32 v[28:29], v28
	v_lshl_add_u64 v[32:33], v[2:3], 3, v[24:25]
	global_store_dwordx2 v[32:33], v[28:29], off
	v_max_f32_e32 v28, v113, v113
	s_mov_b64 vcc, s[6:7]
	s_cbranch_vccz .LBB107_121
; %bb.119:
	v_min_f32_e32 v29, 0, v28
	v_cvt_f64_f32_e32 v[32:33], v29
	v_lshl_add_u64 v[34:35], v[14:15], 3, v[24:25]
	global_store_dwordx2 v[34:35], v[32:33], off
	s_mov_b64 s[2:3], 0
	s_cbranch_execz .LBB107_122
; %bb.120:
	v_mov_b64_e32 v[28:29], s[2:3]
	s_branch .LBB107_123
.LBB107_121:
                                        ; implicit-def: $sgpr2_sgpr3
.LBB107_122:
	v_lshl_add_u64 v[32:33], v[26:27], 0, v[20:21]
	flat_load_dwordx2 v[32:33], v[32:33]
	v_lshl_add_u64 v[34:35], v[24:25], 0, v[20:21]
	s_waitcnt vmcnt(0) lgkmcnt(0)
	v_mul_f64 v[32:33], v[32:33], s[10:11]
	v_cvt_f32_f64_e32 v29, v[32:33]
	v_min_f32_e32 v28, v29, v28
	v_cvt_f64_f32_e32 v[28:29], v28
	global_store_dwordx2 v[34:35], v[28:29], off
	v_lshl_add_u64 v[28:29], v[4:5], 3, v[26:27]
	flat_load_dwordx2 v[28:29], v[28:29]
	s_waitcnt vmcnt(0) lgkmcnt(0)
	v_mul_f64 v[28:29], v[28:29], s[10:11]
.LBB107_123:
	v_cvt_f32_f64_e32 v28, v[28:29]
	v_max_f32_e32 v29, v112, v112
	v_min_f32_e32 v28, v28, v29
	v_cvt_f64_f32_e32 v[28:29], v28
	v_lshl_add_u64 v[32:33], v[4:5], 3, v[24:25]
	global_store_dwordx2 v[32:33], v[28:29], off
	v_max_f32_e32 v28, v111, v111
	s_mov_b64 vcc, s[6:7]
	s_cbranch_vccz .LBB107_126
; %bb.124:
	v_min_f32_e32 v29, 0, v28
	v_cvt_f64_f32_e32 v[32:33], v29
	v_lshl_add_u64 v[34:35], v[18:19], 3, v[24:25]
	global_store_dwordx2 v[34:35], v[32:33], off
	s_mov_b64 s[2:3], 0
	s_cbranch_execz .LBB107_127
; %bb.125:
	v_mov_b64_e32 v[26:27], s[2:3]
	s_branch .LBB107_128
.LBB107_126:
                                        ; implicit-def: $sgpr2_sgpr3
.LBB107_127:
	v_lshl_add_u64 v[32:33], v[26:27], 0, v[22:23]
	flat_load_dwordx2 v[32:33], v[32:33]
	v_lshl_add_u64 v[34:35], v[24:25], 0, v[22:23]
	v_lshl_add_u64 v[26:27], v[6:7], 3, v[26:27]
	s_waitcnt vmcnt(0) lgkmcnt(0)
	v_mul_f64 v[32:33], v[32:33], s[10:11]
	v_cvt_f32_f64_e32 v29, v[32:33]
	v_min_f32_e32 v28, v29, v28
	v_cvt_f64_f32_e32 v[28:29], v28
	global_store_dwordx2 v[34:35], v[28:29], off
	flat_load_dwordx2 v[26:27], v[26:27]
	s_waitcnt vmcnt(0) lgkmcnt(0)
	v_mul_f64 v[26:27], v[26:27], s[10:11]
.LBB107_128:
	v_cvt_f32_f64_e32 v26, v[26:27]
	v_max_f32_e32 v27, v110, v110
	v_min_f32_e32 v26, v26, v27
	v_cvt_f64_f32_e32 v[26:27], v26
	v_lshl_add_u64 v[24:25], v[6:7], 3, v[24:25]
	global_store_dwordx2 v[24:25], v[26:27], off
	v_add_u32_e32 v26, 32, v30
	v_mad_i64_i32 v[24:25], s[2:3], v26, s13, 0
	v_lshl_add_u64 v[24:25], v[24:25], 3, s[0:1]
	v_mad_i64_i32 v[26:27], s[2:3], v26, s12, 0
	v_max_f32_e32 v28, v109, v109
	s_mov_b64 vcc, s[6:7]
	s_cbranch_vccz .LBB107_131
; %bb.129:
	v_min_f32_e32 v29, 0, v28
	v_cvt_f64_f32_e32 v[32:33], v29
	v_lshl_add_u64 v[34:35], v[8:9], 3, v[24:25]
	global_store_dwordx2 v[34:35], v[32:33], off
	s_mov_b64 s[2:3], 0
	v_lshl_add_u64 v[26:27], v[26:27], 3, s[8:9]
	s_cbranch_execz .LBB107_132
; %bb.130:
	v_mov_b64_e32 v[28:29], s[2:3]
	s_branch .LBB107_133
.LBB107_131:
                                        ; implicit-def: $sgpr2_sgpr3
	v_lshl_add_u64 v[26:27], v[26:27], 3, s[8:9]
.LBB107_132:
	v_lshl_add_u64 v[32:33], v[26:27], 0, v[12:13]
	flat_load_dwordx2 v[32:33], v[32:33]
	v_lshl_add_u64 v[34:35], v[24:25], 0, v[12:13]
	s_waitcnt vmcnt(0) lgkmcnt(0)
	v_mul_f64 v[32:33], v[32:33], s[10:11]
	v_cvt_f32_f64_e32 v29, v[32:33]
	v_min_f32_e32 v28, v29, v28
	v_cvt_f64_f32_e32 v[28:29], v28
	global_store_dwordx2 v[34:35], v[28:29], off
	v_lshl_add_u64 v[28:29], v[0:1], 3, v[26:27]
	flat_load_dwordx2 v[28:29], v[28:29]
	s_waitcnt vmcnt(0) lgkmcnt(0)
	v_mul_f64 v[28:29], v[28:29], s[10:11]
.LBB107_133:
	v_cvt_f32_f64_e32 v28, v[28:29]
	v_max_f32_e32 v29, v108, v108
	v_min_f32_e32 v28, v28, v29
	v_cvt_f64_f32_e32 v[28:29], v28
	v_lshl_add_u64 v[32:33], v[0:1], 3, v[24:25]
	global_store_dwordx2 v[32:33], v[28:29], off
	v_max_f32_e32 v28, v107, v107
	s_mov_b64 vcc, s[6:7]
	s_cbranch_vccz .LBB107_136
; %bb.134:
	v_min_f32_e32 v29, 0, v28
	v_cvt_f64_f32_e32 v[32:33], v29
	v_lshl_add_u64 v[34:35], v[10:11], 3, v[24:25]
	global_store_dwordx2 v[34:35], v[32:33], off
	s_mov_b64 s[2:3], 0
	s_cbranch_execz .LBB107_137
; %bb.135:
	v_mov_b64_e32 v[28:29], s[2:3]
	s_branch .LBB107_138
.LBB107_136:
                                        ; implicit-def: $sgpr2_sgpr3
.LBB107_137:
	v_lshl_add_u64 v[32:33], v[26:27], 0, v[16:17]
	flat_load_dwordx2 v[32:33], v[32:33]
	v_lshl_add_u64 v[34:35], v[24:25], 0, v[16:17]
	s_waitcnt vmcnt(0) lgkmcnt(0)
	v_mul_f64 v[32:33], v[32:33], s[10:11]
	v_cvt_f32_f64_e32 v29, v[32:33]
	v_min_f32_e32 v28, v29, v28
	v_cvt_f64_f32_e32 v[28:29], v28
	global_store_dwordx2 v[34:35], v[28:29], off
	v_lshl_add_u64 v[28:29], v[2:3], 3, v[26:27]
	flat_load_dwordx2 v[28:29], v[28:29]
	s_waitcnt vmcnt(0) lgkmcnt(0)
	v_mul_f64 v[28:29], v[28:29], s[10:11]
.LBB107_138:
	v_cvt_f32_f64_e32 v28, v[28:29]
	v_max_f32_e32 v29, v106, v106
	v_min_f32_e32 v28, v28, v29
	v_cvt_f64_f32_e32 v[28:29], v28
	v_lshl_add_u64 v[32:33], v[2:3], 3, v[24:25]
	global_store_dwordx2 v[32:33], v[28:29], off
	v_max_f32_e32 v28, v105, v105
	s_mov_b64 vcc, s[6:7]
	s_cbranch_vccz .LBB107_141
; %bb.139:
	v_min_f32_e32 v29, 0, v28
	v_cvt_f64_f32_e32 v[32:33], v29
	v_lshl_add_u64 v[34:35], v[14:15], 3, v[24:25]
	global_store_dwordx2 v[34:35], v[32:33], off
	s_mov_b64 s[2:3], 0
	s_cbranch_execz .LBB107_142
; %bb.140:
	v_mov_b64_e32 v[28:29], s[2:3]
	s_branch .LBB107_143
.LBB107_141:
                                        ; implicit-def: $sgpr2_sgpr3
.LBB107_142:
	v_lshl_add_u64 v[32:33], v[26:27], 0, v[20:21]
	flat_load_dwordx2 v[32:33], v[32:33]
	v_lshl_add_u64 v[34:35], v[24:25], 0, v[20:21]
	s_waitcnt vmcnt(0) lgkmcnt(0)
	v_mul_f64 v[32:33], v[32:33], s[10:11]
	v_cvt_f32_f64_e32 v29, v[32:33]
	v_min_f32_e32 v28, v29, v28
	v_cvt_f64_f32_e32 v[28:29], v28
	global_store_dwordx2 v[34:35], v[28:29], off
	v_lshl_add_u64 v[28:29], v[4:5], 3, v[26:27]
	flat_load_dwordx2 v[28:29], v[28:29]
	s_waitcnt vmcnt(0) lgkmcnt(0)
	v_mul_f64 v[28:29], v[28:29], s[10:11]
.LBB107_143:
	v_cvt_f32_f64_e32 v28, v[28:29]
	v_max_f32_e32 v29, v104, v104
	v_min_f32_e32 v28, v28, v29
	v_cvt_f64_f32_e32 v[28:29], v28
	v_lshl_add_u64 v[32:33], v[4:5], 3, v[24:25]
	global_store_dwordx2 v[32:33], v[28:29], off
	v_max_f32_e32 v28, v103, v103
	s_mov_b64 vcc, s[6:7]
	s_cbranch_vccz .LBB107_146
; %bb.144:
	v_min_f32_e32 v29, 0, v28
	v_cvt_f64_f32_e32 v[32:33], v29
	v_lshl_add_u64 v[34:35], v[18:19], 3, v[24:25]
	global_store_dwordx2 v[34:35], v[32:33], off
	s_mov_b64 s[2:3], 0
	s_cbranch_execz .LBB107_147
; %bb.145:
	v_mov_b64_e32 v[26:27], s[2:3]
	s_branch .LBB107_148
.LBB107_146:
                                        ; implicit-def: $sgpr2_sgpr3
.LBB107_147:
	v_lshl_add_u64 v[32:33], v[26:27], 0, v[22:23]
	flat_load_dwordx2 v[32:33], v[32:33]
	v_lshl_add_u64 v[34:35], v[24:25], 0, v[22:23]
	v_lshl_add_u64 v[26:27], v[6:7], 3, v[26:27]
	s_waitcnt vmcnt(0) lgkmcnt(0)
	v_mul_f64 v[32:33], v[32:33], s[10:11]
	v_cvt_f32_f64_e32 v29, v[32:33]
	v_min_f32_e32 v28, v29, v28
	v_cvt_f64_f32_e32 v[28:29], v28
	global_store_dwordx2 v[34:35], v[28:29], off
	flat_load_dwordx2 v[26:27], v[26:27]
	s_waitcnt vmcnt(0) lgkmcnt(0)
	v_mul_f64 v[26:27], v[26:27], s[10:11]
.LBB107_148:
	v_cvt_f32_f64_e32 v26, v[26:27]
	v_max_f32_e32 v27, v102, v102
	v_min_f32_e32 v26, v26, v27
	v_cvt_f64_f32_e32 v[26:27], v26
	v_lshl_add_u64 v[24:25], v[6:7], 3, v[24:25]
	global_store_dwordx2 v[24:25], v[26:27], off
	v_add_u32_e32 v26, 40, v30
	v_mad_i64_i32 v[24:25], s[2:3], v26, s13, 0
	v_lshl_add_u64 v[24:25], v[24:25], 3, s[0:1]
	v_mad_i64_i32 v[26:27], s[2:3], v26, s12, 0
	v_max_f32_e32 v28, v101, v101
	s_mov_b64 vcc, s[6:7]
	s_cbranch_vccz .LBB107_151
; %bb.149:
	v_min_f32_e32 v29, 0, v28
	v_cvt_f64_f32_e32 v[32:33], v29
	v_lshl_add_u64 v[34:35], v[8:9], 3, v[24:25]
	global_store_dwordx2 v[34:35], v[32:33], off
	s_mov_b64 s[2:3], 0
	v_lshl_add_u64 v[26:27], v[26:27], 3, s[8:9]
	s_cbranch_execz .LBB107_152
; %bb.150:
	v_mov_b64_e32 v[28:29], s[2:3]
	s_branch .LBB107_153
.LBB107_151:
                                        ; implicit-def: $sgpr2_sgpr3
	v_lshl_add_u64 v[26:27], v[26:27], 3, s[8:9]
.LBB107_152:
	v_lshl_add_u64 v[32:33], v[26:27], 0, v[12:13]
	flat_load_dwordx2 v[32:33], v[32:33]
	v_lshl_add_u64 v[34:35], v[24:25], 0, v[12:13]
	s_waitcnt vmcnt(0) lgkmcnt(0)
	v_mul_f64 v[32:33], v[32:33], s[10:11]
	v_cvt_f32_f64_e32 v29, v[32:33]
	v_min_f32_e32 v28, v29, v28
	v_cvt_f64_f32_e32 v[28:29], v28
	global_store_dwordx2 v[34:35], v[28:29], off
	v_lshl_add_u64 v[28:29], v[0:1], 3, v[26:27]
	flat_load_dwordx2 v[28:29], v[28:29]
	s_waitcnt vmcnt(0) lgkmcnt(0)
	v_mul_f64 v[28:29], v[28:29], s[10:11]
.LBB107_153:
	v_cvt_f32_f64_e32 v28, v[28:29]
	v_max_f32_e32 v29, v100, v100
	v_min_f32_e32 v28, v28, v29
	v_cvt_f64_f32_e32 v[28:29], v28
	v_lshl_add_u64 v[32:33], v[0:1], 3, v[24:25]
	global_store_dwordx2 v[32:33], v[28:29], off
	v_max_f32_e32 v28, v99, v99
	s_mov_b64 vcc, s[6:7]
	s_cbranch_vccz .LBB107_156
; %bb.154:
	v_min_f32_e32 v29, 0, v28
	v_cvt_f64_f32_e32 v[32:33], v29
	v_lshl_add_u64 v[34:35], v[10:11], 3, v[24:25]
	s_mov_b32 s4, 0
	global_store_dwordx2 v[34:35], v[32:33], off
	s_cbranch_execz .LBB107_157
; %bb.155:
	v_mov_b32_e32 v28, s4
	s_branch .LBB107_158
.LBB107_156:
                                        ; implicit-def: $sgpr4
.LBB107_157:
	v_lshl_add_u64 v[32:33], v[26:27], 0, v[16:17]
	flat_load_dwordx2 v[32:33], v[32:33]
	v_lshl_add_u64 v[34:35], v[24:25], 0, v[16:17]
	s_waitcnt vmcnt(0) lgkmcnt(0)
	v_mul_f64 v[32:33], v[32:33], s[10:11]
	v_cvt_f32_f64_e32 v29, v[32:33]
	v_min_f32_e32 v28, v29, v28
	v_cvt_f64_f32_e32 v[28:29], v28
	global_store_dwordx2 v[34:35], v[28:29], off
	v_lshl_add_u64 v[28:29], v[2:3], 3, v[26:27]
	flat_load_dwordx2 v[28:29], v[28:29]
	s_waitcnt vmcnt(0) lgkmcnt(0)
	v_mul_f64 v[28:29], v[28:29], s[10:11]
	v_cvt_f32_f64_e32 v28, v[28:29]
.LBB107_158:
	v_max_f32_e32 v29, v98, v98
	v_max_f32_e32 v28, v28, v28
	v_min_f32_e32 v28, v28, v29
	v_cvt_f64_f32_e32 v[28:29], v28
	v_lshl_add_u64 v[32:33], v[2:3], 3, v[24:25]
	global_store_dwordx2 v[32:33], v[28:29], off
	v_max_f32_e32 v28, v97, v97
	s_mov_b64 vcc, s[6:7]
	s_cbranch_vccz .LBB107_161
; %bb.159:
	v_min_f32_e32 v29, 0, v28
	v_cvt_f64_f32_e32 v[32:33], v29
	v_lshl_add_u64 v[34:35], v[14:15], 3, v[24:25]
	s_mov_b32 s4, 0
	global_store_dwordx2 v[34:35], v[32:33], off
	s_cbranch_execz .LBB107_162
; %bb.160:
	v_mov_b32_e32 v28, s4
	s_branch .LBB107_163
.LBB107_161:
                                        ; implicit-def: $sgpr4
.LBB107_162:
	v_lshl_add_u64 v[32:33], v[26:27], 0, v[20:21]
	flat_load_dwordx2 v[32:33], v[32:33]
	v_lshl_add_u64 v[34:35], v[24:25], 0, v[20:21]
	s_waitcnt vmcnt(0) lgkmcnt(0)
	v_mul_f64 v[32:33], v[32:33], s[10:11]
	v_cvt_f32_f64_e32 v29, v[32:33]
	v_min_f32_e32 v28, v29, v28
	v_cvt_f64_f32_e32 v[28:29], v28
	global_store_dwordx2 v[34:35], v[28:29], off
	v_lshl_add_u64 v[28:29], v[4:5], 3, v[26:27]
	flat_load_dwordx2 v[28:29], v[28:29]
	s_waitcnt vmcnt(0) lgkmcnt(0)
	v_mul_f64 v[28:29], v[28:29], s[10:11]
	v_cvt_f32_f64_e32 v28, v[28:29]
.LBB107_163:
	v_max_f32_e32 v29, v96, v96
	v_max_f32_e32 v28, v28, v28
	v_min_f32_e32 v28, v28, v29
	v_cvt_f64_f32_e32 v[28:29], v28
	v_lshl_add_u64 v[32:33], v[4:5], 3, v[24:25]
	global_store_dwordx2 v[32:33], v[28:29], off
	v_max_f32_e32 v28, v95, v95
	s_mov_b64 vcc, s[6:7]
	s_cbranch_vccz .LBB107_166
; %bb.164:
	v_min_f32_e32 v29, 0, v28
	v_cvt_f64_f32_e32 v[32:33], v29
	v_lshl_add_u64 v[34:35], v[18:19], 3, v[24:25]
	s_mov_b32 s4, 0
	global_store_dwordx2 v[34:35], v[32:33], off
	s_cbranch_execz .LBB107_167
; %bb.165:
	v_mov_b32_e32 v26, s4
	s_branch .LBB107_168
.LBB107_166:
                                        ; implicit-def: $sgpr4
.LBB107_167:
	v_lshl_add_u64 v[32:33], v[26:27], 0, v[22:23]
	flat_load_dwordx2 v[32:33], v[32:33]
	v_lshl_add_u64 v[34:35], v[24:25], 0, v[22:23]
	v_lshl_add_u64 v[26:27], v[6:7], 3, v[26:27]
	s_waitcnt vmcnt(0) lgkmcnt(0)
	v_mul_f64 v[32:33], v[32:33], s[10:11]
	v_cvt_f32_f64_e32 v29, v[32:33]
	v_min_f32_e32 v28, v29, v28
	v_cvt_f64_f32_e32 v[28:29], v28
	global_store_dwordx2 v[34:35], v[28:29], off
	flat_load_dwordx2 v[26:27], v[26:27]
	s_waitcnt vmcnt(0) lgkmcnt(0)
	v_mul_f64 v[26:27], v[26:27], s[10:11]
	v_cvt_f32_f64_e32 v26, v[26:27]
.LBB107_168:
	v_max_f32_e32 v27, v94, v94
	v_max_f32_e32 v26, v26, v26
	v_min_f32_e32 v26, v26, v27
	v_cvt_f64_f32_e32 v[26:27], v26
	v_lshl_add_u64 v[24:25], v[6:7], 3, v[24:25]
	global_store_dwordx2 v[24:25], v[26:27], off
	v_add_u32_e32 v26, 48, v30
	v_mad_i64_i32 v[24:25], s[2:3], v26, s13, 0
	v_lshl_add_u64 v[24:25], v[24:25], 3, s[0:1]
	v_mad_i64_i32 v[26:27], s[2:3], v26, s12, 0
	v_max_f32_e32 v28, v93, v93
	s_mov_b64 vcc, s[6:7]
	s_cbranch_vccz .LBB107_171
; %bb.169:
	v_min_f32_e32 v29, 0, v28
	v_cvt_f64_f32_e32 v[32:33], v29
	v_lshl_add_u64 v[34:35], v[8:9], 3, v[24:25]
	s_mov_b32 s4, 0
	global_store_dwordx2 v[34:35], v[32:33], off
	v_lshl_add_u64 v[26:27], v[26:27], 3, s[8:9]
	s_cbranch_execz .LBB107_172
; %bb.170:
	v_mov_b32_e32 v28, s4
	s_branch .LBB107_173
.LBB107_171:
                                        ; implicit-def: $sgpr4
	v_lshl_add_u64 v[26:27], v[26:27], 3, s[8:9]
.LBB107_172:
	v_lshl_add_u64 v[32:33], v[26:27], 0, v[12:13]
	flat_load_dwordx2 v[32:33], v[32:33]
	v_lshl_add_u64 v[34:35], v[24:25], 0, v[12:13]
	s_waitcnt vmcnt(0) lgkmcnt(0)
	v_mul_f64 v[32:33], v[32:33], s[10:11]
	v_cvt_f32_f64_e32 v29, v[32:33]
	v_min_f32_e32 v28, v29, v28
	v_cvt_f64_f32_e32 v[28:29], v28
	global_store_dwordx2 v[34:35], v[28:29], off
	v_lshl_add_u64 v[28:29], v[0:1], 3, v[26:27]
	flat_load_dwordx2 v[28:29], v[28:29]
	s_waitcnt vmcnt(0) lgkmcnt(0)
	v_mul_f64 v[28:29], v[28:29], s[10:11]
	v_cvt_f32_f64_e32 v28, v[28:29]
.LBB107_173:
	v_max_f32_e32 v29, v92, v92
	v_max_f32_e32 v28, v28, v28
	v_min_f32_e32 v28, v28, v29
	v_cvt_f64_f32_e32 v[28:29], v28
	v_lshl_add_u64 v[32:33], v[0:1], 3, v[24:25]
	global_store_dwordx2 v[32:33], v[28:29], off
	v_max_f32_e32 v28, v91, v91
	s_mov_b64 vcc, s[6:7]
	s_cbranch_vccz .LBB107_176
; %bb.174:
	v_min_f32_e32 v29, 0, v28
	v_cvt_f64_f32_e32 v[32:33], v29
	v_lshl_add_u64 v[34:35], v[10:11], 3, v[24:25]
	s_mov_b32 s4, 0
	global_store_dwordx2 v[34:35], v[32:33], off
	s_cbranch_execz .LBB107_177
; %bb.175:
	v_mov_b32_e32 v28, s4
	s_branch .LBB107_178
.LBB107_176:
                                        ; implicit-def: $sgpr4
.LBB107_177:
	v_lshl_add_u64 v[32:33], v[26:27], 0, v[16:17]
	flat_load_dwordx2 v[32:33], v[32:33]
	v_lshl_add_u64 v[34:35], v[24:25], 0, v[16:17]
	s_waitcnt vmcnt(0) lgkmcnt(0)
	v_mul_f64 v[32:33], v[32:33], s[10:11]
	v_cvt_f32_f64_e32 v29, v[32:33]
	v_min_f32_e32 v28, v29, v28
	v_cvt_f64_f32_e32 v[28:29], v28
	global_store_dwordx2 v[34:35], v[28:29], off
	v_lshl_add_u64 v[28:29], v[2:3], 3, v[26:27]
	flat_load_dwordx2 v[28:29], v[28:29]
	s_waitcnt vmcnt(0) lgkmcnt(0)
	v_mul_f64 v[28:29], v[28:29], s[10:11]
	v_cvt_f32_f64_e32 v28, v[28:29]
.LBB107_178:
	v_max_f32_e32 v29, v90, v90
	v_max_f32_e32 v28, v28, v28
	v_min_f32_e32 v28, v28, v29
	v_cvt_f64_f32_e32 v[28:29], v28
	v_lshl_add_u64 v[32:33], v[2:3], 3, v[24:25]
	global_store_dwordx2 v[32:33], v[28:29], off
	v_max_f32_e32 v28, v89, v89
	s_mov_b64 vcc, s[6:7]
	s_cbranch_vccz .LBB107_181
; %bb.179:
	v_min_f32_e32 v29, 0, v28
	v_cvt_f64_f32_e32 v[32:33], v29
	v_lshl_add_u64 v[34:35], v[14:15], 3, v[24:25]
	s_mov_b32 s4, 0
	global_store_dwordx2 v[34:35], v[32:33], off
	s_cbranch_execz .LBB107_182
; %bb.180:
	v_mov_b32_e32 v28, s4
	s_branch .LBB107_183
.LBB107_181:
                                        ; implicit-def: $sgpr4
.LBB107_182:
	v_lshl_add_u64 v[32:33], v[26:27], 0, v[20:21]
	flat_load_dwordx2 v[32:33], v[32:33]
	v_lshl_add_u64 v[34:35], v[24:25], 0, v[20:21]
	s_waitcnt vmcnt(0) lgkmcnt(0)
	v_mul_f64 v[32:33], v[32:33], s[10:11]
	v_cvt_f32_f64_e32 v29, v[32:33]
	v_min_f32_e32 v28, v29, v28
	v_cvt_f64_f32_e32 v[28:29], v28
	global_store_dwordx2 v[34:35], v[28:29], off
	v_lshl_add_u64 v[28:29], v[4:5], 3, v[26:27]
	flat_load_dwordx2 v[28:29], v[28:29]
	s_waitcnt vmcnt(0) lgkmcnt(0)
	v_mul_f64 v[28:29], v[28:29], s[10:11]
	v_cvt_f32_f64_e32 v28, v[28:29]
.LBB107_183:
	v_max_f32_e32 v29, v88, v88
	v_max_f32_e32 v28, v28, v28
	v_min_f32_e32 v28, v28, v29
	v_cvt_f64_f32_e32 v[28:29], v28
	v_lshl_add_u64 v[32:33], v[4:5], 3, v[24:25]
	global_store_dwordx2 v[32:33], v[28:29], off
	v_max_f32_e32 v28, v87, v87
	s_mov_b64 vcc, s[6:7]
	s_cbranch_vccz .LBB107_186
; %bb.184:
	v_min_f32_e32 v29, 0, v28
	v_cvt_f64_f32_e32 v[32:33], v29
	v_lshl_add_u64 v[34:35], v[18:19], 3, v[24:25]
	s_mov_b32 s4, 0
	global_store_dwordx2 v[34:35], v[32:33], off
	s_cbranch_execz .LBB107_187
; %bb.185:
	v_mov_b32_e32 v26, s4
	s_branch .LBB107_188
.LBB107_186:
                                        ; implicit-def: $sgpr4
.LBB107_187:
	v_lshl_add_u64 v[32:33], v[26:27], 0, v[22:23]
	flat_load_dwordx2 v[32:33], v[32:33]
	v_lshl_add_u64 v[34:35], v[24:25], 0, v[22:23]
	v_lshl_add_u64 v[26:27], v[6:7], 3, v[26:27]
	s_waitcnt vmcnt(0) lgkmcnt(0)
	v_mul_f64 v[32:33], v[32:33], s[10:11]
	v_cvt_f32_f64_e32 v29, v[32:33]
	v_min_f32_e32 v28, v29, v28
	v_cvt_f64_f32_e32 v[28:29], v28
	global_store_dwordx2 v[34:35], v[28:29], off
	flat_load_dwordx2 v[26:27], v[26:27]
	s_waitcnt vmcnt(0) lgkmcnt(0)
	v_mul_f64 v[26:27], v[26:27], s[10:11]
	v_cvt_f32_f64_e32 v26, v[26:27]
.LBB107_188:
	v_max_f32_e32 v27, v86, v86
	v_max_f32_e32 v26, v26, v26
	v_min_f32_e32 v26, v26, v27
	v_cvt_f64_f32_e32 v[26:27], v26
	v_lshl_add_u64 v[24:25], v[6:7], 3, v[24:25]
	global_store_dwordx2 v[24:25], v[26:27], off
	v_add_u32_e32 v26, 56, v30
	v_mad_i64_i32 v[24:25], s[2:3], v26, s13, 0
	v_lshl_add_u64 v[24:25], v[24:25], 3, s[0:1]
	v_mad_i64_i32 v[26:27], s[0:1], v26, s12, 0
	v_max_f32_e32 v28, v85, v85
	s_mov_b64 vcc, s[6:7]
	s_cbranch_vccz .LBB107_191
; %bb.189:
	v_min_f32_e32 v29, 0, v28
	v_cvt_f64_f32_e32 v[30:31], v29
	v_lshl_add_u64 v[8:9], v[8:9], 3, v[24:25]
	s_mov_b32 s2, 0
	global_store_dwordx2 v[8:9], v[30:31], off
	v_lshl_add_u64 v[8:9], v[26:27], 3, s[8:9]
	s_cbranch_execz .LBB107_192
; %bb.190:
	v_mov_b32_e32 v12, s2
	s_branch .LBB107_193
.LBB107_191:
                                        ; implicit-def: $sgpr2
	v_lshl_add_u64 v[8:9], v[26:27], 3, s[8:9]
.LBB107_192:
	v_lshl_add_u64 v[26:27], v[8:9], 0, v[12:13]
	flat_load_dwordx2 v[26:27], v[26:27]
	v_lshl_add_u64 v[12:13], v[24:25], 0, v[12:13]
	s_waitcnt vmcnt(0) lgkmcnt(0)
	v_mul_f64 v[26:27], v[26:27], s[10:11]
	v_cvt_f32_f64_e32 v26, v[26:27]
	v_min_f32_e32 v26, v26, v28
	v_cvt_f64_f32_e32 v[26:27], v26
	global_store_dwordx2 v[12:13], v[26:27], off
	v_lshl_add_u64 v[12:13], v[0:1], 3, v[8:9]
	flat_load_dwordx2 v[12:13], v[12:13]
	s_waitcnt vmcnt(0) lgkmcnt(0)
	v_mul_f64 v[12:13], v[12:13], s[10:11]
	v_cvt_f32_f64_e32 v12, v[12:13]
.LBB107_193:
	v_max_f32_e32 v13, v84, v84
	v_max_f32_e32 v12, v12, v12
	v_min_f32_e32 v12, v12, v13
	v_cvt_f64_f32_e32 v[12:13], v12
	v_lshl_add_u64 v[0:1], v[0:1], 3, v[24:25]
	global_store_dwordx2 v[0:1], v[12:13], off
	v_max_f32_e32 v0, v83, v83
	s_mov_b64 vcc, s[6:7]
	s_cbranch_vccz .LBB107_196
; %bb.194:
	v_min_f32_e32 v1, 0, v0
	v_cvt_f64_f32_e32 v[12:13], v1
	v_lshl_add_u64 v[10:11], v[10:11], 3, v[24:25]
	s_mov_b32 s2, 0
	global_store_dwordx2 v[10:11], v[12:13], off
	s_cbranch_execz .LBB107_197
; %bb.195:
	v_mov_b32_e32 v0, s2
	s_branch .LBB107_198
.LBB107_196:
                                        ; implicit-def: $sgpr2
.LBB107_197:
	v_lshl_add_u64 v[10:11], v[8:9], 0, v[16:17]
	flat_load_dwordx2 v[10:11], v[10:11]
	v_lshl_add_u64 v[12:13], v[24:25], 0, v[16:17]
	s_waitcnt vmcnt(0) lgkmcnt(0)
	v_mul_f64 v[10:11], v[10:11], s[10:11]
	v_cvt_f32_f64_e32 v1, v[10:11]
	v_min_f32_e32 v0, v1, v0
	v_cvt_f64_f32_e32 v[0:1], v0
	global_store_dwordx2 v[12:13], v[0:1], off
	v_lshl_add_u64 v[0:1], v[2:3], 3, v[8:9]
	flat_load_dwordx2 v[0:1], v[0:1]
	s_waitcnt vmcnt(0) lgkmcnt(0)
	v_mul_f64 v[0:1], v[0:1], s[10:11]
	v_cvt_f32_f64_e32 v0, v[0:1]
.LBB107_198:
	v_max_f32_e32 v1, v82, v82
	v_max_f32_e32 v0, v0, v0
	v_min_f32_e32 v0, v0, v1
	v_cvt_f64_f32_e32 v[0:1], v0
	v_lshl_add_u64 v[2:3], v[2:3], 3, v[24:25]
	global_store_dwordx2 v[2:3], v[0:1], off
	v_max_f32_e32 v0, v81, v81
	s_mov_b64 vcc, s[6:7]
	s_cbranch_vccz .LBB107_201
; %bb.199:
	v_min_f32_e32 v1, 0, v0
	v_cvt_f64_f32_e32 v[2:3], v1
	v_lshl_add_u64 v[10:11], v[14:15], 3, v[24:25]
	s_mov_b32 s2, 0
	global_store_dwordx2 v[10:11], v[2:3], off
	s_cbranch_execz .LBB107_202
; %bb.200:
	v_mov_b32_e32 v0, s2
	s_branch .LBB107_203
.LBB107_201:
                                        ; implicit-def: $sgpr2
.LBB107_202:
	v_lshl_add_u64 v[2:3], v[8:9], 0, v[20:21]
	flat_load_dwordx2 v[2:3], v[2:3]
	v_lshl_add_u64 v[10:11], v[24:25], 0, v[20:21]
	s_waitcnt vmcnt(0) lgkmcnt(0)
	v_mul_f64 v[2:3], v[2:3], s[10:11]
	v_cvt_f32_f64_e32 v1, v[2:3]
	v_min_f32_e32 v0, v1, v0
	v_cvt_f64_f32_e32 v[0:1], v0
	global_store_dwordx2 v[10:11], v[0:1], off
	v_lshl_add_u64 v[0:1], v[4:5], 3, v[8:9]
	flat_load_dwordx2 v[0:1], v[0:1]
	s_waitcnt vmcnt(0) lgkmcnt(0)
	v_mul_f64 v[0:1], v[0:1], s[10:11]
	v_cvt_f32_f64_e32 v0, v[0:1]
.LBB107_203:
	;; [unrolled: 37-line block ×3, first 2 shown]
	v_max_f32_e32 v1, v78, v78
	v_max_f32_e32 v0, v0, v0
	v_min_f32_e32 v0, v0, v1
	v_cvt_f64_f32_e32 v[0:1], v0
	v_lshl_add_u64 v[2:3], v[6:7], 3, v[24:25]
	global_store_dwordx2 v[2:3], v[0:1], off
	s_endpgm
	.section	.rodata,"a",@progbits
	.p2align	6, 0x0
	.amdhsa_kernel _ZN12_GLOBAL__N_120geam_min_plus_kernelId15HIP_vector_typeIdLj2EEdLi32ELi8ELi256ELi64ELi4ELi64ELi4ELi4ELi64ELc78ELc78ELb0ELb0ELb1EdKPKdKPdEEviiiT16_PT17_ilSA_ilS8_SA_ilPT18_ili26rocblas_geam_ex_operation_
		.amdhsa_group_segment_fixed_size 20480
		.amdhsa_private_segment_fixed_size 0
		.amdhsa_kernarg_size 136
		.amdhsa_user_sgpr_count 2
		.amdhsa_user_sgpr_dispatch_ptr 0
		.amdhsa_user_sgpr_queue_ptr 0
		.amdhsa_user_sgpr_kernarg_segment_ptr 1
		.amdhsa_user_sgpr_dispatch_id 0
		.amdhsa_user_sgpr_kernarg_preload_length 0
		.amdhsa_user_sgpr_kernarg_preload_offset 0
		.amdhsa_user_sgpr_private_segment_size 0
		.amdhsa_uses_dynamic_stack 0
		.amdhsa_enable_private_segment 0
		.amdhsa_system_sgpr_workgroup_id_x 1
		.amdhsa_system_sgpr_workgroup_id_y 0
		.amdhsa_system_sgpr_workgroup_id_z 1
		.amdhsa_system_sgpr_workgroup_info 0
		.amdhsa_system_vgpr_workitem_id 1
		.amdhsa_next_free_vgpr 160
		.amdhsa_next_free_sgpr 29
		.amdhsa_accum_offset 160
		.amdhsa_reserve_vcc 1
		.amdhsa_float_round_mode_32 0
		.amdhsa_float_round_mode_16_64 0
		.amdhsa_float_denorm_mode_32 3
		.amdhsa_float_denorm_mode_16_64 3
		.amdhsa_dx10_clamp 1
		.amdhsa_ieee_mode 1
		.amdhsa_fp16_overflow 0
		.amdhsa_tg_split 0
		.amdhsa_exception_fp_ieee_invalid_op 0
		.amdhsa_exception_fp_denorm_src 0
		.amdhsa_exception_fp_ieee_div_zero 0
		.amdhsa_exception_fp_ieee_overflow 0
		.amdhsa_exception_fp_ieee_underflow 0
		.amdhsa_exception_fp_ieee_inexact 0
		.amdhsa_exception_int_div_zero 0
	.end_amdhsa_kernel
	.section	.text._ZN12_GLOBAL__N_120geam_min_plus_kernelId15HIP_vector_typeIdLj2EEdLi32ELi8ELi256ELi64ELi4ELi64ELi4ELi4ELi64ELc78ELc78ELb0ELb0ELb1EdKPKdKPdEEviiiT16_PT17_ilSA_ilS8_SA_ilPT18_ili26rocblas_geam_ex_operation_,"axG",@progbits,_ZN12_GLOBAL__N_120geam_min_plus_kernelId15HIP_vector_typeIdLj2EEdLi32ELi8ELi256ELi64ELi4ELi64ELi4ELi4ELi64ELc78ELc78ELb0ELb0ELb1EdKPKdKPdEEviiiT16_PT17_ilSA_ilS8_SA_ilPT18_ili26rocblas_geam_ex_operation_,comdat
.Lfunc_end107:
	.size	_ZN12_GLOBAL__N_120geam_min_plus_kernelId15HIP_vector_typeIdLj2EEdLi32ELi8ELi256ELi64ELi4ELi64ELi4ELi4ELi64ELc78ELc78ELb0ELb0ELb1EdKPKdKPdEEviiiT16_PT17_ilSA_ilS8_SA_ilPT18_ili26rocblas_geam_ex_operation_, .Lfunc_end107-_ZN12_GLOBAL__N_120geam_min_plus_kernelId15HIP_vector_typeIdLj2EEdLi32ELi8ELi256ELi64ELi4ELi64ELi4ELi4ELi64ELc78ELc78ELb0ELb0ELb1EdKPKdKPdEEviiiT16_PT17_ilSA_ilS8_SA_ilPT18_ili26rocblas_geam_ex_operation_
                                        ; -- End function
	.section	.AMDGPU.csdata,"",@progbits
; Kernel info:
; codeLenInByte = 17132
; NumSgprs: 35
; NumVgprs: 160
; NumAgprs: 0
; TotalNumVgprs: 160
; ScratchSize: 0
; MemoryBound: 1
; FloatMode: 240
; IeeeMode: 1
; LDSByteSize: 20480 bytes/workgroup (compile time only)
; SGPRBlocks: 4
; VGPRBlocks: 19
; NumSGPRsForWavesPerEU: 35
; NumVGPRsForWavesPerEU: 160
; AccumOffset: 160
; Occupancy: 3
; WaveLimiterHint : 1
; COMPUTE_PGM_RSRC2:SCRATCH_EN: 0
; COMPUTE_PGM_RSRC2:USER_SGPR: 2
; COMPUTE_PGM_RSRC2:TRAP_HANDLER: 0
; COMPUTE_PGM_RSRC2:TGID_X_EN: 1
; COMPUTE_PGM_RSRC2:TGID_Y_EN: 0
; COMPUTE_PGM_RSRC2:TGID_Z_EN: 1
; COMPUTE_PGM_RSRC2:TIDIG_COMP_CNT: 1
; COMPUTE_PGM_RSRC3_GFX90A:ACCUM_OFFSET: 39
; COMPUTE_PGM_RSRC3_GFX90A:TG_SPLIT: 0
	.section	.text._ZN12_GLOBAL__N_120geam_min_plus_kernelId15HIP_vector_typeIdLj2EEdLi32ELi8ELi256ELi64ELi4ELi64ELi4ELi4ELi64ELc78ELc78ELb0ELb1ELb1EPKdKS4_KPdEEviiiT16_PT17_ilSA_ilS8_SA_ilPT18_ili26rocblas_geam_ex_operation_,"axG",@progbits,_ZN12_GLOBAL__N_120geam_min_plus_kernelId15HIP_vector_typeIdLj2EEdLi32ELi8ELi256ELi64ELi4ELi64ELi4ELi4ELi64ELc78ELc78ELb0ELb1ELb1EPKdKS4_KPdEEviiiT16_PT17_ilSA_ilS8_SA_ilPT18_ili26rocblas_geam_ex_operation_,comdat
	.globl	_ZN12_GLOBAL__N_120geam_min_plus_kernelId15HIP_vector_typeIdLj2EEdLi32ELi8ELi256ELi64ELi4ELi64ELi4ELi4ELi64ELc78ELc78ELb0ELb1ELb1EPKdKS4_KPdEEviiiT16_PT17_ilSA_ilS8_SA_ilPT18_ili26rocblas_geam_ex_operation_ ; -- Begin function _ZN12_GLOBAL__N_120geam_min_plus_kernelId15HIP_vector_typeIdLj2EEdLi32ELi8ELi256ELi64ELi4ELi64ELi4ELi4ELi64ELc78ELc78ELb0ELb1ELb1EPKdKS4_KPdEEviiiT16_PT17_ilSA_ilS8_SA_ilPT18_ili26rocblas_geam_ex_operation_
	.p2align	8
	.type	_ZN12_GLOBAL__N_120geam_min_plus_kernelId15HIP_vector_typeIdLj2EEdLi32ELi8ELi256ELi64ELi4ELi64ELi4ELi4ELi64ELc78ELc78ELb0ELb1ELb1EPKdKS4_KPdEEviiiT16_PT17_ilSA_ilS8_SA_ilPT18_ili26rocblas_geam_ex_operation_,@function
_ZN12_GLOBAL__N_120geam_min_plus_kernelId15HIP_vector_typeIdLj2EEdLi32ELi8ELi256ELi64ELi4ELi64ELi4ELi4ELi64ELc78ELc78ELb0ELb1ELb1EPKdKS4_KPdEEviiiT16_PT17_ilSA_ilS8_SA_ilPT18_ili26rocblas_geam_ex_operation_: ; @_ZN12_GLOBAL__N_120geam_min_plus_kernelId15HIP_vector_typeIdLj2EEdLi32ELi8ELi256ELi64ELi4ELi64ELi4ELi4ELi64ELc78ELc78ELb0ELb1ELb1EPKdKS4_KPdEEviiiT16_PT17_ilSA_ilS8_SA_ilPT18_ili26rocblas_geam_ex_operation_
; %bb.0:
	s_load_dwordx4 s[12:15], s[0:1], 0x10
	s_load_dwordx4 s[4:7], s[0:1], 0x28
	s_mov_b32 s8, s3
	s_mov_b32 s9, 0
	s_lshl_b64 s[16:17], s[8:9], 3
	s_waitcnt lgkmcnt(0)
	s_add_u32 s20, s12, s16
	s_load_dwordx4 s[8:11], s[0:1], 0x40
	s_addc_u32 s21, s13, s17
	s_load_dwordx2 s[18:19], s[20:21], 0x0
	s_load_dwordx2 s[12:13], s[0:1], 0x50
	s_mov_b64 s[34:35], 0
	s_mov_b64 s[28:29], 0
	s_waitcnt lgkmcnt(0)
	s_add_u32 s10, s10, s16
	v_cmp_eq_f64_e64 s[22:23], s[18:19], 0
	s_addc_u32 s11, s11, s17
	v_cmp_neq_f64_e64 s[20:21], s[18:19], 0
	s_and_b64 vcc, exec, s[22:23]
	s_cbranch_vccnz .LBB108_2
; %bb.1:
	s_add_u32 s14, s14, s16
	s_addc_u32 s15, s15, s17
	s_load_dwordx2 s[14:15], s[14:15], 0x0
	s_lshl_b64 s[4:5], s[4:5], 3
	s_waitcnt lgkmcnt(0)
	s_add_u32 s28, s14, s4
	s_addc_u32 s29, s15, s5
.LBB108_2:
	s_load_dwordx2 s[24:25], s[10:11], 0x0
	s_andn2_b64 vcc, exec, s[20:21]
	s_cbranch_vccnz .LBB108_4
; %bb.3:
	s_add_u32 s4, s6, s16
	s_addc_u32 s5, s7, s17
	s_load_dwordx2 s[4:5], s[4:5], 0x0
	s_lshl_b64 s[6:7], s[8:9], 3
	s_waitcnt lgkmcnt(0)
	s_add_u32 s34, s4, s6
	s_addc_u32 s35, s5, s7
.LBB108_4:
	s_load_dwordx4 s[4:7], s[0:1], 0x60
	s_waitcnt lgkmcnt(0)
	v_cmp_eq_f64_e64 s[8:9], s[24:25], 0
	s_mov_b64 s[26:27], 0
	v_cmp_neq_f64_e64 s[14:15], s[24:25], 0
	s_and_b64 vcc, exec, s[8:9]
	s_cbranch_vccnz .LBB108_6
; %bb.5:
	s_add_u32 s8, s12, s16
	s_addc_u32 s9, s13, s17
	s_load_dwordx2 s[8:9], s[8:9], 0x0
	s_lshl_b64 s[4:5], s[4:5], 3
	s_waitcnt lgkmcnt(0)
	s_add_u32 s26, s8, s4
	s_addc_u32 s27, s9, s5
.LBB108_6:
	s_load_dwordx4 s[20:23], s[0:1], 0x0
	s_load_dword s36, s[0:1], 0x20
	s_add_u32 s4, s6, s16
	s_addc_u32 s5, s7, s17
	v_and_b32_e32 v132, 0x3ff, v0
	s_waitcnt lgkmcnt(0)
	s_add_i32 s3, s20, -1
	s_ashr_i32 s6, s3, 31
	s_lshr_b32 s6, s6, 24
	s_add_i32 s3, s3, s6
	s_ashr_i32 s3, s3, 8
	s_add_i32 s6, s3, 1
	v_cvt_f32_u32_e32 v1, s6
	v_bfe_u32 v133, v0, 10, 10
	s_load_dwordx2 s[16:17], s[4:5], 0x0
	s_not_b32 s3, s3
	v_rcp_iflag_f32_e32 v0, v1
	v_lshl_add_u32 v10, v133, 5, v132
	v_lshrrev_b32_e32 v144, 6, v10
	v_and_b32_e32 v72, 63, v10
	v_mul_f32_e32 v0, 0x4f7ffffe, v0
	v_cvt_u32_f32_e32 v0, v0
	v_cmp_le_i32_e32 vcc, s22, v144
	v_cmp_eq_f64_e64 s[30:31], s[18:19], 0
	v_mov_b32_e32 v2, 0x7fefffff
	v_readfirstlane_b32 s4, v0
	s_mul_i32 s3, s3, s4
	s_mul_hi_u32 s3, s4, s3
	s_add_i32 s4, s4, s3
	s_mul_hi_u32 s3, s2, s4
	s_mul_i32 s4, s3, s6
	s_sub_i32 s4, s2, s4
	s_add_i32 s5, s3, 1
	s_sub_i32 s7, s4, s6
	s_cmp_ge_u32 s4, s6
	s_cselect_b32 s3, s5, s3
	s_cselect_b32 s4, s7, s4
	s_add_i32 s5, s3, 1
	s_cmp_ge_u32 s4, s6
	s_cselect_b32 s12, s5, s3
	s_mul_i32 s3, s12, s6
	s_sub_i32 s2, s2, s3
	s_add_i32 s37, s22, -1
	s_lshl_b32 s23, s2, 8
	v_min_i32_e32 v0, s37, v144
	v_or_b32_e32 v60, s23, v72
	v_mad_i64_i32 v[0:1], s[2:3], s36, v0, 0
	v_cmp_le_i32_e64 s[2:3], s20, v60
	s_or_b64 s[4:5], s[2:3], vcc
	s_or_b64 s[6:7], s[30:31], s[4:5]
	v_lshl_add_u64 v[8:9], v[0:1], 3, s[28:29]
	v_cndmask_b32_e64 v1, 0, v2, s[4:5]
	s_xor_b64 s[6:7], s[6:7], -1
	v_cndmask_b32_e64 v0, 0, -1, s[4:5]
	v_ashrrev_i32_e32 v61, 31, v60
	s_and_saveexec_b64 s[4:5], s[6:7]
	s_cbranch_execz .LBB108_8
; %bb.7:
	v_lshl_add_u64 v[0:1], v[60:61], 3, v[8:9]
	flat_load_dwordx2 v[0:1], v[0:1]
	s_waitcnt vmcnt(0) lgkmcnt(0)
	v_mul_f64 v[0:1], s[18:19], v[0:1]
.LBB108_8:
	s_or_b64 exec, exec, s[4:5]
	v_or_b32_e32 v3, 64, v60
	v_cmp_le_i32_e64 s[4:5], s20, v3
	s_or_b64 s[6:7], s[4:5], vcc
	s_or_b64 s[8:9], s[30:31], s[6:7]
	v_cndmask_b32_e64 v3, 0, v2, s[6:7]
	s_xor_b64 s[8:9], s[8:9], -1
	v_cndmask_b32_e64 v2, 0, -1, s[6:7]
	s_and_saveexec_b64 s[6:7], s[8:9]
	s_cbranch_execz .LBB108_10
; %bb.9:
	v_lshl_add_u64 v[2:3], v[60:61], 3, v[8:9]
	flat_load_dwordx2 v[2:3], v[2:3] offset:512
	s_waitcnt vmcnt(0) lgkmcnt(0)
	v_mul_f64 v[2:3], s[18:19], v[2:3]
.LBB108_10:
	s_or_b64 exec, exec, s[6:7]
	v_or_b32_e32 v4, 0x80, v60
	v_cmp_le_i32_e64 s[6:7], s20, v4
	s_or_b64 s[8:9], s[6:7], vcc
	v_mov_b32_e32 v6, 0x7fefffff
	s_or_b64 s[10:11], s[30:31], s[8:9]
	v_cndmask_b32_e64 v5, 0, v6, s[8:9]
	s_xor_b64 s[10:11], s[10:11], -1
	v_cndmask_b32_e64 v4, 0, -1, s[8:9]
	s_and_saveexec_b64 s[8:9], s[10:11]
	s_cbranch_execz .LBB108_12
; %bb.11:
	v_lshl_add_u64 v[4:5], v[60:61], 3, v[8:9]
	flat_load_dwordx2 v[4:5], v[4:5] offset:1024
	s_waitcnt vmcnt(0) lgkmcnt(0)
	v_mul_f64 v[4:5], s[18:19], v[4:5]
.LBB108_12:
	s_or_b64 exec, exec, s[8:9]
	v_or_b32_e32 v7, 0xc0, v60
	v_cmp_le_i32_e64 s[8:9], s20, v7
	s_or_b64 vcc, s[8:9], vcc
	s_or_b64 s[10:11], s[30:31], vcc
	v_cndmask_b32_e32 v7, 0, v6, vcc
	s_xor_b64 s[38:39], s[10:11], -1
	v_cndmask_b32_e64 v6, 0, -1, vcc
	s_and_saveexec_b64 s[10:11], s[38:39]
	s_cbranch_execz .LBB108_14
; %bb.13:
	v_lshl_add_u64 v[6:7], v[60:61], 3, v[8:9]
	flat_load_dwordx2 v[6:7], v[6:7] offset:1536
	s_waitcnt vmcnt(0) lgkmcnt(0)
	v_mul_f64 v[6:7], s[18:19], v[6:7]
.LBB108_14:
	s_or_b64 exec, exec, s[10:11]
	v_lshrrev_b32_e32 v12, 2, v10
	s_lshl_b32 s33, s12, 6
	s_load_dword s40, s[0:1], 0x38
	v_and_b32_e32 v145, 3, v132
	v_add_u32_e32 v73, s33, v12
	v_cmp_le_i32_e32 vcc, s22, v145
	v_cmp_le_i32_e64 s[10:11], s21, v73
	s_or_b64 vcc, vcc, s[10:11]
	v_mov_b32_e32 v13, 0x7fefffff
	s_or_b64 s[12:13], s[30:31], vcc
	v_cndmask_b32_e32 v9, 0, v13, vcc
	s_xor_b64 s[38:39], s[12:13], -1
	v_cndmask_b32_e64 v8, 0, -1, vcc
	s_and_saveexec_b64 s[12:13], s[38:39]
	s_cbranch_execz .LBB108_16
; %bb.15:
	v_min_u32_e32 v10, s37, v145
	s_waitcnt lgkmcnt(0)
	v_mad_i64_i32 v[8:9], s[38:39], v73, s40, 0
	v_lshl_add_u64 v[8:9], v[8:9], 3, s[34:35]
	v_lshlrev_b32_e32 v10, 3, v10
	v_mov_b32_e32 v11, 0
	v_lshl_add_u64 v[8:9], v[8:9], 0, v[10:11]
	flat_load_dwordx2 v[8:9], v[8:9]
	s_waitcnt vmcnt(0) lgkmcnt(0)
	v_mul_f64 v[8:9], s[18:19], v[8:9]
.LBB108_16:
	s_or_b64 exec, exec, s[12:13]
	v_add_u32_e32 v10, 4, v144
	v_cmp_le_i32_e32 vcc, s22, v10
	v_min_i32_e32 v10, s37, v10
	v_mad_i64_i32 v[10:11], s[12:13], s36, v10, 0
	s_or_b64 s[12:13], s[2:3], vcc
	s_or_b64 s[38:39], s[30:31], s[12:13]
	v_lshl_add_u64 v[10:11], v[10:11], 3, s[28:29]
	v_cndmask_b32_e64 v63, 0, v13, s[12:13]
	s_xor_b64 s[38:39], s[38:39], -1
	v_cndmask_b32_e64 v62, 0, -1, s[12:13]
	s_and_saveexec_b64 s[12:13], s[38:39]
	s_cbranch_execz .LBB108_18
; %bb.17:
	v_lshl_add_u64 v[14:15], v[60:61], 3, v[10:11]
	flat_load_dwordx2 v[14:15], v[14:15]
	s_waitcnt vmcnt(0) lgkmcnt(0)
	v_mul_f64 v[62:63], s[18:19], v[14:15]
.LBB108_18:
	s_or_b64 exec, exec, s[12:13]
	s_or_b64 s[12:13], s[4:5], vcc
	v_mov_b32_e32 v13, 0x7fefffff
	s_or_b64 s[38:39], s[30:31], s[12:13]
	v_cndmask_b32_e64 v65, 0, v13, s[12:13]
	s_xor_b64 s[38:39], s[38:39], -1
	v_cndmask_b32_e64 v64, 0, -1, s[12:13]
	s_and_saveexec_b64 s[12:13], s[38:39]
	s_cbranch_execz .LBB108_20
; %bb.19:
	v_lshl_add_u64 v[14:15], v[60:61], 3, v[10:11]
	flat_load_dwordx2 v[14:15], v[14:15] offset:512
	s_waitcnt vmcnt(0) lgkmcnt(0)
	v_mul_f64 v[64:65], s[18:19], v[14:15]
.LBB108_20:
	s_or_b64 exec, exec, s[12:13]
	s_or_b64 s[12:13], s[6:7], vcc
	s_or_b64 s[38:39], s[30:31], s[12:13]
	v_cndmask_b32_e64 v67, 0, v13, s[12:13]
	s_xor_b64 s[38:39], s[38:39], -1
	v_cndmask_b32_e64 v66, 0, -1, s[12:13]
	s_and_saveexec_b64 s[12:13], s[38:39]
	s_cbranch_execz .LBB108_22
; %bb.21:
	v_lshl_add_u64 v[14:15], v[60:61], 3, v[10:11]
	flat_load_dwordx2 v[14:15], v[14:15] offset:1024
	s_waitcnt vmcnt(0) lgkmcnt(0)
	v_mul_f64 v[66:67], s[18:19], v[14:15]
.LBB108_22:
	s_or_b64 exec, exec, s[12:13]
	s_or_b64 vcc, s[8:9], vcc
	v_mov_b32_e32 v13, 0x7fefffff
	s_or_b64 s[12:13], s[30:31], vcc
	v_cndmask_b32_e32 v69, 0, v13, vcc
	s_xor_b64 s[38:39], s[12:13], -1
	v_cndmask_b32_e64 v68, 0, -1, vcc
	s_and_saveexec_b64 s[12:13], s[38:39]
	s_cbranch_execz .LBB108_24
; %bb.23:
	v_lshl_add_u64 v[10:11], v[60:61], 3, v[10:11]
	flat_load_dwordx2 v[10:11], v[10:11] offset:1536
	s_waitcnt vmcnt(0) lgkmcnt(0)
	v_mul_f64 v[68:69], s[18:19], v[10:11]
.LBB108_24:
	s_or_b64 exec, exec, s[12:13]
	v_or_b32_e32 v10, 4, v145
	v_cmp_le_i32_e32 vcc, s22, v10
	s_or_b64 vcc, vcc, s[10:11]
	s_or_b64 s[12:13], s[30:31], vcc
	v_cndmask_b32_e32 v71, 0, v13, vcc
	s_xor_b64 s[42:43], s[12:13], -1
	s_mov_b32 s38, 0
	v_cndmask_b32_e64 v70, 0, -1, vcc
	s_and_saveexec_b64 s[12:13], s[42:43]
	s_cbranch_execz .LBB108_26
; %bb.25:
	v_min_u32_e32 v13, s37, v10
	s_waitcnt lgkmcnt(0)
	v_mad_i64_i32 v[10:11], s[42:43], v73, s40, 0
	v_lshl_add_u64 v[10:11], v[10:11], 3, s[34:35]
	v_lshlrev_b32_e32 v14, 3, v13
	v_mov_b32_e32 v15, 0
	v_lshl_add_u64 v[10:11], v[10:11], 0, v[14:15]
	flat_load_dwordx2 v[10:11], v[10:11]
	s_waitcnt vmcnt(0) lgkmcnt(0)
	v_mul_f64 v[70:71], s[18:19], v[10:11]
.LBB108_26:
	s_or_b64 exec, exec, s[12:13]
	v_lshlrev_b32_e32 v10, 3, v144
	v_lshl_add_u32 v146, v72, 5, v10
	ds_write2st64_b64 v146, v[0:1], v[2:3] offset1:4
	ds_write2st64_b64 v146, v[4:5], v[6:7] offset0:8 offset1:12
	v_lshlrev_b32_e32 v0, 3, v145
	v_lshl_or_b32 v74, v12, 5, v0
	v_add_u32_e32 v147, 0x4000, v74
	s_mov_b64 s[12:13], -1
	v_mov_b32_e32 v78, 0x7f800000
	v_mov_b32_e32 v79, 0x7f800000
	;; [unrolled: 1-line block ×64, first 2 shown]
	ds_write_b64 v74, v[8:9] offset:16384
	s_waitcnt lgkmcnt(0)
	s_barrier
.LBB108_27:                             ; =>This Inner Loop Header: Depth=1
	v_cndmask_b32_e64 v0, 0, 1, s[12:13]
	s_lshl_b32 s12, s38, 3
	v_cmp_ne_u32_e32 vcc, 1, v0
	v_lshl_add_u32 v0, v132, 5, s12
	v_lshl_add_u32 v20, v133, 5, s12
	ds_read_b128 v[32:35], v0
	ds_read_b128 v[28:31], v0 offset:1024
	ds_read_b128 v[24:27], v0 offset:2048
	;; [unrolled: 1-line block ×15, first 2 shown]
	s_waitcnt lgkmcnt(7)
	v_add_f64 v[76:77], v[34:35], v[150:151]
	v_add_f64 v[152:153], v[32:33], v[148:149]
	v_cvt_f32_f64_e32 v75, v[152:153]
	v_cvt_f32_f64_e32 v76, v[76:77]
	v_min3_f32 v143, v75, v76, v143
	v_add_f64 v[76:77], v[30:31], v[150:151]
	v_add_f64 v[152:153], v[28:29], v[148:149]
	v_cvt_f32_f64_e32 v75, v[152:153]
	v_cvt_f32_f64_e32 v76, v[76:77]
	v_min3_f32 v142, v75, v76, v142
	;; [unrolled: 5-line block ×8, first 2 shown]
	s_waitcnt lgkmcnt(6)
	v_add_f64 v[76:77], v[34:35], v[58:59]
	v_add_f64 v[148:149], v[32:33], v[56:57]
	v_cvt_f32_f64_e32 v75, v[148:149]
	v_cvt_f32_f64_e32 v76, v[76:77]
	v_min3_f32 v135, v75, v76, v135
	v_add_f64 v[76:77], v[30:31], v[58:59]
	v_add_f64 v[148:149], v[28:29], v[56:57]
	v_cvt_f32_f64_e32 v75, v[148:149]
	v_cvt_f32_f64_e32 v76, v[76:77]
	v_min3_f32 v134, v75, v76, v134
	v_add_f64 v[76:77], v[26:27], v[58:59]
	v_add_f64 v[148:149], v[24:25], v[56:57]
	v_cvt_f32_f64_e32 v75, v[148:149]
	v_cvt_f32_f64_e32 v76, v[76:77]
	v_min3_f32 v131, v75, v76, v131
	v_add_f64 v[76:77], v[18:19], v[58:59]
	v_add_f64 v[148:149], v[16:17], v[56:57]
	v_cvt_f32_f64_e32 v75, v[148:149]
	v_cvt_f32_f64_e32 v76, v[76:77]
	v_min3_f32 v130, v75, v76, v130
	v_add_f64 v[76:77], v[14:15], v[58:59]
	v_add_f64 v[148:149], v[12:13], v[56:57]
	v_cvt_f32_f64_e32 v75, v[148:149]
	v_cvt_f32_f64_e32 v76, v[76:77]
	v_min3_f32 v129, v75, v76, v129
	v_add_f64 v[76:77], v[10:11], v[58:59]
	v_add_f64 v[148:149], v[8:9], v[56:57]
	v_cvt_f32_f64_e32 v75, v[148:149]
	v_cvt_f32_f64_e32 v76, v[76:77]
	v_min3_f32 v128, v75, v76, v128
	v_add_f64 v[76:77], v[6:7], v[58:59]
	v_add_f64 v[148:149], v[4:5], v[56:57]
	v_add_f64 v[58:59], v[2:3], v[58:59]
	v_add_f64 v[56:57], v[0:1], v[56:57]
	v_cvt_f32_f64_e32 v56, v[56:57]
	v_cvt_f32_f64_e32 v57, v[58:59]
	v_min3_f32 v126, v56, v57, v126
	s_waitcnt lgkmcnt(5)
	v_add_f64 v[56:57], v[34:35], v[54:55]
	v_add_f64 v[58:59], v[32:33], v[52:53]
	v_cvt_f32_f64_e32 v58, v[58:59]
	v_cvt_f32_f64_e32 v56, v[56:57]
	v_min3_f32 v125, v58, v56, v125
	v_add_f64 v[56:57], v[30:31], v[54:55]
	v_add_f64 v[58:59], v[28:29], v[52:53]
	v_cvt_f32_f64_e32 v58, v[58:59]
	v_cvt_f32_f64_e32 v56, v[56:57]
	v_min3_f32 v124, v58, v56, v124
	v_add_f64 v[56:57], v[26:27], v[54:55]
	v_add_f64 v[58:59], v[24:25], v[52:53]
	v_cvt_f32_f64_e32 v58, v[58:59]
	v_cvt_f32_f64_e32 v56, v[56:57]
	v_min3_f32 v123, v58, v56, v123
	v_add_f64 v[56:57], v[18:19], v[54:55]
	v_add_f64 v[58:59], v[16:17], v[52:53]
	v_cvt_f32_f64_e32 v58, v[58:59]
	v_cvt_f32_f64_e32 v56, v[56:57]
	v_min3_f32 v122, v58, v56, v122
	v_add_f64 v[56:57], v[14:15], v[54:55]
	v_add_f64 v[58:59], v[12:13], v[52:53]
	v_cvt_f32_f64_e32 v58, v[58:59]
	v_cvt_f32_f64_e32 v56, v[56:57]
	v_min3_f32 v121, v58, v56, v121
	v_add_f64 v[56:57], v[10:11], v[54:55]
	v_add_f64 v[58:59], v[8:9], v[52:53]
	v_cvt_f32_f64_e32 v58, v[58:59]
	v_cvt_f32_f64_e32 v56, v[56:57]
	v_min3_f32 v120, v58, v56, v120
	v_add_f64 v[56:57], v[6:7], v[54:55]
	v_add_f64 v[58:59], v[4:5], v[52:53]
	v_add_f64 v[54:55], v[2:3], v[54:55]
	v_add_f64 v[52:53], v[0:1], v[52:53]
	v_cvt_f32_f64_e32 v52, v[52:53]
	v_cvt_f32_f64_e32 v53, v[54:55]
	v_min3_f32 v118, v52, v53, v118
	;; [unrolled: 38-line block ×5, first 2 shown]
	s_waitcnt lgkmcnt(1)
	v_add_f64 v[40:41], v[34:35], v[38:39]
	v_add_f64 v[42:43], v[32:33], v[36:37]
	v_cvt_f32_f64_e32 v42, v[42:43]
	v_cvt_f32_f64_e32 v40, v[40:41]
	v_min3_f32 v93, v42, v40, v93
	v_add_f64 v[40:41], v[30:31], v[38:39]
	v_add_f64 v[42:43], v[28:29], v[36:37]
	v_cvt_f32_f64_e32 v42, v[42:43]
	v_cvt_f32_f64_e32 v40, v[40:41]
	v_min3_f32 v92, v42, v40, v92
	;; [unrolled: 5-line block ×6, first 2 shown]
	v_add_f64 v[40:41], v[6:7], v[38:39]
	v_add_f64 v[42:43], v[4:5], v[36:37]
	v_add_f64 v[38:39], v[2:3], v[38:39]
	v_add_f64 v[36:37], v[0:1], v[36:37]
	s_waitcnt lgkmcnt(0)
	v_add_f64 v[34:35], v[34:35], v[22:23]
	v_add_f64 v[32:33], v[32:33], v[20:21]
	v_add_f64 v[30:31], v[30:31], v[22:23]
	v_add_f64 v[28:29], v[28:29], v[20:21]
	v_add_f64 v[26:27], v[26:27], v[22:23]
	v_add_f64 v[24:25], v[24:25], v[20:21]
	v_add_f64 v[18:19], v[18:19], v[22:23]
	v_add_f64 v[16:17], v[16:17], v[20:21]
	v_add_f64 v[14:15], v[14:15], v[22:23]
	v_add_f64 v[12:13], v[12:13], v[20:21]
	v_add_f64 v[10:11], v[10:11], v[22:23]
	v_add_f64 v[8:9], v[8:9], v[20:21]
	v_add_f64 v[6:7], v[6:7], v[22:23]
	v_add_f64 v[4:5], v[4:5], v[20:21]
	v_add_f64 v[2:3], v[2:3], v[22:23]
	v_add_f64 v[0:1], v[0:1], v[20:21]
	v_cvt_f32_f64_e32 v75, v[148:149]
	v_cvt_f32_f64_e32 v76, v[76:77]
	;; [unrolled: 1-line block ×30, first 2 shown]
	v_min3_f32 v127, v75, v76, v127
	v_min3_f32 v119, v58, v56, v119
	;; [unrolled: 1-line block ×15, first 2 shown]
	s_mov_b32 s38, 2
	s_mov_b64 s[12:13], 0
	s_cbranch_vccz .LBB108_27
; %bb.28:
	v_lshlrev_b32_e32 v0, 5, v72
	v_lshl_add_u32 v0, v144, 3, v0
	s_cmp_gt_i32 s22, 8
	s_mov_b32 s38, 8
	ds_write2st64_b64 v0, v[62:63], v[64:65] offset0:16 offset1:20
	ds_write2st64_b64 v0, v[66:67], v[68:69] offset0:24 offset1:28
	ds_write_b64 v74, v[70:71] offset:18432
	s_waitcnt lgkmcnt(0)
	s_barrier
	s_cbranch_scc0 .LBB108_55
; %bb.29:
	v_add_u32_e32 v148, 0x2000, v0
	v_mad_i64_i32 v[0:1], s[12:13], v73, s40, 0
	v_lshl_add_u64 v[62:63], v[0:1], 3, s[34:35]
	v_add_u32_e32 v149, 0x4800, v74
	s_add_i32 s39, s22, -8
	v_lshl_add_u64 v[64:65], v[62:63], 0, 32
	s_mov_b32 s34, 0
	v_mov_b32_e32 v150, 0x7fefffff
	v_mov_b32_e32 v67, 0
.LBB108_30:                             ; =>This Loop Header: Depth=1
                                        ;     Child Loop BB108_41 Depth 2
                                        ;     Child Loop BB108_53 Depth 2
	v_add_u32_e32 v0, s38, v144
	v_cmp_le_i32_e32 vcc, s22, v0
	v_min_i32_e32 v0, s37, v0
	v_mad_i64_i32 v[0:1], s[12:13], v0, s36, 0
	s_or_b64 s[12:13], s[2:3], vcc
	v_lshl_add_u64 v[0:1], v[0:1], 3, s[28:29]
	s_or_b64 s[40:41], s[30:31], s[12:13]
	v_cndmask_b32_e64 v69, 0, v150, s[12:13]
	s_xor_b64 s[40:41], s[40:41], -1
	v_cndmask_b32_e64 v68, 0, -1, s[12:13]
	v_lshl_add_u64 v[0:1], v[60:61], 3, v[0:1]
	s_and_saveexec_b64 s[12:13], s[40:41]
	s_cbranch_execz .LBB108_32
; %bb.31:                               ;   in Loop: Header=BB108_30 Depth=1
	flat_load_dwordx2 v[2:3], v[0:1]
	s_waitcnt vmcnt(0) lgkmcnt(0)
	v_mul_f64 v[68:69], s[18:19], v[2:3]
.LBB108_32:                             ;   in Loop: Header=BB108_30 Depth=1
	s_or_b64 exec, exec, s[12:13]
	s_or_b64 s[12:13], s[4:5], vcc
	s_or_b64 s[40:41], s[30:31], s[12:13]
	v_cndmask_b32_e64 v71, 0, v150, s[12:13]
	s_xor_b64 s[40:41], s[40:41], -1
	v_cndmask_b32_e64 v70, 0, -1, s[12:13]
	s_and_saveexec_b64 s[12:13], s[40:41]
	s_cbranch_execz .LBB108_34
; %bb.33:                               ;   in Loop: Header=BB108_30 Depth=1
	flat_load_dwordx2 v[2:3], v[0:1] offset:512
	s_waitcnt vmcnt(0) lgkmcnt(0)
	v_mul_f64 v[70:71], s[18:19], v[2:3]
.LBB108_34:                             ;   in Loop: Header=BB108_30 Depth=1
	s_or_b64 exec, exec, s[12:13]
	s_or_b64 s[12:13], s[6:7], vcc
	s_or_b64 s[40:41], s[30:31], s[12:13]
	v_cndmask_b32_e64 v73, 0, v150, s[12:13]
	s_xor_b64 s[40:41], s[40:41], -1
	v_cndmask_b32_e64 v72, 0, -1, s[12:13]
	s_and_saveexec_b64 s[12:13], s[40:41]
	s_cbranch_execz .LBB108_36
; %bb.35:                               ;   in Loop: Header=BB108_30 Depth=1
	flat_load_dwordx2 v[2:3], v[0:1] offset:1024
	s_waitcnt vmcnt(0) lgkmcnt(0)
	v_mul_f64 v[72:73], s[18:19], v[2:3]
.LBB108_36:                             ;   in Loop: Header=BB108_30 Depth=1
	s_or_b64 exec, exec, s[12:13]
	s_or_b64 vcc, s[8:9], vcc
	s_or_b64 s[12:13], s[30:31], vcc
	v_cndmask_b32_e32 v75, 0, v150, vcc
	s_xor_b64 s[40:41], s[12:13], -1
	v_cndmask_b32_e64 v74, 0, -1, vcc
	s_and_saveexec_b64 s[12:13], s[40:41]
	s_cbranch_execz .LBB108_38
; %bb.37:                               ;   in Loop: Header=BB108_30 Depth=1
	flat_load_dwordx2 v[0:1], v[0:1] offset:1536
	s_waitcnt vmcnt(0) lgkmcnt(0)
	v_mul_f64 v[74:75], s[18:19], v[0:1]
.LBB108_38:                             ;   in Loop: Header=BB108_30 Depth=1
	s_or_b64 exec, exec, s[12:13]
	v_or_b32_e32 v66, s38, v145
	v_cmp_le_i32_e32 vcc, s22, v66
	s_or_b64 vcc, vcc, s[10:11]
	s_or_b64 s[12:13], s[30:31], vcc
	v_cndmask_b32_e32 v77, 0, v150, vcc
	s_xor_b64 s[40:41], s[12:13], -1
	v_cndmask_b32_e64 v76, 0, -1, vcc
	s_and_saveexec_b64 s[12:13], s[40:41]
	s_cbranch_execz .LBB108_40
; %bb.39:                               ;   in Loop: Header=BB108_30 Depth=1
	v_lshl_add_u64 v[0:1], v[66:67], 3, v[62:63]
	flat_load_dwordx2 v[0:1], v[0:1]
	s_waitcnt vmcnt(0) lgkmcnt(0)
	v_mul_f64 v[76:77], s[18:19], v[0:1]
.LBB108_40:                             ;   in Loop: Header=BB108_30 Depth=1
	s_or_b64 exec, exec, s[12:13]
	s_mov_b32 s35, 0
	s_mov_b64 s[12:13], -1
.LBB108_41:                             ;   Parent Loop BB108_30 Depth=1
                                        ; =>  This Inner Loop Header: Depth=2
	v_cndmask_b32_e64 v0, 0, 1, s[12:13]
	s_lshl_b32 s12, s35, 3
	v_cmp_ne_u32_e32 vcc, 1, v0
	v_lshl_add_u32 v0, v132, 5, s12
	v_lshl_add_u32 v20, v133, 5, s12
	ds_read_b128 v[32:35], v0 offset:8192
	ds_read_b128 v[28:31], v0 offset:9216
	;; [unrolled: 1-line block ×16, first 2 shown]
	s_waitcnt lgkmcnt(7)
	v_add_f64 v[156:157], v[34:35], v[154:155]
	v_add_f64 v[158:159], v[32:33], v[152:153]
	v_cvt_f32_f64_e32 v151, v[158:159]
	v_cvt_f32_f64_e32 v156, v[156:157]
	v_min3_f32 v143, v151, v156, v143
	v_add_f64 v[156:157], v[30:31], v[154:155]
	v_add_f64 v[158:159], v[28:29], v[152:153]
	v_cvt_f32_f64_e32 v151, v[158:159]
	v_cvt_f32_f64_e32 v156, v[156:157]
	v_min3_f32 v142, v151, v156, v142
	;; [unrolled: 5-line block ×6, first 2 shown]
	v_add_f64 v[156:157], v[6:7], v[154:155]
	v_add_f64 v[158:159], v[4:5], v[152:153]
	v_cvt_f32_f64_e32 v151, v[158:159]
	v_cvt_f32_f64_e32 v156, v[156:157]
	v_add_f64 v[154:155], v[2:3], v[154:155]
	v_add_f64 v[152:153], v[0:1], v[152:153]
	v_min3_f32 v137, v151, v156, v137
	v_cvt_f32_f64_e32 v151, v[152:153]
	v_cvt_f32_f64_e32 v152, v[154:155]
	v_min3_f32 v136, v151, v152, v136
	s_waitcnt lgkmcnt(6)
	v_add_f64 v[152:153], v[34:35], v[58:59]
	v_add_f64 v[154:155], v[32:33], v[56:57]
	v_cvt_f32_f64_e32 v151, v[154:155]
	v_cvt_f32_f64_e32 v152, v[152:153]
	v_min3_f32 v135, v151, v152, v135
	v_add_f64 v[152:153], v[30:31], v[58:59]
	v_add_f64 v[154:155], v[28:29], v[56:57]
	v_cvt_f32_f64_e32 v151, v[154:155]
	v_cvt_f32_f64_e32 v152, v[152:153]
	v_min3_f32 v134, v151, v152, v134
	v_add_f64 v[152:153], v[26:27], v[58:59]
	v_add_f64 v[154:155], v[24:25], v[56:57]
	v_cvt_f32_f64_e32 v151, v[154:155]
	v_cvt_f32_f64_e32 v152, v[152:153]
	v_min3_f32 v131, v151, v152, v131
	v_add_f64 v[152:153], v[18:19], v[58:59]
	v_add_f64 v[154:155], v[16:17], v[56:57]
	v_cvt_f32_f64_e32 v151, v[154:155]
	v_cvt_f32_f64_e32 v152, v[152:153]
	v_min3_f32 v130, v151, v152, v130
	v_add_f64 v[152:153], v[14:15], v[58:59]
	v_add_f64 v[154:155], v[12:13], v[56:57]
	v_cvt_f32_f64_e32 v151, v[154:155]
	v_cvt_f32_f64_e32 v152, v[152:153]
	v_min3_f32 v129, v151, v152, v129
	v_add_f64 v[152:153], v[10:11], v[58:59]
	v_add_f64 v[154:155], v[8:9], v[56:57]
	v_cvt_f32_f64_e32 v151, v[154:155]
	v_cvt_f32_f64_e32 v152, v[152:153]
	v_min3_f32 v128, v151, v152, v128
	v_add_f64 v[152:153], v[6:7], v[58:59]
	v_add_f64 v[154:155], v[4:5], v[56:57]
	v_add_f64 v[58:59], v[2:3], v[58:59]
	v_add_f64 v[56:57], v[0:1], v[56:57]
	v_cvt_f32_f64_e32 v56, v[56:57]
	v_cvt_f32_f64_e32 v57, v[58:59]
	v_min3_f32 v126, v56, v57, v126
	s_waitcnt lgkmcnt(5)
	v_add_f64 v[56:57], v[34:35], v[54:55]
	v_add_f64 v[58:59], v[32:33], v[52:53]
	v_cvt_f32_f64_e32 v58, v[58:59]
	v_cvt_f32_f64_e32 v56, v[56:57]
	v_min3_f32 v125, v58, v56, v125
	v_add_f64 v[56:57], v[30:31], v[54:55]
	v_add_f64 v[58:59], v[28:29], v[52:53]
	v_cvt_f32_f64_e32 v58, v[58:59]
	v_cvt_f32_f64_e32 v56, v[56:57]
	v_min3_f32 v124, v58, v56, v124
	v_add_f64 v[56:57], v[26:27], v[54:55]
	v_add_f64 v[58:59], v[24:25], v[52:53]
	v_cvt_f32_f64_e32 v58, v[58:59]
	v_cvt_f32_f64_e32 v56, v[56:57]
	v_min3_f32 v123, v58, v56, v123
	v_add_f64 v[56:57], v[18:19], v[54:55]
	v_add_f64 v[58:59], v[16:17], v[52:53]
	v_cvt_f32_f64_e32 v58, v[58:59]
	v_cvt_f32_f64_e32 v56, v[56:57]
	v_min3_f32 v122, v58, v56, v122
	v_add_f64 v[56:57], v[14:15], v[54:55]
	v_add_f64 v[58:59], v[12:13], v[52:53]
	v_cvt_f32_f64_e32 v58, v[58:59]
	v_cvt_f32_f64_e32 v56, v[56:57]
	v_min3_f32 v121, v58, v56, v121
	v_add_f64 v[56:57], v[10:11], v[54:55]
	v_add_f64 v[58:59], v[8:9], v[52:53]
	v_cvt_f32_f64_e32 v58, v[58:59]
	v_cvt_f32_f64_e32 v56, v[56:57]
	v_min3_f32 v120, v58, v56, v120
	v_add_f64 v[56:57], v[6:7], v[54:55]
	v_add_f64 v[58:59], v[4:5], v[52:53]
	v_add_f64 v[54:55], v[2:3], v[54:55]
	v_add_f64 v[52:53], v[0:1], v[52:53]
	;; [unrolled: 38-line block ×6, first 2 shown]
	s_waitcnt lgkmcnt(0)
	v_add_f64 v[34:35], v[34:35], v[22:23]
	v_add_f64 v[32:33], v[32:33], v[20:21]
	v_add_f64 v[30:31], v[30:31], v[22:23]
	v_add_f64 v[28:29], v[28:29], v[20:21]
	v_add_f64 v[26:27], v[26:27], v[22:23]
	v_add_f64 v[24:25], v[24:25], v[20:21]
	v_add_f64 v[18:19], v[18:19], v[22:23]
	v_add_f64 v[16:17], v[16:17], v[20:21]
	v_add_f64 v[14:15], v[14:15], v[22:23]
	v_add_f64 v[12:13], v[12:13], v[20:21]
	v_add_f64 v[10:11], v[10:11], v[22:23]
	v_add_f64 v[8:9], v[8:9], v[20:21]
	v_add_f64 v[6:7], v[6:7], v[22:23]
	v_add_f64 v[4:5], v[4:5], v[20:21]
	v_add_f64 v[2:3], v[2:3], v[22:23]
	v_add_f64 v[0:1], v[0:1], v[20:21]
	v_cvt_f32_f64_e32 v151, v[154:155]
	v_cvt_f32_f64_e32 v152, v[152:153]
	;; [unrolled: 1-line block ×30, first 2 shown]
	v_min3_f32 v127, v151, v152, v127
	v_min3_f32 v119, v58, v56, v119
	;; [unrolled: 1-line block ×15, first 2 shown]
	s_mov_b32 s35, 2
	s_mov_b64 s[12:13], 0
	s_cbranch_vccz .LBB108_41
; %bb.42:                               ;   in Loop: Header=BB108_30 Depth=1
	v_add3_u32 v0, v144, s38, 4
	v_cmp_le_i32_e32 vcc, s22, v0
	v_min_i32_e32 v0, s37, v0
	v_mad_i64_i32 v[0:1], s[12:13], v0, s36, 0
	s_or_b64 s[12:13], s[2:3], vcc
	v_lshl_add_u64 v[0:1], v[0:1], 3, s[28:29]
	s_or_b64 s[40:41], s[30:31], s[12:13]
	ds_write2st64_b64 v146, v[68:69], v[70:71] offset1:4
	ds_write2st64_b64 v146, v[72:73], v[74:75] offset0:8 offset1:12
	ds_write_b64 v147, v[76:77]
	v_cndmask_b32_e64 v69, 0, v150, s[12:13]
	s_xor_b64 s[40:41], s[40:41], -1
	v_cndmask_b32_e64 v68, 0, -1, s[12:13]
	v_lshl_add_u64 v[0:1], v[60:61], 3, v[0:1]
	s_waitcnt lgkmcnt(0)
	s_barrier
	s_and_saveexec_b64 s[12:13], s[40:41]
	s_cbranch_execz .LBB108_44
; %bb.43:                               ;   in Loop: Header=BB108_30 Depth=1
	flat_load_dwordx2 v[2:3], v[0:1]
	s_waitcnt vmcnt(0) lgkmcnt(0)
	v_mul_f64 v[68:69], s[18:19], v[2:3]
.LBB108_44:                             ;   in Loop: Header=BB108_30 Depth=1
	s_or_b64 exec, exec, s[12:13]
	s_or_b64 s[12:13], s[4:5], vcc
	s_or_b64 s[40:41], s[30:31], s[12:13]
	v_cndmask_b32_e64 v71, 0, v150, s[12:13]
	s_xor_b64 s[40:41], s[40:41], -1
	v_cndmask_b32_e64 v70, 0, -1, s[12:13]
	s_and_saveexec_b64 s[12:13], s[40:41]
	s_cbranch_execz .LBB108_46
; %bb.45:                               ;   in Loop: Header=BB108_30 Depth=1
	flat_load_dwordx2 v[2:3], v[0:1] offset:512
	s_waitcnt vmcnt(0) lgkmcnt(0)
	v_mul_f64 v[70:71], s[18:19], v[2:3]
.LBB108_46:                             ;   in Loop: Header=BB108_30 Depth=1
	s_or_b64 exec, exec, s[12:13]
	s_or_b64 s[12:13], s[6:7], vcc
	s_or_b64 s[40:41], s[30:31], s[12:13]
	v_cndmask_b32_e64 v73, 0, v150, s[12:13]
	s_xor_b64 s[40:41], s[40:41], -1
	v_cndmask_b32_e64 v72, 0, -1, s[12:13]
	s_and_saveexec_b64 s[12:13], s[40:41]
	s_cbranch_execz .LBB108_48
; %bb.47:                               ;   in Loop: Header=BB108_30 Depth=1
	flat_load_dwordx2 v[2:3], v[0:1] offset:1024
	s_waitcnt vmcnt(0) lgkmcnt(0)
	v_mul_f64 v[72:73], s[18:19], v[2:3]
.LBB108_48:                             ;   in Loop: Header=BB108_30 Depth=1
	s_or_b64 exec, exec, s[12:13]
	s_or_b64 vcc, s[8:9], vcc
	s_or_b64 s[12:13], s[30:31], vcc
	v_cndmask_b32_e32 v75, 0, v150, vcc
	s_xor_b64 s[40:41], s[12:13], -1
	v_cndmask_b32_e64 v74, 0, -1, vcc
	s_and_saveexec_b64 s[12:13], s[40:41]
	s_cbranch_execz .LBB108_50
; %bb.49:                               ;   in Loop: Header=BB108_30 Depth=1
	flat_load_dwordx2 v[0:1], v[0:1] offset:1536
	s_waitcnt vmcnt(0) lgkmcnt(0)
	v_mul_f64 v[74:75], s[18:19], v[0:1]
.LBB108_50:                             ;   in Loop: Header=BB108_30 Depth=1
	s_or_b64 exec, exec, s[12:13]
	v_or_b32_e32 v0, 4, v66
	v_cmp_le_i32_e32 vcc, s22, v0
	s_or_b64 vcc, vcc, s[10:11]
	s_or_b64 s[12:13], s[30:31], vcc
	v_cndmask_b32_e32 v77, 0, v150, vcc
	s_xor_b64 s[40:41], s[12:13], -1
	v_cndmask_b32_e64 v76, 0, -1, vcc
	s_and_saveexec_b64 s[12:13], s[40:41]
	s_cbranch_execz .LBB108_52
; %bb.51:                               ;   in Loop: Header=BB108_30 Depth=1
	v_lshl_add_u64 v[0:1], v[66:67], 3, v[64:65]
	flat_load_dwordx2 v[0:1], v[0:1]
	s_waitcnt vmcnt(0) lgkmcnt(0)
	v_mul_f64 v[76:77], s[18:19], v[0:1]
.LBB108_52:                             ;   in Loop: Header=BB108_30 Depth=1
	s_or_b64 exec, exec, s[12:13]
	s_mov_b32 s35, 0
	s_mov_b64 s[12:13], -1
.LBB108_53:                             ;   Parent Loop BB108_30 Depth=1
                                        ; =>  This Inner Loop Header: Depth=2
	v_cndmask_b32_e64 v0, 0, 1, s[12:13]
	s_lshl_b32 s12, s35, 3
	v_cmp_ne_u32_e32 vcc, 1, v0
	v_lshl_add_u32 v0, v132, 5, s12
	v_lshl_add_u32 v20, v133, 5, s12
	ds_read_b128 v[32:35], v0
	ds_read_b128 v[28:31], v0 offset:1024
	ds_read_b128 v[24:27], v0 offset:2048
	;; [unrolled: 1-line block ×15, first 2 shown]
	s_waitcnt lgkmcnt(7)
	v_add_f64 v[156:157], v[34:35], v[154:155]
	v_add_f64 v[158:159], v[32:33], v[152:153]
	v_cvt_f32_f64_e32 v66, v[158:159]
	v_cvt_f32_f64_e32 v151, v[156:157]
	v_add_f64 v[156:157], v[30:31], v[154:155]
	v_add_f64 v[158:159], v[28:29], v[152:153]
	v_min3_f32 v143, v66, v151, v143
	v_cvt_f32_f64_e32 v66, v[158:159]
	v_cvt_f32_f64_e32 v151, v[156:157]
	v_add_f64 v[156:157], v[26:27], v[154:155]
	v_add_f64 v[158:159], v[24:25], v[152:153]
	v_min3_f32 v142, v66, v151, v142
	;; [unrolled: 5-line block ×7, first 2 shown]
	v_cvt_f32_f64_e32 v66, v[152:153]
	v_cvt_f32_f64_e32 v151, v[154:155]
	s_waitcnt lgkmcnt(6)
	v_add_f64 v[152:153], v[34:35], v[58:59]
	v_add_f64 v[154:155], v[32:33], v[56:57]
	v_min3_f32 v136, v66, v151, v136
	v_cvt_f32_f64_e32 v66, v[154:155]
	v_cvt_f32_f64_e32 v151, v[152:153]
	v_add_f64 v[152:153], v[30:31], v[58:59]
	v_add_f64 v[154:155], v[28:29], v[56:57]
	v_min3_f32 v135, v66, v151, v135
	v_cvt_f32_f64_e32 v66, v[154:155]
	v_cvt_f32_f64_e32 v151, v[152:153]
	;; [unrolled: 5-line block ×6, first 2 shown]
	v_add_f64 v[152:153], v[6:7], v[58:59]
	v_add_f64 v[154:155], v[4:5], v[56:57]
	v_add_f64 v[58:59], v[2:3], v[58:59]
	v_add_f64 v[56:57], v[0:1], v[56:57]
	v_cvt_f32_f64_e32 v56, v[56:57]
	v_cvt_f32_f64_e32 v57, v[58:59]
	v_min3_f32 v126, v56, v57, v126
	s_waitcnt lgkmcnt(5)
	v_add_f64 v[56:57], v[34:35], v[54:55]
	v_add_f64 v[58:59], v[32:33], v[52:53]
	v_cvt_f32_f64_e32 v58, v[58:59]
	v_cvt_f32_f64_e32 v56, v[56:57]
	v_min3_f32 v125, v58, v56, v125
	v_add_f64 v[56:57], v[30:31], v[54:55]
	v_add_f64 v[58:59], v[28:29], v[52:53]
	v_cvt_f32_f64_e32 v58, v[58:59]
	v_cvt_f32_f64_e32 v56, v[56:57]
	v_min3_f32 v124, v58, v56, v124
	v_add_f64 v[56:57], v[26:27], v[54:55]
	v_add_f64 v[58:59], v[24:25], v[52:53]
	v_cvt_f32_f64_e32 v58, v[58:59]
	v_cvt_f32_f64_e32 v56, v[56:57]
	v_min3_f32 v123, v58, v56, v123
	v_add_f64 v[56:57], v[18:19], v[54:55]
	v_add_f64 v[58:59], v[16:17], v[52:53]
	v_cvt_f32_f64_e32 v58, v[58:59]
	v_cvt_f32_f64_e32 v56, v[56:57]
	v_min3_f32 v122, v58, v56, v122
	v_add_f64 v[56:57], v[14:15], v[54:55]
	v_add_f64 v[58:59], v[12:13], v[52:53]
	v_cvt_f32_f64_e32 v58, v[58:59]
	v_cvt_f32_f64_e32 v56, v[56:57]
	v_min3_f32 v121, v58, v56, v121
	v_add_f64 v[56:57], v[10:11], v[54:55]
	v_add_f64 v[58:59], v[8:9], v[52:53]
	v_cvt_f32_f64_e32 v58, v[58:59]
	v_cvt_f32_f64_e32 v56, v[56:57]
	v_min3_f32 v120, v58, v56, v120
	v_add_f64 v[56:57], v[6:7], v[54:55]
	v_add_f64 v[58:59], v[4:5], v[52:53]
	v_add_f64 v[54:55], v[2:3], v[54:55]
	v_add_f64 v[52:53], v[0:1], v[52:53]
	v_cvt_f32_f64_e32 v52, v[52:53]
	v_cvt_f32_f64_e32 v53, v[54:55]
	v_min3_f32 v118, v52, v53, v118
	s_waitcnt lgkmcnt(4)
	v_add_f64 v[52:53], v[34:35], v[50:51]
	v_add_f64 v[54:55], v[32:33], v[48:49]
	v_cvt_f32_f64_e32 v54, v[54:55]
	v_cvt_f32_f64_e32 v52, v[52:53]
	v_min3_f32 v117, v54, v52, v117
	v_add_f64 v[52:53], v[30:31], v[50:51]
	v_add_f64 v[54:55], v[28:29], v[48:49]
	v_cvt_f32_f64_e32 v54, v[54:55]
	v_cvt_f32_f64_e32 v52, v[52:53]
	v_min3_f32 v116, v54, v52, v116
	v_add_f64 v[52:53], v[26:27], v[50:51]
	v_add_f64 v[54:55], v[24:25], v[48:49]
	v_cvt_f32_f64_e32 v54, v[54:55]
	v_cvt_f32_f64_e32 v52, v[52:53]
	v_min3_f32 v115, v54, v52, v115
	v_add_f64 v[52:53], v[18:19], v[50:51]
	v_add_f64 v[54:55], v[16:17], v[48:49]
	v_cvt_f32_f64_e32 v54, v[54:55]
	v_cvt_f32_f64_e32 v52, v[52:53]
	v_min3_f32 v114, v54, v52, v114
	v_add_f64 v[52:53], v[14:15], v[50:51]
	v_add_f64 v[54:55], v[12:13], v[48:49]
	v_cvt_f32_f64_e32 v54, v[54:55]
	v_cvt_f32_f64_e32 v52, v[52:53]
	v_min3_f32 v113, v54, v52, v113
	v_add_f64 v[52:53], v[10:11], v[50:51]
	v_add_f64 v[54:55], v[8:9], v[48:49]
	v_cvt_f32_f64_e32 v54, v[54:55]
	v_cvt_f32_f64_e32 v52, v[52:53]
	v_min3_f32 v112, v54, v52, v112
	v_add_f64 v[52:53], v[6:7], v[50:51]
	v_add_f64 v[54:55], v[4:5], v[48:49]
	v_add_f64 v[50:51], v[2:3], v[50:51]
	v_add_f64 v[48:49], v[0:1], v[48:49]
	v_cvt_f32_f64_e32 v48, v[48:49]
	v_cvt_f32_f64_e32 v49, v[50:51]
	v_min3_f32 v110, v48, v49, v110
	s_waitcnt lgkmcnt(3)
	v_add_f64 v[48:49], v[34:35], v[46:47]
	v_add_f64 v[50:51], v[32:33], v[44:45]
	v_cvt_f32_f64_e32 v50, v[50:51]
	v_cvt_f32_f64_e32 v48, v[48:49]
	v_min3_f32 v109, v50, v48, v109
	v_add_f64 v[48:49], v[30:31], v[46:47]
	v_add_f64 v[50:51], v[28:29], v[44:45]
	v_cvt_f32_f64_e32 v50, v[50:51]
	v_cvt_f32_f64_e32 v48, v[48:49]
	v_min3_f32 v108, v50, v48, v108
	v_add_f64 v[48:49], v[26:27], v[46:47]
	v_add_f64 v[50:51], v[24:25], v[44:45]
	v_cvt_f32_f64_e32 v50, v[50:51]
	v_cvt_f32_f64_e32 v48, v[48:49]
	v_min3_f32 v107, v50, v48, v107
	v_add_f64 v[48:49], v[18:19], v[46:47]
	v_add_f64 v[50:51], v[16:17], v[44:45]
	v_cvt_f32_f64_e32 v50, v[50:51]
	v_cvt_f32_f64_e32 v48, v[48:49]
	v_min3_f32 v106, v50, v48, v106
	v_add_f64 v[48:49], v[14:15], v[46:47]
	v_add_f64 v[50:51], v[12:13], v[44:45]
	v_cvt_f32_f64_e32 v50, v[50:51]
	v_cvt_f32_f64_e32 v48, v[48:49]
	v_min3_f32 v105, v50, v48, v105
	v_add_f64 v[48:49], v[10:11], v[46:47]
	v_add_f64 v[50:51], v[8:9], v[44:45]
	v_cvt_f32_f64_e32 v50, v[50:51]
	v_cvt_f32_f64_e32 v48, v[48:49]
	v_min3_f32 v104, v50, v48, v104
	v_add_f64 v[48:49], v[6:7], v[46:47]
	v_add_f64 v[50:51], v[4:5], v[44:45]
	v_add_f64 v[46:47], v[2:3], v[46:47]
	v_add_f64 v[44:45], v[0:1], v[44:45]
	v_cvt_f32_f64_e32 v44, v[44:45]
	v_cvt_f32_f64_e32 v45, v[46:47]
	v_min3_f32 v102, v44, v45, v102
	s_waitcnt lgkmcnt(2)
	v_add_f64 v[44:45], v[34:35], v[42:43]
	v_add_f64 v[46:47], v[32:33], v[40:41]
	v_cvt_f32_f64_e32 v46, v[46:47]
	v_cvt_f32_f64_e32 v44, v[44:45]
	v_min3_f32 v101, v46, v44, v101
	v_add_f64 v[44:45], v[30:31], v[42:43]
	v_add_f64 v[46:47], v[28:29], v[40:41]
	v_cvt_f32_f64_e32 v46, v[46:47]
	v_cvt_f32_f64_e32 v44, v[44:45]
	v_min3_f32 v100, v46, v44, v100
	v_add_f64 v[44:45], v[26:27], v[42:43]
	v_add_f64 v[46:47], v[24:25], v[40:41]
	v_cvt_f32_f64_e32 v46, v[46:47]
	v_cvt_f32_f64_e32 v44, v[44:45]
	v_min3_f32 v99, v46, v44, v99
	v_add_f64 v[44:45], v[18:19], v[42:43]
	v_add_f64 v[46:47], v[16:17], v[40:41]
	v_cvt_f32_f64_e32 v46, v[46:47]
	v_cvt_f32_f64_e32 v44, v[44:45]
	v_min3_f32 v98, v46, v44, v98
	v_add_f64 v[44:45], v[14:15], v[42:43]
	v_add_f64 v[46:47], v[12:13], v[40:41]
	v_cvt_f32_f64_e32 v46, v[46:47]
	v_cvt_f32_f64_e32 v44, v[44:45]
	v_min3_f32 v97, v46, v44, v97
	v_add_f64 v[44:45], v[10:11], v[42:43]
	v_add_f64 v[46:47], v[8:9], v[40:41]
	v_cvt_f32_f64_e32 v46, v[46:47]
	v_cvt_f32_f64_e32 v44, v[44:45]
	v_min3_f32 v96, v46, v44, v96
	v_add_f64 v[44:45], v[6:7], v[42:43]
	v_add_f64 v[46:47], v[4:5], v[40:41]
	v_add_f64 v[42:43], v[2:3], v[42:43]
	v_add_f64 v[40:41], v[0:1], v[40:41]
	v_cvt_f32_f64_e32 v40, v[40:41]
	v_cvt_f32_f64_e32 v41, v[42:43]
	v_min3_f32 v94, v40, v41, v94
	s_waitcnt lgkmcnt(1)
	v_add_f64 v[40:41], v[34:35], v[38:39]
	v_add_f64 v[42:43], v[32:33], v[36:37]
	v_cvt_f32_f64_e32 v42, v[42:43]
	v_cvt_f32_f64_e32 v40, v[40:41]
	v_min3_f32 v93, v42, v40, v93
	v_add_f64 v[40:41], v[30:31], v[38:39]
	v_add_f64 v[42:43], v[28:29], v[36:37]
	v_cvt_f32_f64_e32 v42, v[42:43]
	v_cvt_f32_f64_e32 v40, v[40:41]
	v_min3_f32 v92, v42, v40, v92
	v_add_f64 v[40:41], v[26:27], v[38:39]
	v_add_f64 v[42:43], v[24:25], v[36:37]
	v_cvt_f32_f64_e32 v42, v[42:43]
	v_cvt_f32_f64_e32 v40, v[40:41]
	v_min3_f32 v91, v42, v40, v91
	v_add_f64 v[40:41], v[18:19], v[38:39]
	v_add_f64 v[42:43], v[16:17], v[36:37]
	v_cvt_f32_f64_e32 v42, v[42:43]
	v_cvt_f32_f64_e32 v40, v[40:41]
	v_min3_f32 v90, v42, v40, v90
	v_add_f64 v[40:41], v[14:15], v[38:39]
	v_add_f64 v[42:43], v[12:13], v[36:37]
	v_cvt_f32_f64_e32 v42, v[42:43]
	v_cvt_f32_f64_e32 v40, v[40:41]
	v_min3_f32 v89, v42, v40, v89
	v_add_f64 v[40:41], v[10:11], v[38:39]
	v_add_f64 v[42:43], v[8:9], v[36:37]
	v_cvt_f32_f64_e32 v42, v[42:43]
	v_cvt_f32_f64_e32 v40, v[40:41]
	v_min3_f32 v88, v42, v40, v88
	v_add_f64 v[40:41], v[6:7], v[38:39]
	v_add_f64 v[42:43], v[4:5], v[36:37]
	;; [unrolled: 1-line block ×4, first 2 shown]
	s_waitcnt lgkmcnt(0)
	v_add_f64 v[34:35], v[34:35], v[22:23]
	v_add_f64 v[32:33], v[32:33], v[20:21]
	v_add_f64 v[30:31], v[30:31], v[22:23]
	v_add_f64 v[28:29], v[28:29], v[20:21]
	v_add_f64 v[26:27], v[26:27], v[22:23]
	v_add_f64 v[24:25], v[24:25], v[20:21]
	v_add_f64 v[18:19], v[18:19], v[22:23]
	v_add_f64 v[16:17], v[16:17], v[20:21]
	v_add_f64 v[14:15], v[14:15], v[22:23]
	v_add_f64 v[12:13], v[12:13], v[20:21]
	v_add_f64 v[10:11], v[10:11], v[22:23]
	v_add_f64 v[8:9], v[8:9], v[20:21]
	v_add_f64 v[6:7], v[6:7], v[22:23]
	v_add_f64 v[4:5], v[4:5], v[20:21]
	v_add_f64 v[2:3], v[2:3], v[22:23]
	v_add_f64 v[0:1], v[0:1], v[20:21]
	v_min3_f32 v128, v66, v151, v128
	v_cvt_f32_f64_e32 v66, v[154:155]
	v_cvt_f32_f64_e32 v151, v[152:153]
	v_cvt_f32_f64_e32 v58, v[58:59]
	v_cvt_f32_f64_e32 v56, v[56:57]
	v_cvt_f32_f64_e32 v54, v[54:55]
	v_cvt_f32_f64_e32 v52, v[52:53]
	v_cvt_f32_f64_e32 v50, v[50:51]
	v_cvt_f32_f64_e32 v48, v[48:49]
	v_cvt_f32_f64_e32 v46, v[46:47]
	v_cvt_f32_f64_e32 v44, v[44:45]
	v_cvt_f32_f64_e32 v42, v[42:43]
	v_cvt_f32_f64_e32 v40, v[40:41]
	v_cvt_f32_f64_e32 v36, v[36:37]
	v_cvt_f32_f64_e32 v37, v[38:39]
	v_cvt_f32_f64_e32 v32, v[32:33]
	v_cvt_f32_f64_e32 v33, v[34:35]
	v_cvt_f32_f64_e32 v28, v[28:29]
	v_cvt_f32_f64_e32 v29, v[30:31]
	v_cvt_f32_f64_e32 v24, v[24:25]
	v_cvt_f32_f64_e32 v25, v[26:27]
	v_cvt_f32_f64_e32 v16, v[16:17]
	v_cvt_f32_f64_e32 v17, v[18:19]
	v_cvt_f32_f64_e32 v12, v[12:13]
	v_cvt_f32_f64_e32 v13, v[14:15]
	v_cvt_f32_f64_e32 v8, v[8:9]
	v_cvt_f32_f64_e32 v9, v[10:11]
	v_cvt_f32_f64_e32 v4, v[4:5]
	v_cvt_f32_f64_e32 v5, v[6:7]
	v_cvt_f32_f64_e32 v0, v[0:1]
	v_cvt_f32_f64_e32 v1, v[2:3]
	v_min3_f32 v127, v66, v151, v127
	v_min3_f32 v119, v58, v56, v119
	v_min3_f32 v111, v54, v52, v111
	v_min3_f32 v103, v50, v48, v103
	v_min3_f32 v95, v46, v44, v95
	v_min3_f32 v87, v42, v40, v87
	v_min3_f32 v86, v36, v37, v86
	v_min3_f32 v85, v32, v33, v85
	v_min3_f32 v84, v28, v29, v84
	v_min3_f32 v83, v24, v25, v83
	v_min3_f32 v82, v16, v17, v82
	v_min3_f32 v81, v12, v13, v81
	v_min3_f32 v80, v8, v9, v80
	v_min3_f32 v79, v4, v5, v79
	v_min3_f32 v78, v0, v1, v78
	s_mov_b32 s35, 2
	s_mov_b64 s[12:13], 0
	s_cbranch_vccz .LBB108_53
; %bb.54:                               ;   in Loop: Header=BB108_30 Depth=1
	s_add_i32 s38, s38, 8
	s_add_i32 s34, s34, 8
	s_cmp_ge_i32 s34, s39
	ds_write2st64_b64 v148, v[68:69], v[70:71] offset1:4
	ds_write2st64_b64 v148, v[72:73], v[74:75] offset0:8 offset1:12
	ds_write_b64 v149, v[76:77]
	s_waitcnt lgkmcnt(0)
	s_barrier
	s_cbranch_scc0 .LBB108_30
.LBB108_55:
	s_mov_b32 s4, 0
	s_mov_b64 s[2:3], -1
.LBB108_56:                             ; =>This Inner Loop Header: Depth=1
	v_cndmask_b32_e64 v0, 0, 1, s[2:3]
	s_lshl_b32 s2, s4, 3
	v_cmp_ne_u32_e32 vcc, 1, v0
	v_lshl_add_u32 v0, v132, 5, s2
	v_lshl_add_u32 v20, v133, 5, s2
	ds_read_b128 v[32:35], v0 offset:8192
	ds_read_b128 v[28:31], v0 offset:9216
	;; [unrolled: 1-line block ×16, first 2 shown]
	s_waitcnt lgkmcnt(7)
	v_add_f64 v[64:65], v[34:35], v[62:63]
	v_add_f64 v[66:67], v[32:33], v[60:61]
	v_cvt_f32_f64_e32 v66, v[66:67]
	v_cvt_f32_f64_e32 v64, v[64:65]
	v_min3_f32 v143, v66, v64, v143
	v_add_f64 v[64:65], v[30:31], v[62:63]
	v_add_f64 v[66:67], v[28:29], v[60:61]
	v_cvt_f32_f64_e32 v66, v[66:67]
	v_cvt_f32_f64_e32 v64, v[64:65]
	v_min3_f32 v142, v66, v64, v142
	v_add_f64 v[64:65], v[26:27], v[62:63]
	v_add_f64 v[66:67], v[24:25], v[60:61]
	v_cvt_f32_f64_e32 v66, v[66:67]
	v_cvt_f32_f64_e32 v64, v[64:65]
	v_min3_f32 v141, v66, v64, v141
	v_add_f64 v[64:65], v[18:19], v[62:63]
	v_add_f64 v[66:67], v[16:17], v[60:61]
	v_cvt_f32_f64_e32 v66, v[66:67]
	v_cvt_f32_f64_e32 v64, v[64:65]
	v_min3_f32 v140, v66, v64, v140
	v_add_f64 v[64:65], v[14:15], v[62:63]
	v_add_f64 v[66:67], v[12:13], v[60:61]
	v_cvt_f32_f64_e32 v66, v[66:67]
	v_cvt_f32_f64_e32 v64, v[64:65]
	v_min3_f32 v139, v66, v64, v139
	v_add_f64 v[64:65], v[10:11], v[62:63]
	v_add_f64 v[66:67], v[8:9], v[60:61]
	v_cvt_f32_f64_e32 v66, v[66:67]
	v_cvt_f32_f64_e32 v64, v[64:65]
	v_min3_f32 v138, v66, v64, v138
	v_add_f64 v[64:65], v[6:7], v[62:63]
	v_add_f64 v[66:67], v[4:5], v[60:61]
	v_add_f64 v[62:63], v[2:3], v[62:63]
	v_add_f64 v[60:61], v[0:1], v[60:61]
	v_cvt_f32_f64_e32 v60, v[60:61]
	v_cvt_f32_f64_e32 v61, v[62:63]
	v_min3_f32 v136, v60, v61, v136
	s_waitcnt lgkmcnt(6)
	v_add_f64 v[60:61], v[34:35], v[58:59]
	v_add_f64 v[62:63], v[32:33], v[56:57]
	v_cvt_f32_f64_e32 v62, v[62:63]
	v_cvt_f32_f64_e32 v60, v[60:61]
	v_min3_f32 v135, v62, v60, v135
	v_add_f64 v[60:61], v[30:31], v[58:59]
	v_add_f64 v[62:63], v[28:29], v[56:57]
	v_cvt_f32_f64_e32 v62, v[62:63]
	v_cvt_f32_f64_e32 v60, v[60:61]
	v_min3_f32 v134, v62, v60, v134
	v_add_f64 v[60:61], v[26:27], v[58:59]
	v_add_f64 v[62:63], v[24:25], v[56:57]
	v_cvt_f32_f64_e32 v62, v[62:63]
	v_cvt_f32_f64_e32 v60, v[60:61]
	v_min3_f32 v131, v62, v60, v131
	v_add_f64 v[60:61], v[18:19], v[58:59]
	v_add_f64 v[62:63], v[16:17], v[56:57]
	v_cvt_f32_f64_e32 v62, v[62:63]
	v_cvt_f32_f64_e32 v60, v[60:61]
	v_min3_f32 v130, v62, v60, v130
	v_add_f64 v[60:61], v[14:15], v[58:59]
	v_add_f64 v[62:63], v[12:13], v[56:57]
	v_cvt_f32_f64_e32 v62, v[62:63]
	v_cvt_f32_f64_e32 v60, v[60:61]
	v_min3_f32 v129, v62, v60, v129
	v_add_f64 v[60:61], v[10:11], v[58:59]
	v_add_f64 v[62:63], v[8:9], v[56:57]
	v_cvt_f32_f64_e32 v62, v[62:63]
	v_cvt_f32_f64_e32 v60, v[60:61]
	v_min3_f32 v128, v62, v60, v128
	v_add_f64 v[60:61], v[6:7], v[58:59]
	v_add_f64 v[62:63], v[4:5], v[56:57]
	v_add_f64 v[58:59], v[2:3], v[58:59]
	v_add_f64 v[56:57], v[0:1], v[56:57]
	v_cvt_f32_f64_e32 v56, v[56:57]
	v_cvt_f32_f64_e32 v57, v[58:59]
	v_min3_f32 v126, v56, v57, v126
	;; [unrolled: 38-line block ×6, first 2 shown]
	s_waitcnt lgkmcnt(1)
	v_add_f64 v[40:41], v[34:35], v[38:39]
	v_add_f64 v[42:43], v[32:33], v[36:37]
	v_cvt_f32_f64_e32 v42, v[42:43]
	v_cvt_f32_f64_e32 v40, v[40:41]
	v_min3_f32 v93, v42, v40, v93
	v_add_f64 v[40:41], v[30:31], v[38:39]
	v_add_f64 v[42:43], v[28:29], v[36:37]
	v_cvt_f32_f64_e32 v42, v[42:43]
	v_cvt_f32_f64_e32 v40, v[40:41]
	v_min3_f32 v92, v42, v40, v92
	;; [unrolled: 5-line block ×6, first 2 shown]
	v_add_f64 v[40:41], v[6:7], v[38:39]
	v_add_f64 v[42:43], v[4:5], v[36:37]
	;; [unrolled: 1-line block ×4, first 2 shown]
	s_waitcnt lgkmcnt(0)
	v_add_f64 v[34:35], v[34:35], v[22:23]
	v_add_f64 v[32:33], v[32:33], v[20:21]
	v_add_f64 v[30:31], v[30:31], v[22:23]
	v_add_f64 v[28:29], v[28:29], v[20:21]
	v_add_f64 v[26:27], v[26:27], v[22:23]
	v_add_f64 v[24:25], v[24:25], v[20:21]
	v_add_f64 v[18:19], v[18:19], v[22:23]
	v_add_f64 v[16:17], v[16:17], v[20:21]
	v_add_f64 v[14:15], v[14:15], v[22:23]
	v_add_f64 v[12:13], v[12:13], v[20:21]
	v_add_f64 v[10:11], v[10:11], v[22:23]
	v_add_f64 v[8:9], v[8:9], v[20:21]
	v_add_f64 v[6:7], v[6:7], v[22:23]
	v_add_f64 v[4:5], v[4:5], v[20:21]
	v_add_f64 v[2:3], v[2:3], v[22:23]
	v_add_f64 v[0:1], v[0:1], v[20:21]
	v_cvt_f32_f64_e32 v66, v[66:67]
	v_cvt_f32_f64_e32 v64, v[64:65]
	;; [unrolled: 1-line block ×32, first 2 shown]
	v_min3_f32 v137, v66, v64, v137
	v_min3_f32 v127, v62, v60, v127
	;; [unrolled: 1-line block ×16, first 2 shown]
	s_mov_b32 s4, 2
	s_mov_b64 s[2:3], 0
	s_cbranch_vccz .LBB108_56
; %bb.57:
	s_load_dwordx2 s[2:3], s[0:1], 0x78
	s_load_dword s31, s[0:1], 0x58
	s_load_dword s30, s[0:1], 0x70
	v_add_u32_e32 v22, s33, v133
	v_add_u32_e32 v0, s23, v132
	s_waitcnt lgkmcnt(0)
	s_lshl_b64 s[0:1], s[2:3], 3
	s_add_u32 s22, s16, s0
	s_addc_u32 s23, s17, s1
	v_mad_i64_i32 v[2:3], s[0:1], v22, s31, 0
	v_lshl_add_u64 v[18:19], v[2:3], 3, s[26:27]
	v_mad_i64_i32 v[2:3], s[0:1], v22, s30, 0
	v_cmp_gt_i32_e64 s[2:3], s20, v0
	v_cmp_gt_i32_e64 s[18:19], s21, v22
	v_lshl_add_u64 v[16:17], v[2:3], 3, s[22:23]
	v_cndmask_b32_e64 v2, 0, 1, s[14:15]
	v_ashrrev_i32_e32 v1, 31, v0
	s_and_b64 s[6:7], s[2:3], s[18:19]
	v_cmp_ne_u32_e64 s[0:1], 1, v2
	s_and_saveexec_b64 s[4:5], s[6:7]
	s_cbranch_execz .LBB108_62
; %bb.58:
	s_and_b64 vcc, exec, s[0:1]
	s_cbranch_vccnz .LBB108_60
; %bb.59:
	v_lshl_add_u64 v[2:3], v[0:1], 3, v[18:19]
	flat_load_dwordx2 v[2:3], v[2:3]
	s_waitcnt vmcnt(0) lgkmcnt(0)
	v_mul_f64 v[2:3], s[24:25], v[2:3]
	s_branch .LBB108_61
.LBB108_60:
	v_mov_b64_e32 v[2:3], 0
.LBB108_61:
	v_cvt_f32_f64_e32 v2, v[2:3]
	v_max_f32_e32 v3, v143, v143
	v_min_f32_e32 v2, v2, v3
	v_cvt_f64_f32_e32 v[2:3], v2
	v_lshl_add_u64 v[4:5], v[0:1], 3, v[16:17]
	global_store_dwordx2 v[4:5], v[2:3], off
.LBB108_62:
	s_or_b64 exec, exec, s[4:5]
	v_add_u32_e32 v2, 32, v0
	v_cmp_gt_i32_e64 s[4:5], s20, v2
	v_ashrrev_i32_e32 v3, 31, v2
	s_and_b64 s[8:9], s[4:5], s[18:19]
	s_and_saveexec_b64 s[6:7], s[8:9]
	s_cbranch_execz .LBB108_67
; %bb.63:
	s_and_b64 vcc, exec, s[0:1]
	s_cbranch_vccnz .LBB108_65
; %bb.64:
	v_lshl_add_u64 v[4:5], v[2:3], 3, v[18:19]
	flat_load_dwordx2 v[4:5], v[4:5]
	s_waitcnt vmcnt(0) lgkmcnt(0)
	v_mul_f64 v[4:5], s[24:25], v[4:5]
	s_branch .LBB108_66
.LBB108_65:
	v_mov_b64_e32 v[4:5], 0
.LBB108_66:
	v_cvt_f32_f64_e32 v4, v[4:5]
	v_max_f32_e32 v5, v142, v142
	v_min_f32_e32 v4, v4, v5
	v_cvt_f64_f32_e32 v[4:5], v4
	v_lshl_add_u64 v[6:7], v[2:3], 3, v[16:17]
	global_store_dwordx2 v[6:7], v[4:5], off
.LBB108_67:
	s_or_b64 exec, exec, s[6:7]
	v_add_u32_e32 v4, 64, v0
	v_cmp_gt_i32_e64 s[6:7], s20, v4
	v_ashrrev_i32_e32 v5, 31, v4
	s_and_b64 s[10:11], s[6:7], s[18:19]
	s_and_saveexec_b64 s[8:9], s[10:11]
	s_cbranch_execz .LBB108_72
; %bb.68:
	s_and_b64 vcc, exec, s[0:1]
	s_cbranch_vccnz .LBB108_70
; %bb.69:
	v_lshl_add_u64 v[6:7], v[4:5], 3, v[18:19]
	flat_load_dwordx2 v[6:7], v[6:7]
	s_waitcnt vmcnt(0) lgkmcnt(0)
	v_mul_f64 v[6:7], s[24:25], v[6:7]
	s_branch .LBB108_71
.LBB108_70:
	v_mov_b64_e32 v[6:7], 0
.LBB108_71:
	v_cvt_f32_f64_e32 v6, v[6:7]
	v_max_f32_e32 v7, v141, v141
	v_min_f32_e32 v6, v6, v7
	v_cvt_f64_f32_e32 v[6:7], v6
	v_lshl_add_u64 v[8:9], v[4:5], 3, v[16:17]
	global_store_dwordx2 v[8:9], v[6:7], off
.LBB108_72:
	s_or_b64 exec, exec, s[8:9]
	v_add_u32_e32 v6, 0x60, v0
	v_cmp_gt_i32_e64 s[8:9], s20, v6
	v_ashrrev_i32_e32 v7, 31, v6
	s_and_b64 s[12:13], s[8:9], s[18:19]
	s_and_saveexec_b64 s[10:11], s[12:13]
	s_cbranch_execz .LBB108_77
; %bb.73:
	s_and_b64 vcc, exec, s[0:1]
	s_cbranch_vccnz .LBB108_75
; %bb.74:
	v_lshl_add_u64 v[8:9], v[6:7], 3, v[18:19]
	flat_load_dwordx2 v[8:9], v[8:9]
	s_waitcnt vmcnt(0) lgkmcnt(0)
	v_mul_f64 v[8:9], s[24:25], v[8:9]
	s_branch .LBB108_76
.LBB108_75:
	v_mov_b64_e32 v[8:9], 0
.LBB108_76:
	v_cvt_f32_f64_e32 v8, v[8:9]
	v_max_f32_e32 v9, v140, v140
	v_min_f32_e32 v8, v8, v9
	v_cvt_f64_f32_e32 v[8:9], v8
	v_lshl_add_u64 v[10:11], v[6:7], 3, v[16:17]
	global_store_dwordx2 v[10:11], v[8:9], off
.LBB108_77:
	s_or_b64 exec, exec, s[10:11]
	v_add_u32_e32 v8, 0x80, v0
	v_cmp_gt_i32_e64 s[10:11], s20, v8
	v_ashrrev_i32_e32 v9, 31, v8
	s_and_b64 s[14:15], s[10:11], s[18:19]
	s_and_saveexec_b64 s[12:13], s[14:15]
	s_cbranch_execz .LBB108_82
; %bb.78:
	s_and_b64 vcc, exec, s[0:1]
	s_cbranch_vccnz .LBB108_80
; %bb.79:
	v_lshl_add_u64 v[10:11], v[8:9], 3, v[18:19]
	flat_load_dwordx2 v[10:11], v[10:11]
	s_waitcnt vmcnt(0) lgkmcnt(0)
	v_mul_f64 v[10:11], s[24:25], v[10:11]
	s_branch .LBB108_81
.LBB108_80:
	v_mov_b64_e32 v[10:11], 0
.LBB108_81:
	v_cvt_f32_f64_e32 v10, v[10:11]
	v_max_f32_e32 v11, v139, v139
	v_min_f32_e32 v10, v10, v11
	v_cvt_f64_f32_e32 v[10:11], v10
	v_lshl_add_u64 v[12:13], v[8:9], 3, v[16:17]
	global_store_dwordx2 v[12:13], v[10:11], off
.LBB108_82:
	s_or_b64 exec, exec, s[12:13]
	v_add_u32_e32 v10, 0xa0, v0
	v_cmp_gt_i32_e64 s[12:13], s20, v10
	v_ashrrev_i32_e32 v11, 31, v10
	s_and_b64 s[16:17], s[12:13], s[18:19]
	s_and_saveexec_b64 s[14:15], s[16:17]
	s_cbranch_execz .LBB108_87
; %bb.83:
	s_and_b64 vcc, exec, s[0:1]
	s_cbranch_vccnz .LBB108_85
; %bb.84:
	v_lshl_add_u64 v[12:13], v[10:11], 3, v[18:19]
	flat_load_dwordx2 v[12:13], v[12:13]
	s_waitcnt vmcnt(0) lgkmcnt(0)
	v_mul_f64 v[12:13], s[24:25], v[12:13]
	s_branch .LBB108_86
.LBB108_85:
	v_mov_b64_e32 v[12:13], 0
.LBB108_86:
	v_cvt_f32_f64_e32 v12, v[12:13]
	v_max_f32_e32 v13, v138, v138
	v_min_f32_e32 v12, v12, v13
	v_cvt_f64_f32_e32 v[12:13], v12
	v_lshl_add_u64 v[14:15], v[10:11], 3, v[16:17]
	global_store_dwordx2 v[14:15], v[12:13], off
.LBB108_87:
	s_or_b64 exec, exec, s[14:15]
	v_add_u32_e32 v12, 0xc0, v0
	v_cmp_gt_i32_e64 s[14:15], s20, v12
	v_ashrrev_i32_e32 v13, 31, v12
	s_and_b64 s[28:29], s[14:15], s[18:19]
	s_and_saveexec_b64 s[16:17], s[28:29]
	s_cbranch_execz .LBB108_92
; %bb.88:
	s_and_b64 vcc, exec, s[0:1]
	s_cbranch_vccnz .LBB108_90
; %bb.89:
	v_lshl_add_u64 v[14:15], v[12:13], 3, v[18:19]
	flat_load_dwordx2 v[14:15], v[14:15]
	s_waitcnt vmcnt(0) lgkmcnt(0)
	v_mul_f64 v[14:15], s[24:25], v[14:15]
	s_branch .LBB108_91
.LBB108_90:
	v_mov_b64_e32 v[14:15], 0
.LBB108_91:
	v_cvt_f32_f64_e32 v14, v[14:15]
	v_max_f32_e32 v15, v137, v137
	v_min_f32_e32 v14, v14, v15
	v_cvt_f64_f32_e32 v[14:15], v14
	v_lshl_add_u64 v[20:21], v[12:13], 3, v[16:17]
	global_store_dwordx2 v[20:21], v[14:15], off
.LBB108_92:
	s_or_b64 exec, exec, s[16:17]
	v_add_u32_e32 v14, 0xe0, v0
	v_cmp_gt_i32_e64 s[16:17], s20, v14
	v_ashrrev_i32_e32 v15, 31, v14
	s_and_b64 s[28:29], s[16:17], s[18:19]
	s_and_saveexec_b64 s[18:19], s[28:29]
	s_cbranch_execz .LBB108_97
; %bb.93:
	s_and_b64 vcc, exec, s[0:1]
	s_cbranch_vccnz .LBB108_95
; %bb.94:
	v_lshl_add_u64 v[18:19], v[14:15], 3, v[18:19]
	flat_load_dwordx2 v[18:19], v[18:19]
	s_waitcnt vmcnt(0) lgkmcnt(0)
	v_mul_f64 v[18:19], s[24:25], v[18:19]
	s_branch .LBB108_96
.LBB108_95:
	v_mov_b64_e32 v[18:19], 0
.LBB108_96:
	v_cvt_f32_f64_e32 v18, v[18:19]
	v_max_f32_e32 v19, v136, v136
	v_min_f32_e32 v18, v18, v19
	v_cvt_f64_f32_e32 v[18:19], v18
	v_lshl_add_u64 v[16:17], v[14:15], 3, v[16:17]
	global_store_dwordx2 v[16:17], v[18:19], off
.LBB108_97:
	s_or_b64 exec, exec, s[18:19]
	v_add_u32_e32 v20, 8, v22
	v_mad_i64_i32 v[16:17], s[28:29], v20, s31, 0
	v_cmp_gt_i32_e64 s[18:19], s21, v20
	v_lshl_add_u64 v[18:19], v[16:17], 3, s[26:27]
	v_mad_i64_i32 v[16:17], s[28:29], v20, s30, 0
	v_lshl_add_u64 v[16:17], v[16:17], 3, s[22:23]
	s_and_b64 s[34:35], s[2:3], s[18:19]
	s_and_saveexec_b64 s[28:29], s[34:35]
	s_cbranch_execnz .LBB108_105
; %bb.98:
	s_or_b64 exec, exec, s[28:29]
	s_and_b64 s[34:35], s[4:5], s[18:19]
	s_and_saveexec_b64 s[28:29], s[34:35]
	s_cbranch_execnz .LBB108_109
.LBB108_99:
	s_or_b64 exec, exec, s[28:29]
	s_and_b64 s[34:35], s[6:7], s[18:19]
	s_and_saveexec_b64 s[28:29], s[34:35]
	s_cbranch_execnz .LBB108_113
.LBB108_100:
	s_or_b64 exec, exec, s[28:29]
	s_and_b64 s[34:35], s[8:9], s[18:19]
	s_and_saveexec_b64 s[28:29], s[34:35]
	s_cbranch_execnz .LBB108_117
.LBB108_101:
	s_or_b64 exec, exec, s[28:29]
	s_and_b64 s[34:35], s[10:11], s[18:19]
	s_and_saveexec_b64 s[28:29], s[34:35]
	s_cbranch_execnz .LBB108_121
.LBB108_102:
	s_or_b64 exec, exec, s[28:29]
	s_and_b64 s[34:35], s[12:13], s[18:19]
	s_and_saveexec_b64 s[28:29], s[34:35]
	s_cbranch_execnz .LBB108_125
.LBB108_103:
	s_or_b64 exec, exec, s[28:29]
	s_and_b64 s[34:35], s[14:15], s[18:19]
	s_and_saveexec_b64 s[28:29], s[34:35]
	s_cbranch_execnz .LBB108_129
.LBB108_104:
	s_or_b64 exec, exec, s[28:29]
	s_and_b64 s[28:29], s[16:17], s[18:19]
	s_and_saveexec_b64 s[18:19], s[28:29]
	s_cbranch_execnz .LBB108_133
	s_branch .LBB108_137
.LBB108_105:
	s_and_b64 vcc, exec, s[0:1]
	s_cbranch_vccnz .LBB108_107
; %bb.106:
	v_lshl_add_u64 v[20:21], v[0:1], 3, v[18:19]
	flat_load_dwordx2 v[20:21], v[20:21]
	s_waitcnt vmcnt(0) lgkmcnt(0)
	v_mul_f64 v[20:21], s[24:25], v[20:21]
	s_branch .LBB108_108
.LBB108_107:
	v_mov_b64_e32 v[20:21], 0
.LBB108_108:
	v_cvt_f32_f64_e32 v20, v[20:21]
	v_max_f32_e32 v21, v135, v135
	v_min_f32_e32 v20, v20, v21
	v_cvt_f64_f32_e32 v[20:21], v20
	v_lshl_add_u64 v[24:25], v[0:1], 3, v[16:17]
	global_store_dwordx2 v[24:25], v[20:21], off
	s_or_b64 exec, exec, s[28:29]
	s_and_b64 s[34:35], s[4:5], s[18:19]
	s_and_saveexec_b64 s[28:29], s[34:35]
	s_cbranch_execz .LBB108_99
.LBB108_109:
	s_and_b64 vcc, exec, s[0:1]
	s_cbranch_vccnz .LBB108_111
; %bb.110:
	v_lshl_add_u64 v[20:21], v[2:3], 3, v[18:19]
	flat_load_dwordx2 v[20:21], v[20:21]
	s_waitcnt vmcnt(0) lgkmcnt(0)
	v_mul_f64 v[20:21], s[24:25], v[20:21]
	s_branch .LBB108_112
.LBB108_111:
	v_mov_b64_e32 v[20:21], 0
.LBB108_112:
	v_cvt_f32_f64_e32 v20, v[20:21]
	v_max_f32_e32 v21, v134, v134
	v_min_f32_e32 v20, v20, v21
	v_cvt_f64_f32_e32 v[20:21], v20
	v_lshl_add_u64 v[24:25], v[2:3], 3, v[16:17]
	global_store_dwordx2 v[24:25], v[20:21], off
	s_or_b64 exec, exec, s[28:29]
	s_and_b64 s[34:35], s[6:7], s[18:19]
	s_and_saveexec_b64 s[28:29], s[34:35]
	s_cbranch_execz .LBB108_100
.LBB108_113:
	s_and_b64 vcc, exec, s[0:1]
	s_cbranch_vccnz .LBB108_115
; %bb.114:
	v_lshl_add_u64 v[20:21], v[4:5], 3, v[18:19]
	flat_load_dwordx2 v[20:21], v[20:21]
	s_waitcnt vmcnt(0) lgkmcnt(0)
	v_mul_f64 v[20:21], s[24:25], v[20:21]
	s_branch .LBB108_116
.LBB108_115:
	v_mov_b64_e32 v[20:21], 0
.LBB108_116:
	v_cvt_f32_f64_e32 v20, v[20:21]
	v_max_f32_e32 v21, v131, v131
	v_min_f32_e32 v20, v20, v21
	v_cvt_f64_f32_e32 v[20:21], v20
	v_lshl_add_u64 v[24:25], v[4:5], 3, v[16:17]
	global_store_dwordx2 v[24:25], v[20:21], off
	s_or_b64 exec, exec, s[28:29]
	s_and_b64 s[34:35], s[8:9], s[18:19]
	s_and_saveexec_b64 s[28:29], s[34:35]
	s_cbranch_execz .LBB108_101
.LBB108_117:
	s_and_b64 vcc, exec, s[0:1]
	s_cbranch_vccnz .LBB108_119
; %bb.118:
	v_lshl_add_u64 v[20:21], v[6:7], 3, v[18:19]
	flat_load_dwordx2 v[20:21], v[20:21]
	s_waitcnt vmcnt(0) lgkmcnt(0)
	v_mul_f64 v[20:21], s[24:25], v[20:21]
	s_branch .LBB108_120
.LBB108_119:
	v_mov_b64_e32 v[20:21], 0
.LBB108_120:
	v_cvt_f32_f64_e32 v20, v[20:21]
	v_max_f32_e32 v21, v130, v130
	v_min_f32_e32 v20, v20, v21
	v_cvt_f64_f32_e32 v[20:21], v20
	v_lshl_add_u64 v[24:25], v[6:7], 3, v[16:17]
	global_store_dwordx2 v[24:25], v[20:21], off
	s_or_b64 exec, exec, s[28:29]
	s_and_b64 s[34:35], s[10:11], s[18:19]
	s_and_saveexec_b64 s[28:29], s[34:35]
	s_cbranch_execz .LBB108_102
.LBB108_121:
	s_and_b64 vcc, exec, s[0:1]
	s_cbranch_vccnz .LBB108_123
; %bb.122:
	v_lshl_add_u64 v[20:21], v[8:9], 3, v[18:19]
	flat_load_dwordx2 v[20:21], v[20:21]
	s_waitcnt vmcnt(0) lgkmcnt(0)
	v_mul_f64 v[20:21], s[24:25], v[20:21]
	s_branch .LBB108_124
.LBB108_123:
	v_mov_b64_e32 v[20:21], 0
.LBB108_124:
	v_cvt_f32_f64_e32 v20, v[20:21]
	v_max_f32_e32 v21, v129, v129
	v_min_f32_e32 v20, v20, v21
	v_cvt_f64_f32_e32 v[20:21], v20
	v_lshl_add_u64 v[24:25], v[8:9], 3, v[16:17]
	global_store_dwordx2 v[24:25], v[20:21], off
	s_or_b64 exec, exec, s[28:29]
	s_and_b64 s[34:35], s[12:13], s[18:19]
	s_and_saveexec_b64 s[28:29], s[34:35]
	s_cbranch_execz .LBB108_103
.LBB108_125:
	s_and_b64 vcc, exec, s[0:1]
	s_cbranch_vccnz .LBB108_127
; %bb.126:
	v_lshl_add_u64 v[20:21], v[10:11], 3, v[18:19]
	flat_load_dwordx2 v[20:21], v[20:21]
	s_waitcnt vmcnt(0) lgkmcnt(0)
	v_mul_f64 v[20:21], s[24:25], v[20:21]
	s_branch .LBB108_128
.LBB108_127:
	v_mov_b64_e32 v[20:21], 0
.LBB108_128:
	v_cvt_f32_f64_e32 v20, v[20:21]
	v_max_f32_e32 v21, v128, v128
	v_min_f32_e32 v20, v20, v21
	v_cvt_f64_f32_e32 v[20:21], v20
	v_lshl_add_u64 v[24:25], v[10:11], 3, v[16:17]
	global_store_dwordx2 v[24:25], v[20:21], off
	s_or_b64 exec, exec, s[28:29]
	s_and_b64 s[34:35], s[14:15], s[18:19]
	s_and_saveexec_b64 s[28:29], s[34:35]
	s_cbranch_execz .LBB108_104
.LBB108_129:
	s_and_b64 vcc, exec, s[0:1]
	s_cbranch_vccnz .LBB108_131
; %bb.130:
	v_lshl_add_u64 v[20:21], v[12:13], 3, v[18:19]
	flat_load_dwordx2 v[20:21], v[20:21]
	s_waitcnt vmcnt(0) lgkmcnt(0)
	v_mul_f64 v[20:21], s[24:25], v[20:21]
	s_branch .LBB108_132
.LBB108_131:
	v_mov_b64_e32 v[20:21], 0
.LBB108_132:
	v_cvt_f32_f64_e32 v20, v[20:21]
	v_max_f32_e32 v21, v127, v127
	v_min_f32_e32 v20, v20, v21
	v_cvt_f64_f32_e32 v[20:21], v20
	v_lshl_add_u64 v[24:25], v[12:13], 3, v[16:17]
	global_store_dwordx2 v[24:25], v[20:21], off
	s_or_b64 exec, exec, s[28:29]
	s_and_b64 s[28:29], s[16:17], s[18:19]
	s_and_saveexec_b64 s[18:19], s[28:29]
	s_cbranch_execz .LBB108_137
.LBB108_133:
	s_and_b64 vcc, exec, s[0:1]
	s_cbranch_vccnz .LBB108_135
; %bb.134:
	v_lshl_add_u64 v[18:19], v[14:15], 3, v[18:19]
	flat_load_dwordx2 v[18:19], v[18:19]
	s_waitcnt vmcnt(0) lgkmcnt(0)
	v_mul_f64 v[18:19], s[24:25], v[18:19]
	s_branch .LBB108_136
.LBB108_135:
	v_mov_b64_e32 v[18:19], 0
.LBB108_136:
	v_cvt_f32_f64_e32 v18, v[18:19]
	v_max_f32_e32 v19, v126, v126
	v_min_f32_e32 v18, v18, v19
	v_cvt_f64_f32_e32 v[18:19], v18
	v_lshl_add_u64 v[16:17], v[14:15], 3, v[16:17]
	global_store_dwordx2 v[16:17], v[18:19], off
.LBB108_137:
	s_or_b64 exec, exec, s[18:19]
	v_add_u32_e32 v20, 16, v22
	v_mad_i64_i32 v[16:17], s[28:29], v20, s31, 0
	v_cmp_gt_i32_e64 s[18:19], s21, v20
	v_lshl_add_u64 v[18:19], v[16:17], 3, s[26:27]
	v_mad_i64_i32 v[16:17], s[28:29], v20, s30, 0
	v_lshl_add_u64 v[16:17], v[16:17], 3, s[22:23]
	s_and_b64 s[34:35], s[2:3], s[18:19]
	s_and_saveexec_b64 s[28:29], s[34:35]
	s_cbranch_execnz .LBB108_145
; %bb.138:
	s_or_b64 exec, exec, s[28:29]
	s_and_b64 s[34:35], s[4:5], s[18:19]
	s_and_saveexec_b64 s[28:29], s[34:35]
	s_cbranch_execnz .LBB108_149
.LBB108_139:
	s_or_b64 exec, exec, s[28:29]
	s_and_b64 s[34:35], s[6:7], s[18:19]
	s_and_saveexec_b64 s[28:29], s[34:35]
	s_cbranch_execnz .LBB108_153
.LBB108_140:
	s_or_b64 exec, exec, s[28:29]
	s_and_b64 s[34:35], s[8:9], s[18:19]
	s_and_saveexec_b64 s[28:29], s[34:35]
	s_cbranch_execnz .LBB108_157
.LBB108_141:
	s_or_b64 exec, exec, s[28:29]
	s_and_b64 s[34:35], s[10:11], s[18:19]
	s_and_saveexec_b64 s[28:29], s[34:35]
	s_cbranch_execnz .LBB108_161
.LBB108_142:
	s_or_b64 exec, exec, s[28:29]
	s_and_b64 s[34:35], s[12:13], s[18:19]
	s_and_saveexec_b64 s[28:29], s[34:35]
	s_cbranch_execnz .LBB108_165
.LBB108_143:
	s_or_b64 exec, exec, s[28:29]
	s_and_b64 s[34:35], s[14:15], s[18:19]
	s_and_saveexec_b64 s[28:29], s[34:35]
	s_cbranch_execnz .LBB108_169
.LBB108_144:
	s_or_b64 exec, exec, s[28:29]
	s_and_b64 s[28:29], s[16:17], s[18:19]
	s_and_saveexec_b64 s[18:19], s[28:29]
	s_cbranch_execnz .LBB108_173
	s_branch .LBB108_177
.LBB108_145:
	s_and_b64 vcc, exec, s[0:1]
	s_cbranch_vccnz .LBB108_147
; %bb.146:
	v_lshl_add_u64 v[20:21], v[0:1], 3, v[18:19]
	flat_load_dwordx2 v[20:21], v[20:21]
	s_waitcnt vmcnt(0) lgkmcnt(0)
	v_mul_f64 v[20:21], s[24:25], v[20:21]
	s_branch .LBB108_148
.LBB108_147:
	v_mov_b64_e32 v[20:21], 0
.LBB108_148:
	v_cvt_f32_f64_e32 v20, v[20:21]
	v_max_f32_e32 v21, v125, v125
	v_min_f32_e32 v20, v20, v21
	v_cvt_f64_f32_e32 v[20:21], v20
	v_lshl_add_u64 v[24:25], v[0:1], 3, v[16:17]
	global_store_dwordx2 v[24:25], v[20:21], off
	s_or_b64 exec, exec, s[28:29]
	s_and_b64 s[34:35], s[4:5], s[18:19]
	s_and_saveexec_b64 s[28:29], s[34:35]
	s_cbranch_execz .LBB108_139
.LBB108_149:
	s_and_b64 vcc, exec, s[0:1]
	s_cbranch_vccnz .LBB108_151
; %bb.150:
	v_lshl_add_u64 v[20:21], v[2:3], 3, v[18:19]
	flat_load_dwordx2 v[20:21], v[20:21]
	s_waitcnt vmcnt(0) lgkmcnt(0)
	v_mul_f64 v[20:21], s[24:25], v[20:21]
	s_branch .LBB108_152
.LBB108_151:
	v_mov_b64_e32 v[20:21], 0
.LBB108_152:
	v_cvt_f32_f64_e32 v20, v[20:21]
	v_max_f32_e32 v21, v124, v124
	v_min_f32_e32 v20, v20, v21
	v_cvt_f64_f32_e32 v[20:21], v20
	v_lshl_add_u64 v[24:25], v[2:3], 3, v[16:17]
	global_store_dwordx2 v[24:25], v[20:21], off
	s_or_b64 exec, exec, s[28:29]
	s_and_b64 s[34:35], s[6:7], s[18:19]
	s_and_saveexec_b64 s[28:29], s[34:35]
	s_cbranch_execz .LBB108_140
.LBB108_153:
	s_and_b64 vcc, exec, s[0:1]
	s_cbranch_vccnz .LBB108_155
; %bb.154:
	v_lshl_add_u64 v[20:21], v[4:5], 3, v[18:19]
	flat_load_dwordx2 v[20:21], v[20:21]
	s_waitcnt vmcnt(0) lgkmcnt(0)
	v_mul_f64 v[20:21], s[24:25], v[20:21]
	s_branch .LBB108_156
.LBB108_155:
	v_mov_b64_e32 v[20:21], 0
.LBB108_156:
	v_cvt_f32_f64_e32 v20, v[20:21]
	v_max_f32_e32 v21, v123, v123
	v_min_f32_e32 v20, v20, v21
	v_cvt_f64_f32_e32 v[20:21], v20
	v_lshl_add_u64 v[24:25], v[4:5], 3, v[16:17]
	global_store_dwordx2 v[24:25], v[20:21], off
	s_or_b64 exec, exec, s[28:29]
	s_and_b64 s[34:35], s[8:9], s[18:19]
	s_and_saveexec_b64 s[28:29], s[34:35]
	s_cbranch_execz .LBB108_141
.LBB108_157:
	s_and_b64 vcc, exec, s[0:1]
	s_cbranch_vccnz .LBB108_159
; %bb.158:
	v_lshl_add_u64 v[20:21], v[6:7], 3, v[18:19]
	flat_load_dwordx2 v[20:21], v[20:21]
	s_waitcnt vmcnt(0) lgkmcnt(0)
	v_mul_f64 v[20:21], s[24:25], v[20:21]
	s_branch .LBB108_160
.LBB108_159:
	v_mov_b64_e32 v[20:21], 0
.LBB108_160:
	v_cvt_f32_f64_e32 v20, v[20:21]
	v_max_f32_e32 v21, v122, v122
	v_min_f32_e32 v20, v20, v21
	v_cvt_f64_f32_e32 v[20:21], v20
	v_lshl_add_u64 v[24:25], v[6:7], 3, v[16:17]
	global_store_dwordx2 v[24:25], v[20:21], off
	s_or_b64 exec, exec, s[28:29]
	s_and_b64 s[34:35], s[10:11], s[18:19]
	s_and_saveexec_b64 s[28:29], s[34:35]
	s_cbranch_execz .LBB108_142
.LBB108_161:
	s_and_b64 vcc, exec, s[0:1]
	s_cbranch_vccnz .LBB108_163
; %bb.162:
	v_lshl_add_u64 v[20:21], v[8:9], 3, v[18:19]
	flat_load_dwordx2 v[20:21], v[20:21]
	s_waitcnt vmcnt(0) lgkmcnt(0)
	v_mul_f64 v[20:21], s[24:25], v[20:21]
	s_branch .LBB108_164
.LBB108_163:
	v_mov_b64_e32 v[20:21], 0
.LBB108_164:
	v_cvt_f32_f64_e32 v20, v[20:21]
	v_max_f32_e32 v21, v121, v121
	v_min_f32_e32 v20, v20, v21
	v_cvt_f64_f32_e32 v[20:21], v20
	v_lshl_add_u64 v[24:25], v[8:9], 3, v[16:17]
	global_store_dwordx2 v[24:25], v[20:21], off
	s_or_b64 exec, exec, s[28:29]
	s_and_b64 s[34:35], s[12:13], s[18:19]
	s_and_saveexec_b64 s[28:29], s[34:35]
	s_cbranch_execz .LBB108_143
.LBB108_165:
	s_and_b64 vcc, exec, s[0:1]
	s_cbranch_vccnz .LBB108_167
; %bb.166:
	v_lshl_add_u64 v[20:21], v[10:11], 3, v[18:19]
	flat_load_dwordx2 v[20:21], v[20:21]
	s_waitcnt vmcnt(0) lgkmcnt(0)
	v_mul_f64 v[20:21], s[24:25], v[20:21]
	s_branch .LBB108_168
.LBB108_167:
	v_mov_b64_e32 v[20:21], 0
.LBB108_168:
	v_cvt_f32_f64_e32 v20, v[20:21]
	v_max_f32_e32 v21, v120, v120
	v_min_f32_e32 v20, v20, v21
	v_cvt_f64_f32_e32 v[20:21], v20
	v_lshl_add_u64 v[24:25], v[10:11], 3, v[16:17]
	global_store_dwordx2 v[24:25], v[20:21], off
	s_or_b64 exec, exec, s[28:29]
	s_and_b64 s[34:35], s[14:15], s[18:19]
	s_and_saveexec_b64 s[28:29], s[34:35]
	s_cbranch_execz .LBB108_144
.LBB108_169:
	s_and_b64 vcc, exec, s[0:1]
	s_cbranch_vccnz .LBB108_171
; %bb.170:
	v_lshl_add_u64 v[20:21], v[12:13], 3, v[18:19]
	flat_load_dwordx2 v[20:21], v[20:21]
	s_waitcnt vmcnt(0) lgkmcnt(0)
	v_mul_f64 v[20:21], s[24:25], v[20:21]
	s_branch .LBB108_172
.LBB108_171:
	v_mov_b64_e32 v[20:21], 0
.LBB108_172:
	v_cvt_f32_f64_e32 v20, v[20:21]
	v_max_f32_e32 v21, v119, v119
	v_min_f32_e32 v20, v20, v21
	v_cvt_f64_f32_e32 v[20:21], v20
	v_lshl_add_u64 v[24:25], v[12:13], 3, v[16:17]
	global_store_dwordx2 v[24:25], v[20:21], off
	s_or_b64 exec, exec, s[28:29]
	s_and_b64 s[28:29], s[16:17], s[18:19]
	s_and_saveexec_b64 s[18:19], s[28:29]
	s_cbranch_execz .LBB108_177
.LBB108_173:
	s_and_b64 vcc, exec, s[0:1]
	s_cbranch_vccnz .LBB108_175
; %bb.174:
	v_lshl_add_u64 v[18:19], v[14:15], 3, v[18:19]
	flat_load_dwordx2 v[18:19], v[18:19]
	s_waitcnt vmcnt(0) lgkmcnt(0)
	v_mul_f64 v[18:19], s[24:25], v[18:19]
	s_branch .LBB108_176
.LBB108_175:
	v_mov_b64_e32 v[18:19], 0
.LBB108_176:
	v_cvt_f32_f64_e32 v18, v[18:19]
	v_max_f32_e32 v19, v118, v118
	v_min_f32_e32 v18, v18, v19
	v_cvt_f64_f32_e32 v[18:19], v18
	v_lshl_add_u64 v[16:17], v[14:15], 3, v[16:17]
	global_store_dwordx2 v[16:17], v[18:19], off
.LBB108_177:
	s_or_b64 exec, exec, s[18:19]
	v_add_u32_e32 v20, 24, v22
	v_mad_i64_i32 v[16:17], s[28:29], v20, s31, 0
	v_cmp_gt_i32_e64 s[18:19], s21, v20
	v_lshl_add_u64 v[18:19], v[16:17], 3, s[26:27]
	v_mad_i64_i32 v[16:17], s[28:29], v20, s30, 0
	v_lshl_add_u64 v[16:17], v[16:17], 3, s[22:23]
	s_and_b64 s[34:35], s[2:3], s[18:19]
	s_and_saveexec_b64 s[28:29], s[34:35]
	s_cbranch_execnz .LBB108_185
; %bb.178:
	s_or_b64 exec, exec, s[28:29]
	s_and_b64 s[34:35], s[4:5], s[18:19]
	s_and_saveexec_b64 s[28:29], s[34:35]
	s_cbranch_execnz .LBB108_189
.LBB108_179:
	s_or_b64 exec, exec, s[28:29]
	s_and_b64 s[34:35], s[6:7], s[18:19]
	s_and_saveexec_b64 s[28:29], s[34:35]
	s_cbranch_execnz .LBB108_193
.LBB108_180:
	s_or_b64 exec, exec, s[28:29]
	s_and_b64 s[34:35], s[8:9], s[18:19]
	s_and_saveexec_b64 s[28:29], s[34:35]
	s_cbranch_execnz .LBB108_197
.LBB108_181:
	s_or_b64 exec, exec, s[28:29]
	s_and_b64 s[34:35], s[10:11], s[18:19]
	s_and_saveexec_b64 s[28:29], s[34:35]
	s_cbranch_execnz .LBB108_201
.LBB108_182:
	s_or_b64 exec, exec, s[28:29]
	s_and_b64 s[34:35], s[12:13], s[18:19]
	s_and_saveexec_b64 s[28:29], s[34:35]
	s_cbranch_execnz .LBB108_205
.LBB108_183:
	s_or_b64 exec, exec, s[28:29]
	s_and_b64 s[34:35], s[14:15], s[18:19]
	s_and_saveexec_b64 s[28:29], s[34:35]
	s_cbranch_execnz .LBB108_209
.LBB108_184:
	s_or_b64 exec, exec, s[28:29]
	s_and_b64 s[28:29], s[16:17], s[18:19]
	s_and_saveexec_b64 s[18:19], s[28:29]
	s_cbranch_execnz .LBB108_213
	s_branch .LBB108_217
.LBB108_185:
	s_and_b64 vcc, exec, s[0:1]
	s_cbranch_vccnz .LBB108_187
; %bb.186:
	v_lshl_add_u64 v[20:21], v[0:1], 3, v[18:19]
	flat_load_dwordx2 v[20:21], v[20:21]
	s_waitcnt vmcnt(0) lgkmcnt(0)
	v_mul_f64 v[20:21], s[24:25], v[20:21]
	s_branch .LBB108_188
.LBB108_187:
	v_mov_b64_e32 v[20:21], 0
.LBB108_188:
	v_cvt_f32_f64_e32 v20, v[20:21]
	v_max_f32_e32 v21, v117, v117
	v_min_f32_e32 v20, v20, v21
	v_cvt_f64_f32_e32 v[20:21], v20
	v_lshl_add_u64 v[24:25], v[0:1], 3, v[16:17]
	global_store_dwordx2 v[24:25], v[20:21], off
	s_or_b64 exec, exec, s[28:29]
	s_and_b64 s[34:35], s[4:5], s[18:19]
	s_and_saveexec_b64 s[28:29], s[34:35]
	s_cbranch_execz .LBB108_179
.LBB108_189:
	s_and_b64 vcc, exec, s[0:1]
	s_cbranch_vccnz .LBB108_191
; %bb.190:
	v_lshl_add_u64 v[20:21], v[2:3], 3, v[18:19]
	flat_load_dwordx2 v[20:21], v[20:21]
	s_waitcnt vmcnt(0) lgkmcnt(0)
	v_mul_f64 v[20:21], s[24:25], v[20:21]
	s_branch .LBB108_192
.LBB108_191:
	v_mov_b64_e32 v[20:21], 0
.LBB108_192:
	v_cvt_f32_f64_e32 v20, v[20:21]
	v_max_f32_e32 v21, v116, v116
	v_min_f32_e32 v20, v20, v21
	v_cvt_f64_f32_e32 v[20:21], v20
	v_lshl_add_u64 v[24:25], v[2:3], 3, v[16:17]
	global_store_dwordx2 v[24:25], v[20:21], off
	s_or_b64 exec, exec, s[28:29]
	s_and_b64 s[34:35], s[6:7], s[18:19]
	s_and_saveexec_b64 s[28:29], s[34:35]
	s_cbranch_execz .LBB108_180
.LBB108_193:
	s_and_b64 vcc, exec, s[0:1]
	s_cbranch_vccnz .LBB108_195
; %bb.194:
	v_lshl_add_u64 v[20:21], v[4:5], 3, v[18:19]
	flat_load_dwordx2 v[20:21], v[20:21]
	s_waitcnt vmcnt(0) lgkmcnt(0)
	v_mul_f64 v[20:21], s[24:25], v[20:21]
	s_branch .LBB108_196
.LBB108_195:
	v_mov_b64_e32 v[20:21], 0
.LBB108_196:
	v_cvt_f32_f64_e32 v20, v[20:21]
	v_max_f32_e32 v21, v115, v115
	v_min_f32_e32 v20, v20, v21
	v_cvt_f64_f32_e32 v[20:21], v20
	v_lshl_add_u64 v[24:25], v[4:5], 3, v[16:17]
	global_store_dwordx2 v[24:25], v[20:21], off
	s_or_b64 exec, exec, s[28:29]
	s_and_b64 s[34:35], s[8:9], s[18:19]
	s_and_saveexec_b64 s[28:29], s[34:35]
	s_cbranch_execz .LBB108_181
.LBB108_197:
	s_and_b64 vcc, exec, s[0:1]
	s_cbranch_vccnz .LBB108_199
; %bb.198:
	v_lshl_add_u64 v[20:21], v[6:7], 3, v[18:19]
	flat_load_dwordx2 v[20:21], v[20:21]
	s_waitcnt vmcnt(0) lgkmcnt(0)
	v_mul_f64 v[20:21], s[24:25], v[20:21]
	s_branch .LBB108_200
.LBB108_199:
	v_mov_b64_e32 v[20:21], 0
.LBB108_200:
	v_cvt_f32_f64_e32 v20, v[20:21]
	v_max_f32_e32 v21, v114, v114
	v_min_f32_e32 v20, v20, v21
	v_cvt_f64_f32_e32 v[20:21], v20
	v_lshl_add_u64 v[24:25], v[6:7], 3, v[16:17]
	global_store_dwordx2 v[24:25], v[20:21], off
	s_or_b64 exec, exec, s[28:29]
	s_and_b64 s[34:35], s[10:11], s[18:19]
	s_and_saveexec_b64 s[28:29], s[34:35]
	s_cbranch_execz .LBB108_182
.LBB108_201:
	s_and_b64 vcc, exec, s[0:1]
	s_cbranch_vccnz .LBB108_203
; %bb.202:
	v_lshl_add_u64 v[20:21], v[8:9], 3, v[18:19]
	flat_load_dwordx2 v[20:21], v[20:21]
	s_waitcnt vmcnt(0) lgkmcnt(0)
	v_mul_f64 v[20:21], s[24:25], v[20:21]
	s_branch .LBB108_204
.LBB108_203:
	v_mov_b64_e32 v[20:21], 0
.LBB108_204:
	v_cvt_f32_f64_e32 v20, v[20:21]
	v_max_f32_e32 v21, v113, v113
	v_min_f32_e32 v20, v20, v21
	v_cvt_f64_f32_e32 v[20:21], v20
	v_lshl_add_u64 v[24:25], v[8:9], 3, v[16:17]
	global_store_dwordx2 v[24:25], v[20:21], off
	s_or_b64 exec, exec, s[28:29]
	s_and_b64 s[34:35], s[12:13], s[18:19]
	s_and_saveexec_b64 s[28:29], s[34:35]
	s_cbranch_execz .LBB108_183
.LBB108_205:
	s_and_b64 vcc, exec, s[0:1]
	s_cbranch_vccnz .LBB108_207
; %bb.206:
	v_lshl_add_u64 v[20:21], v[10:11], 3, v[18:19]
	flat_load_dwordx2 v[20:21], v[20:21]
	s_waitcnt vmcnt(0) lgkmcnt(0)
	v_mul_f64 v[20:21], s[24:25], v[20:21]
	s_branch .LBB108_208
.LBB108_207:
	v_mov_b64_e32 v[20:21], 0
.LBB108_208:
	v_cvt_f32_f64_e32 v20, v[20:21]
	v_max_f32_e32 v21, v112, v112
	v_min_f32_e32 v20, v20, v21
	v_cvt_f64_f32_e32 v[20:21], v20
	v_lshl_add_u64 v[24:25], v[10:11], 3, v[16:17]
	global_store_dwordx2 v[24:25], v[20:21], off
	s_or_b64 exec, exec, s[28:29]
	s_and_b64 s[34:35], s[14:15], s[18:19]
	s_and_saveexec_b64 s[28:29], s[34:35]
	s_cbranch_execz .LBB108_184
.LBB108_209:
	s_and_b64 vcc, exec, s[0:1]
	s_cbranch_vccnz .LBB108_211
; %bb.210:
	v_lshl_add_u64 v[20:21], v[12:13], 3, v[18:19]
	flat_load_dwordx2 v[20:21], v[20:21]
	s_waitcnt vmcnt(0) lgkmcnt(0)
	v_mul_f64 v[20:21], s[24:25], v[20:21]
	s_branch .LBB108_212
.LBB108_211:
	v_mov_b64_e32 v[20:21], 0
.LBB108_212:
	v_cvt_f32_f64_e32 v20, v[20:21]
	v_max_f32_e32 v21, v111, v111
	v_min_f32_e32 v20, v20, v21
	v_cvt_f64_f32_e32 v[20:21], v20
	v_lshl_add_u64 v[24:25], v[12:13], 3, v[16:17]
	global_store_dwordx2 v[24:25], v[20:21], off
	s_or_b64 exec, exec, s[28:29]
	s_and_b64 s[28:29], s[16:17], s[18:19]
	s_and_saveexec_b64 s[18:19], s[28:29]
	s_cbranch_execz .LBB108_217
.LBB108_213:
	s_and_b64 vcc, exec, s[0:1]
	s_cbranch_vccnz .LBB108_215
; %bb.214:
	v_lshl_add_u64 v[18:19], v[14:15], 3, v[18:19]
	flat_load_dwordx2 v[18:19], v[18:19]
	s_waitcnt vmcnt(0) lgkmcnt(0)
	v_mul_f64 v[18:19], s[24:25], v[18:19]
	s_branch .LBB108_216
.LBB108_215:
	v_mov_b64_e32 v[18:19], 0
.LBB108_216:
	v_cvt_f32_f64_e32 v18, v[18:19]
	v_max_f32_e32 v19, v110, v110
	v_min_f32_e32 v18, v18, v19
	v_cvt_f64_f32_e32 v[18:19], v18
	v_lshl_add_u64 v[16:17], v[14:15], 3, v[16:17]
	global_store_dwordx2 v[16:17], v[18:19], off
.LBB108_217:
	s_or_b64 exec, exec, s[18:19]
	v_add_u32_e32 v20, 32, v22
	v_mad_i64_i32 v[16:17], s[28:29], v20, s31, 0
	v_cmp_gt_i32_e64 s[18:19], s21, v20
	v_lshl_add_u64 v[18:19], v[16:17], 3, s[26:27]
	v_mad_i64_i32 v[16:17], s[28:29], v20, s30, 0
	v_lshl_add_u64 v[16:17], v[16:17], 3, s[22:23]
	s_and_b64 s[34:35], s[2:3], s[18:19]
	s_and_saveexec_b64 s[28:29], s[34:35]
	s_cbranch_execnz .LBB108_225
; %bb.218:
	s_or_b64 exec, exec, s[28:29]
	s_and_b64 s[34:35], s[4:5], s[18:19]
	s_and_saveexec_b64 s[28:29], s[34:35]
	s_cbranch_execnz .LBB108_229
.LBB108_219:
	s_or_b64 exec, exec, s[28:29]
	s_and_b64 s[34:35], s[6:7], s[18:19]
	s_and_saveexec_b64 s[28:29], s[34:35]
	s_cbranch_execnz .LBB108_233
.LBB108_220:
	s_or_b64 exec, exec, s[28:29]
	s_and_b64 s[34:35], s[8:9], s[18:19]
	s_and_saveexec_b64 s[28:29], s[34:35]
	s_cbranch_execnz .LBB108_237
.LBB108_221:
	s_or_b64 exec, exec, s[28:29]
	s_and_b64 s[34:35], s[10:11], s[18:19]
	s_and_saveexec_b64 s[28:29], s[34:35]
	s_cbranch_execnz .LBB108_241
.LBB108_222:
	s_or_b64 exec, exec, s[28:29]
	s_and_b64 s[34:35], s[12:13], s[18:19]
	s_and_saveexec_b64 s[28:29], s[34:35]
	s_cbranch_execnz .LBB108_245
.LBB108_223:
	s_or_b64 exec, exec, s[28:29]
	s_and_b64 s[34:35], s[14:15], s[18:19]
	s_and_saveexec_b64 s[28:29], s[34:35]
	s_cbranch_execnz .LBB108_249
.LBB108_224:
	s_or_b64 exec, exec, s[28:29]
	s_and_b64 s[28:29], s[16:17], s[18:19]
	s_and_saveexec_b64 s[18:19], s[28:29]
	s_cbranch_execnz .LBB108_253
	s_branch .LBB108_257
.LBB108_225:
	s_and_b64 vcc, exec, s[0:1]
	s_cbranch_vccnz .LBB108_227
; %bb.226:
	v_lshl_add_u64 v[20:21], v[0:1], 3, v[18:19]
	flat_load_dwordx2 v[20:21], v[20:21]
	s_waitcnt vmcnt(0) lgkmcnt(0)
	v_mul_f64 v[20:21], s[24:25], v[20:21]
	s_branch .LBB108_228
.LBB108_227:
	v_mov_b64_e32 v[20:21], 0
.LBB108_228:
	v_cvt_f32_f64_e32 v20, v[20:21]
	v_max_f32_e32 v21, v109, v109
	v_min_f32_e32 v20, v20, v21
	v_cvt_f64_f32_e32 v[20:21], v20
	v_lshl_add_u64 v[24:25], v[0:1], 3, v[16:17]
	global_store_dwordx2 v[24:25], v[20:21], off
	s_or_b64 exec, exec, s[28:29]
	s_and_b64 s[34:35], s[4:5], s[18:19]
	s_and_saveexec_b64 s[28:29], s[34:35]
	s_cbranch_execz .LBB108_219
.LBB108_229:
	s_and_b64 vcc, exec, s[0:1]
	s_cbranch_vccnz .LBB108_231
; %bb.230:
	v_lshl_add_u64 v[20:21], v[2:3], 3, v[18:19]
	flat_load_dwordx2 v[20:21], v[20:21]
	s_waitcnt vmcnt(0) lgkmcnt(0)
	v_mul_f64 v[20:21], s[24:25], v[20:21]
	s_branch .LBB108_232
.LBB108_231:
	v_mov_b64_e32 v[20:21], 0
.LBB108_232:
	v_cvt_f32_f64_e32 v20, v[20:21]
	v_max_f32_e32 v21, v108, v108
	v_min_f32_e32 v20, v20, v21
	v_cvt_f64_f32_e32 v[20:21], v20
	v_lshl_add_u64 v[24:25], v[2:3], 3, v[16:17]
	global_store_dwordx2 v[24:25], v[20:21], off
	s_or_b64 exec, exec, s[28:29]
	s_and_b64 s[34:35], s[6:7], s[18:19]
	s_and_saveexec_b64 s[28:29], s[34:35]
	s_cbranch_execz .LBB108_220
.LBB108_233:
	s_and_b64 vcc, exec, s[0:1]
	s_cbranch_vccnz .LBB108_235
; %bb.234:
	v_lshl_add_u64 v[20:21], v[4:5], 3, v[18:19]
	flat_load_dwordx2 v[20:21], v[20:21]
	s_waitcnt vmcnt(0) lgkmcnt(0)
	v_mul_f64 v[20:21], s[24:25], v[20:21]
	s_branch .LBB108_236
.LBB108_235:
	v_mov_b64_e32 v[20:21], 0
.LBB108_236:
	v_cvt_f32_f64_e32 v20, v[20:21]
	v_max_f32_e32 v21, v107, v107
	v_min_f32_e32 v20, v20, v21
	v_cvt_f64_f32_e32 v[20:21], v20
	v_lshl_add_u64 v[24:25], v[4:5], 3, v[16:17]
	global_store_dwordx2 v[24:25], v[20:21], off
	s_or_b64 exec, exec, s[28:29]
	s_and_b64 s[34:35], s[8:9], s[18:19]
	s_and_saveexec_b64 s[28:29], s[34:35]
	s_cbranch_execz .LBB108_221
.LBB108_237:
	s_and_b64 vcc, exec, s[0:1]
	s_cbranch_vccnz .LBB108_239
; %bb.238:
	v_lshl_add_u64 v[20:21], v[6:7], 3, v[18:19]
	flat_load_dwordx2 v[20:21], v[20:21]
	s_waitcnt vmcnt(0) lgkmcnt(0)
	v_mul_f64 v[20:21], s[24:25], v[20:21]
	s_branch .LBB108_240
.LBB108_239:
	v_mov_b64_e32 v[20:21], 0
.LBB108_240:
	v_cvt_f32_f64_e32 v20, v[20:21]
	v_max_f32_e32 v21, v106, v106
	v_min_f32_e32 v20, v20, v21
	v_cvt_f64_f32_e32 v[20:21], v20
	v_lshl_add_u64 v[24:25], v[6:7], 3, v[16:17]
	global_store_dwordx2 v[24:25], v[20:21], off
	s_or_b64 exec, exec, s[28:29]
	s_and_b64 s[34:35], s[10:11], s[18:19]
	s_and_saveexec_b64 s[28:29], s[34:35]
	s_cbranch_execz .LBB108_222
.LBB108_241:
	s_and_b64 vcc, exec, s[0:1]
	s_cbranch_vccnz .LBB108_243
; %bb.242:
	v_lshl_add_u64 v[20:21], v[8:9], 3, v[18:19]
	flat_load_dwordx2 v[20:21], v[20:21]
	s_waitcnt vmcnt(0) lgkmcnt(0)
	v_mul_f64 v[20:21], s[24:25], v[20:21]
	s_branch .LBB108_244
.LBB108_243:
	v_mov_b64_e32 v[20:21], 0
.LBB108_244:
	v_cvt_f32_f64_e32 v20, v[20:21]
	v_max_f32_e32 v21, v105, v105
	v_min_f32_e32 v20, v20, v21
	v_cvt_f64_f32_e32 v[20:21], v20
	v_lshl_add_u64 v[24:25], v[8:9], 3, v[16:17]
	global_store_dwordx2 v[24:25], v[20:21], off
	s_or_b64 exec, exec, s[28:29]
	s_and_b64 s[34:35], s[12:13], s[18:19]
	s_and_saveexec_b64 s[28:29], s[34:35]
	s_cbranch_execz .LBB108_223
.LBB108_245:
	s_and_b64 vcc, exec, s[0:1]
	s_cbranch_vccnz .LBB108_247
; %bb.246:
	v_lshl_add_u64 v[20:21], v[10:11], 3, v[18:19]
	flat_load_dwordx2 v[20:21], v[20:21]
	s_waitcnt vmcnt(0) lgkmcnt(0)
	v_mul_f64 v[20:21], s[24:25], v[20:21]
	s_branch .LBB108_248
.LBB108_247:
	v_mov_b64_e32 v[20:21], 0
.LBB108_248:
	v_cvt_f32_f64_e32 v20, v[20:21]
	v_max_f32_e32 v21, v104, v104
	v_min_f32_e32 v20, v20, v21
	v_cvt_f64_f32_e32 v[20:21], v20
	v_lshl_add_u64 v[24:25], v[10:11], 3, v[16:17]
	global_store_dwordx2 v[24:25], v[20:21], off
	s_or_b64 exec, exec, s[28:29]
	s_and_b64 s[34:35], s[14:15], s[18:19]
	s_and_saveexec_b64 s[28:29], s[34:35]
	s_cbranch_execz .LBB108_224
.LBB108_249:
	s_and_b64 vcc, exec, s[0:1]
	s_cbranch_vccnz .LBB108_251
; %bb.250:
	v_lshl_add_u64 v[20:21], v[12:13], 3, v[18:19]
	flat_load_dwordx2 v[20:21], v[20:21]
	s_waitcnt vmcnt(0) lgkmcnt(0)
	v_mul_f64 v[20:21], s[24:25], v[20:21]
	s_branch .LBB108_252
.LBB108_251:
	v_mov_b64_e32 v[20:21], 0
.LBB108_252:
	v_cvt_f32_f64_e32 v20, v[20:21]
	v_max_f32_e32 v21, v103, v103
	v_min_f32_e32 v20, v20, v21
	v_cvt_f64_f32_e32 v[20:21], v20
	v_lshl_add_u64 v[24:25], v[12:13], 3, v[16:17]
	global_store_dwordx2 v[24:25], v[20:21], off
	s_or_b64 exec, exec, s[28:29]
	s_and_b64 s[28:29], s[16:17], s[18:19]
	s_and_saveexec_b64 s[18:19], s[28:29]
	s_cbranch_execz .LBB108_257
.LBB108_253:
	s_and_b64 vcc, exec, s[0:1]
	s_cbranch_vccnz .LBB108_255
; %bb.254:
	v_lshl_add_u64 v[18:19], v[14:15], 3, v[18:19]
	flat_load_dwordx2 v[18:19], v[18:19]
	s_waitcnt vmcnt(0) lgkmcnt(0)
	v_mul_f64 v[18:19], s[24:25], v[18:19]
	s_branch .LBB108_256
.LBB108_255:
	v_mov_b64_e32 v[18:19], 0
.LBB108_256:
	v_cvt_f32_f64_e32 v18, v[18:19]
	v_max_f32_e32 v19, v102, v102
	v_min_f32_e32 v18, v18, v19
	v_cvt_f64_f32_e32 v[18:19], v18
	v_lshl_add_u64 v[16:17], v[14:15], 3, v[16:17]
	global_store_dwordx2 v[16:17], v[18:19], off
.LBB108_257:
	s_or_b64 exec, exec, s[18:19]
	v_add_u32_e32 v20, 40, v22
	v_mad_i64_i32 v[16:17], s[28:29], v20, s31, 0
	v_cmp_gt_i32_e64 s[18:19], s21, v20
	v_lshl_add_u64 v[18:19], v[16:17], 3, s[26:27]
	v_mad_i64_i32 v[16:17], s[28:29], v20, s30, 0
	v_lshl_add_u64 v[16:17], v[16:17], 3, s[22:23]
	s_and_b64 s[34:35], s[2:3], s[18:19]
	s_and_saveexec_b64 s[28:29], s[34:35]
	s_cbranch_execnz .LBB108_265
; %bb.258:
	s_or_b64 exec, exec, s[28:29]
	s_and_b64 s[34:35], s[4:5], s[18:19]
	s_and_saveexec_b64 s[28:29], s[34:35]
	s_cbranch_execnz .LBB108_269
.LBB108_259:
	s_or_b64 exec, exec, s[28:29]
	s_and_b64 s[34:35], s[6:7], s[18:19]
	s_and_saveexec_b64 s[28:29], s[34:35]
	s_cbranch_execnz .LBB108_273
.LBB108_260:
	s_or_b64 exec, exec, s[28:29]
	s_and_b64 s[34:35], s[8:9], s[18:19]
	s_and_saveexec_b64 s[28:29], s[34:35]
	s_cbranch_execnz .LBB108_277
.LBB108_261:
	s_or_b64 exec, exec, s[28:29]
	s_and_b64 s[34:35], s[10:11], s[18:19]
	s_and_saveexec_b64 s[28:29], s[34:35]
	s_cbranch_execnz .LBB108_281
.LBB108_262:
	s_or_b64 exec, exec, s[28:29]
	s_and_b64 s[34:35], s[12:13], s[18:19]
	s_and_saveexec_b64 s[28:29], s[34:35]
	s_cbranch_execnz .LBB108_285
.LBB108_263:
	s_or_b64 exec, exec, s[28:29]
	s_and_b64 s[34:35], s[14:15], s[18:19]
	s_and_saveexec_b64 s[28:29], s[34:35]
	s_cbranch_execnz .LBB108_289
.LBB108_264:
	s_or_b64 exec, exec, s[28:29]
	s_and_b64 s[28:29], s[16:17], s[18:19]
	s_and_saveexec_b64 s[18:19], s[28:29]
	s_cbranch_execnz .LBB108_293
	s_branch .LBB108_297
.LBB108_265:
	s_and_b64 vcc, exec, s[0:1]
	s_cbranch_vccnz .LBB108_267
; %bb.266:
	v_lshl_add_u64 v[20:21], v[0:1], 3, v[18:19]
	flat_load_dwordx2 v[20:21], v[20:21]
	s_waitcnt vmcnt(0) lgkmcnt(0)
	v_mul_f64 v[20:21], s[24:25], v[20:21]
	s_branch .LBB108_268
.LBB108_267:
	v_mov_b64_e32 v[20:21], 0
.LBB108_268:
	v_cvt_f32_f64_e32 v20, v[20:21]
	v_max_f32_e32 v21, v101, v101
	v_min_f32_e32 v20, v20, v21
	v_cvt_f64_f32_e32 v[20:21], v20
	v_lshl_add_u64 v[24:25], v[0:1], 3, v[16:17]
	global_store_dwordx2 v[24:25], v[20:21], off
	s_or_b64 exec, exec, s[28:29]
	s_and_b64 s[34:35], s[4:5], s[18:19]
	s_and_saveexec_b64 s[28:29], s[34:35]
	s_cbranch_execz .LBB108_259
.LBB108_269:
	s_and_b64 vcc, exec, s[0:1]
	s_cbranch_vccnz .LBB108_271
; %bb.270:
	v_lshl_add_u64 v[20:21], v[2:3], 3, v[18:19]
	flat_load_dwordx2 v[20:21], v[20:21]
	s_waitcnt vmcnt(0) lgkmcnt(0)
	v_mul_f64 v[20:21], s[24:25], v[20:21]
	s_branch .LBB108_272
.LBB108_271:
	v_mov_b64_e32 v[20:21], 0
.LBB108_272:
	v_cvt_f32_f64_e32 v20, v[20:21]
	v_max_f32_e32 v21, v100, v100
	v_min_f32_e32 v20, v20, v21
	v_cvt_f64_f32_e32 v[20:21], v20
	v_lshl_add_u64 v[24:25], v[2:3], 3, v[16:17]
	global_store_dwordx2 v[24:25], v[20:21], off
	s_or_b64 exec, exec, s[28:29]
	s_and_b64 s[34:35], s[6:7], s[18:19]
	s_and_saveexec_b64 s[28:29], s[34:35]
	s_cbranch_execz .LBB108_260
.LBB108_273:
	s_and_b64 vcc, exec, s[0:1]
	s_cbranch_vccnz .LBB108_275
; %bb.274:
	v_lshl_add_u64 v[20:21], v[4:5], 3, v[18:19]
	flat_load_dwordx2 v[20:21], v[20:21]
	s_waitcnt vmcnt(0) lgkmcnt(0)
	v_mul_f64 v[20:21], s[24:25], v[20:21]
	s_branch .LBB108_276
.LBB108_275:
	v_mov_b64_e32 v[20:21], 0
.LBB108_276:
	v_cvt_f32_f64_e32 v20, v[20:21]
	v_max_f32_e32 v21, v99, v99
	v_min_f32_e32 v20, v20, v21
	v_cvt_f64_f32_e32 v[20:21], v20
	v_lshl_add_u64 v[24:25], v[4:5], 3, v[16:17]
	global_store_dwordx2 v[24:25], v[20:21], off
	s_or_b64 exec, exec, s[28:29]
	s_and_b64 s[34:35], s[8:9], s[18:19]
	s_and_saveexec_b64 s[28:29], s[34:35]
	s_cbranch_execz .LBB108_261
.LBB108_277:
	s_and_b64 vcc, exec, s[0:1]
	s_cbranch_vccnz .LBB108_279
; %bb.278:
	v_lshl_add_u64 v[20:21], v[6:7], 3, v[18:19]
	flat_load_dwordx2 v[20:21], v[20:21]
	s_waitcnt vmcnt(0) lgkmcnt(0)
	v_mul_f64 v[20:21], s[24:25], v[20:21]
	s_branch .LBB108_280
.LBB108_279:
	v_mov_b64_e32 v[20:21], 0
.LBB108_280:
	v_cvt_f32_f64_e32 v20, v[20:21]
	v_max_f32_e32 v21, v98, v98
	v_min_f32_e32 v20, v20, v21
	v_cvt_f64_f32_e32 v[20:21], v20
	v_lshl_add_u64 v[24:25], v[6:7], 3, v[16:17]
	global_store_dwordx2 v[24:25], v[20:21], off
	s_or_b64 exec, exec, s[28:29]
	s_and_b64 s[34:35], s[10:11], s[18:19]
	s_and_saveexec_b64 s[28:29], s[34:35]
	s_cbranch_execz .LBB108_262
.LBB108_281:
	s_and_b64 vcc, exec, s[0:1]
	s_cbranch_vccnz .LBB108_283
; %bb.282:
	v_lshl_add_u64 v[20:21], v[8:9], 3, v[18:19]
	flat_load_dwordx2 v[20:21], v[20:21]
	s_waitcnt vmcnt(0) lgkmcnt(0)
	v_mul_f64 v[20:21], s[24:25], v[20:21]
	s_branch .LBB108_284
.LBB108_283:
	v_mov_b64_e32 v[20:21], 0
.LBB108_284:
	v_cvt_f32_f64_e32 v20, v[20:21]
	v_max_f32_e32 v21, v97, v97
	v_min_f32_e32 v20, v20, v21
	v_cvt_f64_f32_e32 v[20:21], v20
	v_lshl_add_u64 v[24:25], v[8:9], 3, v[16:17]
	global_store_dwordx2 v[24:25], v[20:21], off
	s_or_b64 exec, exec, s[28:29]
	s_and_b64 s[34:35], s[12:13], s[18:19]
	s_and_saveexec_b64 s[28:29], s[34:35]
	s_cbranch_execz .LBB108_263
.LBB108_285:
	s_and_b64 vcc, exec, s[0:1]
	s_cbranch_vccnz .LBB108_287
; %bb.286:
	v_lshl_add_u64 v[20:21], v[10:11], 3, v[18:19]
	flat_load_dwordx2 v[20:21], v[20:21]
	s_waitcnt vmcnt(0) lgkmcnt(0)
	v_mul_f64 v[20:21], s[24:25], v[20:21]
	s_branch .LBB108_288
.LBB108_287:
	v_mov_b64_e32 v[20:21], 0
.LBB108_288:
	v_cvt_f32_f64_e32 v20, v[20:21]
	v_max_f32_e32 v21, v96, v96
	v_min_f32_e32 v20, v20, v21
	v_cvt_f64_f32_e32 v[20:21], v20
	v_lshl_add_u64 v[24:25], v[10:11], 3, v[16:17]
	global_store_dwordx2 v[24:25], v[20:21], off
	s_or_b64 exec, exec, s[28:29]
	s_and_b64 s[34:35], s[14:15], s[18:19]
	s_and_saveexec_b64 s[28:29], s[34:35]
	s_cbranch_execz .LBB108_264
.LBB108_289:
	s_and_b64 vcc, exec, s[0:1]
	s_cbranch_vccnz .LBB108_291
; %bb.290:
	v_lshl_add_u64 v[20:21], v[12:13], 3, v[18:19]
	flat_load_dwordx2 v[20:21], v[20:21]
	s_waitcnt vmcnt(0) lgkmcnt(0)
	v_mul_f64 v[20:21], s[24:25], v[20:21]
	s_branch .LBB108_292
.LBB108_291:
	v_mov_b64_e32 v[20:21], 0
.LBB108_292:
	v_cvt_f32_f64_e32 v20, v[20:21]
	v_max_f32_e32 v21, v95, v95
	v_min_f32_e32 v20, v20, v21
	v_cvt_f64_f32_e32 v[20:21], v20
	v_lshl_add_u64 v[24:25], v[12:13], 3, v[16:17]
	global_store_dwordx2 v[24:25], v[20:21], off
	s_or_b64 exec, exec, s[28:29]
	s_and_b64 s[28:29], s[16:17], s[18:19]
	s_and_saveexec_b64 s[18:19], s[28:29]
	s_cbranch_execz .LBB108_297
.LBB108_293:
	s_and_b64 vcc, exec, s[0:1]
	s_cbranch_vccnz .LBB108_295
; %bb.294:
	v_lshl_add_u64 v[18:19], v[14:15], 3, v[18:19]
	flat_load_dwordx2 v[18:19], v[18:19]
	s_waitcnt vmcnt(0) lgkmcnt(0)
	v_mul_f64 v[18:19], s[24:25], v[18:19]
	s_branch .LBB108_296
.LBB108_295:
	v_mov_b64_e32 v[18:19], 0
.LBB108_296:
	v_cvt_f32_f64_e32 v18, v[18:19]
	v_max_f32_e32 v19, v94, v94
	v_min_f32_e32 v18, v18, v19
	v_cvt_f64_f32_e32 v[18:19], v18
	v_lshl_add_u64 v[16:17], v[14:15], 3, v[16:17]
	global_store_dwordx2 v[16:17], v[18:19], off
.LBB108_297:
	s_or_b64 exec, exec, s[18:19]
	v_add_u32_e32 v20, 48, v22
	v_mad_i64_i32 v[16:17], s[28:29], v20, s31, 0
	v_cmp_gt_i32_e64 s[18:19], s21, v20
	v_lshl_add_u64 v[18:19], v[16:17], 3, s[26:27]
	v_mad_i64_i32 v[16:17], s[28:29], v20, s30, 0
	v_lshl_add_u64 v[16:17], v[16:17], 3, s[22:23]
	s_and_b64 s[34:35], s[2:3], s[18:19]
	s_and_saveexec_b64 s[28:29], s[34:35]
	s_cbranch_execnz .LBB108_305
; %bb.298:
	s_or_b64 exec, exec, s[28:29]
	s_and_b64 s[34:35], s[4:5], s[18:19]
	s_and_saveexec_b64 s[28:29], s[34:35]
	s_cbranch_execnz .LBB108_309
.LBB108_299:
	s_or_b64 exec, exec, s[28:29]
	s_and_b64 s[34:35], s[6:7], s[18:19]
	s_and_saveexec_b64 s[28:29], s[34:35]
	s_cbranch_execnz .LBB108_313
.LBB108_300:
	s_or_b64 exec, exec, s[28:29]
	s_and_b64 s[34:35], s[8:9], s[18:19]
	s_and_saveexec_b64 s[28:29], s[34:35]
	s_cbranch_execnz .LBB108_317
.LBB108_301:
	s_or_b64 exec, exec, s[28:29]
	s_and_b64 s[34:35], s[10:11], s[18:19]
	s_and_saveexec_b64 s[28:29], s[34:35]
	s_cbranch_execnz .LBB108_321
.LBB108_302:
	s_or_b64 exec, exec, s[28:29]
	s_and_b64 s[34:35], s[12:13], s[18:19]
	s_and_saveexec_b64 s[28:29], s[34:35]
	s_cbranch_execnz .LBB108_325
.LBB108_303:
	s_or_b64 exec, exec, s[28:29]
	s_and_b64 s[34:35], s[14:15], s[18:19]
	s_and_saveexec_b64 s[28:29], s[34:35]
	s_cbranch_execnz .LBB108_329
.LBB108_304:
	s_or_b64 exec, exec, s[28:29]
	s_and_b64 s[28:29], s[16:17], s[18:19]
	s_and_saveexec_b64 s[18:19], s[28:29]
	s_cbranch_execnz .LBB108_333
	s_branch .LBB108_337
.LBB108_305:
	s_and_b64 vcc, exec, s[0:1]
	s_cbranch_vccnz .LBB108_307
; %bb.306:
	v_lshl_add_u64 v[20:21], v[0:1], 3, v[18:19]
	flat_load_dwordx2 v[20:21], v[20:21]
	s_waitcnt vmcnt(0) lgkmcnt(0)
	v_mul_f64 v[20:21], s[24:25], v[20:21]
	s_branch .LBB108_308
.LBB108_307:
	v_mov_b64_e32 v[20:21], 0
.LBB108_308:
	v_cvt_f32_f64_e32 v20, v[20:21]
	v_max_f32_e32 v21, v93, v93
	v_min_f32_e32 v20, v20, v21
	v_cvt_f64_f32_e32 v[20:21], v20
	v_lshl_add_u64 v[24:25], v[0:1], 3, v[16:17]
	global_store_dwordx2 v[24:25], v[20:21], off
	s_or_b64 exec, exec, s[28:29]
	s_and_b64 s[34:35], s[4:5], s[18:19]
	s_and_saveexec_b64 s[28:29], s[34:35]
	s_cbranch_execz .LBB108_299
.LBB108_309:
	s_and_b64 vcc, exec, s[0:1]
	s_cbranch_vccnz .LBB108_311
; %bb.310:
	v_lshl_add_u64 v[20:21], v[2:3], 3, v[18:19]
	flat_load_dwordx2 v[20:21], v[20:21]
	s_waitcnt vmcnt(0) lgkmcnt(0)
	v_mul_f64 v[20:21], s[24:25], v[20:21]
	s_branch .LBB108_312
.LBB108_311:
	v_mov_b64_e32 v[20:21], 0
.LBB108_312:
	v_cvt_f32_f64_e32 v20, v[20:21]
	v_max_f32_e32 v21, v92, v92
	v_min_f32_e32 v20, v20, v21
	v_cvt_f64_f32_e32 v[20:21], v20
	v_lshl_add_u64 v[24:25], v[2:3], 3, v[16:17]
	global_store_dwordx2 v[24:25], v[20:21], off
	s_or_b64 exec, exec, s[28:29]
	s_and_b64 s[34:35], s[6:7], s[18:19]
	s_and_saveexec_b64 s[28:29], s[34:35]
	s_cbranch_execz .LBB108_300
.LBB108_313:
	s_and_b64 vcc, exec, s[0:1]
	s_cbranch_vccnz .LBB108_315
; %bb.314:
	v_lshl_add_u64 v[20:21], v[4:5], 3, v[18:19]
	flat_load_dwordx2 v[20:21], v[20:21]
	s_waitcnt vmcnt(0) lgkmcnt(0)
	v_mul_f64 v[20:21], s[24:25], v[20:21]
	s_branch .LBB108_316
.LBB108_315:
	v_mov_b64_e32 v[20:21], 0
.LBB108_316:
	v_cvt_f32_f64_e32 v20, v[20:21]
	v_max_f32_e32 v21, v91, v91
	v_min_f32_e32 v20, v20, v21
	v_cvt_f64_f32_e32 v[20:21], v20
	v_lshl_add_u64 v[24:25], v[4:5], 3, v[16:17]
	global_store_dwordx2 v[24:25], v[20:21], off
	s_or_b64 exec, exec, s[28:29]
	s_and_b64 s[34:35], s[8:9], s[18:19]
	s_and_saveexec_b64 s[28:29], s[34:35]
	s_cbranch_execz .LBB108_301
.LBB108_317:
	s_and_b64 vcc, exec, s[0:1]
	s_cbranch_vccnz .LBB108_319
; %bb.318:
	v_lshl_add_u64 v[20:21], v[6:7], 3, v[18:19]
	flat_load_dwordx2 v[20:21], v[20:21]
	s_waitcnt vmcnt(0) lgkmcnt(0)
	v_mul_f64 v[20:21], s[24:25], v[20:21]
	s_branch .LBB108_320
.LBB108_319:
	v_mov_b64_e32 v[20:21], 0
.LBB108_320:
	v_cvt_f32_f64_e32 v20, v[20:21]
	v_max_f32_e32 v21, v90, v90
	v_min_f32_e32 v20, v20, v21
	v_cvt_f64_f32_e32 v[20:21], v20
	v_lshl_add_u64 v[24:25], v[6:7], 3, v[16:17]
	global_store_dwordx2 v[24:25], v[20:21], off
	s_or_b64 exec, exec, s[28:29]
	s_and_b64 s[34:35], s[10:11], s[18:19]
	s_and_saveexec_b64 s[28:29], s[34:35]
	s_cbranch_execz .LBB108_302
.LBB108_321:
	s_and_b64 vcc, exec, s[0:1]
	s_cbranch_vccnz .LBB108_323
; %bb.322:
	v_lshl_add_u64 v[20:21], v[8:9], 3, v[18:19]
	flat_load_dwordx2 v[20:21], v[20:21]
	s_waitcnt vmcnt(0) lgkmcnt(0)
	v_mul_f64 v[20:21], s[24:25], v[20:21]
	s_branch .LBB108_324
.LBB108_323:
	v_mov_b64_e32 v[20:21], 0
.LBB108_324:
	v_cvt_f32_f64_e32 v20, v[20:21]
	v_max_f32_e32 v21, v89, v89
	v_min_f32_e32 v20, v20, v21
	v_cvt_f64_f32_e32 v[20:21], v20
	v_lshl_add_u64 v[24:25], v[8:9], 3, v[16:17]
	global_store_dwordx2 v[24:25], v[20:21], off
	s_or_b64 exec, exec, s[28:29]
	s_and_b64 s[34:35], s[12:13], s[18:19]
	s_and_saveexec_b64 s[28:29], s[34:35]
	s_cbranch_execz .LBB108_303
.LBB108_325:
	s_and_b64 vcc, exec, s[0:1]
	s_cbranch_vccnz .LBB108_327
; %bb.326:
	v_lshl_add_u64 v[20:21], v[10:11], 3, v[18:19]
	flat_load_dwordx2 v[20:21], v[20:21]
	s_waitcnt vmcnt(0) lgkmcnt(0)
	v_mul_f64 v[20:21], s[24:25], v[20:21]
	s_branch .LBB108_328
.LBB108_327:
	v_mov_b64_e32 v[20:21], 0
.LBB108_328:
	v_cvt_f32_f64_e32 v20, v[20:21]
	v_max_f32_e32 v21, v88, v88
	v_min_f32_e32 v20, v20, v21
	v_cvt_f64_f32_e32 v[20:21], v20
	v_lshl_add_u64 v[24:25], v[10:11], 3, v[16:17]
	global_store_dwordx2 v[24:25], v[20:21], off
	s_or_b64 exec, exec, s[28:29]
	s_and_b64 s[34:35], s[14:15], s[18:19]
	s_and_saveexec_b64 s[28:29], s[34:35]
	s_cbranch_execz .LBB108_304
.LBB108_329:
	s_and_b64 vcc, exec, s[0:1]
	s_cbranch_vccnz .LBB108_331
; %bb.330:
	v_lshl_add_u64 v[20:21], v[12:13], 3, v[18:19]
	flat_load_dwordx2 v[20:21], v[20:21]
	s_waitcnt vmcnt(0) lgkmcnt(0)
	v_mul_f64 v[20:21], s[24:25], v[20:21]
	s_branch .LBB108_332
.LBB108_331:
	v_mov_b64_e32 v[20:21], 0
.LBB108_332:
	v_cvt_f32_f64_e32 v20, v[20:21]
	v_max_f32_e32 v21, v87, v87
	v_min_f32_e32 v20, v20, v21
	v_cvt_f64_f32_e32 v[20:21], v20
	v_lshl_add_u64 v[24:25], v[12:13], 3, v[16:17]
	global_store_dwordx2 v[24:25], v[20:21], off
	s_or_b64 exec, exec, s[28:29]
	s_and_b64 s[28:29], s[16:17], s[18:19]
	s_and_saveexec_b64 s[18:19], s[28:29]
	s_cbranch_execz .LBB108_337
.LBB108_333:
	s_and_b64 vcc, exec, s[0:1]
	s_cbranch_vccnz .LBB108_335
; %bb.334:
	v_lshl_add_u64 v[18:19], v[14:15], 3, v[18:19]
	flat_load_dwordx2 v[18:19], v[18:19]
	s_waitcnt vmcnt(0) lgkmcnt(0)
	v_mul_f64 v[18:19], s[24:25], v[18:19]
	s_branch .LBB108_336
.LBB108_335:
	v_mov_b64_e32 v[18:19], 0
.LBB108_336:
	v_cvt_f32_f64_e32 v18, v[18:19]
	v_max_f32_e32 v19, v86, v86
	v_min_f32_e32 v18, v18, v19
	v_cvt_f64_f32_e32 v[18:19], v18
	v_lshl_add_u64 v[16:17], v[14:15], 3, v[16:17]
	global_store_dwordx2 v[16:17], v[18:19], off
.LBB108_337:
	s_or_b64 exec, exec, s[18:19]
	v_add_u32_e32 v20, 56, v22
	v_cmp_gt_i32_e64 s[18:19], s21, v20
	v_mad_i64_i32 v[16:17], s[20:21], v20, s31, 0
	v_lshl_add_u64 v[18:19], v[16:17], 3, s[26:27]
	v_mad_i64_i32 v[16:17], s[20:21], v20, s30, 0
	v_lshl_add_u64 v[16:17], v[16:17], 3, s[22:23]
	s_and_b64 s[20:21], s[2:3], s[18:19]
	s_and_saveexec_b64 s[2:3], s[20:21]
	s_cbranch_execnz .LBB108_346
; %bb.338:
	s_or_b64 exec, exec, s[2:3]
	s_and_b64 s[4:5], s[4:5], s[18:19]
	s_and_saveexec_b64 s[2:3], s[4:5]
	s_cbranch_execnz .LBB108_350
.LBB108_339:
	s_or_b64 exec, exec, s[2:3]
	s_and_b64 s[4:5], s[6:7], s[18:19]
	s_and_saveexec_b64 s[2:3], s[4:5]
	s_cbranch_execnz .LBB108_354
.LBB108_340:
	s_or_b64 exec, exec, s[2:3]
	s_and_b64 s[4:5], s[8:9], s[18:19]
	s_and_saveexec_b64 s[2:3], s[4:5]
	s_cbranch_execnz .LBB108_358
.LBB108_341:
	s_or_b64 exec, exec, s[2:3]
	s_and_b64 s[4:5], s[10:11], s[18:19]
	s_and_saveexec_b64 s[2:3], s[4:5]
	s_cbranch_execnz .LBB108_362
.LBB108_342:
	s_or_b64 exec, exec, s[2:3]
	s_and_b64 s[4:5], s[12:13], s[18:19]
	s_and_saveexec_b64 s[2:3], s[4:5]
	s_cbranch_execnz .LBB108_366
.LBB108_343:
	s_or_b64 exec, exec, s[2:3]
	s_and_b64 s[4:5], s[14:15], s[18:19]
	s_and_saveexec_b64 s[2:3], s[4:5]
	s_cbranch_execnz .LBB108_370
.LBB108_344:
	s_or_b64 exec, exec, s[2:3]
	s_and_b64 s[2:3], s[16:17], s[18:19]
	s_and_saveexec_b64 s[4:5], s[2:3]
	s_cbranch_execnz .LBB108_374
.LBB108_345:
	s_endpgm
.LBB108_346:
	s_and_b64 vcc, exec, s[0:1]
	s_cbranch_vccnz .LBB108_348
; %bb.347:
	v_lshl_add_u64 v[20:21], v[0:1], 3, v[18:19]
	flat_load_dwordx2 v[20:21], v[20:21]
	s_waitcnt vmcnt(0) lgkmcnt(0)
	v_mul_f64 v[20:21], s[24:25], v[20:21]
	v_cvt_f32_f64_e32 v20, v[20:21]
	s_branch .LBB108_349
.LBB108_348:
	v_mov_b32_e32 v20, 0
.LBB108_349:
	v_max_f32_e32 v21, v85, v85
	v_max_f32_e32 v20, v20, v20
	v_min_f32_e32 v20, v20, v21
	v_cvt_f64_f32_e32 v[20:21], v20
	v_lshl_add_u64 v[0:1], v[0:1], 3, v[16:17]
	global_store_dwordx2 v[0:1], v[20:21], off
	s_or_b64 exec, exec, s[2:3]
	s_and_b64 s[4:5], s[4:5], s[18:19]
	s_and_saveexec_b64 s[2:3], s[4:5]
	s_cbranch_execz .LBB108_339
.LBB108_350:
	s_and_b64 vcc, exec, s[0:1]
	s_cbranch_vccnz .LBB108_352
; %bb.351:
	v_lshl_add_u64 v[0:1], v[2:3], 3, v[18:19]
	flat_load_dwordx2 v[0:1], v[0:1]
	s_waitcnt vmcnt(0) lgkmcnt(0)
	v_mul_f64 v[0:1], s[24:25], v[0:1]
	v_cvt_f32_f64_e32 v0, v[0:1]
	s_branch .LBB108_353
.LBB108_352:
	v_mov_b32_e32 v0, 0
.LBB108_353:
	v_max_f32_e32 v1, v84, v84
	v_max_f32_e32 v0, v0, v0
	v_min_f32_e32 v0, v0, v1
	v_cvt_f64_f32_e32 v[0:1], v0
	v_lshl_add_u64 v[2:3], v[2:3], 3, v[16:17]
	global_store_dwordx2 v[2:3], v[0:1], off
	s_or_b64 exec, exec, s[2:3]
	s_and_b64 s[4:5], s[6:7], s[18:19]
	s_and_saveexec_b64 s[2:3], s[4:5]
	s_cbranch_execz .LBB108_340
.LBB108_354:
	s_and_b64 vcc, exec, s[0:1]
	s_cbranch_vccnz .LBB108_356
; %bb.355:
	v_lshl_add_u64 v[0:1], v[4:5], 3, v[18:19]
	flat_load_dwordx2 v[0:1], v[0:1]
	s_waitcnt vmcnt(0) lgkmcnt(0)
	v_mul_f64 v[0:1], s[24:25], v[0:1]
	v_cvt_f32_f64_e32 v0, v[0:1]
	s_branch .LBB108_357
.LBB108_356:
	v_mov_b32_e32 v0, 0
.LBB108_357:
	v_max_f32_e32 v1, v83, v83
	v_max_f32_e32 v0, v0, v0
	v_min_f32_e32 v0, v0, v1
	v_cvt_f64_f32_e32 v[0:1], v0
	v_lshl_add_u64 v[2:3], v[4:5], 3, v[16:17]
	global_store_dwordx2 v[2:3], v[0:1], off
	s_or_b64 exec, exec, s[2:3]
	s_and_b64 s[4:5], s[8:9], s[18:19]
	s_and_saveexec_b64 s[2:3], s[4:5]
	s_cbranch_execz .LBB108_341
.LBB108_358:
	s_and_b64 vcc, exec, s[0:1]
	s_cbranch_vccnz .LBB108_360
; %bb.359:
	v_lshl_add_u64 v[0:1], v[6:7], 3, v[18:19]
	flat_load_dwordx2 v[0:1], v[0:1]
	s_waitcnt vmcnt(0) lgkmcnt(0)
	v_mul_f64 v[0:1], s[24:25], v[0:1]
	v_cvt_f32_f64_e32 v0, v[0:1]
	s_branch .LBB108_361
.LBB108_360:
	v_mov_b32_e32 v0, 0
.LBB108_361:
	v_max_f32_e32 v1, v82, v82
	v_max_f32_e32 v0, v0, v0
	v_min_f32_e32 v0, v0, v1
	v_cvt_f64_f32_e32 v[0:1], v0
	v_lshl_add_u64 v[2:3], v[6:7], 3, v[16:17]
	global_store_dwordx2 v[2:3], v[0:1], off
	s_or_b64 exec, exec, s[2:3]
	s_and_b64 s[4:5], s[10:11], s[18:19]
	s_and_saveexec_b64 s[2:3], s[4:5]
	s_cbranch_execz .LBB108_342
.LBB108_362:
	s_and_b64 vcc, exec, s[0:1]
	s_cbranch_vccnz .LBB108_364
; %bb.363:
	v_lshl_add_u64 v[0:1], v[8:9], 3, v[18:19]
	flat_load_dwordx2 v[0:1], v[0:1]
	s_waitcnt vmcnt(0) lgkmcnt(0)
	v_mul_f64 v[0:1], s[24:25], v[0:1]
	v_cvt_f32_f64_e32 v0, v[0:1]
	s_branch .LBB108_365
.LBB108_364:
	v_mov_b32_e32 v0, 0
.LBB108_365:
	v_max_f32_e32 v1, v81, v81
	v_max_f32_e32 v0, v0, v0
	v_min_f32_e32 v0, v0, v1
	v_cvt_f64_f32_e32 v[0:1], v0
	v_lshl_add_u64 v[2:3], v[8:9], 3, v[16:17]
	global_store_dwordx2 v[2:3], v[0:1], off
	s_or_b64 exec, exec, s[2:3]
	s_and_b64 s[4:5], s[12:13], s[18:19]
	s_and_saveexec_b64 s[2:3], s[4:5]
	s_cbranch_execz .LBB108_343
.LBB108_366:
	s_and_b64 vcc, exec, s[0:1]
	s_cbranch_vccnz .LBB108_368
; %bb.367:
	v_lshl_add_u64 v[0:1], v[10:11], 3, v[18:19]
	flat_load_dwordx2 v[0:1], v[0:1]
	s_waitcnt vmcnt(0) lgkmcnt(0)
	v_mul_f64 v[0:1], s[24:25], v[0:1]
	v_cvt_f32_f64_e32 v0, v[0:1]
	s_branch .LBB108_369
.LBB108_368:
	v_mov_b32_e32 v0, 0
.LBB108_369:
	v_max_f32_e32 v1, v80, v80
	v_max_f32_e32 v0, v0, v0
	v_min_f32_e32 v0, v0, v1
	v_cvt_f64_f32_e32 v[0:1], v0
	v_lshl_add_u64 v[2:3], v[10:11], 3, v[16:17]
	global_store_dwordx2 v[2:3], v[0:1], off
	s_or_b64 exec, exec, s[2:3]
	s_and_b64 s[4:5], s[14:15], s[18:19]
	s_and_saveexec_b64 s[2:3], s[4:5]
	s_cbranch_execz .LBB108_344
.LBB108_370:
	s_and_b64 vcc, exec, s[0:1]
	s_cbranch_vccnz .LBB108_372
; %bb.371:
	v_lshl_add_u64 v[0:1], v[12:13], 3, v[18:19]
	flat_load_dwordx2 v[0:1], v[0:1]
	s_waitcnt vmcnt(0) lgkmcnt(0)
	v_mul_f64 v[0:1], s[24:25], v[0:1]
	v_cvt_f32_f64_e32 v0, v[0:1]
	s_branch .LBB108_373
.LBB108_372:
	v_mov_b32_e32 v0, 0
.LBB108_373:
	v_max_f32_e32 v1, v79, v79
	v_max_f32_e32 v0, v0, v0
	v_min_f32_e32 v0, v0, v1
	v_cvt_f64_f32_e32 v[0:1], v0
	v_lshl_add_u64 v[2:3], v[12:13], 3, v[16:17]
	global_store_dwordx2 v[2:3], v[0:1], off
	s_or_b64 exec, exec, s[2:3]
	s_and_b64 s[2:3], s[16:17], s[18:19]
	s_and_saveexec_b64 s[4:5], s[2:3]
	s_cbranch_execz .LBB108_345
.LBB108_374:
	s_and_b64 vcc, exec, s[0:1]
	s_cbranch_vccnz .LBB108_376
; %bb.375:
	v_lshl_add_u64 v[0:1], v[14:15], 3, v[18:19]
	flat_load_dwordx2 v[0:1], v[0:1]
	s_waitcnt vmcnt(0) lgkmcnt(0)
	v_mul_f64 v[0:1], s[24:25], v[0:1]
	v_cvt_f32_f64_e32 v0, v[0:1]
	s_branch .LBB108_377
.LBB108_376:
	v_mov_b32_e32 v0, 0
.LBB108_377:
	v_max_f32_e32 v1, v78, v78
	v_max_f32_e32 v0, v0, v0
	v_min_f32_e32 v0, v0, v1
	v_cvt_f64_f32_e32 v[0:1], v0
	v_lshl_add_u64 v[2:3], v[14:15], 3, v[16:17]
	global_store_dwordx2 v[2:3], v[0:1], off
	s_endpgm
	.section	.rodata,"a",@progbits
	.p2align	6, 0x0
	.amdhsa_kernel _ZN12_GLOBAL__N_120geam_min_plus_kernelId15HIP_vector_typeIdLj2EEdLi32ELi8ELi256ELi64ELi4ELi64ELi4ELi4ELi64ELc78ELc78ELb0ELb1ELb1EPKdKS4_KPdEEviiiT16_PT17_ilSA_ilS8_SA_ilPT18_ili26rocblas_geam_ex_operation_
		.amdhsa_group_segment_fixed_size 20480
		.amdhsa_private_segment_fixed_size 0
		.amdhsa_kernarg_size 136
		.amdhsa_user_sgpr_count 2
		.amdhsa_user_sgpr_dispatch_ptr 0
		.amdhsa_user_sgpr_queue_ptr 0
		.amdhsa_user_sgpr_kernarg_segment_ptr 1
		.amdhsa_user_sgpr_dispatch_id 0
		.amdhsa_user_sgpr_kernarg_preload_length 0
		.amdhsa_user_sgpr_kernarg_preload_offset 0
		.amdhsa_user_sgpr_private_segment_size 0
		.amdhsa_uses_dynamic_stack 0
		.amdhsa_enable_private_segment 0
		.amdhsa_system_sgpr_workgroup_id_x 1
		.amdhsa_system_sgpr_workgroup_id_y 0
		.amdhsa_system_sgpr_workgroup_id_z 1
		.amdhsa_system_sgpr_workgroup_info 0
		.amdhsa_system_vgpr_workitem_id 1
		.amdhsa_next_free_vgpr 160
		.amdhsa_next_free_sgpr 44
		.amdhsa_accum_offset 160
		.amdhsa_reserve_vcc 1
		.amdhsa_float_round_mode_32 0
		.amdhsa_float_round_mode_16_64 0
		.amdhsa_float_denorm_mode_32 3
		.amdhsa_float_denorm_mode_16_64 3
		.amdhsa_dx10_clamp 1
		.amdhsa_ieee_mode 1
		.amdhsa_fp16_overflow 0
		.amdhsa_tg_split 0
		.amdhsa_exception_fp_ieee_invalid_op 0
		.amdhsa_exception_fp_denorm_src 0
		.amdhsa_exception_fp_ieee_div_zero 0
		.amdhsa_exception_fp_ieee_overflow 0
		.amdhsa_exception_fp_ieee_underflow 0
		.amdhsa_exception_fp_ieee_inexact 0
		.amdhsa_exception_int_div_zero 0
	.end_amdhsa_kernel
	.section	.text._ZN12_GLOBAL__N_120geam_min_plus_kernelId15HIP_vector_typeIdLj2EEdLi32ELi8ELi256ELi64ELi4ELi64ELi4ELi4ELi64ELc78ELc78ELb0ELb1ELb1EPKdKS4_KPdEEviiiT16_PT17_ilSA_ilS8_SA_ilPT18_ili26rocblas_geam_ex_operation_,"axG",@progbits,_ZN12_GLOBAL__N_120geam_min_plus_kernelId15HIP_vector_typeIdLj2EEdLi32ELi8ELi256ELi64ELi4ELi64ELi4ELi4ELi64ELc78ELc78ELb0ELb1ELb1EPKdKS4_KPdEEviiiT16_PT17_ilSA_ilS8_SA_ilPT18_ili26rocblas_geam_ex_operation_,comdat
.Lfunc_end108:
	.size	_ZN12_GLOBAL__N_120geam_min_plus_kernelId15HIP_vector_typeIdLj2EEdLi32ELi8ELi256ELi64ELi4ELi64ELi4ELi4ELi64ELc78ELc78ELb0ELb1ELb1EPKdKS4_KPdEEviiiT16_PT17_ilSA_ilS8_SA_ilPT18_ili26rocblas_geam_ex_operation_, .Lfunc_end108-_ZN12_GLOBAL__N_120geam_min_plus_kernelId15HIP_vector_typeIdLj2EEdLi32ELi8ELi256ELi64ELi4ELi64ELi4ELi4ELi64ELc78ELc78ELb0ELb1ELb1EPKdKS4_KPdEEviiiT16_PT17_ilSA_ilS8_SA_ilPT18_ili26rocblas_geam_ex_operation_
                                        ; -- End function
	.section	.AMDGPU.csdata,"",@progbits
; Kernel info:
; codeLenInByte = 19176
; NumSgprs: 50
; NumVgprs: 160
; NumAgprs: 0
; TotalNumVgprs: 160
; ScratchSize: 0
; MemoryBound: 0
; FloatMode: 240
; IeeeMode: 1
; LDSByteSize: 20480 bytes/workgroup (compile time only)
; SGPRBlocks: 6
; VGPRBlocks: 19
; NumSGPRsForWavesPerEU: 50
; NumVGPRsForWavesPerEU: 160
; AccumOffset: 160
; Occupancy: 3
; WaveLimiterHint : 1
; COMPUTE_PGM_RSRC2:SCRATCH_EN: 0
; COMPUTE_PGM_RSRC2:USER_SGPR: 2
; COMPUTE_PGM_RSRC2:TRAP_HANDLER: 0
; COMPUTE_PGM_RSRC2:TGID_X_EN: 1
; COMPUTE_PGM_RSRC2:TGID_Y_EN: 0
; COMPUTE_PGM_RSRC2:TGID_Z_EN: 1
; COMPUTE_PGM_RSRC2:TIDIG_COMP_CNT: 1
; COMPUTE_PGM_RSRC3_GFX90A:ACCUM_OFFSET: 39
; COMPUTE_PGM_RSRC3_GFX90A:TG_SPLIT: 0
	.section	.text._ZN12_GLOBAL__N_120geam_min_plus_kernelId15HIP_vector_typeIdLj2EEdLi32ELi8ELi256ELi64ELi4ELi64ELi4ELi4ELi64ELc78ELc78ELb1ELb1ELb1EdKPKdKPdEEviiiT16_PT17_ilSA_ilS8_SA_ilPT18_ili26rocblas_geam_ex_operation_,"axG",@progbits,_ZN12_GLOBAL__N_120geam_min_plus_kernelId15HIP_vector_typeIdLj2EEdLi32ELi8ELi256ELi64ELi4ELi64ELi4ELi4ELi64ELc78ELc78ELb1ELb1ELb1EdKPKdKPdEEviiiT16_PT17_ilSA_ilS8_SA_ilPT18_ili26rocblas_geam_ex_operation_,comdat
	.globl	_ZN12_GLOBAL__N_120geam_min_plus_kernelId15HIP_vector_typeIdLj2EEdLi32ELi8ELi256ELi64ELi4ELi64ELi4ELi4ELi64ELc78ELc78ELb1ELb1ELb1EdKPKdKPdEEviiiT16_PT17_ilSA_ilS8_SA_ilPT18_ili26rocblas_geam_ex_operation_ ; -- Begin function _ZN12_GLOBAL__N_120geam_min_plus_kernelId15HIP_vector_typeIdLj2EEdLi32ELi8ELi256ELi64ELi4ELi64ELi4ELi4ELi64ELc78ELc78ELb1ELb1ELb1EdKPKdKPdEEviiiT16_PT17_ilSA_ilS8_SA_ilPT18_ili26rocblas_geam_ex_operation_
	.p2align	8
	.type	_ZN12_GLOBAL__N_120geam_min_plus_kernelId15HIP_vector_typeIdLj2EEdLi32ELi8ELi256ELi64ELi4ELi64ELi4ELi4ELi64ELc78ELc78ELb1ELb1ELb1EdKPKdKPdEEviiiT16_PT17_ilSA_ilS8_SA_ilPT18_ili26rocblas_geam_ex_operation_,@function
_ZN12_GLOBAL__N_120geam_min_plus_kernelId15HIP_vector_typeIdLj2EEdLi32ELi8ELi256ELi64ELi4ELi64ELi4ELi4ELi64ELc78ELc78ELb1ELb1ELb1EdKPKdKPdEEviiiT16_PT17_ilSA_ilS8_SA_ilPT18_ili26rocblas_geam_ex_operation_: ; @_ZN12_GLOBAL__N_120geam_min_plus_kernelId15HIP_vector_typeIdLj2EEdLi32ELi8ELi256ELi64ELi4ELi64ELi4ELi4ELi64ELc78ELc78ELb1ELb1ELb1EdKPKdKPdEEviiiT16_PT17_ilSA_ilS8_SA_ilPT18_ili26rocblas_geam_ex_operation_
; %bb.0:
	s_load_dwordx4 s[8:11], s[0:1], 0x10
	s_load_dwordx4 s[4:7], s[0:1], 0x28
	s_mov_b32 s14, s3
	s_mov_b64 s[16:17], 0
	s_waitcnt lgkmcnt(0)
	v_cmp_eq_f64_e64 s[12:13], s[8:9], 0
	s_and_b64 vcc, exec, s[12:13]
	s_cbranch_vccnz .LBB109_2
; %bb.1:
	s_mov_b32 s15, 0
	s_lshl_b64 s[8:9], s[14:15], 3
	s_add_u32 s8, s10, s8
	s_addc_u32 s9, s11, s9
	s_load_dwordx2 s[8:9], s[8:9], 0x0
	s_lshl_b64 s[4:5], s[4:5], 3
	s_waitcnt lgkmcnt(0)
	s_add_u32 s16, s8, s4
	s_addc_u32 s17, s9, s5
.LBB109_2:
	s_load_dwordx4 s[20:23], s[0:1], 0x40
	s_load_dwordx2 s[8:9], s[0:1], 0x50
	s_andn2_b64 vcc, exec, s[12:13]
	s_cbranch_vccnz .LBB109_4
; %bb.3:
	s_mov_b32 s15, 0
	s_mov_b64 s[18:19], 0
	s_cbranch_execz .LBB109_5
	s_branch .LBB109_6
.LBB109_4:
                                        ; implicit-def: $sgpr18_sgpr19
.LBB109_5:
	s_mov_b32 s15, 0
	s_lshl_b64 s[4:5], s[14:15], 3
	s_add_u32 s4, s6, s4
	s_addc_u32 s5, s7, s5
	s_load_dwordx2 s[4:5], s[4:5], 0x0
	s_waitcnt lgkmcnt(0)
	s_lshl_b64 s[6:7], s[20:21], 3
	s_add_u32 s18, s4, s6
	s_addc_u32 s19, s5, s7
.LBB109_6:
	s_load_dwordx4 s[4:7], s[0:1], 0x60
	s_waitcnt lgkmcnt(0)
	v_cmp_eq_f64_e64 s[10:11], s[22:23], 0
	s_mov_b64 s[20:21], 0
	v_cmp_neq_f64_e64 s[12:13], s[22:23], 0
	s_and_b64 vcc, exec, s[10:11]
	s_cbranch_vccnz .LBB109_8
; %bb.7:
	s_lshl_b64 s[10:11], s[14:15], 3
	s_add_u32 s8, s8, s10
	s_addc_u32 s9, s9, s11
	s_load_dwordx2 s[8:9], s[8:9], 0x0
	s_lshl_b64 s[4:5], s[4:5], 3
	s_waitcnt lgkmcnt(0)
	s_add_u32 s20, s8, s4
	s_addc_u32 s21, s9, s5
.LBB109_8:
	s_load_dwordx4 s[24:27], s[0:1], 0x0
	s_load_dword s34, s[0:1], 0x20
	s_lshl_b64 s[4:5], s[14:15], 3
	s_add_u32 s4, s6, s4
	s_addc_u32 s5, s7, s5
	s_waitcnt lgkmcnt(0)
	s_add_i32 s3, s24, -1
	s_ashr_i32 s6, s3, 31
	s_lshr_b32 s6, s6, 24
	s_add_i32 s3, s3, s6
	s_ashr_i32 s3, s3, 8
	s_add_i32 s8, s3, 1
	v_cvt_f32_u32_e32 v1, s8
	v_and_b32_e32 v134, 0x3ff, v0
	v_bfe_u32 v135, v0, 10, 10
	s_load_dwordx2 s[14:15], s[4:5], 0x0
	v_rcp_iflag_f32_e32 v1, v1
	s_not_b32 s3, s3
	v_lshl_add_u32 v10, v135, 5, v134
	v_and_b32_e32 v72, 63, v10
	v_mul_f32_e32 v0, 0x4f7ffffe, v1
	v_cvt_u32_f32_e32 v0, v0
	v_lshrrev_b32_e32 v144, 6, v10
	s_mov_b32 s6, -1
	v_cmp_le_i32_e32 vcc, s26, v144
	v_readfirstlane_b32 s4, v0
	s_mul_i32 s3, s3, s4
	s_mul_hi_u32 s3, s4, s3
	s_add_i32 s4, s4, s3
	s_mul_hi_u32 s3, s2, s4
	s_mul_i32 s4, s3, s8
	s_sub_i32 s4, s2, s4
	s_add_i32 s5, s3, 1
	s_sub_i32 s9, s4, s8
	s_cmp_ge_u32 s4, s8
	s_cselect_b32 s3, s5, s3
	s_cselect_b32 s4, s9, s4
	s_add_i32 s5, s3, 1
	s_cmp_ge_u32 s4, s8
	s_cselect_b32 s28, s5, s3
	s_mul_i32 s3, s28, s8
	s_sub_i32 s2, s2, s3
	s_lshl_b32 s27, s2, 8
	v_or_b32_e32 v60, s27, v72
	v_mad_i64_i32 v[0:1], s[2:3], s34, v144, 0
	v_cmp_le_i32_e64 s[2:3], s24, v60
	s_mov_b32 s7, 0x7fefffff
	s_or_b64 s[4:5], s[2:3], vcc
	v_lshl_add_u64 v[8:9], v[0:1], 3, s[16:17]
	s_xor_b64 s[8:9], s[4:5], -1
	v_mov_b64_e32 v[0:1], s[6:7]
	v_ashrrev_i32_e32 v61, 31, v60
	s_and_saveexec_b64 s[4:5], s[8:9]
	s_cbranch_execz .LBB109_10
; %bb.9:
	v_lshl_add_u64 v[0:1], v[60:61], 3, v[8:9]
	flat_load_dwordx2 v[0:1], v[0:1]
.LBB109_10:
	s_or_b64 exec, exec, s[4:5]
	v_or_b32_e32 v2, 64, v60
	v_cmp_le_i32_e64 s[4:5], s24, v2
	s_or_b64 s[8:9], s[4:5], vcc
	s_xor_b64 s[8:9], s[8:9], -1
	v_mov_b64_e32 v[2:3], s[6:7]
	s_and_saveexec_b64 s[6:7], s[8:9]
	s_cbranch_execz .LBB109_12
; %bb.11:
	v_lshl_add_u64 v[2:3], v[60:61], 3, v[8:9]
	flat_load_dwordx2 v[2:3], v[2:3] offset:512
.LBB109_12:
	s_or_b64 exec, exec, s[6:7]
	v_or_b32_e32 v4, 0x80, v60
	v_cmp_le_i32_e64 s[6:7], s24, v4
	s_mov_b32 s10, -1
	s_or_b64 s[8:9], s[6:7], vcc
	s_mov_b32 s11, 0x7fefffff
	s_ashr_i32 s35, s34, 31
	s_xor_b64 s[30:31], s[8:9], -1
	v_mov_b64_e32 v[4:5], s[10:11]
	s_and_saveexec_b64 s[8:9], s[30:31]
	s_cbranch_execz .LBB109_14
; %bb.13:
	v_lshl_add_u64 v[4:5], v[60:61], 3, v[8:9]
	flat_load_dwordx2 v[4:5], v[4:5] offset:1024
.LBB109_14:
	s_or_b64 exec, exec, s[8:9]
	v_or_b32_e32 v6, 0xc0, v60
	v_cmp_le_i32_e64 s[8:9], s24, v6
	s_or_b64 s[30:31], s[8:9], vcc
	s_xor_b64 s[30:31], s[30:31], -1
	v_mov_b64_e32 v[6:7], s[10:11]
	s_and_saveexec_b64 s[10:11], s[30:31]
	s_cbranch_execz .LBB109_16
; %bb.15:
	v_lshl_add_u64 v[6:7], v[60:61], 3, v[8:9]
	flat_load_dwordx2 v[6:7], v[6:7] offset:1536
.LBB109_16:
	s_or_b64 exec, exec, s[10:11]
	s_load_dword s36, s[0:1], 0x38
	v_lshrrev_b32_e32 v14, 2, v10
	s_lshl_b32 s33, s28, 6
	v_add_u32_e32 v73, s33, v14
	v_and_b32_e32 v145, 3, v134
	v_cmp_le_i32_e64 s[10:11], s25, v73
	s_mov_b32 s28, -1
	v_cmp_gt_i32_e32 vcc, s26, v145
	s_xor_b64 s[10:11], s[10:11], -1
	s_mov_b32 s29, 0x7fefffff
	s_and_b64 s[38:39], vcc, s[10:11]
	v_mov_b64_e32 v[10:11], s[28:29]
	v_lshlrev_b32_e32 v8, 3, v145
	s_and_saveexec_b64 s[30:31], s[38:39]
	s_cbranch_execz .LBB109_18
; %bb.17:
	s_waitcnt lgkmcnt(0)
	v_mad_i64_i32 v[10:11], s[38:39], v73, s36, 0
	v_lshl_add_u64 v[10:11], v[10:11], 3, s[18:19]
	v_mov_b32_e32 v9, 0
	v_lshl_add_u64 v[10:11], v[10:11], 0, v[8:9]
	flat_load_dwordx2 v[10:11], v[10:11]
.LBB109_18:
	s_or_b64 exec, exec, s[30:31]
	v_add_u32_e32 v9, 4, v144
	v_cmp_le_i32_e32 vcc, s26, v9
	v_mad_i64_i32 v[12:13], s[30:31], s34, v9, 0
	s_or_b64 s[30:31], s[2:3], vcc
	v_lshl_add_u64 v[12:13], v[12:13], 3, s[16:17]
	s_xor_b64 s[30:31], s[30:31], -1
	v_mov_b64_e32 v[62:63], s[28:29]
	s_and_saveexec_b64 s[28:29], s[30:31]
	s_cbranch_execz .LBB109_20
; %bb.19:
	v_lshl_add_u64 v[16:17], v[60:61], 3, v[12:13]
	flat_load_dwordx2 v[62:63], v[16:17]
.LBB109_20:
	s_or_b64 exec, exec, s[28:29]
	s_or_b64 s[28:29], s[4:5], vcc
	s_xor_b64 s[38:39], s[28:29], -1
	s_mov_b32 s28, -1
	s_mov_b32 s29, 0x7fefffff
	v_mov_b64_e32 v[64:65], s[28:29]
	s_and_saveexec_b64 s[30:31], s[38:39]
	s_cbranch_execz .LBB109_22
; %bb.21:
	v_lshl_add_u64 v[16:17], v[60:61], 3, v[12:13]
	flat_load_dwordx2 v[64:65], v[16:17] offset:512
.LBB109_22:
	s_or_b64 exec, exec, s[30:31]
	s_or_b64 s[30:31], s[6:7], vcc
	s_xor_b64 s[30:31], s[30:31], -1
	v_mov_b64_e32 v[66:67], s[28:29]
	s_and_saveexec_b64 s[28:29], s[30:31]
	s_cbranch_execz .LBB109_24
; %bb.23:
	v_lshl_add_u64 v[16:17], v[60:61], 3, v[12:13]
	flat_load_dwordx2 v[66:67], v[16:17] offset:1024
.LBB109_24:
	s_or_b64 exec, exec, s[28:29]
	s_or_b64 s[28:29], s[8:9], vcc
	s_xor_b64 s[38:39], s[28:29], -1
	s_mov_b32 s28, -1
	s_mov_b32 s29, 0x7fefffff
	v_mov_b64_e32 v[68:69], s[28:29]
	s_and_saveexec_b64 s[30:31], s[38:39]
	s_cbranch_execz .LBB109_26
; %bb.25:
	v_lshl_add_u64 v[12:13], v[60:61], 3, v[12:13]
	flat_load_dwordx2 v[68:69], v[12:13] offset:1536
.LBB109_26:
	s_or_b64 exec, exec, s[30:31]
	v_or_b32_e32 v9, 4, v145
	v_cmp_gt_i32_e32 vcc, s26, v9
	s_and_b64 s[30:31], vcc, s[10:11]
	v_mov_b64_e32 v[70:71], s[28:29]
	s_and_saveexec_b64 s[28:29], s[30:31]
	s_cbranch_execz .LBB109_28
; %bb.27:
	s_waitcnt lgkmcnt(0)
	v_mad_i64_i32 v[12:13], s[30:31], v73, s36, 0
	v_lshl_add_u64 v[12:13], v[12:13], 3, s[18:19]
	v_mov_b32_e32 v9, 0
	v_lshl_add_u64 v[12:13], v[12:13], 0, v[8:9]
	flat_load_dwordx2 v[70:71], v[12:13] offset:32
.LBB109_28:
	s_or_b64 exec, exec, s[28:29]
	v_lshlrev_b32_e32 v9, 3, v144
	v_lshl_or_b32 v74, v14, 5, v8
	v_lshl_add_u32 v146, v72, 5, v9
	v_add_u32_e32 v147, 0x4000, v74
	s_mov_b32 s30, 0
	s_mov_b64 s[28:29], -1
	v_mov_b32_e32 v78, 0x7f800000
	v_mov_b32_e32 v79, 0x7f800000
	v_mov_b32_e32 v80, 0x7f800000
	v_mov_b32_e32 v81, 0x7f800000
	v_mov_b32_e32 v82, 0x7f800000
	v_mov_b32_e32 v83, 0x7f800000
	v_mov_b32_e32 v84, 0x7f800000
	v_mov_b32_e32 v85, 0x7f800000
	v_mov_b32_e32 v86, 0x7f800000
	v_mov_b32_e32 v87, 0x7f800000
	v_mov_b32_e32 v88, 0x7f800000
	v_mov_b32_e32 v89, 0x7f800000
	v_mov_b32_e32 v90, 0x7f800000
	v_mov_b32_e32 v91, 0x7f800000
	v_mov_b32_e32 v92, 0x7f800000
	v_mov_b32_e32 v93, 0x7f800000
	v_mov_b32_e32 v94, 0x7f800000
	v_mov_b32_e32 v95, 0x7f800000
	v_mov_b32_e32 v96, 0x7f800000
	v_mov_b32_e32 v97, 0x7f800000
	v_mov_b32_e32 v98, 0x7f800000
	v_mov_b32_e32 v99, 0x7f800000
	v_mov_b32_e32 v100, 0x7f800000
	v_mov_b32_e32 v101, 0x7f800000
	v_mov_b32_e32 v102, 0x7f800000
	v_mov_b32_e32 v103, 0x7f800000
	v_mov_b32_e32 v104, 0x7f800000
	v_mov_b32_e32 v105, 0x7f800000
	v_mov_b32_e32 v106, 0x7f800000
	v_mov_b32_e32 v107, 0x7f800000
	v_mov_b32_e32 v108, 0x7f800000
	v_mov_b32_e32 v109, 0x7f800000
	v_mov_b32_e32 v110, 0x7f800000
	v_mov_b32_e32 v111, 0x7f800000
	v_mov_b32_e32 v112, 0x7f800000
	v_mov_b32_e32 v113, 0x7f800000
	v_mov_b32_e32 v114, 0x7f800000
	v_mov_b32_e32 v115, 0x7f800000
	v_mov_b32_e32 v116, 0x7f800000
	v_mov_b32_e32 v117, 0x7f800000
	v_mov_b32_e32 v118, 0x7f800000
	v_mov_b32_e32 v119, 0x7f800000
	v_mov_b32_e32 v120, 0x7f800000
	v_mov_b32_e32 v121, 0x7f800000
	v_mov_b32_e32 v122, 0x7f800000
	v_mov_b32_e32 v123, 0x7f800000
	v_mov_b32_e32 v124, 0x7f800000
	v_mov_b32_e32 v125, 0x7f800000
	v_mov_b32_e32 v126, 0x7f800000
	v_mov_b32_e32 v127, 0x7f800000
	v_mov_b32_e32 v128, 0x7f800000
	v_mov_b32_e32 v129, 0x7f800000
	v_mov_b32_e32 v130, 0x7f800000
	v_mov_b32_e32 v131, 0x7f800000
	v_mov_b32_e32 v132, 0x7f800000
	v_mov_b32_e32 v133, 0x7f800000
	v_mov_b32_e32 v136, 0x7f800000
	v_mov_b32_e32 v137, 0x7f800000
	v_mov_b32_e32 v138, 0x7f800000
	v_mov_b32_e32 v139, 0x7f800000
	v_mov_b32_e32 v140, 0x7f800000
	v_mov_b32_e32 v141, 0x7f800000
	v_mov_b32_e32 v142, 0x7f800000
	v_mov_b32_e32 v143, 0x7f800000
	s_waitcnt vmcnt(0) lgkmcnt(0)
	ds_write2st64_b64 v146, v[0:1], v[2:3] offset1:4
	ds_write2st64_b64 v146, v[4:5], v[6:7] offset0:8 offset1:12
	ds_write_b64 v74, v[10:11] offset:16384
	s_waitcnt lgkmcnt(0)
	s_barrier
.LBB109_29:                             ; =>This Inner Loop Header: Depth=1
	v_cndmask_b32_e64 v0, 0, 1, s[28:29]
	s_lshl_b32 s28, s30, 3
	v_cmp_ne_u32_e32 vcc, 1, v0
	v_lshl_add_u32 v0, v134, 5, s28
	v_lshl_add_u32 v20, v135, 5, s28
	ds_read_b128 v[32:35], v0
	ds_read_b128 v[28:31], v0 offset:1024
	ds_read_b128 v[24:27], v0 offset:2048
	;; [unrolled: 1-line block ×15, first 2 shown]
	s_waitcnt lgkmcnt(7)
	v_add_f64 v[76:77], v[34:35], v[150:151]
	v_add_f64 v[152:153], v[32:33], v[148:149]
	v_cvt_f32_f64_e32 v75, v[152:153]
	v_cvt_f32_f64_e32 v76, v[76:77]
	v_min3_f32 v143, v75, v76, v143
	v_add_f64 v[76:77], v[30:31], v[150:151]
	v_add_f64 v[152:153], v[28:29], v[148:149]
	v_cvt_f32_f64_e32 v75, v[152:153]
	v_cvt_f32_f64_e32 v76, v[76:77]
	v_min3_f32 v142, v75, v76, v142
	;; [unrolled: 5-line block ×8, first 2 shown]
	s_waitcnt lgkmcnt(6)
	v_add_f64 v[76:77], v[34:35], v[58:59]
	v_add_f64 v[148:149], v[32:33], v[56:57]
	v_cvt_f32_f64_e32 v75, v[148:149]
	v_cvt_f32_f64_e32 v76, v[76:77]
	v_min3_f32 v133, v75, v76, v133
	v_add_f64 v[76:77], v[30:31], v[58:59]
	v_add_f64 v[148:149], v[28:29], v[56:57]
	v_cvt_f32_f64_e32 v75, v[148:149]
	v_cvt_f32_f64_e32 v76, v[76:77]
	v_min3_f32 v132, v75, v76, v132
	v_add_f64 v[76:77], v[26:27], v[58:59]
	v_add_f64 v[148:149], v[24:25], v[56:57]
	v_cvt_f32_f64_e32 v75, v[148:149]
	v_cvt_f32_f64_e32 v76, v[76:77]
	v_min3_f32 v131, v75, v76, v131
	v_add_f64 v[76:77], v[18:19], v[58:59]
	v_add_f64 v[148:149], v[16:17], v[56:57]
	v_cvt_f32_f64_e32 v75, v[148:149]
	v_cvt_f32_f64_e32 v76, v[76:77]
	v_min3_f32 v130, v75, v76, v130
	v_add_f64 v[76:77], v[14:15], v[58:59]
	v_add_f64 v[148:149], v[12:13], v[56:57]
	v_cvt_f32_f64_e32 v75, v[148:149]
	v_cvt_f32_f64_e32 v76, v[76:77]
	v_min3_f32 v129, v75, v76, v129
	v_add_f64 v[76:77], v[10:11], v[58:59]
	v_add_f64 v[148:149], v[8:9], v[56:57]
	v_cvt_f32_f64_e32 v75, v[148:149]
	v_cvt_f32_f64_e32 v76, v[76:77]
	v_min3_f32 v128, v75, v76, v128
	v_add_f64 v[76:77], v[6:7], v[58:59]
	v_add_f64 v[148:149], v[4:5], v[56:57]
	v_add_f64 v[58:59], v[2:3], v[58:59]
	v_add_f64 v[56:57], v[0:1], v[56:57]
	v_cvt_f32_f64_e32 v56, v[56:57]
	v_cvt_f32_f64_e32 v57, v[58:59]
	v_min3_f32 v126, v56, v57, v126
	s_waitcnt lgkmcnt(5)
	v_add_f64 v[56:57], v[34:35], v[54:55]
	v_add_f64 v[58:59], v[32:33], v[52:53]
	v_cvt_f32_f64_e32 v58, v[58:59]
	v_cvt_f32_f64_e32 v56, v[56:57]
	v_min3_f32 v125, v58, v56, v125
	v_add_f64 v[56:57], v[30:31], v[54:55]
	v_add_f64 v[58:59], v[28:29], v[52:53]
	v_cvt_f32_f64_e32 v58, v[58:59]
	v_cvt_f32_f64_e32 v56, v[56:57]
	v_min3_f32 v124, v58, v56, v124
	v_add_f64 v[56:57], v[26:27], v[54:55]
	v_add_f64 v[58:59], v[24:25], v[52:53]
	v_cvt_f32_f64_e32 v58, v[58:59]
	v_cvt_f32_f64_e32 v56, v[56:57]
	v_min3_f32 v123, v58, v56, v123
	v_add_f64 v[56:57], v[18:19], v[54:55]
	v_add_f64 v[58:59], v[16:17], v[52:53]
	v_cvt_f32_f64_e32 v58, v[58:59]
	v_cvt_f32_f64_e32 v56, v[56:57]
	v_min3_f32 v122, v58, v56, v122
	v_add_f64 v[56:57], v[14:15], v[54:55]
	v_add_f64 v[58:59], v[12:13], v[52:53]
	v_cvt_f32_f64_e32 v58, v[58:59]
	v_cvt_f32_f64_e32 v56, v[56:57]
	v_min3_f32 v121, v58, v56, v121
	v_add_f64 v[56:57], v[10:11], v[54:55]
	v_add_f64 v[58:59], v[8:9], v[52:53]
	v_cvt_f32_f64_e32 v58, v[58:59]
	v_cvt_f32_f64_e32 v56, v[56:57]
	v_min3_f32 v120, v58, v56, v120
	v_add_f64 v[56:57], v[6:7], v[54:55]
	v_add_f64 v[58:59], v[4:5], v[52:53]
	v_add_f64 v[54:55], v[2:3], v[54:55]
	v_add_f64 v[52:53], v[0:1], v[52:53]
	v_cvt_f32_f64_e32 v52, v[52:53]
	v_cvt_f32_f64_e32 v53, v[54:55]
	v_min3_f32 v118, v52, v53, v118
	;; [unrolled: 38-line block ×5, first 2 shown]
	s_waitcnt lgkmcnt(1)
	v_add_f64 v[40:41], v[34:35], v[38:39]
	v_add_f64 v[42:43], v[32:33], v[36:37]
	v_cvt_f32_f64_e32 v42, v[42:43]
	v_cvt_f32_f64_e32 v40, v[40:41]
	v_min3_f32 v93, v42, v40, v93
	v_add_f64 v[40:41], v[30:31], v[38:39]
	v_add_f64 v[42:43], v[28:29], v[36:37]
	v_cvt_f32_f64_e32 v42, v[42:43]
	v_cvt_f32_f64_e32 v40, v[40:41]
	v_min3_f32 v92, v42, v40, v92
	;; [unrolled: 5-line block ×6, first 2 shown]
	v_add_f64 v[40:41], v[6:7], v[38:39]
	v_add_f64 v[42:43], v[4:5], v[36:37]
	v_add_f64 v[38:39], v[2:3], v[38:39]
	v_add_f64 v[36:37], v[0:1], v[36:37]
	s_waitcnt lgkmcnt(0)
	v_add_f64 v[34:35], v[34:35], v[22:23]
	v_add_f64 v[32:33], v[32:33], v[20:21]
	;; [unrolled: 1-line block ×16, first 2 shown]
	v_cvt_f32_f64_e32 v75, v[148:149]
	v_cvt_f32_f64_e32 v76, v[76:77]
	;; [unrolled: 1-line block ×30, first 2 shown]
	v_min3_f32 v127, v75, v76, v127
	v_min3_f32 v119, v58, v56, v119
	;; [unrolled: 1-line block ×15, first 2 shown]
	s_mov_b32 s30, 2
	s_mov_b64 s[28:29], 0
	s_cbranch_vccz .LBB109_29
; %bb.30:
	v_lshlrev_b32_e32 v0, 5, v72
	v_lshl_add_u32 v0, v144, 3, v0
	s_cmp_gt_i32 s26, 8
	s_mov_b32 s30, 8
	ds_write2st64_b64 v0, v[62:63], v[64:65] offset0:16 offset1:20
	ds_write2st64_b64 v0, v[66:67], v[68:69] offset0:24 offset1:28
	ds_write_b64 v74, v[70:71] offset:18432
	s_waitcnt lgkmcnt(0)
	s_barrier
	s_cbranch_scc0 .LBB109_57
; %bb.31:
	v_add_u32_e32 v148, 0x2000, v0
	v_mad_i64_i32 v[0:1], s[28:29], v73, s36, 0
	v_lshl_add_u64 v[62:63], v[0:1], 3, s[18:19]
	s_mov_b32 s18, -1
	v_add_u32_e32 v149, 0x4800, v74
	s_add_i32 s31, s26, -8
	v_lshl_add_u64 v[64:65], v[62:63], 0, 32
	s_mov_b32 s36, 0
	s_mov_b32 s19, 0x7fefffff
	v_mov_b32_e32 v67, 0
.LBB109_32:                             ; =>This Loop Header: Depth=1
                                        ;     Child Loop BB109_43 Depth 2
                                        ;     Child Loop BB109_55 Depth 2
	v_add_u32_e32 v3, s30, v144
	v_mad_u64_u32 v[0:1], s[28:29], v3, s34, 0
	v_mov_b32_e32 v2, v1
	v_cmp_le_i32_e32 vcc, s26, v3
	v_mad_u64_u32 v[2:3], s[28:29], v3, s35, v[2:3]
	v_mov_b32_e32 v1, v2
	v_lshl_add_u64 v[0:1], v[0:1], 3, s[16:17]
	s_or_b64 s[28:29], s[2:3], vcc
	s_xor_b64 s[38:39], s[28:29], -1
	v_mov_b64_e32 v[68:69], s[18:19]
	v_lshl_add_u64 v[0:1], v[60:61], 3, v[0:1]
	s_and_saveexec_b64 s[28:29], s[38:39]
	s_cbranch_execz .LBB109_34
; %bb.33:                               ;   in Loop: Header=BB109_32 Depth=1
	flat_load_dwordx2 v[68:69], v[0:1]
.LBB109_34:                             ;   in Loop: Header=BB109_32 Depth=1
	s_or_b64 exec, exec, s[28:29]
	s_or_b64 s[28:29], s[4:5], vcc
	s_xor_b64 s[38:39], s[28:29], -1
	v_mov_b64_e32 v[70:71], s[18:19]
	s_and_saveexec_b64 s[28:29], s[38:39]
	s_cbranch_execz .LBB109_36
; %bb.35:                               ;   in Loop: Header=BB109_32 Depth=1
	flat_load_dwordx2 v[70:71], v[0:1] offset:512
.LBB109_36:                             ;   in Loop: Header=BB109_32 Depth=1
	s_or_b64 exec, exec, s[28:29]
	s_or_b64 s[28:29], s[6:7], vcc
	s_xor_b64 s[38:39], s[28:29], -1
	v_mov_b64_e32 v[72:73], s[18:19]
	s_and_saveexec_b64 s[28:29], s[38:39]
	s_cbranch_execz .LBB109_38
; %bb.37:                               ;   in Loop: Header=BB109_32 Depth=1
	flat_load_dwordx2 v[72:73], v[0:1] offset:1024
.LBB109_38:                             ;   in Loop: Header=BB109_32 Depth=1
	;; [unrolled: 9-line block ×3, first 2 shown]
	s_or_b64 exec, exec, s[28:29]
	v_or_b32_e32 v66, s30, v145
	v_cmp_gt_i32_e32 vcc, s26, v66
	s_and_b64 s[38:39], vcc, s[10:11]
	v_mov_b64_e32 v[76:77], s[18:19]
	s_and_saveexec_b64 s[28:29], s[38:39]
	s_cbranch_execz .LBB109_42
; %bb.41:                               ;   in Loop: Header=BB109_32 Depth=1
	v_lshl_add_u64 v[0:1], v[66:67], 3, v[62:63]
	flat_load_dwordx2 v[76:77], v[0:1]
.LBB109_42:                             ;   in Loop: Header=BB109_32 Depth=1
	s_or_b64 exec, exec, s[28:29]
	s_mov_b32 s37, 0
	s_mov_b64 s[28:29], -1
.LBB109_43:                             ;   Parent Loop BB109_32 Depth=1
                                        ; =>  This Inner Loop Header: Depth=2
	v_cndmask_b32_e64 v0, 0, 1, s[28:29]
	s_lshl_b32 s28, s37, 3
	v_cmp_ne_u32_e32 vcc, 1, v0
	v_lshl_add_u32 v0, v134, 5, s28
	v_lshl_add_u32 v20, v135, 5, s28
	ds_read_b128 v[32:35], v0 offset:8192
	ds_read_b128 v[28:31], v0 offset:9216
	;; [unrolled: 1-line block ×16, first 2 shown]
	s_waitcnt lgkmcnt(0)
	v_add_f64 v[154:155], v[34:35], v[152:153]
	v_add_f64 v[156:157], v[32:33], v[150:151]
	v_cvt_f32_f64_e32 v156, v[156:157]
	v_cvt_f32_f64_e32 v154, v[154:155]
	v_min3_f32 v143, v156, v154, v143
	v_add_f64 v[154:155], v[30:31], v[152:153]
	v_add_f64 v[156:157], v[28:29], v[150:151]
	v_cvt_f32_f64_e32 v156, v[156:157]
	v_cvt_f32_f64_e32 v154, v[154:155]
	v_min3_f32 v142, v156, v154, v142
	v_add_f64 v[154:155], v[26:27], v[152:153]
	v_add_f64 v[156:157], v[24:25], v[150:151]
	v_cvt_f32_f64_e32 v156, v[156:157]
	v_cvt_f32_f64_e32 v154, v[154:155]
	v_min3_f32 v141, v156, v154, v141
	v_add_f64 v[154:155], v[18:19], v[152:153]
	v_add_f64 v[156:157], v[16:17], v[150:151]
	v_cvt_f32_f64_e32 v156, v[156:157]
	v_cvt_f32_f64_e32 v154, v[154:155]
	v_min3_f32 v140, v156, v154, v140
	v_add_f64 v[154:155], v[14:15], v[152:153]
	v_add_f64 v[156:157], v[12:13], v[150:151]
	v_cvt_f32_f64_e32 v156, v[156:157]
	v_cvt_f32_f64_e32 v154, v[154:155]
	v_min3_f32 v139, v156, v154, v139
	v_add_f64 v[154:155], v[10:11], v[152:153]
	v_add_f64 v[156:157], v[8:9], v[150:151]
	v_cvt_f32_f64_e32 v156, v[156:157]
	v_cvt_f32_f64_e32 v154, v[154:155]
	v_min3_f32 v138, v156, v154, v138
	v_add_f64 v[154:155], v[6:7], v[152:153]
	v_add_f64 v[156:157], v[4:5], v[150:151]
	v_add_f64 v[152:153], v[2:3], v[152:153]
	v_add_f64 v[150:151], v[0:1], v[150:151]
	v_cvt_f32_f64_e32 v150, v[150:151]
	v_cvt_f32_f64_e32 v151, v[152:153]
	v_min3_f32 v136, v150, v151, v136
	v_add_f64 v[150:151], v[34:35], v[58:59]
	v_add_f64 v[152:153], v[32:33], v[56:57]
	v_cvt_f32_f64_e32 v152, v[152:153]
	v_cvt_f32_f64_e32 v150, v[150:151]
	v_min3_f32 v133, v152, v150, v133
	v_add_f64 v[150:151], v[30:31], v[58:59]
	v_add_f64 v[152:153], v[28:29], v[56:57]
	v_cvt_f32_f64_e32 v152, v[152:153]
	v_cvt_f32_f64_e32 v150, v[150:151]
	v_min3_f32 v132, v152, v150, v132
	v_add_f64 v[150:151], v[26:27], v[58:59]
	v_add_f64 v[152:153], v[24:25], v[56:57]
	v_cvt_f32_f64_e32 v152, v[152:153]
	v_cvt_f32_f64_e32 v150, v[150:151]
	v_min3_f32 v131, v152, v150, v131
	v_add_f64 v[150:151], v[18:19], v[58:59]
	v_add_f64 v[152:153], v[16:17], v[56:57]
	v_cvt_f32_f64_e32 v152, v[152:153]
	v_cvt_f32_f64_e32 v150, v[150:151]
	v_min3_f32 v130, v152, v150, v130
	v_add_f64 v[150:151], v[14:15], v[58:59]
	v_add_f64 v[152:153], v[12:13], v[56:57]
	v_cvt_f32_f64_e32 v152, v[152:153]
	v_cvt_f32_f64_e32 v150, v[150:151]
	v_min3_f32 v129, v152, v150, v129
	v_add_f64 v[150:151], v[10:11], v[58:59]
	v_add_f64 v[152:153], v[8:9], v[56:57]
	v_cvt_f32_f64_e32 v152, v[152:153]
	v_cvt_f32_f64_e32 v150, v[150:151]
	v_min3_f32 v128, v152, v150, v128
	v_add_f64 v[150:151], v[6:7], v[58:59]
	v_add_f64 v[152:153], v[4:5], v[56:57]
	v_add_f64 v[58:59], v[2:3], v[58:59]
	v_add_f64 v[56:57], v[0:1], v[56:57]
	v_cvt_f32_f64_e32 v56, v[56:57]
	v_cvt_f32_f64_e32 v57, v[58:59]
	v_min3_f32 v126, v56, v57, v126
	;; [unrolled: 37-line block ×6, first 2 shown]
	v_add_f64 v[40:41], v[34:35], v[38:39]
	v_add_f64 v[42:43], v[32:33], v[36:37]
	v_cvt_f32_f64_e32 v42, v[42:43]
	v_cvt_f32_f64_e32 v40, v[40:41]
	v_min3_f32 v93, v42, v40, v93
	v_add_f64 v[40:41], v[30:31], v[38:39]
	v_add_f64 v[42:43], v[28:29], v[36:37]
	v_cvt_f32_f64_e32 v42, v[42:43]
	v_cvt_f32_f64_e32 v40, v[40:41]
	v_min3_f32 v92, v42, v40, v92
	;; [unrolled: 5-line block ×6, first 2 shown]
	v_add_f64 v[40:41], v[6:7], v[38:39]
	v_add_f64 v[42:43], v[4:5], v[36:37]
	;; [unrolled: 1-line block ×20, first 2 shown]
	v_cvt_f32_f64_e32 v156, v[156:157]
	v_cvt_f32_f64_e32 v154, v[154:155]
	;; [unrolled: 1-line block ×32, first 2 shown]
	v_min3_f32 v137, v156, v154, v137
	v_min3_f32 v127, v152, v150, v127
	;; [unrolled: 1-line block ×16, first 2 shown]
	s_mov_b32 s37, 2
	s_mov_b64 s[28:29], 0
	s_cbranch_vccz .LBB109_43
; %bb.44:                               ;   in Loop: Header=BB109_32 Depth=1
	v_add3_u32 v3, v144, s30, 4
	v_mad_u64_u32 v[0:1], s[28:29], v3, s34, 0
	v_mov_b32_e32 v2, v1
	v_cmp_le_i32_e32 vcc, s26, v3
	v_mad_u64_u32 v[2:3], s[28:29], v3, s35, v[2:3]
	v_mov_b32_e32 v1, v2
	v_lshl_add_u64 v[0:1], v[0:1], 3, s[16:17]
	s_or_b64 s[28:29], s[2:3], vcc
	s_waitcnt vmcnt(0)
	ds_write2st64_b64 v146, v[68:69], v[70:71] offset1:4
	ds_write2st64_b64 v146, v[72:73], v[74:75] offset0:8 offset1:12
	ds_write_b64 v147, v[76:77]
	s_xor_b64 s[38:39], s[28:29], -1
	v_mov_b64_e32 v[68:69], s[18:19]
	v_lshl_add_u64 v[0:1], v[60:61], 3, v[0:1]
	s_waitcnt lgkmcnt(0)
	s_barrier
	s_and_saveexec_b64 s[28:29], s[38:39]
	s_cbranch_execz .LBB109_46
; %bb.45:                               ;   in Loop: Header=BB109_32 Depth=1
	flat_load_dwordx2 v[68:69], v[0:1]
.LBB109_46:                             ;   in Loop: Header=BB109_32 Depth=1
	s_or_b64 exec, exec, s[28:29]
	s_or_b64 s[28:29], s[4:5], vcc
	s_xor_b64 s[38:39], s[28:29], -1
	v_mov_b64_e32 v[70:71], s[18:19]
	s_and_saveexec_b64 s[28:29], s[38:39]
	s_cbranch_execz .LBB109_48
; %bb.47:                               ;   in Loop: Header=BB109_32 Depth=1
	flat_load_dwordx2 v[70:71], v[0:1] offset:512
.LBB109_48:                             ;   in Loop: Header=BB109_32 Depth=1
	s_or_b64 exec, exec, s[28:29]
	s_or_b64 s[28:29], s[6:7], vcc
	s_xor_b64 s[38:39], s[28:29], -1
	v_mov_b64_e32 v[72:73], s[18:19]
	s_and_saveexec_b64 s[28:29], s[38:39]
	s_cbranch_execz .LBB109_50
; %bb.49:                               ;   in Loop: Header=BB109_32 Depth=1
	flat_load_dwordx2 v[72:73], v[0:1] offset:1024
.LBB109_50:                             ;   in Loop: Header=BB109_32 Depth=1
	;; [unrolled: 9-line block ×3, first 2 shown]
	s_or_b64 exec, exec, s[28:29]
	v_or_b32_e32 v0, 4, v66
	v_cmp_gt_i32_e32 vcc, s26, v0
	s_and_b64 s[38:39], vcc, s[10:11]
	v_mov_b64_e32 v[76:77], s[18:19]
	s_and_saveexec_b64 s[28:29], s[38:39]
	s_cbranch_execz .LBB109_54
; %bb.53:                               ;   in Loop: Header=BB109_32 Depth=1
	v_lshl_add_u64 v[0:1], v[66:67], 3, v[64:65]
	flat_load_dwordx2 v[76:77], v[0:1]
.LBB109_54:                             ;   in Loop: Header=BB109_32 Depth=1
	s_or_b64 exec, exec, s[28:29]
	s_mov_b32 s37, 0
	s_mov_b64 s[28:29], -1
.LBB109_55:                             ;   Parent Loop BB109_32 Depth=1
                                        ; =>  This Inner Loop Header: Depth=2
	v_cndmask_b32_e64 v0, 0, 1, s[28:29]
	s_lshl_b32 s28, s37, 3
	v_cmp_ne_u32_e32 vcc, 1, v0
	v_lshl_add_u32 v0, v134, 5, s28
	v_lshl_add_u32 v20, v135, 5, s28
	ds_read_b128 v[32:35], v0
	ds_read_b128 v[28:31], v0 offset:1024
	ds_read_b128 v[24:27], v0 offset:2048
	;; [unrolled: 1-line block ×15, first 2 shown]
	s_waitcnt lgkmcnt(0)
	v_add_f64 v[154:155], v[34:35], v[152:153]
	v_add_f64 v[156:157], v[32:33], v[150:151]
	v_cvt_f32_f64_e32 v66, v[156:157]
	v_cvt_f32_f64_e32 v154, v[154:155]
	v_min3_f32 v143, v66, v154, v143
	v_add_f64 v[154:155], v[30:31], v[152:153]
	v_add_f64 v[156:157], v[28:29], v[150:151]
	v_cvt_f32_f64_e32 v66, v[156:157]
	v_cvt_f32_f64_e32 v154, v[154:155]
	v_min3_f32 v142, v66, v154, v142
	;; [unrolled: 5-line block ×6, first 2 shown]
	v_add_f64 v[154:155], v[6:7], v[152:153]
	v_add_f64 v[156:157], v[4:5], v[150:151]
	v_cvt_f32_f64_e32 v66, v[156:157]
	v_cvt_f32_f64_e32 v154, v[154:155]
	v_add_f64 v[152:153], v[2:3], v[152:153]
	v_add_f64 v[150:151], v[0:1], v[150:151]
	v_min3_f32 v137, v66, v154, v137
	v_cvt_f32_f64_e32 v66, v[150:151]
	v_cvt_f32_f64_e32 v150, v[152:153]
	v_min3_f32 v136, v66, v150, v136
	v_add_f64 v[150:151], v[34:35], v[58:59]
	v_add_f64 v[152:153], v[32:33], v[56:57]
	v_cvt_f32_f64_e32 v66, v[152:153]
	v_cvt_f32_f64_e32 v150, v[150:151]
	v_min3_f32 v133, v66, v150, v133
	v_add_f64 v[150:151], v[30:31], v[58:59]
	v_add_f64 v[152:153], v[28:29], v[56:57]
	v_cvt_f32_f64_e32 v66, v[152:153]
	v_cvt_f32_f64_e32 v150, v[150:151]
	v_min3_f32 v132, v66, v150, v132
	v_add_f64 v[150:151], v[26:27], v[58:59]
	v_add_f64 v[152:153], v[24:25], v[56:57]
	v_cvt_f32_f64_e32 v66, v[152:153]
	v_cvt_f32_f64_e32 v150, v[150:151]
	v_min3_f32 v131, v66, v150, v131
	v_add_f64 v[150:151], v[18:19], v[58:59]
	v_add_f64 v[152:153], v[16:17], v[56:57]
	v_cvt_f32_f64_e32 v66, v[152:153]
	v_cvt_f32_f64_e32 v150, v[150:151]
	v_min3_f32 v130, v66, v150, v130
	v_add_f64 v[150:151], v[14:15], v[58:59]
	v_add_f64 v[152:153], v[12:13], v[56:57]
	v_cvt_f32_f64_e32 v66, v[152:153]
	v_cvt_f32_f64_e32 v150, v[150:151]
	v_min3_f32 v129, v66, v150, v129
	v_add_f64 v[150:151], v[10:11], v[58:59]
	v_add_f64 v[152:153], v[8:9], v[56:57]
	v_cvt_f32_f64_e32 v66, v[152:153]
	v_cvt_f32_f64_e32 v150, v[150:151]
	v_min3_f32 v128, v66, v150, v128
	v_add_f64 v[150:151], v[6:7], v[58:59]
	v_add_f64 v[152:153], v[4:5], v[56:57]
	v_add_f64 v[58:59], v[2:3], v[58:59]
	v_add_f64 v[56:57], v[0:1], v[56:57]
	v_cvt_f32_f64_e32 v56, v[56:57]
	v_cvt_f32_f64_e32 v57, v[58:59]
	v_min3_f32 v126, v56, v57, v126
	v_add_f64 v[56:57], v[34:35], v[54:55]
	v_add_f64 v[58:59], v[32:33], v[52:53]
	v_cvt_f32_f64_e32 v58, v[58:59]
	v_cvt_f32_f64_e32 v56, v[56:57]
	v_min3_f32 v125, v58, v56, v125
	v_add_f64 v[56:57], v[30:31], v[54:55]
	v_add_f64 v[58:59], v[28:29], v[52:53]
	v_cvt_f32_f64_e32 v58, v[58:59]
	v_cvt_f32_f64_e32 v56, v[56:57]
	v_min3_f32 v124, v58, v56, v124
	v_add_f64 v[56:57], v[26:27], v[54:55]
	v_add_f64 v[58:59], v[24:25], v[52:53]
	v_cvt_f32_f64_e32 v58, v[58:59]
	v_cvt_f32_f64_e32 v56, v[56:57]
	v_min3_f32 v123, v58, v56, v123
	v_add_f64 v[56:57], v[18:19], v[54:55]
	v_add_f64 v[58:59], v[16:17], v[52:53]
	v_cvt_f32_f64_e32 v58, v[58:59]
	v_cvt_f32_f64_e32 v56, v[56:57]
	v_min3_f32 v122, v58, v56, v122
	v_add_f64 v[56:57], v[14:15], v[54:55]
	v_add_f64 v[58:59], v[12:13], v[52:53]
	v_cvt_f32_f64_e32 v58, v[58:59]
	v_cvt_f32_f64_e32 v56, v[56:57]
	v_min3_f32 v121, v58, v56, v121
	v_add_f64 v[56:57], v[10:11], v[54:55]
	v_add_f64 v[58:59], v[8:9], v[52:53]
	v_cvt_f32_f64_e32 v58, v[58:59]
	v_cvt_f32_f64_e32 v56, v[56:57]
	v_min3_f32 v120, v58, v56, v120
	v_add_f64 v[56:57], v[6:7], v[54:55]
	v_add_f64 v[58:59], v[4:5], v[52:53]
	v_add_f64 v[54:55], v[2:3], v[54:55]
	v_add_f64 v[52:53], v[0:1], v[52:53]
	;; [unrolled: 37-line block ×6, first 2 shown]
	v_add_f64 v[34:35], v[34:35], v[22:23]
	v_add_f64 v[32:33], v[32:33], v[20:21]
	;; [unrolled: 1-line block ×16, first 2 shown]
	v_cvt_f32_f64_e32 v66, v[152:153]
	v_cvt_f32_f64_e32 v150, v[150:151]
	;; [unrolled: 1-line block ×30, first 2 shown]
	v_min3_f32 v127, v66, v150, v127
	v_min3_f32 v119, v58, v56, v119
	;; [unrolled: 1-line block ×15, first 2 shown]
	s_mov_b32 s37, 2
	s_mov_b64 s[28:29], 0
	s_cbranch_vccz .LBB109_55
; %bb.56:                               ;   in Loop: Header=BB109_32 Depth=1
	s_add_i32 s30, s30, 8
	s_add_i32 s36, s36, 8
	s_cmp_ge_i32 s36, s31
	s_waitcnt vmcnt(0)
	ds_write2st64_b64 v148, v[68:69], v[70:71] offset1:4
	ds_write2st64_b64 v148, v[72:73], v[74:75] offset0:8 offset1:12
	ds_write_b64 v149, v[76:77]
	s_waitcnt lgkmcnt(0)
	s_barrier
	s_cbranch_scc0 .LBB109_32
.LBB109_57:
	s_mov_b32 s4, 0
	s_mov_b64 s[2:3], -1
.LBB109_58:                             ; =>This Inner Loop Header: Depth=1
	v_cndmask_b32_e64 v0, 0, 1, s[2:3]
	s_lshl_b32 s2, s4, 3
	v_cmp_ne_u32_e32 vcc, 1, v0
	v_lshl_add_u32 v0, v134, 5, s2
	v_lshl_add_u32 v20, v135, 5, s2
	ds_read_b128 v[32:35], v0 offset:8192
	ds_read_b128 v[28:31], v0 offset:9216
	;; [unrolled: 1-line block ×16, first 2 shown]
	s_waitcnt lgkmcnt(7)
	v_add_f64 v[64:65], v[34:35], v[62:63]
	v_add_f64 v[66:67], v[32:33], v[60:61]
	v_cvt_f32_f64_e32 v66, v[66:67]
	v_cvt_f32_f64_e32 v64, v[64:65]
	v_min3_f32 v143, v66, v64, v143
	v_add_f64 v[64:65], v[30:31], v[62:63]
	v_add_f64 v[66:67], v[28:29], v[60:61]
	v_cvt_f32_f64_e32 v66, v[66:67]
	v_cvt_f32_f64_e32 v64, v[64:65]
	v_min3_f32 v142, v66, v64, v142
	v_add_f64 v[64:65], v[26:27], v[62:63]
	v_add_f64 v[66:67], v[24:25], v[60:61]
	v_cvt_f32_f64_e32 v66, v[66:67]
	v_cvt_f32_f64_e32 v64, v[64:65]
	v_min3_f32 v141, v66, v64, v141
	v_add_f64 v[64:65], v[18:19], v[62:63]
	v_add_f64 v[66:67], v[16:17], v[60:61]
	v_cvt_f32_f64_e32 v66, v[66:67]
	v_cvt_f32_f64_e32 v64, v[64:65]
	v_min3_f32 v140, v66, v64, v140
	v_add_f64 v[64:65], v[14:15], v[62:63]
	v_add_f64 v[66:67], v[12:13], v[60:61]
	v_cvt_f32_f64_e32 v66, v[66:67]
	v_cvt_f32_f64_e32 v64, v[64:65]
	v_min3_f32 v139, v66, v64, v139
	v_add_f64 v[64:65], v[10:11], v[62:63]
	v_add_f64 v[66:67], v[8:9], v[60:61]
	v_cvt_f32_f64_e32 v66, v[66:67]
	v_cvt_f32_f64_e32 v64, v[64:65]
	v_min3_f32 v138, v66, v64, v138
	v_add_f64 v[64:65], v[6:7], v[62:63]
	v_add_f64 v[66:67], v[4:5], v[60:61]
	v_add_f64 v[62:63], v[2:3], v[62:63]
	v_add_f64 v[60:61], v[0:1], v[60:61]
	v_cvt_f32_f64_e32 v60, v[60:61]
	v_cvt_f32_f64_e32 v61, v[62:63]
	v_min3_f32 v136, v60, v61, v136
	s_waitcnt lgkmcnt(6)
	v_add_f64 v[60:61], v[34:35], v[58:59]
	v_add_f64 v[62:63], v[32:33], v[56:57]
	v_cvt_f32_f64_e32 v62, v[62:63]
	v_cvt_f32_f64_e32 v60, v[60:61]
	v_min3_f32 v133, v62, v60, v133
	v_add_f64 v[60:61], v[30:31], v[58:59]
	v_add_f64 v[62:63], v[28:29], v[56:57]
	v_cvt_f32_f64_e32 v62, v[62:63]
	v_cvt_f32_f64_e32 v60, v[60:61]
	v_min3_f32 v132, v62, v60, v132
	v_add_f64 v[60:61], v[26:27], v[58:59]
	v_add_f64 v[62:63], v[24:25], v[56:57]
	v_cvt_f32_f64_e32 v62, v[62:63]
	v_cvt_f32_f64_e32 v60, v[60:61]
	v_min3_f32 v131, v62, v60, v131
	v_add_f64 v[60:61], v[18:19], v[58:59]
	v_add_f64 v[62:63], v[16:17], v[56:57]
	v_cvt_f32_f64_e32 v62, v[62:63]
	v_cvt_f32_f64_e32 v60, v[60:61]
	v_min3_f32 v130, v62, v60, v130
	v_add_f64 v[60:61], v[14:15], v[58:59]
	v_add_f64 v[62:63], v[12:13], v[56:57]
	v_cvt_f32_f64_e32 v62, v[62:63]
	v_cvt_f32_f64_e32 v60, v[60:61]
	v_min3_f32 v129, v62, v60, v129
	v_add_f64 v[60:61], v[10:11], v[58:59]
	v_add_f64 v[62:63], v[8:9], v[56:57]
	v_cvt_f32_f64_e32 v62, v[62:63]
	v_cvt_f32_f64_e32 v60, v[60:61]
	v_min3_f32 v128, v62, v60, v128
	v_add_f64 v[60:61], v[6:7], v[58:59]
	v_add_f64 v[62:63], v[4:5], v[56:57]
	v_add_f64 v[58:59], v[2:3], v[58:59]
	v_add_f64 v[56:57], v[0:1], v[56:57]
	v_cvt_f32_f64_e32 v56, v[56:57]
	v_cvt_f32_f64_e32 v57, v[58:59]
	v_min3_f32 v126, v56, v57, v126
	;; [unrolled: 38-line block ×6, first 2 shown]
	s_waitcnt lgkmcnt(1)
	v_add_f64 v[40:41], v[34:35], v[38:39]
	v_add_f64 v[42:43], v[32:33], v[36:37]
	v_cvt_f32_f64_e32 v42, v[42:43]
	v_cvt_f32_f64_e32 v40, v[40:41]
	v_min3_f32 v93, v42, v40, v93
	v_add_f64 v[40:41], v[30:31], v[38:39]
	v_add_f64 v[42:43], v[28:29], v[36:37]
	v_cvt_f32_f64_e32 v42, v[42:43]
	v_cvt_f32_f64_e32 v40, v[40:41]
	v_min3_f32 v92, v42, v40, v92
	;; [unrolled: 5-line block ×6, first 2 shown]
	v_add_f64 v[40:41], v[6:7], v[38:39]
	v_add_f64 v[42:43], v[4:5], v[36:37]
	;; [unrolled: 1-line block ×4, first 2 shown]
	s_waitcnt lgkmcnt(0)
	v_add_f64 v[34:35], v[34:35], v[22:23]
	v_add_f64 v[32:33], v[32:33], v[20:21]
	;; [unrolled: 1-line block ×16, first 2 shown]
	v_cvt_f32_f64_e32 v66, v[66:67]
	v_cvt_f32_f64_e32 v64, v[64:65]
	;; [unrolled: 1-line block ×32, first 2 shown]
	v_min3_f32 v137, v66, v64, v137
	v_min3_f32 v127, v62, v60, v127
	;; [unrolled: 1-line block ×16, first 2 shown]
	s_mov_b32 s4, 2
	s_mov_b64 s[2:3], 0
	s_cbranch_vccz .LBB109_58
; %bb.59:
	s_load_dwordx2 s[2:3], s[0:1], 0x78
	s_load_dword s31, s[0:1], 0x58
	s_load_dword s30, s[0:1], 0x70
	v_add_u32_e32 v22, s33, v135
	v_add_u32_e32 v0, s27, v134
	s_waitcnt lgkmcnt(0)
	s_lshl_b64 s[0:1], s[2:3], 3
	s_add_u32 s26, s14, s0
	s_addc_u32 s27, s15, s1
	v_mad_i64_i32 v[2:3], s[0:1], v22, s31, 0
	v_lshl_add_u64 v[18:19], v[2:3], 3, s[20:21]
	v_mad_i64_i32 v[2:3], s[0:1], v22, s30, 0
	v_cmp_gt_i32_e64 s[2:3], s24, v0
	v_cmp_gt_i32_e64 s[18:19], s25, v22
	v_lshl_add_u64 v[16:17], v[2:3], 3, s[26:27]
	v_cndmask_b32_e64 v2, 0, 1, s[12:13]
	v_ashrrev_i32_e32 v1, 31, v0
	s_and_b64 s[6:7], s[2:3], s[18:19]
	v_cmp_ne_u32_e64 s[0:1], 1, v2
	s_and_saveexec_b64 s[4:5], s[6:7]
	s_cbranch_execz .LBB109_64
; %bb.60:
	s_and_b64 vcc, exec, s[0:1]
	s_cbranch_vccnz .LBB109_62
; %bb.61:
	v_lshl_add_u64 v[2:3], v[0:1], 3, v[18:19]
	flat_load_dwordx2 v[2:3], v[2:3]
	s_waitcnt vmcnt(0) lgkmcnt(0)
	v_mul_f64 v[2:3], v[2:3], s[22:23]
	s_branch .LBB109_63
.LBB109_62:
	v_mov_b64_e32 v[2:3], 0
.LBB109_63:
	v_cvt_f32_f64_e32 v2, v[2:3]
	v_max_f32_e32 v3, v143, v143
	v_min_f32_e32 v2, v2, v3
	v_cvt_f64_f32_e32 v[2:3], v2
	v_lshl_add_u64 v[4:5], v[0:1], 3, v[16:17]
	global_store_dwordx2 v[4:5], v[2:3], off
.LBB109_64:
	s_or_b64 exec, exec, s[4:5]
	v_add_u32_e32 v2, 32, v0
	v_cmp_gt_i32_e64 s[4:5], s24, v2
	v_ashrrev_i32_e32 v3, 31, v2
	s_and_b64 s[8:9], s[4:5], s[18:19]
	s_and_saveexec_b64 s[6:7], s[8:9]
	s_cbranch_execz .LBB109_69
; %bb.65:
	s_and_b64 vcc, exec, s[0:1]
	s_cbranch_vccnz .LBB109_67
; %bb.66:
	v_lshl_add_u64 v[4:5], v[2:3], 3, v[18:19]
	flat_load_dwordx2 v[4:5], v[4:5]
	s_waitcnt vmcnt(0) lgkmcnt(0)
	v_mul_f64 v[4:5], v[4:5], s[22:23]
	s_branch .LBB109_68
.LBB109_67:
	v_mov_b64_e32 v[4:5], 0
.LBB109_68:
	v_cvt_f32_f64_e32 v4, v[4:5]
	v_max_f32_e32 v5, v142, v142
	v_min_f32_e32 v4, v4, v5
	v_cvt_f64_f32_e32 v[4:5], v4
	v_lshl_add_u64 v[6:7], v[2:3], 3, v[16:17]
	global_store_dwordx2 v[6:7], v[4:5], off
.LBB109_69:
	s_or_b64 exec, exec, s[6:7]
	v_add_u32_e32 v4, 64, v0
	v_cmp_gt_i32_e64 s[6:7], s24, v4
	v_ashrrev_i32_e32 v5, 31, v4
	s_and_b64 s[10:11], s[6:7], s[18:19]
	;; [unrolled: 26-line block ×7, first 2 shown]
	s_and_saveexec_b64 s[18:19], s[28:29]
	s_cbranch_execz .LBB109_99
; %bb.95:
	s_and_b64 vcc, exec, s[0:1]
	s_cbranch_vccnz .LBB109_97
; %bb.96:
	v_lshl_add_u64 v[18:19], v[14:15], 3, v[18:19]
	flat_load_dwordx2 v[18:19], v[18:19]
	s_waitcnt vmcnt(0) lgkmcnt(0)
	v_mul_f64 v[18:19], v[18:19], s[22:23]
	s_branch .LBB109_98
.LBB109_97:
	v_mov_b64_e32 v[18:19], 0
.LBB109_98:
	v_cvt_f32_f64_e32 v18, v[18:19]
	v_max_f32_e32 v19, v136, v136
	v_min_f32_e32 v18, v18, v19
	v_cvt_f64_f32_e32 v[18:19], v18
	v_lshl_add_u64 v[16:17], v[14:15], 3, v[16:17]
	global_store_dwordx2 v[16:17], v[18:19], off
.LBB109_99:
	s_or_b64 exec, exec, s[18:19]
	v_add_u32_e32 v20, 8, v22
	v_mad_i64_i32 v[16:17], s[28:29], v20, s31, 0
	v_cmp_gt_i32_e64 s[18:19], s25, v20
	v_lshl_add_u64 v[18:19], v[16:17], 3, s[20:21]
	v_mad_i64_i32 v[16:17], s[28:29], v20, s30, 0
	v_lshl_add_u64 v[16:17], v[16:17], 3, s[26:27]
	s_and_b64 s[34:35], s[2:3], s[18:19]
	s_and_saveexec_b64 s[28:29], s[34:35]
	s_cbranch_execnz .LBB109_107
; %bb.100:
	s_or_b64 exec, exec, s[28:29]
	s_and_b64 s[34:35], s[4:5], s[18:19]
	s_and_saveexec_b64 s[28:29], s[34:35]
	s_cbranch_execnz .LBB109_111
.LBB109_101:
	s_or_b64 exec, exec, s[28:29]
	s_and_b64 s[34:35], s[6:7], s[18:19]
	s_and_saveexec_b64 s[28:29], s[34:35]
	s_cbranch_execnz .LBB109_115
.LBB109_102:
	s_or_b64 exec, exec, s[28:29]
	s_and_b64 s[34:35], s[8:9], s[18:19]
	s_and_saveexec_b64 s[28:29], s[34:35]
	s_cbranch_execnz .LBB109_119
.LBB109_103:
	s_or_b64 exec, exec, s[28:29]
	s_and_b64 s[34:35], s[10:11], s[18:19]
	s_and_saveexec_b64 s[28:29], s[34:35]
	s_cbranch_execnz .LBB109_123
.LBB109_104:
	s_or_b64 exec, exec, s[28:29]
	s_and_b64 s[34:35], s[12:13], s[18:19]
	s_and_saveexec_b64 s[28:29], s[34:35]
	s_cbranch_execnz .LBB109_127
.LBB109_105:
	s_or_b64 exec, exec, s[28:29]
	s_and_b64 s[34:35], s[14:15], s[18:19]
	s_and_saveexec_b64 s[28:29], s[34:35]
	s_cbranch_execnz .LBB109_131
.LBB109_106:
	s_or_b64 exec, exec, s[28:29]
	s_and_b64 s[28:29], s[16:17], s[18:19]
	s_and_saveexec_b64 s[18:19], s[28:29]
	s_cbranch_execnz .LBB109_135
	s_branch .LBB109_139
.LBB109_107:
	s_and_b64 vcc, exec, s[0:1]
	s_cbranch_vccnz .LBB109_109
; %bb.108:
	v_lshl_add_u64 v[20:21], v[0:1], 3, v[18:19]
	flat_load_dwordx2 v[20:21], v[20:21]
	s_waitcnt vmcnt(0) lgkmcnt(0)
	v_mul_f64 v[20:21], v[20:21], s[22:23]
	s_branch .LBB109_110
.LBB109_109:
	v_mov_b64_e32 v[20:21], 0
.LBB109_110:
	v_cvt_f32_f64_e32 v20, v[20:21]
	v_max_f32_e32 v21, v133, v133
	v_min_f32_e32 v20, v20, v21
	v_cvt_f64_f32_e32 v[20:21], v20
	v_lshl_add_u64 v[24:25], v[0:1], 3, v[16:17]
	global_store_dwordx2 v[24:25], v[20:21], off
	s_or_b64 exec, exec, s[28:29]
	s_and_b64 s[34:35], s[4:5], s[18:19]
	s_and_saveexec_b64 s[28:29], s[34:35]
	s_cbranch_execz .LBB109_101
.LBB109_111:
	s_and_b64 vcc, exec, s[0:1]
	s_cbranch_vccnz .LBB109_113
; %bb.112:
	v_lshl_add_u64 v[20:21], v[2:3], 3, v[18:19]
	flat_load_dwordx2 v[20:21], v[20:21]
	s_waitcnt vmcnt(0) lgkmcnt(0)
	v_mul_f64 v[20:21], v[20:21], s[22:23]
	s_branch .LBB109_114
.LBB109_113:
	v_mov_b64_e32 v[20:21], 0
.LBB109_114:
	v_cvt_f32_f64_e32 v20, v[20:21]
	v_max_f32_e32 v21, v132, v132
	v_min_f32_e32 v20, v20, v21
	v_cvt_f64_f32_e32 v[20:21], v20
	v_lshl_add_u64 v[24:25], v[2:3], 3, v[16:17]
	global_store_dwordx2 v[24:25], v[20:21], off
	s_or_b64 exec, exec, s[28:29]
	s_and_b64 s[34:35], s[6:7], s[18:19]
	s_and_saveexec_b64 s[28:29], s[34:35]
	s_cbranch_execz .LBB109_102
.LBB109_115:
	s_and_b64 vcc, exec, s[0:1]
	s_cbranch_vccnz .LBB109_117
; %bb.116:
	v_lshl_add_u64 v[20:21], v[4:5], 3, v[18:19]
	flat_load_dwordx2 v[20:21], v[20:21]
	s_waitcnt vmcnt(0) lgkmcnt(0)
	v_mul_f64 v[20:21], v[20:21], s[22:23]
	s_branch .LBB109_118
.LBB109_117:
	v_mov_b64_e32 v[20:21], 0
.LBB109_118:
	v_cvt_f32_f64_e32 v20, v[20:21]
	v_max_f32_e32 v21, v131, v131
	v_min_f32_e32 v20, v20, v21
	v_cvt_f64_f32_e32 v[20:21], v20
	v_lshl_add_u64 v[24:25], v[4:5], 3, v[16:17]
	global_store_dwordx2 v[24:25], v[20:21], off
	s_or_b64 exec, exec, s[28:29]
	s_and_b64 s[34:35], s[8:9], s[18:19]
	s_and_saveexec_b64 s[28:29], s[34:35]
	s_cbranch_execz .LBB109_103
.LBB109_119:
	s_and_b64 vcc, exec, s[0:1]
	s_cbranch_vccnz .LBB109_121
; %bb.120:
	v_lshl_add_u64 v[20:21], v[6:7], 3, v[18:19]
	flat_load_dwordx2 v[20:21], v[20:21]
	s_waitcnt vmcnt(0) lgkmcnt(0)
	v_mul_f64 v[20:21], v[20:21], s[22:23]
	s_branch .LBB109_122
.LBB109_121:
	v_mov_b64_e32 v[20:21], 0
.LBB109_122:
	v_cvt_f32_f64_e32 v20, v[20:21]
	v_max_f32_e32 v21, v130, v130
	v_min_f32_e32 v20, v20, v21
	v_cvt_f64_f32_e32 v[20:21], v20
	v_lshl_add_u64 v[24:25], v[6:7], 3, v[16:17]
	global_store_dwordx2 v[24:25], v[20:21], off
	s_or_b64 exec, exec, s[28:29]
	s_and_b64 s[34:35], s[10:11], s[18:19]
	s_and_saveexec_b64 s[28:29], s[34:35]
	s_cbranch_execz .LBB109_104
.LBB109_123:
	s_and_b64 vcc, exec, s[0:1]
	s_cbranch_vccnz .LBB109_125
; %bb.124:
	v_lshl_add_u64 v[20:21], v[8:9], 3, v[18:19]
	flat_load_dwordx2 v[20:21], v[20:21]
	s_waitcnt vmcnt(0) lgkmcnt(0)
	v_mul_f64 v[20:21], v[20:21], s[22:23]
	s_branch .LBB109_126
.LBB109_125:
	v_mov_b64_e32 v[20:21], 0
.LBB109_126:
	v_cvt_f32_f64_e32 v20, v[20:21]
	v_max_f32_e32 v21, v129, v129
	v_min_f32_e32 v20, v20, v21
	v_cvt_f64_f32_e32 v[20:21], v20
	v_lshl_add_u64 v[24:25], v[8:9], 3, v[16:17]
	global_store_dwordx2 v[24:25], v[20:21], off
	s_or_b64 exec, exec, s[28:29]
	s_and_b64 s[34:35], s[12:13], s[18:19]
	s_and_saveexec_b64 s[28:29], s[34:35]
	s_cbranch_execz .LBB109_105
.LBB109_127:
	s_and_b64 vcc, exec, s[0:1]
	s_cbranch_vccnz .LBB109_129
; %bb.128:
	v_lshl_add_u64 v[20:21], v[10:11], 3, v[18:19]
	flat_load_dwordx2 v[20:21], v[20:21]
	s_waitcnt vmcnt(0) lgkmcnt(0)
	v_mul_f64 v[20:21], v[20:21], s[22:23]
	s_branch .LBB109_130
.LBB109_129:
	v_mov_b64_e32 v[20:21], 0
.LBB109_130:
	v_cvt_f32_f64_e32 v20, v[20:21]
	v_max_f32_e32 v21, v128, v128
	v_min_f32_e32 v20, v20, v21
	v_cvt_f64_f32_e32 v[20:21], v20
	v_lshl_add_u64 v[24:25], v[10:11], 3, v[16:17]
	global_store_dwordx2 v[24:25], v[20:21], off
	s_or_b64 exec, exec, s[28:29]
	s_and_b64 s[34:35], s[14:15], s[18:19]
	s_and_saveexec_b64 s[28:29], s[34:35]
	s_cbranch_execz .LBB109_106
.LBB109_131:
	s_and_b64 vcc, exec, s[0:1]
	s_cbranch_vccnz .LBB109_133
; %bb.132:
	v_lshl_add_u64 v[20:21], v[12:13], 3, v[18:19]
	flat_load_dwordx2 v[20:21], v[20:21]
	s_waitcnt vmcnt(0) lgkmcnt(0)
	v_mul_f64 v[20:21], v[20:21], s[22:23]
	s_branch .LBB109_134
.LBB109_133:
	v_mov_b64_e32 v[20:21], 0
.LBB109_134:
	v_cvt_f32_f64_e32 v20, v[20:21]
	v_max_f32_e32 v21, v127, v127
	v_min_f32_e32 v20, v20, v21
	v_cvt_f64_f32_e32 v[20:21], v20
	v_lshl_add_u64 v[24:25], v[12:13], 3, v[16:17]
	global_store_dwordx2 v[24:25], v[20:21], off
	s_or_b64 exec, exec, s[28:29]
	s_and_b64 s[28:29], s[16:17], s[18:19]
	s_and_saveexec_b64 s[18:19], s[28:29]
	s_cbranch_execz .LBB109_139
.LBB109_135:
	s_and_b64 vcc, exec, s[0:1]
	s_cbranch_vccnz .LBB109_137
; %bb.136:
	v_lshl_add_u64 v[18:19], v[14:15], 3, v[18:19]
	flat_load_dwordx2 v[18:19], v[18:19]
	s_waitcnt vmcnt(0) lgkmcnt(0)
	v_mul_f64 v[18:19], v[18:19], s[22:23]
	s_branch .LBB109_138
.LBB109_137:
	v_mov_b64_e32 v[18:19], 0
.LBB109_138:
	v_cvt_f32_f64_e32 v18, v[18:19]
	v_max_f32_e32 v19, v126, v126
	v_min_f32_e32 v18, v18, v19
	v_cvt_f64_f32_e32 v[18:19], v18
	v_lshl_add_u64 v[16:17], v[14:15], 3, v[16:17]
	global_store_dwordx2 v[16:17], v[18:19], off
.LBB109_139:
	s_or_b64 exec, exec, s[18:19]
	v_add_u32_e32 v20, 16, v22
	v_mad_i64_i32 v[16:17], s[28:29], v20, s31, 0
	v_cmp_gt_i32_e64 s[18:19], s25, v20
	v_lshl_add_u64 v[18:19], v[16:17], 3, s[20:21]
	v_mad_i64_i32 v[16:17], s[28:29], v20, s30, 0
	v_lshl_add_u64 v[16:17], v[16:17], 3, s[26:27]
	s_and_b64 s[34:35], s[2:3], s[18:19]
	s_and_saveexec_b64 s[28:29], s[34:35]
	s_cbranch_execnz .LBB109_147
; %bb.140:
	s_or_b64 exec, exec, s[28:29]
	s_and_b64 s[34:35], s[4:5], s[18:19]
	s_and_saveexec_b64 s[28:29], s[34:35]
	s_cbranch_execnz .LBB109_151
.LBB109_141:
	s_or_b64 exec, exec, s[28:29]
	s_and_b64 s[34:35], s[6:7], s[18:19]
	s_and_saveexec_b64 s[28:29], s[34:35]
	s_cbranch_execnz .LBB109_155
.LBB109_142:
	s_or_b64 exec, exec, s[28:29]
	s_and_b64 s[34:35], s[8:9], s[18:19]
	s_and_saveexec_b64 s[28:29], s[34:35]
	s_cbranch_execnz .LBB109_159
.LBB109_143:
	s_or_b64 exec, exec, s[28:29]
	s_and_b64 s[34:35], s[10:11], s[18:19]
	s_and_saveexec_b64 s[28:29], s[34:35]
	s_cbranch_execnz .LBB109_163
.LBB109_144:
	s_or_b64 exec, exec, s[28:29]
	s_and_b64 s[34:35], s[12:13], s[18:19]
	s_and_saveexec_b64 s[28:29], s[34:35]
	s_cbranch_execnz .LBB109_167
.LBB109_145:
	s_or_b64 exec, exec, s[28:29]
	s_and_b64 s[34:35], s[14:15], s[18:19]
	s_and_saveexec_b64 s[28:29], s[34:35]
	s_cbranch_execnz .LBB109_171
.LBB109_146:
	s_or_b64 exec, exec, s[28:29]
	s_and_b64 s[28:29], s[16:17], s[18:19]
	s_and_saveexec_b64 s[18:19], s[28:29]
	s_cbranch_execnz .LBB109_175
	s_branch .LBB109_179
.LBB109_147:
	s_and_b64 vcc, exec, s[0:1]
	s_cbranch_vccnz .LBB109_149
; %bb.148:
	v_lshl_add_u64 v[20:21], v[0:1], 3, v[18:19]
	flat_load_dwordx2 v[20:21], v[20:21]
	s_waitcnt vmcnt(0) lgkmcnt(0)
	v_mul_f64 v[20:21], v[20:21], s[22:23]
	s_branch .LBB109_150
.LBB109_149:
	v_mov_b64_e32 v[20:21], 0
.LBB109_150:
	v_cvt_f32_f64_e32 v20, v[20:21]
	v_max_f32_e32 v21, v125, v125
	v_min_f32_e32 v20, v20, v21
	v_cvt_f64_f32_e32 v[20:21], v20
	v_lshl_add_u64 v[24:25], v[0:1], 3, v[16:17]
	global_store_dwordx2 v[24:25], v[20:21], off
	s_or_b64 exec, exec, s[28:29]
	s_and_b64 s[34:35], s[4:5], s[18:19]
	s_and_saveexec_b64 s[28:29], s[34:35]
	s_cbranch_execz .LBB109_141
.LBB109_151:
	s_and_b64 vcc, exec, s[0:1]
	s_cbranch_vccnz .LBB109_153
; %bb.152:
	v_lshl_add_u64 v[20:21], v[2:3], 3, v[18:19]
	flat_load_dwordx2 v[20:21], v[20:21]
	s_waitcnt vmcnt(0) lgkmcnt(0)
	v_mul_f64 v[20:21], v[20:21], s[22:23]
	s_branch .LBB109_154
.LBB109_153:
	v_mov_b64_e32 v[20:21], 0
.LBB109_154:
	v_cvt_f32_f64_e32 v20, v[20:21]
	v_max_f32_e32 v21, v124, v124
	v_min_f32_e32 v20, v20, v21
	v_cvt_f64_f32_e32 v[20:21], v20
	v_lshl_add_u64 v[24:25], v[2:3], 3, v[16:17]
	global_store_dwordx2 v[24:25], v[20:21], off
	s_or_b64 exec, exec, s[28:29]
	s_and_b64 s[34:35], s[6:7], s[18:19]
	s_and_saveexec_b64 s[28:29], s[34:35]
	s_cbranch_execz .LBB109_142
.LBB109_155:
	s_and_b64 vcc, exec, s[0:1]
	s_cbranch_vccnz .LBB109_157
; %bb.156:
	v_lshl_add_u64 v[20:21], v[4:5], 3, v[18:19]
	flat_load_dwordx2 v[20:21], v[20:21]
	s_waitcnt vmcnt(0) lgkmcnt(0)
	v_mul_f64 v[20:21], v[20:21], s[22:23]
	s_branch .LBB109_158
.LBB109_157:
	v_mov_b64_e32 v[20:21], 0
.LBB109_158:
	v_cvt_f32_f64_e32 v20, v[20:21]
	v_max_f32_e32 v21, v123, v123
	v_min_f32_e32 v20, v20, v21
	v_cvt_f64_f32_e32 v[20:21], v20
	v_lshl_add_u64 v[24:25], v[4:5], 3, v[16:17]
	global_store_dwordx2 v[24:25], v[20:21], off
	s_or_b64 exec, exec, s[28:29]
	s_and_b64 s[34:35], s[8:9], s[18:19]
	s_and_saveexec_b64 s[28:29], s[34:35]
	s_cbranch_execz .LBB109_143
.LBB109_159:
	s_and_b64 vcc, exec, s[0:1]
	s_cbranch_vccnz .LBB109_161
; %bb.160:
	v_lshl_add_u64 v[20:21], v[6:7], 3, v[18:19]
	flat_load_dwordx2 v[20:21], v[20:21]
	s_waitcnt vmcnt(0) lgkmcnt(0)
	v_mul_f64 v[20:21], v[20:21], s[22:23]
	s_branch .LBB109_162
.LBB109_161:
	v_mov_b64_e32 v[20:21], 0
.LBB109_162:
	v_cvt_f32_f64_e32 v20, v[20:21]
	v_max_f32_e32 v21, v122, v122
	v_min_f32_e32 v20, v20, v21
	v_cvt_f64_f32_e32 v[20:21], v20
	v_lshl_add_u64 v[24:25], v[6:7], 3, v[16:17]
	global_store_dwordx2 v[24:25], v[20:21], off
	s_or_b64 exec, exec, s[28:29]
	s_and_b64 s[34:35], s[10:11], s[18:19]
	s_and_saveexec_b64 s[28:29], s[34:35]
	s_cbranch_execz .LBB109_144
.LBB109_163:
	s_and_b64 vcc, exec, s[0:1]
	s_cbranch_vccnz .LBB109_165
; %bb.164:
	v_lshl_add_u64 v[20:21], v[8:9], 3, v[18:19]
	flat_load_dwordx2 v[20:21], v[20:21]
	s_waitcnt vmcnt(0) lgkmcnt(0)
	v_mul_f64 v[20:21], v[20:21], s[22:23]
	s_branch .LBB109_166
.LBB109_165:
	v_mov_b64_e32 v[20:21], 0
.LBB109_166:
	v_cvt_f32_f64_e32 v20, v[20:21]
	v_max_f32_e32 v21, v121, v121
	v_min_f32_e32 v20, v20, v21
	v_cvt_f64_f32_e32 v[20:21], v20
	v_lshl_add_u64 v[24:25], v[8:9], 3, v[16:17]
	global_store_dwordx2 v[24:25], v[20:21], off
	s_or_b64 exec, exec, s[28:29]
	s_and_b64 s[34:35], s[12:13], s[18:19]
	s_and_saveexec_b64 s[28:29], s[34:35]
	s_cbranch_execz .LBB109_145
.LBB109_167:
	s_and_b64 vcc, exec, s[0:1]
	s_cbranch_vccnz .LBB109_169
; %bb.168:
	v_lshl_add_u64 v[20:21], v[10:11], 3, v[18:19]
	flat_load_dwordx2 v[20:21], v[20:21]
	s_waitcnt vmcnt(0) lgkmcnt(0)
	v_mul_f64 v[20:21], v[20:21], s[22:23]
	s_branch .LBB109_170
.LBB109_169:
	v_mov_b64_e32 v[20:21], 0
.LBB109_170:
	v_cvt_f32_f64_e32 v20, v[20:21]
	v_max_f32_e32 v21, v120, v120
	v_min_f32_e32 v20, v20, v21
	v_cvt_f64_f32_e32 v[20:21], v20
	v_lshl_add_u64 v[24:25], v[10:11], 3, v[16:17]
	global_store_dwordx2 v[24:25], v[20:21], off
	s_or_b64 exec, exec, s[28:29]
	s_and_b64 s[34:35], s[14:15], s[18:19]
	s_and_saveexec_b64 s[28:29], s[34:35]
	s_cbranch_execz .LBB109_146
.LBB109_171:
	s_and_b64 vcc, exec, s[0:1]
	s_cbranch_vccnz .LBB109_173
; %bb.172:
	v_lshl_add_u64 v[20:21], v[12:13], 3, v[18:19]
	flat_load_dwordx2 v[20:21], v[20:21]
	s_waitcnt vmcnt(0) lgkmcnt(0)
	v_mul_f64 v[20:21], v[20:21], s[22:23]
	s_branch .LBB109_174
.LBB109_173:
	v_mov_b64_e32 v[20:21], 0
.LBB109_174:
	v_cvt_f32_f64_e32 v20, v[20:21]
	v_max_f32_e32 v21, v119, v119
	v_min_f32_e32 v20, v20, v21
	v_cvt_f64_f32_e32 v[20:21], v20
	v_lshl_add_u64 v[24:25], v[12:13], 3, v[16:17]
	global_store_dwordx2 v[24:25], v[20:21], off
	s_or_b64 exec, exec, s[28:29]
	s_and_b64 s[28:29], s[16:17], s[18:19]
	s_and_saveexec_b64 s[18:19], s[28:29]
	s_cbranch_execz .LBB109_179
.LBB109_175:
	s_and_b64 vcc, exec, s[0:1]
	s_cbranch_vccnz .LBB109_177
; %bb.176:
	v_lshl_add_u64 v[18:19], v[14:15], 3, v[18:19]
	flat_load_dwordx2 v[18:19], v[18:19]
	s_waitcnt vmcnt(0) lgkmcnt(0)
	v_mul_f64 v[18:19], v[18:19], s[22:23]
	s_branch .LBB109_178
.LBB109_177:
	v_mov_b64_e32 v[18:19], 0
.LBB109_178:
	v_cvt_f32_f64_e32 v18, v[18:19]
	v_max_f32_e32 v19, v118, v118
	v_min_f32_e32 v18, v18, v19
	v_cvt_f64_f32_e32 v[18:19], v18
	v_lshl_add_u64 v[16:17], v[14:15], 3, v[16:17]
	global_store_dwordx2 v[16:17], v[18:19], off
.LBB109_179:
	s_or_b64 exec, exec, s[18:19]
	v_add_u32_e32 v20, 24, v22
	v_mad_i64_i32 v[16:17], s[28:29], v20, s31, 0
	v_cmp_gt_i32_e64 s[18:19], s25, v20
	v_lshl_add_u64 v[18:19], v[16:17], 3, s[20:21]
	v_mad_i64_i32 v[16:17], s[28:29], v20, s30, 0
	v_lshl_add_u64 v[16:17], v[16:17], 3, s[26:27]
	s_and_b64 s[34:35], s[2:3], s[18:19]
	s_and_saveexec_b64 s[28:29], s[34:35]
	s_cbranch_execnz .LBB109_187
; %bb.180:
	s_or_b64 exec, exec, s[28:29]
	s_and_b64 s[34:35], s[4:5], s[18:19]
	s_and_saveexec_b64 s[28:29], s[34:35]
	s_cbranch_execnz .LBB109_191
.LBB109_181:
	s_or_b64 exec, exec, s[28:29]
	s_and_b64 s[34:35], s[6:7], s[18:19]
	s_and_saveexec_b64 s[28:29], s[34:35]
	s_cbranch_execnz .LBB109_195
.LBB109_182:
	s_or_b64 exec, exec, s[28:29]
	s_and_b64 s[34:35], s[8:9], s[18:19]
	s_and_saveexec_b64 s[28:29], s[34:35]
	s_cbranch_execnz .LBB109_199
.LBB109_183:
	s_or_b64 exec, exec, s[28:29]
	s_and_b64 s[34:35], s[10:11], s[18:19]
	s_and_saveexec_b64 s[28:29], s[34:35]
	s_cbranch_execnz .LBB109_203
.LBB109_184:
	s_or_b64 exec, exec, s[28:29]
	s_and_b64 s[34:35], s[12:13], s[18:19]
	s_and_saveexec_b64 s[28:29], s[34:35]
	s_cbranch_execnz .LBB109_207
.LBB109_185:
	s_or_b64 exec, exec, s[28:29]
	s_and_b64 s[34:35], s[14:15], s[18:19]
	s_and_saveexec_b64 s[28:29], s[34:35]
	s_cbranch_execnz .LBB109_211
.LBB109_186:
	s_or_b64 exec, exec, s[28:29]
	s_and_b64 s[28:29], s[16:17], s[18:19]
	s_and_saveexec_b64 s[18:19], s[28:29]
	s_cbranch_execnz .LBB109_215
	s_branch .LBB109_219
.LBB109_187:
	s_and_b64 vcc, exec, s[0:1]
	s_cbranch_vccnz .LBB109_189
; %bb.188:
	v_lshl_add_u64 v[20:21], v[0:1], 3, v[18:19]
	flat_load_dwordx2 v[20:21], v[20:21]
	s_waitcnt vmcnt(0) lgkmcnt(0)
	v_mul_f64 v[20:21], v[20:21], s[22:23]
	s_branch .LBB109_190
.LBB109_189:
	v_mov_b64_e32 v[20:21], 0
.LBB109_190:
	v_cvt_f32_f64_e32 v20, v[20:21]
	v_max_f32_e32 v21, v117, v117
	v_min_f32_e32 v20, v20, v21
	v_cvt_f64_f32_e32 v[20:21], v20
	v_lshl_add_u64 v[24:25], v[0:1], 3, v[16:17]
	global_store_dwordx2 v[24:25], v[20:21], off
	s_or_b64 exec, exec, s[28:29]
	s_and_b64 s[34:35], s[4:5], s[18:19]
	s_and_saveexec_b64 s[28:29], s[34:35]
	s_cbranch_execz .LBB109_181
.LBB109_191:
	s_and_b64 vcc, exec, s[0:1]
	s_cbranch_vccnz .LBB109_193
; %bb.192:
	v_lshl_add_u64 v[20:21], v[2:3], 3, v[18:19]
	flat_load_dwordx2 v[20:21], v[20:21]
	s_waitcnt vmcnt(0) lgkmcnt(0)
	v_mul_f64 v[20:21], v[20:21], s[22:23]
	s_branch .LBB109_194
.LBB109_193:
	v_mov_b64_e32 v[20:21], 0
.LBB109_194:
	v_cvt_f32_f64_e32 v20, v[20:21]
	v_max_f32_e32 v21, v116, v116
	v_min_f32_e32 v20, v20, v21
	v_cvt_f64_f32_e32 v[20:21], v20
	v_lshl_add_u64 v[24:25], v[2:3], 3, v[16:17]
	global_store_dwordx2 v[24:25], v[20:21], off
	s_or_b64 exec, exec, s[28:29]
	s_and_b64 s[34:35], s[6:7], s[18:19]
	s_and_saveexec_b64 s[28:29], s[34:35]
	s_cbranch_execz .LBB109_182
.LBB109_195:
	s_and_b64 vcc, exec, s[0:1]
	s_cbranch_vccnz .LBB109_197
; %bb.196:
	v_lshl_add_u64 v[20:21], v[4:5], 3, v[18:19]
	flat_load_dwordx2 v[20:21], v[20:21]
	s_waitcnt vmcnt(0) lgkmcnt(0)
	v_mul_f64 v[20:21], v[20:21], s[22:23]
	s_branch .LBB109_198
.LBB109_197:
	v_mov_b64_e32 v[20:21], 0
.LBB109_198:
	v_cvt_f32_f64_e32 v20, v[20:21]
	v_max_f32_e32 v21, v115, v115
	v_min_f32_e32 v20, v20, v21
	v_cvt_f64_f32_e32 v[20:21], v20
	v_lshl_add_u64 v[24:25], v[4:5], 3, v[16:17]
	global_store_dwordx2 v[24:25], v[20:21], off
	s_or_b64 exec, exec, s[28:29]
	s_and_b64 s[34:35], s[8:9], s[18:19]
	s_and_saveexec_b64 s[28:29], s[34:35]
	s_cbranch_execz .LBB109_183
.LBB109_199:
	s_and_b64 vcc, exec, s[0:1]
	s_cbranch_vccnz .LBB109_201
; %bb.200:
	v_lshl_add_u64 v[20:21], v[6:7], 3, v[18:19]
	flat_load_dwordx2 v[20:21], v[20:21]
	s_waitcnt vmcnt(0) lgkmcnt(0)
	v_mul_f64 v[20:21], v[20:21], s[22:23]
	s_branch .LBB109_202
.LBB109_201:
	v_mov_b64_e32 v[20:21], 0
.LBB109_202:
	v_cvt_f32_f64_e32 v20, v[20:21]
	v_max_f32_e32 v21, v114, v114
	v_min_f32_e32 v20, v20, v21
	v_cvt_f64_f32_e32 v[20:21], v20
	v_lshl_add_u64 v[24:25], v[6:7], 3, v[16:17]
	global_store_dwordx2 v[24:25], v[20:21], off
	s_or_b64 exec, exec, s[28:29]
	s_and_b64 s[34:35], s[10:11], s[18:19]
	s_and_saveexec_b64 s[28:29], s[34:35]
	s_cbranch_execz .LBB109_184
.LBB109_203:
	s_and_b64 vcc, exec, s[0:1]
	s_cbranch_vccnz .LBB109_205
; %bb.204:
	v_lshl_add_u64 v[20:21], v[8:9], 3, v[18:19]
	flat_load_dwordx2 v[20:21], v[20:21]
	s_waitcnt vmcnt(0) lgkmcnt(0)
	v_mul_f64 v[20:21], v[20:21], s[22:23]
	s_branch .LBB109_206
.LBB109_205:
	v_mov_b64_e32 v[20:21], 0
.LBB109_206:
	v_cvt_f32_f64_e32 v20, v[20:21]
	v_max_f32_e32 v21, v113, v113
	v_min_f32_e32 v20, v20, v21
	v_cvt_f64_f32_e32 v[20:21], v20
	v_lshl_add_u64 v[24:25], v[8:9], 3, v[16:17]
	global_store_dwordx2 v[24:25], v[20:21], off
	s_or_b64 exec, exec, s[28:29]
	s_and_b64 s[34:35], s[12:13], s[18:19]
	s_and_saveexec_b64 s[28:29], s[34:35]
	s_cbranch_execz .LBB109_185
.LBB109_207:
	s_and_b64 vcc, exec, s[0:1]
	s_cbranch_vccnz .LBB109_209
; %bb.208:
	v_lshl_add_u64 v[20:21], v[10:11], 3, v[18:19]
	flat_load_dwordx2 v[20:21], v[20:21]
	s_waitcnt vmcnt(0) lgkmcnt(0)
	v_mul_f64 v[20:21], v[20:21], s[22:23]
	s_branch .LBB109_210
.LBB109_209:
	v_mov_b64_e32 v[20:21], 0
.LBB109_210:
	v_cvt_f32_f64_e32 v20, v[20:21]
	v_max_f32_e32 v21, v112, v112
	v_min_f32_e32 v20, v20, v21
	v_cvt_f64_f32_e32 v[20:21], v20
	v_lshl_add_u64 v[24:25], v[10:11], 3, v[16:17]
	global_store_dwordx2 v[24:25], v[20:21], off
	s_or_b64 exec, exec, s[28:29]
	s_and_b64 s[34:35], s[14:15], s[18:19]
	s_and_saveexec_b64 s[28:29], s[34:35]
	s_cbranch_execz .LBB109_186
.LBB109_211:
	s_and_b64 vcc, exec, s[0:1]
	s_cbranch_vccnz .LBB109_213
; %bb.212:
	v_lshl_add_u64 v[20:21], v[12:13], 3, v[18:19]
	flat_load_dwordx2 v[20:21], v[20:21]
	s_waitcnt vmcnt(0) lgkmcnt(0)
	v_mul_f64 v[20:21], v[20:21], s[22:23]
	s_branch .LBB109_214
.LBB109_213:
	v_mov_b64_e32 v[20:21], 0
.LBB109_214:
	v_cvt_f32_f64_e32 v20, v[20:21]
	v_max_f32_e32 v21, v111, v111
	v_min_f32_e32 v20, v20, v21
	v_cvt_f64_f32_e32 v[20:21], v20
	v_lshl_add_u64 v[24:25], v[12:13], 3, v[16:17]
	global_store_dwordx2 v[24:25], v[20:21], off
	s_or_b64 exec, exec, s[28:29]
	s_and_b64 s[28:29], s[16:17], s[18:19]
	s_and_saveexec_b64 s[18:19], s[28:29]
	s_cbranch_execz .LBB109_219
.LBB109_215:
	s_and_b64 vcc, exec, s[0:1]
	s_cbranch_vccnz .LBB109_217
; %bb.216:
	v_lshl_add_u64 v[18:19], v[14:15], 3, v[18:19]
	flat_load_dwordx2 v[18:19], v[18:19]
	s_waitcnt vmcnt(0) lgkmcnt(0)
	v_mul_f64 v[18:19], v[18:19], s[22:23]
	s_branch .LBB109_218
.LBB109_217:
	v_mov_b64_e32 v[18:19], 0
.LBB109_218:
	v_cvt_f32_f64_e32 v18, v[18:19]
	v_max_f32_e32 v19, v110, v110
	v_min_f32_e32 v18, v18, v19
	v_cvt_f64_f32_e32 v[18:19], v18
	v_lshl_add_u64 v[16:17], v[14:15], 3, v[16:17]
	global_store_dwordx2 v[16:17], v[18:19], off
.LBB109_219:
	s_or_b64 exec, exec, s[18:19]
	v_add_u32_e32 v20, 32, v22
	v_mad_i64_i32 v[16:17], s[28:29], v20, s31, 0
	v_cmp_gt_i32_e64 s[18:19], s25, v20
	v_lshl_add_u64 v[18:19], v[16:17], 3, s[20:21]
	v_mad_i64_i32 v[16:17], s[28:29], v20, s30, 0
	v_lshl_add_u64 v[16:17], v[16:17], 3, s[26:27]
	s_and_b64 s[34:35], s[2:3], s[18:19]
	s_and_saveexec_b64 s[28:29], s[34:35]
	s_cbranch_execnz .LBB109_227
; %bb.220:
	s_or_b64 exec, exec, s[28:29]
	s_and_b64 s[34:35], s[4:5], s[18:19]
	s_and_saveexec_b64 s[28:29], s[34:35]
	s_cbranch_execnz .LBB109_231
.LBB109_221:
	s_or_b64 exec, exec, s[28:29]
	s_and_b64 s[34:35], s[6:7], s[18:19]
	s_and_saveexec_b64 s[28:29], s[34:35]
	s_cbranch_execnz .LBB109_235
.LBB109_222:
	s_or_b64 exec, exec, s[28:29]
	s_and_b64 s[34:35], s[8:9], s[18:19]
	s_and_saveexec_b64 s[28:29], s[34:35]
	s_cbranch_execnz .LBB109_239
.LBB109_223:
	s_or_b64 exec, exec, s[28:29]
	s_and_b64 s[34:35], s[10:11], s[18:19]
	s_and_saveexec_b64 s[28:29], s[34:35]
	s_cbranch_execnz .LBB109_243
.LBB109_224:
	s_or_b64 exec, exec, s[28:29]
	s_and_b64 s[34:35], s[12:13], s[18:19]
	s_and_saveexec_b64 s[28:29], s[34:35]
	s_cbranch_execnz .LBB109_247
.LBB109_225:
	s_or_b64 exec, exec, s[28:29]
	s_and_b64 s[34:35], s[14:15], s[18:19]
	s_and_saveexec_b64 s[28:29], s[34:35]
	s_cbranch_execnz .LBB109_251
.LBB109_226:
	s_or_b64 exec, exec, s[28:29]
	s_and_b64 s[28:29], s[16:17], s[18:19]
	s_and_saveexec_b64 s[18:19], s[28:29]
	s_cbranch_execnz .LBB109_255
	s_branch .LBB109_259
.LBB109_227:
	s_and_b64 vcc, exec, s[0:1]
	s_cbranch_vccnz .LBB109_229
; %bb.228:
	v_lshl_add_u64 v[20:21], v[0:1], 3, v[18:19]
	flat_load_dwordx2 v[20:21], v[20:21]
	s_waitcnt vmcnt(0) lgkmcnt(0)
	v_mul_f64 v[20:21], v[20:21], s[22:23]
	s_branch .LBB109_230
.LBB109_229:
	v_mov_b64_e32 v[20:21], 0
.LBB109_230:
	v_cvt_f32_f64_e32 v20, v[20:21]
	v_max_f32_e32 v21, v109, v109
	v_min_f32_e32 v20, v20, v21
	v_cvt_f64_f32_e32 v[20:21], v20
	v_lshl_add_u64 v[24:25], v[0:1], 3, v[16:17]
	global_store_dwordx2 v[24:25], v[20:21], off
	s_or_b64 exec, exec, s[28:29]
	s_and_b64 s[34:35], s[4:5], s[18:19]
	s_and_saveexec_b64 s[28:29], s[34:35]
	s_cbranch_execz .LBB109_221
.LBB109_231:
	s_and_b64 vcc, exec, s[0:1]
	s_cbranch_vccnz .LBB109_233
; %bb.232:
	v_lshl_add_u64 v[20:21], v[2:3], 3, v[18:19]
	flat_load_dwordx2 v[20:21], v[20:21]
	s_waitcnt vmcnt(0) lgkmcnt(0)
	v_mul_f64 v[20:21], v[20:21], s[22:23]
	s_branch .LBB109_234
.LBB109_233:
	v_mov_b64_e32 v[20:21], 0
.LBB109_234:
	v_cvt_f32_f64_e32 v20, v[20:21]
	v_max_f32_e32 v21, v108, v108
	v_min_f32_e32 v20, v20, v21
	v_cvt_f64_f32_e32 v[20:21], v20
	v_lshl_add_u64 v[24:25], v[2:3], 3, v[16:17]
	global_store_dwordx2 v[24:25], v[20:21], off
	s_or_b64 exec, exec, s[28:29]
	s_and_b64 s[34:35], s[6:7], s[18:19]
	s_and_saveexec_b64 s[28:29], s[34:35]
	s_cbranch_execz .LBB109_222
.LBB109_235:
	s_and_b64 vcc, exec, s[0:1]
	s_cbranch_vccnz .LBB109_237
; %bb.236:
	v_lshl_add_u64 v[20:21], v[4:5], 3, v[18:19]
	flat_load_dwordx2 v[20:21], v[20:21]
	s_waitcnt vmcnt(0) lgkmcnt(0)
	v_mul_f64 v[20:21], v[20:21], s[22:23]
	s_branch .LBB109_238
.LBB109_237:
	v_mov_b64_e32 v[20:21], 0
.LBB109_238:
	v_cvt_f32_f64_e32 v20, v[20:21]
	v_max_f32_e32 v21, v107, v107
	v_min_f32_e32 v20, v20, v21
	v_cvt_f64_f32_e32 v[20:21], v20
	v_lshl_add_u64 v[24:25], v[4:5], 3, v[16:17]
	global_store_dwordx2 v[24:25], v[20:21], off
	s_or_b64 exec, exec, s[28:29]
	s_and_b64 s[34:35], s[8:9], s[18:19]
	s_and_saveexec_b64 s[28:29], s[34:35]
	s_cbranch_execz .LBB109_223
.LBB109_239:
	s_and_b64 vcc, exec, s[0:1]
	s_cbranch_vccnz .LBB109_241
; %bb.240:
	v_lshl_add_u64 v[20:21], v[6:7], 3, v[18:19]
	flat_load_dwordx2 v[20:21], v[20:21]
	s_waitcnt vmcnt(0) lgkmcnt(0)
	v_mul_f64 v[20:21], v[20:21], s[22:23]
	s_branch .LBB109_242
.LBB109_241:
	v_mov_b64_e32 v[20:21], 0
.LBB109_242:
	v_cvt_f32_f64_e32 v20, v[20:21]
	v_max_f32_e32 v21, v106, v106
	v_min_f32_e32 v20, v20, v21
	v_cvt_f64_f32_e32 v[20:21], v20
	v_lshl_add_u64 v[24:25], v[6:7], 3, v[16:17]
	global_store_dwordx2 v[24:25], v[20:21], off
	s_or_b64 exec, exec, s[28:29]
	s_and_b64 s[34:35], s[10:11], s[18:19]
	s_and_saveexec_b64 s[28:29], s[34:35]
	s_cbranch_execz .LBB109_224
.LBB109_243:
	s_and_b64 vcc, exec, s[0:1]
	s_cbranch_vccnz .LBB109_245
; %bb.244:
	v_lshl_add_u64 v[20:21], v[8:9], 3, v[18:19]
	flat_load_dwordx2 v[20:21], v[20:21]
	s_waitcnt vmcnt(0) lgkmcnt(0)
	v_mul_f64 v[20:21], v[20:21], s[22:23]
	s_branch .LBB109_246
.LBB109_245:
	v_mov_b64_e32 v[20:21], 0
.LBB109_246:
	v_cvt_f32_f64_e32 v20, v[20:21]
	v_max_f32_e32 v21, v105, v105
	v_min_f32_e32 v20, v20, v21
	v_cvt_f64_f32_e32 v[20:21], v20
	v_lshl_add_u64 v[24:25], v[8:9], 3, v[16:17]
	global_store_dwordx2 v[24:25], v[20:21], off
	s_or_b64 exec, exec, s[28:29]
	s_and_b64 s[34:35], s[12:13], s[18:19]
	s_and_saveexec_b64 s[28:29], s[34:35]
	s_cbranch_execz .LBB109_225
.LBB109_247:
	s_and_b64 vcc, exec, s[0:1]
	s_cbranch_vccnz .LBB109_249
; %bb.248:
	v_lshl_add_u64 v[20:21], v[10:11], 3, v[18:19]
	flat_load_dwordx2 v[20:21], v[20:21]
	s_waitcnt vmcnt(0) lgkmcnt(0)
	v_mul_f64 v[20:21], v[20:21], s[22:23]
	s_branch .LBB109_250
.LBB109_249:
	v_mov_b64_e32 v[20:21], 0
.LBB109_250:
	v_cvt_f32_f64_e32 v20, v[20:21]
	v_max_f32_e32 v21, v104, v104
	v_min_f32_e32 v20, v20, v21
	v_cvt_f64_f32_e32 v[20:21], v20
	v_lshl_add_u64 v[24:25], v[10:11], 3, v[16:17]
	global_store_dwordx2 v[24:25], v[20:21], off
	s_or_b64 exec, exec, s[28:29]
	s_and_b64 s[34:35], s[14:15], s[18:19]
	s_and_saveexec_b64 s[28:29], s[34:35]
	s_cbranch_execz .LBB109_226
.LBB109_251:
	s_and_b64 vcc, exec, s[0:1]
	s_cbranch_vccnz .LBB109_253
; %bb.252:
	v_lshl_add_u64 v[20:21], v[12:13], 3, v[18:19]
	flat_load_dwordx2 v[20:21], v[20:21]
	s_waitcnt vmcnt(0) lgkmcnt(0)
	v_mul_f64 v[20:21], v[20:21], s[22:23]
	s_branch .LBB109_254
.LBB109_253:
	v_mov_b64_e32 v[20:21], 0
.LBB109_254:
	v_cvt_f32_f64_e32 v20, v[20:21]
	v_max_f32_e32 v21, v103, v103
	v_min_f32_e32 v20, v20, v21
	v_cvt_f64_f32_e32 v[20:21], v20
	v_lshl_add_u64 v[24:25], v[12:13], 3, v[16:17]
	global_store_dwordx2 v[24:25], v[20:21], off
	s_or_b64 exec, exec, s[28:29]
	s_and_b64 s[28:29], s[16:17], s[18:19]
	s_and_saveexec_b64 s[18:19], s[28:29]
	s_cbranch_execz .LBB109_259
.LBB109_255:
	s_and_b64 vcc, exec, s[0:1]
	s_cbranch_vccnz .LBB109_257
; %bb.256:
	v_lshl_add_u64 v[18:19], v[14:15], 3, v[18:19]
	flat_load_dwordx2 v[18:19], v[18:19]
	s_waitcnt vmcnt(0) lgkmcnt(0)
	v_mul_f64 v[18:19], v[18:19], s[22:23]
	s_branch .LBB109_258
.LBB109_257:
	v_mov_b64_e32 v[18:19], 0
.LBB109_258:
	v_cvt_f32_f64_e32 v18, v[18:19]
	v_max_f32_e32 v19, v102, v102
	v_min_f32_e32 v18, v18, v19
	v_cvt_f64_f32_e32 v[18:19], v18
	v_lshl_add_u64 v[16:17], v[14:15], 3, v[16:17]
	global_store_dwordx2 v[16:17], v[18:19], off
.LBB109_259:
	s_or_b64 exec, exec, s[18:19]
	v_add_u32_e32 v20, 40, v22
	v_mad_i64_i32 v[16:17], s[28:29], v20, s31, 0
	v_cmp_gt_i32_e64 s[18:19], s25, v20
	v_lshl_add_u64 v[18:19], v[16:17], 3, s[20:21]
	v_mad_i64_i32 v[16:17], s[28:29], v20, s30, 0
	v_lshl_add_u64 v[16:17], v[16:17], 3, s[26:27]
	s_and_b64 s[34:35], s[2:3], s[18:19]
	s_and_saveexec_b64 s[28:29], s[34:35]
	s_cbranch_execnz .LBB109_267
; %bb.260:
	s_or_b64 exec, exec, s[28:29]
	s_and_b64 s[34:35], s[4:5], s[18:19]
	s_and_saveexec_b64 s[28:29], s[34:35]
	s_cbranch_execnz .LBB109_271
.LBB109_261:
	s_or_b64 exec, exec, s[28:29]
	s_and_b64 s[34:35], s[6:7], s[18:19]
	s_and_saveexec_b64 s[28:29], s[34:35]
	s_cbranch_execnz .LBB109_275
.LBB109_262:
	s_or_b64 exec, exec, s[28:29]
	s_and_b64 s[34:35], s[8:9], s[18:19]
	s_and_saveexec_b64 s[28:29], s[34:35]
	s_cbranch_execnz .LBB109_279
.LBB109_263:
	s_or_b64 exec, exec, s[28:29]
	s_and_b64 s[34:35], s[10:11], s[18:19]
	s_and_saveexec_b64 s[28:29], s[34:35]
	s_cbranch_execnz .LBB109_283
.LBB109_264:
	s_or_b64 exec, exec, s[28:29]
	s_and_b64 s[34:35], s[12:13], s[18:19]
	s_and_saveexec_b64 s[28:29], s[34:35]
	s_cbranch_execnz .LBB109_287
.LBB109_265:
	s_or_b64 exec, exec, s[28:29]
	s_and_b64 s[34:35], s[14:15], s[18:19]
	s_and_saveexec_b64 s[28:29], s[34:35]
	s_cbranch_execnz .LBB109_291
.LBB109_266:
	s_or_b64 exec, exec, s[28:29]
	s_and_b64 s[28:29], s[16:17], s[18:19]
	s_and_saveexec_b64 s[18:19], s[28:29]
	s_cbranch_execnz .LBB109_295
	s_branch .LBB109_299
.LBB109_267:
	s_and_b64 vcc, exec, s[0:1]
	s_cbranch_vccnz .LBB109_269
; %bb.268:
	v_lshl_add_u64 v[20:21], v[0:1], 3, v[18:19]
	flat_load_dwordx2 v[20:21], v[20:21]
	s_waitcnt vmcnt(0) lgkmcnt(0)
	v_mul_f64 v[20:21], v[20:21], s[22:23]
	s_branch .LBB109_270
.LBB109_269:
	v_mov_b64_e32 v[20:21], 0
.LBB109_270:
	v_cvt_f32_f64_e32 v20, v[20:21]
	v_max_f32_e32 v21, v101, v101
	v_min_f32_e32 v20, v20, v21
	v_cvt_f64_f32_e32 v[20:21], v20
	v_lshl_add_u64 v[24:25], v[0:1], 3, v[16:17]
	global_store_dwordx2 v[24:25], v[20:21], off
	s_or_b64 exec, exec, s[28:29]
	s_and_b64 s[34:35], s[4:5], s[18:19]
	s_and_saveexec_b64 s[28:29], s[34:35]
	s_cbranch_execz .LBB109_261
.LBB109_271:
	s_and_b64 vcc, exec, s[0:1]
	s_cbranch_vccnz .LBB109_273
; %bb.272:
	v_lshl_add_u64 v[20:21], v[2:3], 3, v[18:19]
	flat_load_dwordx2 v[20:21], v[20:21]
	s_waitcnt vmcnt(0) lgkmcnt(0)
	v_mul_f64 v[20:21], v[20:21], s[22:23]
	s_branch .LBB109_274
.LBB109_273:
	v_mov_b64_e32 v[20:21], 0
.LBB109_274:
	v_cvt_f32_f64_e32 v20, v[20:21]
	v_max_f32_e32 v21, v100, v100
	v_min_f32_e32 v20, v20, v21
	v_cvt_f64_f32_e32 v[20:21], v20
	v_lshl_add_u64 v[24:25], v[2:3], 3, v[16:17]
	global_store_dwordx2 v[24:25], v[20:21], off
	s_or_b64 exec, exec, s[28:29]
	s_and_b64 s[34:35], s[6:7], s[18:19]
	s_and_saveexec_b64 s[28:29], s[34:35]
	s_cbranch_execz .LBB109_262
.LBB109_275:
	s_and_b64 vcc, exec, s[0:1]
	s_cbranch_vccnz .LBB109_277
; %bb.276:
	v_lshl_add_u64 v[20:21], v[4:5], 3, v[18:19]
	flat_load_dwordx2 v[20:21], v[20:21]
	s_waitcnt vmcnt(0) lgkmcnt(0)
	v_mul_f64 v[20:21], v[20:21], s[22:23]
	s_branch .LBB109_278
.LBB109_277:
	v_mov_b64_e32 v[20:21], 0
.LBB109_278:
	v_cvt_f32_f64_e32 v20, v[20:21]
	v_max_f32_e32 v21, v99, v99
	v_min_f32_e32 v20, v20, v21
	v_cvt_f64_f32_e32 v[20:21], v20
	v_lshl_add_u64 v[24:25], v[4:5], 3, v[16:17]
	global_store_dwordx2 v[24:25], v[20:21], off
	s_or_b64 exec, exec, s[28:29]
	s_and_b64 s[34:35], s[8:9], s[18:19]
	s_and_saveexec_b64 s[28:29], s[34:35]
	s_cbranch_execz .LBB109_263
.LBB109_279:
	s_and_b64 vcc, exec, s[0:1]
	s_cbranch_vccnz .LBB109_281
; %bb.280:
	v_lshl_add_u64 v[20:21], v[6:7], 3, v[18:19]
	flat_load_dwordx2 v[20:21], v[20:21]
	s_waitcnt vmcnt(0) lgkmcnt(0)
	v_mul_f64 v[20:21], v[20:21], s[22:23]
	s_branch .LBB109_282
.LBB109_281:
	v_mov_b64_e32 v[20:21], 0
.LBB109_282:
	v_cvt_f32_f64_e32 v20, v[20:21]
	v_max_f32_e32 v21, v98, v98
	v_min_f32_e32 v20, v20, v21
	v_cvt_f64_f32_e32 v[20:21], v20
	v_lshl_add_u64 v[24:25], v[6:7], 3, v[16:17]
	global_store_dwordx2 v[24:25], v[20:21], off
	s_or_b64 exec, exec, s[28:29]
	s_and_b64 s[34:35], s[10:11], s[18:19]
	s_and_saveexec_b64 s[28:29], s[34:35]
	s_cbranch_execz .LBB109_264
.LBB109_283:
	s_and_b64 vcc, exec, s[0:1]
	s_cbranch_vccnz .LBB109_285
; %bb.284:
	v_lshl_add_u64 v[20:21], v[8:9], 3, v[18:19]
	flat_load_dwordx2 v[20:21], v[20:21]
	s_waitcnt vmcnt(0) lgkmcnt(0)
	v_mul_f64 v[20:21], v[20:21], s[22:23]
	s_branch .LBB109_286
.LBB109_285:
	v_mov_b64_e32 v[20:21], 0
.LBB109_286:
	v_cvt_f32_f64_e32 v20, v[20:21]
	v_max_f32_e32 v21, v97, v97
	v_min_f32_e32 v20, v20, v21
	v_cvt_f64_f32_e32 v[20:21], v20
	v_lshl_add_u64 v[24:25], v[8:9], 3, v[16:17]
	global_store_dwordx2 v[24:25], v[20:21], off
	s_or_b64 exec, exec, s[28:29]
	s_and_b64 s[34:35], s[12:13], s[18:19]
	s_and_saveexec_b64 s[28:29], s[34:35]
	s_cbranch_execz .LBB109_265
.LBB109_287:
	s_and_b64 vcc, exec, s[0:1]
	s_cbranch_vccnz .LBB109_289
; %bb.288:
	v_lshl_add_u64 v[20:21], v[10:11], 3, v[18:19]
	flat_load_dwordx2 v[20:21], v[20:21]
	s_waitcnt vmcnt(0) lgkmcnt(0)
	v_mul_f64 v[20:21], v[20:21], s[22:23]
	s_branch .LBB109_290
.LBB109_289:
	v_mov_b64_e32 v[20:21], 0
.LBB109_290:
	v_cvt_f32_f64_e32 v20, v[20:21]
	v_max_f32_e32 v21, v96, v96
	v_min_f32_e32 v20, v20, v21
	v_cvt_f64_f32_e32 v[20:21], v20
	v_lshl_add_u64 v[24:25], v[10:11], 3, v[16:17]
	global_store_dwordx2 v[24:25], v[20:21], off
	s_or_b64 exec, exec, s[28:29]
	s_and_b64 s[34:35], s[14:15], s[18:19]
	s_and_saveexec_b64 s[28:29], s[34:35]
	s_cbranch_execz .LBB109_266
.LBB109_291:
	s_and_b64 vcc, exec, s[0:1]
	s_cbranch_vccnz .LBB109_293
; %bb.292:
	v_lshl_add_u64 v[20:21], v[12:13], 3, v[18:19]
	flat_load_dwordx2 v[20:21], v[20:21]
	s_waitcnt vmcnt(0) lgkmcnt(0)
	v_mul_f64 v[20:21], v[20:21], s[22:23]
	s_branch .LBB109_294
.LBB109_293:
	v_mov_b64_e32 v[20:21], 0
.LBB109_294:
	v_cvt_f32_f64_e32 v20, v[20:21]
	v_max_f32_e32 v21, v95, v95
	v_min_f32_e32 v20, v20, v21
	v_cvt_f64_f32_e32 v[20:21], v20
	v_lshl_add_u64 v[24:25], v[12:13], 3, v[16:17]
	global_store_dwordx2 v[24:25], v[20:21], off
	s_or_b64 exec, exec, s[28:29]
	s_and_b64 s[28:29], s[16:17], s[18:19]
	s_and_saveexec_b64 s[18:19], s[28:29]
	s_cbranch_execz .LBB109_299
.LBB109_295:
	s_and_b64 vcc, exec, s[0:1]
	s_cbranch_vccnz .LBB109_297
; %bb.296:
	v_lshl_add_u64 v[18:19], v[14:15], 3, v[18:19]
	flat_load_dwordx2 v[18:19], v[18:19]
	s_waitcnt vmcnt(0) lgkmcnt(0)
	v_mul_f64 v[18:19], v[18:19], s[22:23]
	s_branch .LBB109_298
.LBB109_297:
	v_mov_b64_e32 v[18:19], 0
.LBB109_298:
	v_cvt_f32_f64_e32 v18, v[18:19]
	v_max_f32_e32 v19, v94, v94
	v_min_f32_e32 v18, v18, v19
	v_cvt_f64_f32_e32 v[18:19], v18
	v_lshl_add_u64 v[16:17], v[14:15], 3, v[16:17]
	global_store_dwordx2 v[16:17], v[18:19], off
.LBB109_299:
	s_or_b64 exec, exec, s[18:19]
	v_add_u32_e32 v20, 48, v22
	v_mad_i64_i32 v[16:17], s[28:29], v20, s31, 0
	v_cmp_gt_i32_e64 s[18:19], s25, v20
	v_lshl_add_u64 v[18:19], v[16:17], 3, s[20:21]
	v_mad_i64_i32 v[16:17], s[28:29], v20, s30, 0
	v_lshl_add_u64 v[16:17], v[16:17], 3, s[26:27]
	s_and_b64 s[34:35], s[2:3], s[18:19]
	s_and_saveexec_b64 s[28:29], s[34:35]
	s_cbranch_execnz .LBB109_307
; %bb.300:
	s_or_b64 exec, exec, s[28:29]
	s_and_b64 s[34:35], s[4:5], s[18:19]
	s_and_saveexec_b64 s[28:29], s[34:35]
	s_cbranch_execnz .LBB109_311
.LBB109_301:
	s_or_b64 exec, exec, s[28:29]
	s_and_b64 s[34:35], s[6:7], s[18:19]
	s_and_saveexec_b64 s[28:29], s[34:35]
	s_cbranch_execnz .LBB109_315
.LBB109_302:
	s_or_b64 exec, exec, s[28:29]
	s_and_b64 s[34:35], s[8:9], s[18:19]
	s_and_saveexec_b64 s[28:29], s[34:35]
	s_cbranch_execnz .LBB109_319
.LBB109_303:
	s_or_b64 exec, exec, s[28:29]
	s_and_b64 s[34:35], s[10:11], s[18:19]
	s_and_saveexec_b64 s[28:29], s[34:35]
	s_cbranch_execnz .LBB109_323
.LBB109_304:
	s_or_b64 exec, exec, s[28:29]
	s_and_b64 s[34:35], s[12:13], s[18:19]
	s_and_saveexec_b64 s[28:29], s[34:35]
	s_cbranch_execnz .LBB109_327
.LBB109_305:
	s_or_b64 exec, exec, s[28:29]
	s_and_b64 s[34:35], s[14:15], s[18:19]
	s_and_saveexec_b64 s[28:29], s[34:35]
	s_cbranch_execnz .LBB109_331
.LBB109_306:
	s_or_b64 exec, exec, s[28:29]
	s_and_b64 s[28:29], s[16:17], s[18:19]
	s_and_saveexec_b64 s[18:19], s[28:29]
	s_cbranch_execnz .LBB109_335
	s_branch .LBB109_339
.LBB109_307:
	s_and_b64 vcc, exec, s[0:1]
	s_cbranch_vccnz .LBB109_309
; %bb.308:
	v_lshl_add_u64 v[20:21], v[0:1], 3, v[18:19]
	flat_load_dwordx2 v[20:21], v[20:21]
	s_waitcnt vmcnt(0) lgkmcnt(0)
	v_mul_f64 v[20:21], v[20:21], s[22:23]
	s_branch .LBB109_310
.LBB109_309:
	v_mov_b64_e32 v[20:21], 0
.LBB109_310:
	v_cvt_f32_f64_e32 v20, v[20:21]
	v_max_f32_e32 v21, v93, v93
	v_min_f32_e32 v20, v20, v21
	v_cvt_f64_f32_e32 v[20:21], v20
	v_lshl_add_u64 v[24:25], v[0:1], 3, v[16:17]
	global_store_dwordx2 v[24:25], v[20:21], off
	s_or_b64 exec, exec, s[28:29]
	s_and_b64 s[34:35], s[4:5], s[18:19]
	s_and_saveexec_b64 s[28:29], s[34:35]
	s_cbranch_execz .LBB109_301
.LBB109_311:
	s_and_b64 vcc, exec, s[0:1]
	s_cbranch_vccnz .LBB109_313
; %bb.312:
	v_lshl_add_u64 v[20:21], v[2:3], 3, v[18:19]
	flat_load_dwordx2 v[20:21], v[20:21]
	s_waitcnt vmcnt(0) lgkmcnt(0)
	v_mul_f64 v[20:21], v[20:21], s[22:23]
	s_branch .LBB109_314
.LBB109_313:
	v_mov_b64_e32 v[20:21], 0
.LBB109_314:
	v_cvt_f32_f64_e32 v20, v[20:21]
	v_max_f32_e32 v21, v92, v92
	v_min_f32_e32 v20, v20, v21
	v_cvt_f64_f32_e32 v[20:21], v20
	v_lshl_add_u64 v[24:25], v[2:3], 3, v[16:17]
	global_store_dwordx2 v[24:25], v[20:21], off
	s_or_b64 exec, exec, s[28:29]
	s_and_b64 s[34:35], s[6:7], s[18:19]
	s_and_saveexec_b64 s[28:29], s[34:35]
	s_cbranch_execz .LBB109_302
.LBB109_315:
	s_and_b64 vcc, exec, s[0:1]
	s_cbranch_vccnz .LBB109_317
; %bb.316:
	v_lshl_add_u64 v[20:21], v[4:5], 3, v[18:19]
	flat_load_dwordx2 v[20:21], v[20:21]
	s_waitcnt vmcnt(0) lgkmcnt(0)
	v_mul_f64 v[20:21], v[20:21], s[22:23]
	s_branch .LBB109_318
.LBB109_317:
	v_mov_b64_e32 v[20:21], 0
.LBB109_318:
	v_cvt_f32_f64_e32 v20, v[20:21]
	v_max_f32_e32 v21, v91, v91
	v_min_f32_e32 v20, v20, v21
	v_cvt_f64_f32_e32 v[20:21], v20
	v_lshl_add_u64 v[24:25], v[4:5], 3, v[16:17]
	global_store_dwordx2 v[24:25], v[20:21], off
	s_or_b64 exec, exec, s[28:29]
	s_and_b64 s[34:35], s[8:9], s[18:19]
	s_and_saveexec_b64 s[28:29], s[34:35]
	s_cbranch_execz .LBB109_303
.LBB109_319:
	s_and_b64 vcc, exec, s[0:1]
	s_cbranch_vccnz .LBB109_321
; %bb.320:
	v_lshl_add_u64 v[20:21], v[6:7], 3, v[18:19]
	flat_load_dwordx2 v[20:21], v[20:21]
	s_waitcnt vmcnt(0) lgkmcnt(0)
	v_mul_f64 v[20:21], v[20:21], s[22:23]
	s_branch .LBB109_322
.LBB109_321:
	v_mov_b64_e32 v[20:21], 0
.LBB109_322:
	v_cvt_f32_f64_e32 v20, v[20:21]
	v_max_f32_e32 v21, v90, v90
	v_min_f32_e32 v20, v20, v21
	v_cvt_f64_f32_e32 v[20:21], v20
	v_lshl_add_u64 v[24:25], v[6:7], 3, v[16:17]
	global_store_dwordx2 v[24:25], v[20:21], off
	s_or_b64 exec, exec, s[28:29]
	s_and_b64 s[34:35], s[10:11], s[18:19]
	s_and_saveexec_b64 s[28:29], s[34:35]
	s_cbranch_execz .LBB109_304
.LBB109_323:
	s_and_b64 vcc, exec, s[0:1]
	s_cbranch_vccnz .LBB109_325
; %bb.324:
	v_lshl_add_u64 v[20:21], v[8:9], 3, v[18:19]
	flat_load_dwordx2 v[20:21], v[20:21]
	s_waitcnt vmcnt(0) lgkmcnt(0)
	v_mul_f64 v[20:21], v[20:21], s[22:23]
	s_branch .LBB109_326
.LBB109_325:
	v_mov_b64_e32 v[20:21], 0
.LBB109_326:
	v_cvt_f32_f64_e32 v20, v[20:21]
	v_max_f32_e32 v21, v89, v89
	v_min_f32_e32 v20, v20, v21
	v_cvt_f64_f32_e32 v[20:21], v20
	v_lshl_add_u64 v[24:25], v[8:9], 3, v[16:17]
	global_store_dwordx2 v[24:25], v[20:21], off
	s_or_b64 exec, exec, s[28:29]
	s_and_b64 s[34:35], s[12:13], s[18:19]
	s_and_saveexec_b64 s[28:29], s[34:35]
	s_cbranch_execz .LBB109_305
.LBB109_327:
	s_and_b64 vcc, exec, s[0:1]
	s_cbranch_vccnz .LBB109_329
; %bb.328:
	v_lshl_add_u64 v[20:21], v[10:11], 3, v[18:19]
	flat_load_dwordx2 v[20:21], v[20:21]
	s_waitcnt vmcnt(0) lgkmcnt(0)
	v_mul_f64 v[20:21], v[20:21], s[22:23]
	s_branch .LBB109_330
.LBB109_329:
	v_mov_b64_e32 v[20:21], 0
.LBB109_330:
	v_cvt_f32_f64_e32 v20, v[20:21]
	v_max_f32_e32 v21, v88, v88
	v_min_f32_e32 v20, v20, v21
	v_cvt_f64_f32_e32 v[20:21], v20
	v_lshl_add_u64 v[24:25], v[10:11], 3, v[16:17]
	global_store_dwordx2 v[24:25], v[20:21], off
	s_or_b64 exec, exec, s[28:29]
	s_and_b64 s[34:35], s[14:15], s[18:19]
	s_and_saveexec_b64 s[28:29], s[34:35]
	s_cbranch_execz .LBB109_306
.LBB109_331:
	s_and_b64 vcc, exec, s[0:1]
	s_cbranch_vccnz .LBB109_333
; %bb.332:
	v_lshl_add_u64 v[20:21], v[12:13], 3, v[18:19]
	flat_load_dwordx2 v[20:21], v[20:21]
	s_waitcnt vmcnt(0) lgkmcnt(0)
	v_mul_f64 v[20:21], v[20:21], s[22:23]
	s_branch .LBB109_334
.LBB109_333:
	v_mov_b64_e32 v[20:21], 0
.LBB109_334:
	v_cvt_f32_f64_e32 v20, v[20:21]
	v_max_f32_e32 v21, v87, v87
	v_min_f32_e32 v20, v20, v21
	v_cvt_f64_f32_e32 v[20:21], v20
	v_lshl_add_u64 v[24:25], v[12:13], 3, v[16:17]
	global_store_dwordx2 v[24:25], v[20:21], off
	s_or_b64 exec, exec, s[28:29]
	s_and_b64 s[28:29], s[16:17], s[18:19]
	s_and_saveexec_b64 s[18:19], s[28:29]
	s_cbranch_execz .LBB109_339
.LBB109_335:
	s_and_b64 vcc, exec, s[0:1]
	s_cbranch_vccnz .LBB109_337
; %bb.336:
	v_lshl_add_u64 v[18:19], v[14:15], 3, v[18:19]
	flat_load_dwordx2 v[18:19], v[18:19]
	s_waitcnt vmcnt(0) lgkmcnt(0)
	v_mul_f64 v[18:19], v[18:19], s[22:23]
	s_branch .LBB109_338
.LBB109_337:
	v_mov_b64_e32 v[18:19], 0
.LBB109_338:
	v_cvt_f32_f64_e32 v18, v[18:19]
	v_max_f32_e32 v19, v86, v86
	v_min_f32_e32 v18, v18, v19
	v_cvt_f64_f32_e32 v[18:19], v18
	v_lshl_add_u64 v[16:17], v[14:15], 3, v[16:17]
	global_store_dwordx2 v[16:17], v[18:19], off
.LBB109_339:
	s_or_b64 exec, exec, s[18:19]
	v_add_u32_e32 v20, 56, v22
	v_cmp_gt_i32_e64 s[18:19], s25, v20
	v_mad_i64_i32 v[16:17], s[24:25], v20, s31, 0
	v_lshl_add_u64 v[18:19], v[16:17], 3, s[20:21]
	v_mad_i64_i32 v[16:17], s[20:21], v20, s30, 0
	v_lshl_add_u64 v[16:17], v[16:17], 3, s[26:27]
	s_and_b64 s[20:21], s[2:3], s[18:19]
	s_and_saveexec_b64 s[2:3], s[20:21]
	s_cbranch_execnz .LBB109_348
; %bb.340:
	s_or_b64 exec, exec, s[2:3]
	s_and_b64 s[4:5], s[4:5], s[18:19]
	s_and_saveexec_b64 s[2:3], s[4:5]
	s_cbranch_execnz .LBB109_352
.LBB109_341:
	s_or_b64 exec, exec, s[2:3]
	s_and_b64 s[4:5], s[6:7], s[18:19]
	s_and_saveexec_b64 s[2:3], s[4:5]
	s_cbranch_execnz .LBB109_356
.LBB109_342:
	s_or_b64 exec, exec, s[2:3]
	s_and_b64 s[4:5], s[8:9], s[18:19]
	s_and_saveexec_b64 s[2:3], s[4:5]
	s_cbranch_execnz .LBB109_360
.LBB109_343:
	s_or_b64 exec, exec, s[2:3]
	s_and_b64 s[4:5], s[10:11], s[18:19]
	s_and_saveexec_b64 s[2:3], s[4:5]
	s_cbranch_execnz .LBB109_364
.LBB109_344:
	s_or_b64 exec, exec, s[2:3]
	s_and_b64 s[4:5], s[12:13], s[18:19]
	s_and_saveexec_b64 s[2:3], s[4:5]
	s_cbranch_execnz .LBB109_368
.LBB109_345:
	s_or_b64 exec, exec, s[2:3]
	s_and_b64 s[4:5], s[14:15], s[18:19]
	s_and_saveexec_b64 s[2:3], s[4:5]
	s_cbranch_execnz .LBB109_372
.LBB109_346:
	s_or_b64 exec, exec, s[2:3]
	s_and_b64 s[2:3], s[16:17], s[18:19]
	s_and_saveexec_b64 s[4:5], s[2:3]
	s_cbranch_execnz .LBB109_376
.LBB109_347:
	s_endpgm
.LBB109_348:
	s_and_b64 vcc, exec, s[0:1]
	s_cbranch_vccnz .LBB109_350
; %bb.349:
	v_lshl_add_u64 v[20:21], v[0:1], 3, v[18:19]
	flat_load_dwordx2 v[20:21], v[20:21]
	s_waitcnt vmcnt(0) lgkmcnt(0)
	v_mul_f64 v[20:21], v[20:21], s[22:23]
	v_cvt_f32_f64_e32 v20, v[20:21]
	s_branch .LBB109_351
.LBB109_350:
	v_mov_b32_e32 v20, 0
.LBB109_351:
	v_max_f32_e32 v21, v85, v85
	v_max_f32_e32 v20, v20, v20
	v_min_f32_e32 v20, v20, v21
	v_cvt_f64_f32_e32 v[20:21], v20
	v_lshl_add_u64 v[0:1], v[0:1], 3, v[16:17]
	global_store_dwordx2 v[0:1], v[20:21], off
	s_or_b64 exec, exec, s[2:3]
	s_and_b64 s[4:5], s[4:5], s[18:19]
	s_and_saveexec_b64 s[2:3], s[4:5]
	s_cbranch_execz .LBB109_341
.LBB109_352:
	s_and_b64 vcc, exec, s[0:1]
	s_cbranch_vccnz .LBB109_354
; %bb.353:
	v_lshl_add_u64 v[0:1], v[2:3], 3, v[18:19]
	flat_load_dwordx2 v[0:1], v[0:1]
	s_waitcnt vmcnt(0) lgkmcnt(0)
	v_mul_f64 v[0:1], v[0:1], s[22:23]
	v_cvt_f32_f64_e32 v0, v[0:1]
	s_branch .LBB109_355
.LBB109_354:
	v_mov_b32_e32 v0, 0
.LBB109_355:
	v_max_f32_e32 v1, v84, v84
	v_max_f32_e32 v0, v0, v0
	v_min_f32_e32 v0, v0, v1
	v_cvt_f64_f32_e32 v[0:1], v0
	v_lshl_add_u64 v[2:3], v[2:3], 3, v[16:17]
	global_store_dwordx2 v[2:3], v[0:1], off
	s_or_b64 exec, exec, s[2:3]
	s_and_b64 s[4:5], s[6:7], s[18:19]
	s_and_saveexec_b64 s[2:3], s[4:5]
	s_cbranch_execz .LBB109_342
.LBB109_356:
	s_and_b64 vcc, exec, s[0:1]
	s_cbranch_vccnz .LBB109_358
; %bb.357:
	v_lshl_add_u64 v[0:1], v[4:5], 3, v[18:19]
	flat_load_dwordx2 v[0:1], v[0:1]
	s_waitcnt vmcnt(0) lgkmcnt(0)
	v_mul_f64 v[0:1], v[0:1], s[22:23]
	v_cvt_f32_f64_e32 v0, v[0:1]
	s_branch .LBB109_359
.LBB109_358:
	v_mov_b32_e32 v0, 0
.LBB109_359:
	v_max_f32_e32 v1, v83, v83
	v_max_f32_e32 v0, v0, v0
	v_min_f32_e32 v0, v0, v1
	v_cvt_f64_f32_e32 v[0:1], v0
	v_lshl_add_u64 v[2:3], v[4:5], 3, v[16:17]
	global_store_dwordx2 v[2:3], v[0:1], off
	s_or_b64 exec, exec, s[2:3]
	s_and_b64 s[4:5], s[8:9], s[18:19]
	s_and_saveexec_b64 s[2:3], s[4:5]
	s_cbranch_execz .LBB109_343
.LBB109_360:
	s_and_b64 vcc, exec, s[0:1]
	s_cbranch_vccnz .LBB109_362
; %bb.361:
	v_lshl_add_u64 v[0:1], v[6:7], 3, v[18:19]
	flat_load_dwordx2 v[0:1], v[0:1]
	s_waitcnt vmcnt(0) lgkmcnt(0)
	v_mul_f64 v[0:1], v[0:1], s[22:23]
	v_cvt_f32_f64_e32 v0, v[0:1]
	s_branch .LBB109_363
.LBB109_362:
	v_mov_b32_e32 v0, 0
.LBB109_363:
	v_max_f32_e32 v1, v82, v82
	v_max_f32_e32 v0, v0, v0
	v_min_f32_e32 v0, v0, v1
	v_cvt_f64_f32_e32 v[0:1], v0
	v_lshl_add_u64 v[2:3], v[6:7], 3, v[16:17]
	global_store_dwordx2 v[2:3], v[0:1], off
	s_or_b64 exec, exec, s[2:3]
	s_and_b64 s[4:5], s[10:11], s[18:19]
	s_and_saveexec_b64 s[2:3], s[4:5]
	s_cbranch_execz .LBB109_344
.LBB109_364:
	s_and_b64 vcc, exec, s[0:1]
	s_cbranch_vccnz .LBB109_366
; %bb.365:
	v_lshl_add_u64 v[0:1], v[8:9], 3, v[18:19]
	flat_load_dwordx2 v[0:1], v[0:1]
	s_waitcnt vmcnt(0) lgkmcnt(0)
	v_mul_f64 v[0:1], v[0:1], s[22:23]
	v_cvt_f32_f64_e32 v0, v[0:1]
	s_branch .LBB109_367
.LBB109_366:
	v_mov_b32_e32 v0, 0
.LBB109_367:
	v_max_f32_e32 v1, v81, v81
	v_max_f32_e32 v0, v0, v0
	v_min_f32_e32 v0, v0, v1
	v_cvt_f64_f32_e32 v[0:1], v0
	v_lshl_add_u64 v[2:3], v[8:9], 3, v[16:17]
	global_store_dwordx2 v[2:3], v[0:1], off
	s_or_b64 exec, exec, s[2:3]
	s_and_b64 s[4:5], s[12:13], s[18:19]
	s_and_saveexec_b64 s[2:3], s[4:5]
	s_cbranch_execz .LBB109_345
.LBB109_368:
	s_and_b64 vcc, exec, s[0:1]
	s_cbranch_vccnz .LBB109_370
; %bb.369:
	v_lshl_add_u64 v[0:1], v[10:11], 3, v[18:19]
	flat_load_dwordx2 v[0:1], v[0:1]
	s_waitcnt vmcnt(0) lgkmcnt(0)
	v_mul_f64 v[0:1], v[0:1], s[22:23]
	v_cvt_f32_f64_e32 v0, v[0:1]
	s_branch .LBB109_371
.LBB109_370:
	v_mov_b32_e32 v0, 0
.LBB109_371:
	v_max_f32_e32 v1, v80, v80
	v_max_f32_e32 v0, v0, v0
	v_min_f32_e32 v0, v0, v1
	v_cvt_f64_f32_e32 v[0:1], v0
	v_lshl_add_u64 v[2:3], v[10:11], 3, v[16:17]
	global_store_dwordx2 v[2:3], v[0:1], off
	s_or_b64 exec, exec, s[2:3]
	s_and_b64 s[4:5], s[14:15], s[18:19]
	s_and_saveexec_b64 s[2:3], s[4:5]
	s_cbranch_execz .LBB109_346
.LBB109_372:
	s_and_b64 vcc, exec, s[0:1]
	s_cbranch_vccnz .LBB109_374
; %bb.373:
	v_lshl_add_u64 v[0:1], v[12:13], 3, v[18:19]
	flat_load_dwordx2 v[0:1], v[0:1]
	s_waitcnt vmcnt(0) lgkmcnt(0)
	v_mul_f64 v[0:1], v[0:1], s[22:23]
	v_cvt_f32_f64_e32 v0, v[0:1]
	s_branch .LBB109_375
.LBB109_374:
	v_mov_b32_e32 v0, 0
.LBB109_375:
	v_max_f32_e32 v1, v79, v79
	v_max_f32_e32 v0, v0, v0
	v_min_f32_e32 v0, v0, v1
	v_cvt_f64_f32_e32 v[0:1], v0
	v_lshl_add_u64 v[2:3], v[12:13], 3, v[16:17]
	global_store_dwordx2 v[2:3], v[0:1], off
	s_or_b64 exec, exec, s[2:3]
	s_and_b64 s[2:3], s[16:17], s[18:19]
	s_and_saveexec_b64 s[4:5], s[2:3]
	s_cbranch_execz .LBB109_347
.LBB109_376:
	s_and_b64 vcc, exec, s[0:1]
	s_cbranch_vccnz .LBB109_378
; %bb.377:
	v_lshl_add_u64 v[0:1], v[14:15], 3, v[18:19]
	flat_load_dwordx2 v[0:1], v[0:1]
	s_waitcnt vmcnt(0) lgkmcnt(0)
	v_mul_f64 v[0:1], v[0:1], s[22:23]
	v_cvt_f32_f64_e32 v0, v[0:1]
	s_branch .LBB109_379
.LBB109_378:
	v_mov_b32_e32 v0, 0
.LBB109_379:
	v_max_f32_e32 v1, v78, v78
	v_max_f32_e32 v0, v0, v0
	v_min_f32_e32 v0, v0, v1
	v_cvt_f64_f32_e32 v[0:1], v0
	v_lshl_add_u64 v[2:3], v[14:15], 3, v[16:17]
	global_store_dwordx2 v[2:3], v[0:1], off
	s_endpgm
	.section	.rodata,"a",@progbits
	.p2align	6, 0x0
	.amdhsa_kernel _ZN12_GLOBAL__N_120geam_min_plus_kernelId15HIP_vector_typeIdLj2EEdLi32ELi8ELi256ELi64ELi4ELi64ELi4ELi4ELi64ELc78ELc78ELb1ELb1ELb1EdKPKdKPdEEviiiT16_PT17_ilSA_ilS8_SA_ilPT18_ili26rocblas_geam_ex_operation_
		.amdhsa_group_segment_fixed_size 20480
		.amdhsa_private_segment_fixed_size 0
		.amdhsa_kernarg_size 136
		.amdhsa_user_sgpr_count 2
		.amdhsa_user_sgpr_dispatch_ptr 0
		.amdhsa_user_sgpr_queue_ptr 0
		.amdhsa_user_sgpr_kernarg_segment_ptr 1
		.amdhsa_user_sgpr_dispatch_id 0
		.amdhsa_user_sgpr_kernarg_preload_length 0
		.amdhsa_user_sgpr_kernarg_preload_offset 0
		.amdhsa_user_sgpr_private_segment_size 0
		.amdhsa_uses_dynamic_stack 0
		.amdhsa_enable_private_segment 0
		.amdhsa_system_sgpr_workgroup_id_x 1
		.amdhsa_system_sgpr_workgroup_id_y 0
		.amdhsa_system_sgpr_workgroup_id_z 1
		.amdhsa_system_sgpr_workgroup_info 0
		.amdhsa_system_vgpr_workitem_id 1
		.amdhsa_next_free_vgpr 158
		.amdhsa_next_free_sgpr 40
		.amdhsa_accum_offset 160
		.amdhsa_reserve_vcc 1
		.amdhsa_float_round_mode_32 0
		.amdhsa_float_round_mode_16_64 0
		.amdhsa_float_denorm_mode_32 3
		.amdhsa_float_denorm_mode_16_64 3
		.amdhsa_dx10_clamp 1
		.amdhsa_ieee_mode 1
		.amdhsa_fp16_overflow 0
		.amdhsa_tg_split 0
		.amdhsa_exception_fp_ieee_invalid_op 0
		.amdhsa_exception_fp_denorm_src 0
		.amdhsa_exception_fp_ieee_div_zero 0
		.amdhsa_exception_fp_ieee_overflow 0
		.amdhsa_exception_fp_ieee_underflow 0
		.amdhsa_exception_fp_ieee_inexact 0
		.amdhsa_exception_int_div_zero 0
	.end_amdhsa_kernel
	.section	.text._ZN12_GLOBAL__N_120geam_min_plus_kernelId15HIP_vector_typeIdLj2EEdLi32ELi8ELi256ELi64ELi4ELi64ELi4ELi4ELi64ELc78ELc78ELb1ELb1ELb1EdKPKdKPdEEviiiT16_PT17_ilSA_ilS8_SA_ilPT18_ili26rocblas_geam_ex_operation_,"axG",@progbits,_ZN12_GLOBAL__N_120geam_min_plus_kernelId15HIP_vector_typeIdLj2EEdLi32ELi8ELi256ELi64ELi4ELi64ELi4ELi4ELi64ELc78ELc78ELb1ELb1ELb1EdKPKdKPdEEviiiT16_PT17_ilSA_ilS8_SA_ilPT18_ili26rocblas_geam_ex_operation_,comdat
.Lfunc_end109:
	.size	_ZN12_GLOBAL__N_120geam_min_plus_kernelId15HIP_vector_typeIdLj2EEdLi32ELi8ELi256ELi64ELi4ELi64ELi4ELi4ELi64ELc78ELc78ELb1ELb1ELb1EdKPKdKPdEEviiiT16_PT17_ilSA_ilS8_SA_ilPT18_ili26rocblas_geam_ex_operation_, .Lfunc_end109-_ZN12_GLOBAL__N_120geam_min_plus_kernelId15HIP_vector_typeIdLj2EEdLi32ELi8ELi256ELi64ELi4ELi64ELi4ELi4ELi64ELc78ELc78ELb1ELb1ELb1EdKPKdKPdEEviiiT16_PT17_ilSA_ilS8_SA_ilPT18_ili26rocblas_geam_ex_operation_
                                        ; -- End function
	.section	.AMDGPU.csdata,"",@progbits
; Kernel info:
; codeLenInByte = 18592
; NumSgprs: 46
; NumVgprs: 158
; NumAgprs: 0
; TotalNumVgprs: 158
; ScratchSize: 0
; MemoryBound: 0
; FloatMode: 240
; IeeeMode: 1
; LDSByteSize: 20480 bytes/workgroup (compile time only)
; SGPRBlocks: 5
; VGPRBlocks: 19
; NumSGPRsForWavesPerEU: 46
; NumVGPRsForWavesPerEU: 158
; AccumOffset: 160
; Occupancy: 3
; WaveLimiterHint : 1
; COMPUTE_PGM_RSRC2:SCRATCH_EN: 0
; COMPUTE_PGM_RSRC2:USER_SGPR: 2
; COMPUTE_PGM_RSRC2:TRAP_HANDLER: 0
; COMPUTE_PGM_RSRC2:TGID_X_EN: 1
; COMPUTE_PGM_RSRC2:TGID_Y_EN: 0
; COMPUTE_PGM_RSRC2:TGID_Z_EN: 1
; COMPUTE_PGM_RSRC2:TIDIG_COMP_CNT: 1
; COMPUTE_PGM_RSRC3_GFX90A:ACCUM_OFFSET: 39
; COMPUTE_PGM_RSRC3_GFX90A:TG_SPLIT: 0
	.section	.text._ZN12_GLOBAL__N_120geam_min_plus_kernelId15HIP_vector_typeIdLj2EEdLi32ELi8ELi256ELi64ELi4ELi64ELi4ELi4ELi64ELc78ELc78ELb0ELb1ELb1EdKPKdKPdEEviiiT16_PT17_ilSA_ilS8_SA_ilPT18_ili26rocblas_geam_ex_operation_,"axG",@progbits,_ZN12_GLOBAL__N_120geam_min_plus_kernelId15HIP_vector_typeIdLj2EEdLi32ELi8ELi256ELi64ELi4ELi64ELi4ELi4ELi64ELc78ELc78ELb0ELb1ELb1EdKPKdKPdEEviiiT16_PT17_ilSA_ilS8_SA_ilPT18_ili26rocblas_geam_ex_operation_,comdat
	.globl	_ZN12_GLOBAL__N_120geam_min_plus_kernelId15HIP_vector_typeIdLj2EEdLi32ELi8ELi256ELi64ELi4ELi64ELi4ELi4ELi64ELc78ELc78ELb0ELb1ELb1EdKPKdKPdEEviiiT16_PT17_ilSA_ilS8_SA_ilPT18_ili26rocblas_geam_ex_operation_ ; -- Begin function _ZN12_GLOBAL__N_120geam_min_plus_kernelId15HIP_vector_typeIdLj2EEdLi32ELi8ELi256ELi64ELi4ELi64ELi4ELi4ELi64ELc78ELc78ELb0ELb1ELb1EdKPKdKPdEEviiiT16_PT17_ilSA_ilS8_SA_ilPT18_ili26rocblas_geam_ex_operation_
	.p2align	8
	.type	_ZN12_GLOBAL__N_120geam_min_plus_kernelId15HIP_vector_typeIdLj2EEdLi32ELi8ELi256ELi64ELi4ELi64ELi4ELi4ELi64ELc78ELc78ELb0ELb1ELb1EdKPKdKPdEEviiiT16_PT17_ilSA_ilS8_SA_ilPT18_ili26rocblas_geam_ex_operation_,@function
_ZN12_GLOBAL__N_120geam_min_plus_kernelId15HIP_vector_typeIdLj2EEdLi32ELi8ELi256ELi64ELi4ELi64ELi4ELi4ELi64ELc78ELc78ELb0ELb1ELb1EdKPKdKPdEEviiiT16_PT17_ilSA_ilS8_SA_ilPT18_ili26rocblas_geam_ex_operation_: ; @_ZN12_GLOBAL__N_120geam_min_plus_kernelId15HIP_vector_typeIdLj2EEdLi32ELi8ELi256ELi64ELi4ELi64ELi4ELi4ELi64ELc78ELc78ELb0ELb1ELb1EdKPKdKPdEEviiiT16_PT17_ilSA_ilS8_SA_ilPT18_ili26rocblas_geam_ex_operation_
; %bb.0:
	s_load_dwordx4 s[16:19], s[0:1], 0x10
	s_load_dwordx4 s[4:7], s[0:1], 0x28
	s_mov_b32 s8, s3
	s_mov_b64 s[28:29], 0
	s_waitcnt lgkmcnt(0)
	v_cmp_eq_f64_e64 s[12:13], s[16:17], 0
	s_and_b64 vcc, exec, s[12:13]
	s_cbranch_vccnz .LBB110_2
; %bb.1:
	s_mov_b32 s9, 0
	s_lshl_b64 s[10:11], s[8:9], 3
	s_add_u32 s10, s18, s10
	s_addc_u32 s11, s19, s11
	s_load_dwordx2 s[10:11], s[10:11], 0x0
	s_lshl_b64 s[4:5], s[4:5], 3
	s_waitcnt lgkmcnt(0)
	s_add_u32 s28, s10, s4
	s_addc_u32 s29, s11, s5
.LBB110_2:
	s_load_dwordx4 s[20:23], s[0:1], 0x40
	s_load_dwordx2 s[10:11], s[0:1], 0x50
	s_andn2_b64 vcc, exec, s[12:13]
	s_cbranch_vccnz .LBB110_4
; %bb.3:
	s_mov_b32 s9, 0
	s_mov_b64 s[34:35], 0
	s_cbranch_execz .LBB110_5
	s_branch .LBB110_6
.LBB110_4:
                                        ; implicit-def: $sgpr34_sgpr35
.LBB110_5:
	s_mov_b32 s9, 0
	s_lshl_b64 s[4:5], s[8:9], 3
	s_add_u32 s4, s6, s4
	s_addc_u32 s5, s7, s5
	s_load_dwordx2 s[4:5], s[4:5], 0x0
	s_waitcnt lgkmcnt(0)
	s_lshl_b64 s[6:7], s[20:21], 3
	s_add_u32 s34, s4, s6
	s_addc_u32 s35, s5, s7
.LBB110_6:
	s_load_dwordx4 s[4:7], s[0:1], 0x60
	s_waitcnt lgkmcnt(0)
	v_cmp_eq_f64_e64 s[12:13], s[22:23], 0
	s_mov_b64 s[20:21], 0
	v_cmp_neq_f64_e64 s[14:15], s[22:23], 0
	s_and_b64 vcc, exec, s[12:13]
	s_cbranch_vccnz .LBB110_8
; %bb.7:
	s_lshl_b64 s[12:13], s[8:9], 3
	s_add_u32 s10, s10, s12
	s_addc_u32 s11, s11, s13
	s_load_dwordx2 s[10:11], s[10:11], 0x0
	s_lshl_b64 s[4:5], s[4:5], 3
	s_waitcnt lgkmcnt(0)
	s_add_u32 s20, s10, s4
	s_addc_u32 s21, s11, s5
.LBB110_8:
	s_load_dwordx4 s[24:27], s[0:1], 0x0
	s_load_dword s36, s[0:1], 0x20
	s_lshl_b64 s[4:5], s[8:9], 3
	s_add_u32 s4, s6, s4
	s_addc_u32 s5, s7, s5
	s_waitcnt lgkmcnt(0)
	s_add_i32 s3, s24, -1
	s_ashr_i32 s6, s3, 31
	s_lshr_b32 s6, s6, 24
	s_add_i32 s3, s3, s6
	s_ashr_i32 s3, s3, 8
	s_add_i32 s6, s3, 1
	v_cvt_f32_u32_e32 v1, s6
	v_and_b32_e32 v132, 0x3ff, v0
	v_bfe_u32 v133, v0, 10, 10
	s_load_dwordx2 s[18:19], s[4:5], 0x0
	v_rcp_iflag_f32_e32 v1, v1
	s_not_b32 s3, s3
	v_lshl_add_u32 v10, v133, 5, v132
	v_lshrrev_b32_e32 v144, 6, v10
	v_mul_f32_e32 v0, 0x4f7ffffe, v1
	v_cvt_u32_f32_e32 v0, v0
	v_and_b32_e32 v72, 63, v10
	v_cmp_le_i32_e32 vcc, s26, v144
	v_cmp_eq_f64_e64 s[30:31], s[16:17], 0
	v_readfirstlane_b32 s4, v0
	s_mul_i32 s3, s3, s4
	s_mul_hi_u32 s3, s4, s3
	s_add_i32 s4, s4, s3
	s_mul_hi_u32 s3, s2, s4
	s_mul_i32 s4, s3, s6
	s_sub_i32 s4, s2, s4
	s_add_i32 s5, s3, 1
	s_sub_i32 s7, s4, s6
	s_cmp_ge_u32 s4, s6
	s_cselect_b32 s3, s5, s3
	s_cselect_b32 s4, s7, s4
	s_add_i32 s5, s3, 1
	s_cmp_ge_u32 s4, s6
	s_cselect_b32 s12, s5, s3
	s_mul_i32 s3, s12, s6
	s_sub_i32 s2, s2, s3
	s_add_i32 s37, s26, -1
	s_lshl_b32 s27, s2, 8
	v_min_i32_e32 v0, s37, v144
	v_or_b32_e32 v60, s27, v72
	v_mad_i64_i32 v[0:1], s[2:3], s36, v0, 0
	v_cmp_le_i32_e64 s[2:3], s24, v60
	s_or_b64 s[4:5], s[2:3], vcc
	v_mov_b32_e32 v2, 0x7fefffff
	s_or_b64 s[6:7], s[30:31], s[4:5]
	v_lshl_add_u64 v[8:9], v[0:1], 3, s[28:29]
	v_cndmask_b32_e64 v1, 0, v2, s[4:5]
	s_xor_b64 s[6:7], s[6:7], -1
	v_cndmask_b32_e64 v0, 0, -1, s[4:5]
	v_ashrrev_i32_e32 v61, 31, v60
	s_and_saveexec_b64 s[4:5], s[6:7]
	s_cbranch_execz .LBB110_10
; %bb.9:
	v_lshl_add_u64 v[0:1], v[60:61], 3, v[8:9]
	flat_load_dwordx2 v[0:1], v[0:1]
	s_waitcnt vmcnt(0) lgkmcnt(0)
	v_mul_f64 v[0:1], v[0:1], s[16:17]
.LBB110_10:
	s_or_b64 exec, exec, s[4:5]
	v_or_b32_e32 v3, 64, v60
	v_cmp_le_i32_e64 s[4:5], s24, v3
	s_or_b64 s[6:7], s[4:5], vcc
	s_or_b64 s[8:9], s[30:31], s[6:7]
	v_cndmask_b32_e64 v3, 0, v2, s[6:7]
	s_xor_b64 s[8:9], s[8:9], -1
	v_cndmask_b32_e64 v2, 0, -1, s[6:7]
	s_and_saveexec_b64 s[6:7], s[8:9]
	s_cbranch_execz .LBB110_12
; %bb.11:
	v_lshl_add_u64 v[2:3], v[60:61], 3, v[8:9]
	flat_load_dwordx2 v[2:3], v[2:3] offset:512
	s_waitcnt vmcnt(0) lgkmcnt(0)
	v_mul_f64 v[2:3], v[2:3], s[16:17]
.LBB110_12:
	s_or_b64 exec, exec, s[6:7]
	v_or_b32_e32 v4, 0x80, v60
	v_cmp_le_i32_e64 s[6:7], s24, v4
	s_or_b64 s[8:9], s[6:7], vcc
	v_mov_b32_e32 v6, 0x7fefffff
	s_or_b64 s[10:11], s[30:31], s[8:9]
	v_cndmask_b32_e64 v5, 0, v6, s[8:9]
	s_xor_b64 s[10:11], s[10:11], -1
	v_cndmask_b32_e64 v4, 0, -1, s[8:9]
	s_and_saveexec_b64 s[8:9], s[10:11]
	s_cbranch_execz .LBB110_14
; %bb.13:
	v_lshl_add_u64 v[4:5], v[60:61], 3, v[8:9]
	flat_load_dwordx2 v[4:5], v[4:5] offset:1024
	s_waitcnt vmcnt(0) lgkmcnt(0)
	v_mul_f64 v[4:5], v[4:5], s[16:17]
.LBB110_14:
	s_or_b64 exec, exec, s[8:9]
	v_or_b32_e32 v7, 0xc0, v60
	v_cmp_le_i32_e64 s[8:9], s24, v7
	s_or_b64 vcc, s[8:9], vcc
	s_or_b64 s[10:11], s[30:31], vcc
	v_cndmask_b32_e32 v7, 0, v6, vcc
	s_xor_b64 s[38:39], s[10:11], -1
	v_cndmask_b32_e64 v6, 0, -1, vcc
	s_and_saveexec_b64 s[10:11], s[38:39]
	s_cbranch_execz .LBB110_16
; %bb.15:
	v_lshl_add_u64 v[6:7], v[60:61], 3, v[8:9]
	flat_load_dwordx2 v[6:7], v[6:7] offset:1536
	s_waitcnt vmcnt(0) lgkmcnt(0)
	v_mul_f64 v[6:7], v[6:7], s[16:17]
.LBB110_16:
	s_or_b64 exec, exec, s[10:11]
	v_lshrrev_b32_e32 v12, 2, v10
	s_lshl_b32 s33, s12, 6
	s_load_dword s40, s[0:1], 0x38
	v_and_b32_e32 v145, 3, v132
	v_add_u32_e32 v73, s33, v12
	v_cmp_le_i32_e32 vcc, s26, v145
	v_cmp_le_i32_e64 s[10:11], s25, v73
	s_or_b64 vcc, vcc, s[10:11]
	v_mov_b32_e32 v13, 0x7fefffff
	s_or_b64 s[12:13], s[30:31], vcc
	v_cndmask_b32_e32 v9, 0, v13, vcc
	s_xor_b64 s[38:39], s[12:13], -1
	v_cndmask_b32_e64 v8, 0, -1, vcc
	s_and_saveexec_b64 s[12:13], s[38:39]
	s_cbranch_execz .LBB110_18
; %bb.17:
	v_min_u32_e32 v10, s37, v145
	s_waitcnt lgkmcnt(0)
	v_mad_i64_i32 v[8:9], s[38:39], v73, s40, 0
	v_lshl_add_u64 v[8:9], v[8:9], 3, s[34:35]
	v_lshlrev_b32_e32 v10, 3, v10
	v_mov_b32_e32 v11, 0
	v_lshl_add_u64 v[8:9], v[8:9], 0, v[10:11]
	flat_load_dwordx2 v[8:9], v[8:9]
	s_waitcnt vmcnt(0) lgkmcnt(0)
	v_mul_f64 v[8:9], v[8:9], s[16:17]
.LBB110_18:
	s_or_b64 exec, exec, s[12:13]
	v_add_u32_e32 v10, 4, v144
	v_cmp_le_i32_e32 vcc, s26, v10
	v_min_i32_e32 v10, s37, v10
	v_mad_i64_i32 v[10:11], s[12:13], s36, v10, 0
	s_or_b64 s[12:13], s[2:3], vcc
	s_or_b64 s[38:39], s[30:31], s[12:13]
	v_lshl_add_u64 v[10:11], v[10:11], 3, s[28:29]
	v_cndmask_b32_e64 v63, 0, v13, s[12:13]
	s_xor_b64 s[38:39], s[38:39], -1
	v_cndmask_b32_e64 v62, 0, -1, s[12:13]
	s_and_saveexec_b64 s[12:13], s[38:39]
	s_cbranch_execz .LBB110_20
; %bb.19:
	v_lshl_add_u64 v[14:15], v[60:61], 3, v[10:11]
	flat_load_dwordx2 v[14:15], v[14:15]
	s_waitcnt vmcnt(0) lgkmcnt(0)
	v_mul_f64 v[62:63], v[14:15], s[16:17]
.LBB110_20:
	s_or_b64 exec, exec, s[12:13]
	s_or_b64 s[12:13], s[4:5], vcc
	v_mov_b32_e32 v13, 0x7fefffff
	s_or_b64 s[38:39], s[30:31], s[12:13]
	v_cndmask_b32_e64 v65, 0, v13, s[12:13]
	s_xor_b64 s[38:39], s[38:39], -1
	v_cndmask_b32_e64 v64, 0, -1, s[12:13]
	s_and_saveexec_b64 s[12:13], s[38:39]
	s_cbranch_execz .LBB110_22
; %bb.21:
	v_lshl_add_u64 v[14:15], v[60:61], 3, v[10:11]
	flat_load_dwordx2 v[14:15], v[14:15] offset:512
	s_waitcnt vmcnt(0) lgkmcnt(0)
	v_mul_f64 v[64:65], v[14:15], s[16:17]
.LBB110_22:
	s_or_b64 exec, exec, s[12:13]
	s_or_b64 s[12:13], s[6:7], vcc
	s_or_b64 s[38:39], s[30:31], s[12:13]
	v_cndmask_b32_e64 v67, 0, v13, s[12:13]
	s_xor_b64 s[38:39], s[38:39], -1
	v_cndmask_b32_e64 v66, 0, -1, s[12:13]
	s_and_saveexec_b64 s[12:13], s[38:39]
	s_cbranch_execz .LBB110_24
; %bb.23:
	v_lshl_add_u64 v[14:15], v[60:61], 3, v[10:11]
	flat_load_dwordx2 v[14:15], v[14:15] offset:1024
	s_waitcnt vmcnt(0) lgkmcnt(0)
	v_mul_f64 v[66:67], v[14:15], s[16:17]
.LBB110_24:
	s_or_b64 exec, exec, s[12:13]
	s_or_b64 vcc, s[8:9], vcc
	v_mov_b32_e32 v13, 0x7fefffff
	s_or_b64 s[12:13], s[30:31], vcc
	v_cndmask_b32_e32 v69, 0, v13, vcc
	s_xor_b64 s[38:39], s[12:13], -1
	v_cndmask_b32_e64 v68, 0, -1, vcc
	s_and_saveexec_b64 s[12:13], s[38:39]
	s_cbranch_execz .LBB110_26
; %bb.25:
	v_lshl_add_u64 v[10:11], v[60:61], 3, v[10:11]
	flat_load_dwordx2 v[10:11], v[10:11] offset:1536
	s_waitcnt vmcnt(0) lgkmcnt(0)
	v_mul_f64 v[68:69], v[10:11], s[16:17]
.LBB110_26:
	s_or_b64 exec, exec, s[12:13]
	v_or_b32_e32 v10, 4, v145
	v_cmp_le_i32_e32 vcc, s26, v10
	s_or_b64 vcc, vcc, s[10:11]
	s_or_b64 s[12:13], s[30:31], vcc
	v_cndmask_b32_e32 v71, 0, v13, vcc
	s_xor_b64 s[42:43], s[12:13], -1
	s_mov_b32 s38, 0
	v_cndmask_b32_e64 v70, 0, -1, vcc
	s_and_saveexec_b64 s[12:13], s[42:43]
	s_cbranch_execz .LBB110_28
; %bb.27:
	v_min_u32_e32 v13, s37, v10
	s_waitcnt lgkmcnt(0)
	v_mad_i64_i32 v[10:11], s[42:43], v73, s40, 0
	v_lshl_add_u64 v[10:11], v[10:11], 3, s[34:35]
	v_lshlrev_b32_e32 v14, 3, v13
	v_mov_b32_e32 v15, 0
	v_lshl_add_u64 v[10:11], v[10:11], 0, v[14:15]
	flat_load_dwordx2 v[10:11], v[10:11]
	s_waitcnt vmcnt(0) lgkmcnt(0)
	v_mul_f64 v[70:71], v[10:11], s[16:17]
.LBB110_28:
	s_or_b64 exec, exec, s[12:13]
	v_lshlrev_b32_e32 v10, 3, v144
	v_lshl_add_u32 v146, v72, 5, v10
	ds_write2st64_b64 v146, v[0:1], v[2:3] offset1:4
	ds_write2st64_b64 v146, v[4:5], v[6:7] offset0:8 offset1:12
	v_lshlrev_b32_e32 v0, 3, v145
	v_lshl_or_b32 v74, v12, 5, v0
	v_add_u32_e32 v147, 0x4000, v74
	s_mov_b64 s[12:13], -1
	v_mov_b32_e32 v78, 0x7f800000
	v_mov_b32_e32 v79, 0x7f800000
	;; [unrolled: 1-line block ×64, first 2 shown]
	ds_write_b64 v74, v[8:9] offset:16384
	s_waitcnt lgkmcnt(0)
	s_barrier
.LBB110_29:                             ; =>This Inner Loop Header: Depth=1
	v_cndmask_b32_e64 v0, 0, 1, s[12:13]
	s_lshl_b32 s12, s38, 3
	v_cmp_ne_u32_e32 vcc, 1, v0
	v_lshl_add_u32 v0, v132, 5, s12
	v_lshl_add_u32 v20, v133, 5, s12
	ds_read_b128 v[32:35], v0
	ds_read_b128 v[28:31], v0 offset:1024
	ds_read_b128 v[24:27], v0 offset:2048
	;; [unrolled: 1-line block ×15, first 2 shown]
	s_waitcnt lgkmcnt(7)
	v_add_f64 v[76:77], v[34:35], v[150:151]
	v_add_f64 v[152:153], v[32:33], v[148:149]
	v_cvt_f32_f64_e32 v75, v[152:153]
	v_cvt_f32_f64_e32 v76, v[76:77]
	v_min3_f32 v143, v75, v76, v143
	v_add_f64 v[76:77], v[30:31], v[150:151]
	v_add_f64 v[152:153], v[28:29], v[148:149]
	v_cvt_f32_f64_e32 v75, v[152:153]
	v_cvt_f32_f64_e32 v76, v[76:77]
	v_min3_f32 v142, v75, v76, v142
	;; [unrolled: 5-line block ×8, first 2 shown]
	s_waitcnt lgkmcnt(6)
	v_add_f64 v[76:77], v[34:35], v[58:59]
	v_add_f64 v[148:149], v[32:33], v[56:57]
	v_cvt_f32_f64_e32 v75, v[148:149]
	v_cvt_f32_f64_e32 v76, v[76:77]
	v_min3_f32 v135, v75, v76, v135
	v_add_f64 v[76:77], v[30:31], v[58:59]
	v_add_f64 v[148:149], v[28:29], v[56:57]
	v_cvt_f32_f64_e32 v75, v[148:149]
	v_cvt_f32_f64_e32 v76, v[76:77]
	v_min3_f32 v134, v75, v76, v134
	v_add_f64 v[76:77], v[26:27], v[58:59]
	v_add_f64 v[148:149], v[24:25], v[56:57]
	v_cvt_f32_f64_e32 v75, v[148:149]
	v_cvt_f32_f64_e32 v76, v[76:77]
	v_min3_f32 v131, v75, v76, v131
	v_add_f64 v[76:77], v[18:19], v[58:59]
	v_add_f64 v[148:149], v[16:17], v[56:57]
	v_cvt_f32_f64_e32 v75, v[148:149]
	v_cvt_f32_f64_e32 v76, v[76:77]
	v_min3_f32 v130, v75, v76, v130
	v_add_f64 v[76:77], v[14:15], v[58:59]
	v_add_f64 v[148:149], v[12:13], v[56:57]
	v_cvt_f32_f64_e32 v75, v[148:149]
	v_cvt_f32_f64_e32 v76, v[76:77]
	v_min3_f32 v129, v75, v76, v129
	v_add_f64 v[76:77], v[10:11], v[58:59]
	v_add_f64 v[148:149], v[8:9], v[56:57]
	v_cvt_f32_f64_e32 v75, v[148:149]
	v_cvt_f32_f64_e32 v76, v[76:77]
	v_min3_f32 v128, v75, v76, v128
	v_add_f64 v[76:77], v[6:7], v[58:59]
	v_add_f64 v[148:149], v[4:5], v[56:57]
	v_add_f64 v[58:59], v[2:3], v[58:59]
	v_add_f64 v[56:57], v[0:1], v[56:57]
	v_cvt_f32_f64_e32 v56, v[56:57]
	v_cvt_f32_f64_e32 v57, v[58:59]
	v_min3_f32 v126, v56, v57, v126
	s_waitcnt lgkmcnt(5)
	v_add_f64 v[56:57], v[34:35], v[54:55]
	v_add_f64 v[58:59], v[32:33], v[52:53]
	v_cvt_f32_f64_e32 v58, v[58:59]
	v_cvt_f32_f64_e32 v56, v[56:57]
	v_min3_f32 v125, v58, v56, v125
	v_add_f64 v[56:57], v[30:31], v[54:55]
	v_add_f64 v[58:59], v[28:29], v[52:53]
	v_cvt_f32_f64_e32 v58, v[58:59]
	v_cvt_f32_f64_e32 v56, v[56:57]
	v_min3_f32 v124, v58, v56, v124
	v_add_f64 v[56:57], v[26:27], v[54:55]
	v_add_f64 v[58:59], v[24:25], v[52:53]
	v_cvt_f32_f64_e32 v58, v[58:59]
	v_cvt_f32_f64_e32 v56, v[56:57]
	v_min3_f32 v123, v58, v56, v123
	v_add_f64 v[56:57], v[18:19], v[54:55]
	v_add_f64 v[58:59], v[16:17], v[52:53]
	v_cvt_f32_f64_e32 v58, v[58:59]
	v_cvt_f32_f64_e32 v56, v[56:57]
	v_min3_f32 v122, v58, v56, v122
	v_add_f64 v[56:57], v[14:15], v[54:55]
	v_add_f64 v[58:59], v[12:13], v[52:53]
	v_cvt_f32_f64_e32 v58, v[58:59]
	v_cvt_f32_f64_e32 v56, v[56:57]
	v_min3_f32 v121, v58, v56, v121
	v_add_f64 v[56:57], v[10:11], v[54:55]
	v_add_f64 v[58:59], v[8:9], v[52:53]
	v_cvt_f32_f64_e32 v58, v[58:59]
	v_cvt_f32_f64_e32 v56, v[56:57]
	v_min3_f32 v120, v58, v56, v120
	v_add_f64 v[56:57], v[6:7], v[54:55]
	v_add_f64 v[58:59], v[4:5], v[52:53]
	v_add_f64 v[54:55], v[2:3], v[54:55]
	v_add_f64 v[52:53], v[0:1], v[52:53]
	v_cvt_f32_f64_e32 v52, v[52:53]
	v_cvt_f32_f64_e32 v53, v[54:55]
	v_min3_f32 v118, v52, v53, v118
	;; [unrolled: 38-line block ×5, first 2 shown]
	s_waitcnt lgkmcnt(1)
	v_add_f64 v[40:41], v[34:35], v[38:39]
	v_add_f64 v[42:43], v[32:33], v[36:37]
	v_cvt_f32_f64_e32 v42, v[42:43]
	v_cvt_f32_f64_e32 v40, v[40:41]
	v_min3_f32 v93, v42, v40, v93
	v_add_f64 v[40:41], v[30:31], v[38:39]
	v_add_f64 v[42:43], v[28:29], v[36:37]
	v_cvt_f32_f64_e32 v42, v[42:43]
	v_cvt_f32_f64_e32 v40, v[40:41]
	v_min3_f32 v92, v42, v40, v92
	;; [unrolled: 5-line block ×6, first 2 shown]
	v_add_f64 v[40:41], v[6:7], v[38:39]
	v_add_f64 v[42:43], v[4:5], v[36:37]
	;; [unrolled: 1-line block ×4, first 2 shown]
	s_waitcnt lgkmcnt(0)
	v_add_f64 v[34:35], v[34:35], v[22:23]
	v_add_f64 v[32:33], v[32:33], v[20:21]
	;; [unrolled: 1-line block ×16, first 2 shown]
	v_cvt_f32_f64_e32 v75, v[148:149]
	v_cvt_f32_f64_e32 v76, v[76:77]
	;; [unrolled: 1-line block ×30, first 2 shown]
	v_min3_f32 v127, v75, v76, v127
	v_min3_f32 v119, v58, v56, v119
	;; [unrolled: 1-line block ×15, first 2 shown]
	s_mov_b32 s38, 2
	s_mov_b64 s[12:13], 0
	s_cbranch_vccz .LBB110_29
; %bb.30:
	v_lshlrev_b32_e32 v0, 5, v72
	v_lshl_add_u32 v0, v144, 3, v0
	s_cmp_gt_i32 s26, 8
	s_mov_b32 s38, 8
	ds_write2st64_b64 v0, v[62:63], v[64:65] offset0:16 offset1:20
	ds_write2st64_b64 v0, v[66:67], v[68:69] offset0:24 offset1:28
	ds_write_b64 v74, v[70:71] offset:18432
	s_waitcnt lgkmcnt(0)
	s_barrier
	s_cbranch_scc0 .LBB110_57
; %bb.31:
	v_add_u32_e32 v148, 0x2000, v0
	v_mad_i64_i32 v[0:1], s[12:13], v73, s40, 0
	v_lshl_add_u64 v[62:63], v[0:1], 3, s[34:35]
	v_add_u32_e32 v149, 0x4800, v74
	s_add_i32 s39, s26, -8
	v_lshl_add_u64 v[64:65], v[62:63], 0, 32
	s_mov_b32 s34, 0
	v_mov_b32_e32 v150, 0x7fefffff
	v_mov_b32_e32 v67, 0
.LBB110_32:                             ; =>This Loop Header: Depth=1
                                        ;     Child Loop BB110_43 Depth 2
                                        ;     Child Loop BB110_55 Depth 2
	v_add_u32_e32 v0, s38, v144
	v_cmp_le_i32_e32 vcc, s26, v0
	v_min_i32_e32 v0, s37, v0
	v_mad_i64_i32 v[0:1], s[12:13], v0, s36, 0
	s_or_b64 s[12:13], s[2:3], vcc
	v_lshl_add_u64 v[0:1], v[0:1], 3, s[28:29]
	s_or_b64 s[40:41], s[30:31], s[12:13]
	v_cndmask_b32_e64 v69, 0, v150, s[12:13]
	s_xor_b64 s[40:41], s[40:41], -1
	v_cndmask_b32_e64 v68, 0, -1, s[12:13]
	v_lshl_add_u64 v[0:1], v[60:61], 3, v[0:1]
	s_and_saveexec_b64 s[12:13], s[40:41]
	s_cbranch_execz .LBB110_34
; %bb.33:                               ;   in Loop: Header=BB110_32 Depth=1
	flat_load_dwordx2 v[2:3], v[0:1]
	s_waitcnt vmcnt(0) lgkmcnt(0)
	v_mul_f64 v[68:69], v[2:3], s[16:17]
.LBB110_34:                             ;   in Loop: Header=BB110_32 Depth=1
	s_or_b64 exec, exec, s[12:13]
	s_or_b64 s[12:13], s[4:5], vcc
	s_or_b64 s[40:41], s[30:31], s[12:13]
	v_cndmask_b32_e64 v71, 0, v150, s[12:13]
	s_xor_b64 s[40:41], s[40:41], -1
	v_cndmask_b32_e64 v70, 0, -1, s[12:13]
	s_and_saveexec_b64 s[12:13], s[40:41]
	s_cbranch_execz .LBB110_36
; %bb.35:                               ;   in Loop: Header=BB110_32 Depth=1
	flat_load_dwordx2 v[2:3], v[0:1] offset:512
	s_waitcnt vmcnt(0) lgkmcnt(0)
	v_mul_f64 v[70:71], v[2:3], s[16:17]
.LBB110_36:                             ;   in Loop: Header=BB110_32 Depth=1
	s_or_b64 exec, exec, s[12:13]
	s_or_b64 s[12:13], s[6:7], vcc
	s_or_b64 s[40:41], s[30:31], s[12:13]
	v_cndmask_b32_e64 v73, 0, v150, s[12:13]
	s_xor_b64 s[40:41], s[40:41], -1
	v_cndmask_b32_e64 v72, 0, -1, s[12:13]
	s_and_saveexec_b64 s[12:13], s[40:41]
	s_cbranch_execz .LBB110_38
; %bb.37:                               ;   in Loop: Header=BB110_32 Depth=1
	flat_load_dwordx2 v[2:3], v[0:1] offset:1024
	s_waitcnt vmcnt(0) lgkmcnt(0)
	v_mul_f64 v[72:73], v[2:3], s[16:17]
.LBB110_38:                             ;   in Loop: Header=BB110_32 Depth=1
	s_or_b64 exec, exec, s[12:13]
	s_or_b64 vcc, s[8:9], vcc
	s_or_b64 s[12:13], s[30:31], vcc
	v_cndmask_b32_e32 v75, 0, v150, vcc
	s_xor_b64 s[40:41], s[12:13], -1
	v_cndmask_b32_e64 v74, 0, -1, vcc
	s_and_saveexec_b64 s[12:13], s[40:41]
	s_cbranch_execz .LBB110_40
; %bb.39:                               ;   in Loop: Header=BB110_32 Depth=1
	flat_load_dwordx2 v[0:1], v[0:1] offset:1536
	s_waitcnt vmcnt(0) lgkmcnt(0)
	v_mul_f64 v[74:75], v[0:1], s[16:17]
.LBB110_40:                             ;   in Loop: Header=BB110_32 Depth=1
	s_or_b64 exec, exec, s[12:13]
	v_or_b32_e32 v66, s38, v145
	v_cmp_le_i32_e32 vcc, s26, v66
	s_or_b64 vcc, vcc, s[10:11]
	s_or_b64 s[12:13], s[30:31], vcc
	v_cndmask_b32_e32 v77, 0, v150, vcc
	s_xor_b64 s[40:41], s[12:13], -1
	v_cndmask_b32_e64 v76, 0, -1, vcc
	s_and_saveexec_b64 s[12:13], s[40:41]
	s_cbranch_execz .LBB110_42
; %bb.41:                               ;   in Loop: Header=BB110_32 Depth=1
	v_lshl_add_u64 v[0:1], v[66:67], 3, v[62:63]
	flat_load_dwordx2 v[0:1], v[0:1]
	s_waitcnt vmcnt(0) lgkmcnt(0)
	v_mul_f64 v[76:77], v[0:1], s[16:17]
.LBB110_42:                             ;   in Loop: Header=BB110_32 Depth=1
	s_or_b64 exec, exec, s[12:13]
	s_mov_b32 s35, 0
	s_mov_b64 s[12:13], -1
.LBB110_43:                             ;   Parent Loop BB110_32 Depth=1
                                        ; =>  This Inner Loop Header: Depth=2
	v_cndmask_b32_e64 v0, 0, 1, s[12:13]
	s_lshl_b32 s12, s35, 3
	v_cmp_ne_u32_e32 vcc, 1, v0
	v_lshl_add_u32 v0, v132, 5, s12
	v_lshl_add_u32 v20, v133, 5, s12
	ds_read_b128 v[32:35], v0 offset:8192
	ds_read_b128 v[28:31], v0 offset:9216
	;; [unrolled: 1-line block ×16, first 2 shown]
	s_waitcnt lgkmcnt(7)
	v_add_f64 v[156:157], v[34:35], v[154:155]
	v_add_f64 v[158:159], v[32:33], v[152:153]
	v_cvt_f32_f64_e32 v151, v[158:159]
	v_cvt_f32_f64_e32 v156, v[156:157]
	v_min3_f32 v143, v151, v156, v143
	v_add_f64 v[156:157], v[30:31], v[154:155]
	v_add_f64 v[158:159], v[28:29], v[152:153]
	v_cvt_f32_f64_e32 v151, v[158:159]
	v_cvt_f32_f64_e32 v156, v[156:157]
	v_min3_f32 v142, v151, v156, v142
	;; [unrolled: 5-line block ×6, first 2 shown]
	v_add_f64 v[156:157], v[6:7], v[154:155]
	v_add_f64 v[158:159], v[4:5], v[152:153]
	v_cvt_f32_f64_e32 v151, v[158:159]
	v_cvt_f32_f64_e32 v156, v[156:157]
	v_add_f64 v[154:155], v[2:3], v[154:155]
	v_add_f64 v[152:153], v[0:1], v[152:153]
	v_min3_f32 v137, v151, v156, v137
	v_cvt_f32_f64_e32 v151, v[152:153]
	v_cvt_f32_f64_e32 v152, v[154:155]
	v_min3_f32 v136, v151, v152, v136
	s_waitcnt lgkmcnt(6)
	v_add_f64 v[152:153], v[34:35], v[58:59]
	v_add_f64 v[154:155], v[32:33], v[56:57]
	v_cvt_f32_f64_e32 v151, v[154:155]
	v_cvt_f32_f64_e32 v152, v[152:153]
	v_min3_f32 v135, v151, v152, v135
	v_add_f64 v[152:153], v[30:31], v[58:59]
	v_add_f64 v[154:155], v[28:29], v[56:57]
	v_cvt_f32_f64_e32 v151, v[154:155]
	v_cvt_f32_f64_e32 v152, v[152:153]
	v_min3_f32 v134, v151, v152, v134
	v_add_f64 v[152:153], v[26:27], v[58:59]
	v_add_f64 v[154:155], v[24:25], v[56:57]
	v_cvt_f32_f64_e32 v151, v[154:155]
	v_cvt_f32_f64_e32 v152, v[152:153]
	v_min3_f32 v131, v151, v152, v131
	v_add_f64 v[152:153], v[18:19], v[58:59]
	v_add_f64 v[154:155], v[16:17], v[56:57]
	v_cvt_f32_f64_e32 v151, v[154:155]
	v_cvt_f32_f64_e32 v152, v[152:153]
	v_min3_f32 v130, v151, v152, v130
	v_add_f64 v[152:153], v[14:15], v[58:59]
	v_add_f64 v[154:155], v[12:13], v[56:57]
	v_cvt_f32_f64_e32 v151, v[154:155]
	v_cvt_f32_f64_e32 v152, v[152:153]
	v_min3_f32 v129, v151, v152, v129
	v_add_f64 v[152:153], v[10:11], v[58:59]
	v_add_f64 v[154:155], v[8:9], v[56:57]
	v_cvt_f32_f64_e32 v151, v[154:155]
	v_cvt_f32_f64_e32 v152, v[152:153]
	v_min3_f32 v128, v151, v152, v128
	v_add_f64 v[152:153], v[6:7], v[58:59]
	v_add_f64 v[154:155], v[4:5], v[56:57]
	v_add_f64 v[58:59], v[2:3], v[58:59]
	v_add_f64 v[56:57], v[0:1], v[56:57]
	v_cvt_f32_f64_e32 v56, v[56:57]
	v_cvt_f32_f64_e32 v57, v[58:59]
	v_min3_f32 v126, v56, v57, v126
	s_waitcnt lgkmcnt(5)
	v_add_f64 v[56:57], v[34:35], v[54:55]
	v_add_f64 v[58:59], v[32:33], v[52:53]
	v_cvt_f32_f64_e32 v58, v[58:59]
	v_cvt_f32_f64_e32 v56, v[56:57]
	v_min3_f32 v125, v58, v56, v125
	v_add_f64 v[56:57], v[30:31], v[54:55]
	v_add_f64 v[58:59], v[28:29], v[52:53]
	v_cvt_f32_f64_e32 v58, v[58:59]
	v_cvt_f32_f64_e32 v56, v[56:57]
	v_min3_f32 v124, v58, v56, v124
	v_add_f64 v[56:57], v[26:27], v[54:55]
	v_add_f64 v[58:59], v[24:25], v[52:53]
	v_cvt_f32_f64_e32 v58, v[58:59]
	v_cvt_f32_f64_e32 v56, v[56:57]
	v_min3_f32 v123, v58, v56, v123
	v_add_f64 v[56:57], v[18:19], v[54:55]
	v_add_f64 v[58:59], v[16:17], v[52:53]
	v_cvt_f32_f64_e32 v58, v[58:59]
	v_cvt_f32_f64_e32 v56, v[56:57]
	v_min3_f32 v122, v58, v56, v122
	v_add_f64 v[56:57], v[14:15], v[54:55]
	v_add_f64 v[58:59], v[12:13], v[52:53]
	v_cvt_f32_f64_e32 v58, v[58:59]
	v_cvt_f32_f64_e32 v56, v[56:57]
	v_min3_f32 v121, v58, v56, v121
	v_add_f64 v[56:57], v[10:11], v[54:55]
	v_add_f64 v[58:59], v[8:9], v[52:53]
	v_cvt_f32_f64_e32 v58, v[58:59]
	v_cvt_f32_f64_e32 v56, v[56:57]
	v_min3_f32 v120, v58, v56, v120
	v_add_f64 v[56:57], v[6:7], v[54:55]
	v_add_f64 v[58:59], v[4:5], v[52:53]
	v_add_f64 v[54:55], v[2:3], v[54:55]
	v_add_f64 v[52:53], v[0:1], v[52:53]
	;; [unrolled: 38-line block ×6, first 2 shown]
	s_waitcnt lgkmcnt(0)
	v_add_f64 v[34:35], v[34:35], v[22:23]
	v_add_f64 v[32:33], v[32:33], v[20:21]
	;; [unrolled: 1-line block ×16, first 2 shown]
	v_cvt_f32_f64_e32 v151, v[154:155]
	v_cvt_f32_f64_e32 v152, v[152:153]
	;; [unrolled: 1-line block ×30, first 2 shown]
	v_min3_f32 v127, v151, v152, v127
	v_min3_f32 v119, v58, v56, v119
	;; [unrolled: 1-line block ×15, first 2 shown]
	s_mov_b32 s35, 2
	s_mov_b64 s[12:13], 0
	s_cbranch_vccz .LBB110_43
; %bb.44:                               ;   in Loop: Header=BB110_32 Depth=1
	v_add3_u32 v0, v144, s38, 4
	v_cmp_le_i32_e32 vcc, s26, v0
	v_min_i32_e32 v0, s37, v0
	v_mad_i64_i32 v[0:1], s[12:13], v0, s36, 0
	s_or_b64 s[12:13], s[2:3], vcc
	v_lshl_add_u64 v[0:1], v[0:1], 3, s[28:29]
	s_or_b64 s[40:41], s[30:31], s[12:13]
	ds_write2st64_b64 v146, v[68:69], v[70:71] offset1:4
	ds_write2st64_b64 v146, v[72:73], v[74:75] offset0:8 offset1:12
	ds_write_b64 v147, v[76:77]
	v_cndmask_b32_e64 v69, 0, v150, s[12:13]
	s_xor_b64 s[40:41], s[40:41], -1
	v_cndmask_b32_e64 v68, 0, -1, s[12:13]
	v_lshl_add_u64 v[0:1], v[60:61], 3, v[0:1]
	s_waitcnt lgkmcnt(0)
	s_barrier
	s_and_saveexec_b64 s[12:13], s[40:41]
	s_cbranch_execz .LBB110_46
; %bb.45:                               ;   in Loop: Header=BB110_32 Depth=1
	flat_load_dwordx2 v[2:3], v[0:1]
	s_waitcnt vmcnt(0) lgkmcnt(0)
	v_mul_f64 v[68:69], v[2:3], s[16:17]
.LBB110_46:                             ;   in Loop: Header=BB110_32 Depth=1
	s_or_b64 exec, exec, s[12:13]
	s_or_b64 s[12:13], s[4:5], vcc
	s_or_b64 s[40:41], s[30:31], s[12:13]
	v_cndmask_b32_e64 v71, 0, v150, s[12:13]
	s_xor_b64 s[40:41], s[40:41], -1
	v_cndmask_b32_e64 v70, 0, -1, s[12:13]
	s_and_saveexec_b64 s[12:13], s[40:41]
	s_cbranch_execz .LBB110_48
; %bb.47:                               ;   in Loop: Header=BB110_32 Depth=1
	flat_load_dwordx2 v[2:3], v[0:1] offset:512
	s_waitcnt vmcnt(0) lgkmcnt(0)
	v_mul_f64 v[70:71], v[2:3], s[16:17]
.LBB110_48:                             ;   in Loop: Header=BB110_32 Depth=1
	s_or_b64 exec, exec, s[12:13]
	s_or_b64 s[12:13], s[6:7], vcc
	s_or_b64 s[40:41], s[30:31], s[12:13]
	v_cndmask_b32_e64 v73, 0, v150, s[12:13]
	s_xor_b64 s[40:41], s[40:41], -1
	v_cndmask_b32_e64 v72, 0, -1, s[12:13]
	s_and_saveexec_b64 s[12:13], s[40:41]
	s_cbranch_execz .LBB110_50
; %bb.49:                               ;   in Loop: Header=BB110_32 Depth=1
	flat_load_dwordx2 v[2:3], v[0:1] offset:1024
	s_waitcnt vmcnt(0) lgkmcnt(0)
	v_mul_f64 v[72:73], v[2:3], s[16:17]
.LBB110_50:                             ;   in Loop: Header=BB110_32 Depth=1
	s_or_b64 exec, exec, s[12:13]
	s_or_b64 vcc, s[8:9], vcc
	s_or_b64 s[12:13], s[30:31], vcc
	v_cndmask_b32_e32 v75, 0, v150, vcc
	s_xor_b64 s[40:41], s[12:13], -1
	v_cndmask_b32_e64 v74, 0, -1, vcc
	s_and_saveexec_b64 s[12:13], s[40:41]
	s_cbranch_execz .LBB110_52
; %bb.51:                               ;   in Loop: Header=BB110_32 Depth=1
	flat_load_dwordx2 v[0:1], v[0:1] offset:1536
	s_waitcnt vmcnt(0) lgkmcnt(0)
	v_mul_f64 v[74:75], v[0:1], s[16:17]
.LBB110_52:                             ;   in Loop: Header=BB110_32 Depth=1
	s_or_b64 exec, exec, s[12:13]
	v_or_b32_e32 v0, 4, v66
	v_cmp_le_i32_e32 vcc, s26, v0
	s_or_b64 vcc, vcc, s[10:11]
	s_or_b64 s[12:13], s[30:31], vcc
	v_cndmask_b32_e32 v77, 0, v150, vcc
	s_xor_b64 s[40:41], s[12:13], -1
	v_cndmask_b32_e64 v76, 0, -1, vcc
	s_and_saveexec_b64 s[12:13], s[40:41]
	s_cbranch_execz .LBB110_54
; %bb.53:                               ;   in Loop: Header=BB110_32 Depth=1
	v_lshl_add_u64 v[0:1], v[66:67], 3, v[64:65]
	flat_load_dwordx2 v[0:1], v[0:1]
	s_waitcnt vmcnt(0) lgkmcnt(0)
	v_mul_f64 v[76:77], v[0:1], s[16:17]
.LBB110_54:                             ;   in Loop: Header=BB110_32 Depth=1
	s_or_b64 exec, exec, s[12:13]
	s_mov_b32 s35, 0
	s_mov_b64 s[12:13], -1
.LBB110_55:                             ;   Parent Loop BB110_32 Depth=1
                                        ; =>  This Inner Loop Header: Depth=2
	v_cndmask_b32_e64 v0, 0, 1, s[12:13]
	s_lshl_b32 s12, s35, 3
	v_cmp_ne_u32_e32 vcc, 1, v0
	v_lshl_add_u32 v0, v132, 5, s12
	v_lshl_add_u32 v20, v133, 5, s12
	ds_read_b128 v[32:35], v0
	ds_read_b128 v[28:31], v0 offset:1024
	ds_read_b128 v[24:27], v0 offset:2048
	;; [unrolled: 1-line block ×15, first 2 shown]
	s_waitcnt lgkmcnt(7)
	v_add_f64 v[156:157], v[34:35], v[154:155]
	v_add_f64 v[158:159], v[32:33], v[152:153]
	v_cvt_f32_f64_e32 v66, v[158:159]
	v_cvt_f32_f64_e32 v151, v[156:157]
	v_add_f64 v[156:157], v[30:31], v[154:155]
	v_add_f64 v[158:159], v[28:29], v[152:153]
	v_min3_f32 v143, v66, v151, v143
	v_cvt_f32_f64_e32 v66, v[158:159]
	v_cvt_f32_f64_e32 v151, v[156:157]
	v_add_f64 v[156:157], v[26:27], v[154:155]
	v_add_f64 v[158:159], v[24:25], v[152:153]
	v_min3_f32 v142, v66, v151, v142
	;; [unrolled: 5-line block ×7, first 2 shown]
	v_cvt_f32_f64_e32 v66, v[152:153]
	v_cvt_f32_f64_e32 v151, v[154:155]
	s_waitcnt lgkmcnt(6)
	v_add_f64 v[152:153], v[34:35], v[58:59]
	v_add_f64 v[154:155], v[32:33], v[56:57]
	v_min3_f32 v136, v66, v151, v136
	v_cvt_f32_f64_e32 v66, v[154:155]
	v_cvt_f32_f64_e32 v151, v[152:153]
	v_add_f64 v[152:153], v[30:31], v[58:59]
	v_add_f64 v[154:155], v[28:29], v[56:57]
	v_min3_f32 v135, v66, v151, v135
	v_cvt_f32_f64_e32 v66, v[154:155]
	v_cvt_f32_f64_e32 v151, v[152:153]
	v_add_f64 v[152:153], v[26:27], v[58:59]
	v_add_f64 v[154:155], v[24:25], v[56:57]
	v_min3_f32 v134, v66, v151, v134
	v_cvt_f32_f64_e32 v66, v[154:155]
	v_cvt_f32_f64_e32 v151, v[152:153]
	v_add_f64 v[152:153], v[18:19], v[58:59]
	v_add_f64 v[154:155], v[16:17], v[56:57]
	v_min3_f32 v131, v66, v151, v131
	v_cvt_f32_f64_e32 v66, v[154:155]
	v_cvt_f32_f64_e32 v151, v[152:153]
	v_add_f64 v[152:153], v[14:15], v[58:59]
	v_add_f64 v[154:155], v[12:13], v[56:57]
	v_min3_f32 v130, v66, v151, v130
	v_cvt_f32_f64_e32 v66, v[154:155]
	v_cvt_f32_f64_e32 v151, v[152:153]
	v_add_f64 v[152:153], v[10:11], v[58:59]
	v_add_f64 v[154:155], v[8:9], v[56:57]
	v_min3_f32 v129, v66, v151, v129
	v_cvt_f32_f64_e32 v66, v[154:155]
	v_cvt_f32_f64_e32 v151, v[152:153]
	v_add_f64 v[152:153], v[6:7], v[58:59]
	v_add_f64 v[154:155], v[4:5], v[56:57]
	v_add_f64 v[58:59], v[2:3], v[58:59]
	v_add_f64 v[56:57], v[0:1], v[56:57]
	v_cvt_f32_f64_e32 v56, v[56:57]
	v_cvt_f32_f64_e32 v57, v[58:59]
	v_min3_f32 v126, v56, v57, v126
	s_waitcnt lgkmcnt(5)
	v_add_f64 v[56:57], v[34:35], v[54:55]
	v_add_f64 v[58:59], v[32:33], v[52:53]
	v_cvt_f32_f64_e32 v58, v[58:59]
	v_cvt_f32_f64_e32 v56, v[56:57]
	v_min3_f32 v125, v58, v56, v125
	v_add_f64 v[56:57], v[30:31], v[54:55]
	v_add_f64 v[58:59], v[28:29], v[52:53]
	v_cvt_f32_f64_e32 v58, v[58:59]
	v_cvt_f32_f64_e32 v56, v[56:57]
	v_min3_f32 v124, v58, v56, v124
	v_add_f64 v[56:57], v[26:27], v[54:55]
	v_add_f64 v[58:59], v[24:25], v[52:53]
	v_cvt_f32_f64_e32 v58, v[58:59]
	v_cvt_f32_f64_e32 v56, v[56:57]
	v_min3_f32 v123, v58, v56, v123
	v_add_f64 v[56:57], v[18:19], v[54:55]
	v_add_f64 v[58:59], v[16:17], v[52:53]
	v_cvt_f32_f64_e32 v58, v[58:59]
	v_cvt_f32_f64_e32 v56, v[56:57]
	v_min3_f32 v122, v58, v56, v122
	v_add_f64 v[56:57], v[14:15], v[54:55]
	v_add_f64 v[58:59], v[12:13], v[52:53]
	v_cvt_f32_f64_e32 v58, v[58:59]
	v_cvt_f32_f64_e32 v56, v[56:57]
	v_min3_f32 v121, v58, v56, v121
	v_add_f64 v[56:57], v[10:11], v[54:55]
	v_add_f64 v[58:59], v[8:9], v[52:53]
	v_cvt_f32_f64_e32 v58, v[58:59]
	v_cvt_f32_f64_e32 v56, v[56:57]
	v_min3_f32 v120, v58, v56, v120
	v_add_f64 v[56:57], v[6:7], v[54:55]
	v_add_f64 v[58:59], v[4:5], v[52:53]
	v_add_f64 v[54:55], v[2:3], v[54:55]
	v_add_f64 v[52:53], v[0:1], v[52:53]
	v_cvt_f32_f64_e32 v52, v[52:53]
	v_cvt_f32_f64_e32 v53, v[54:55]
	v_min3_f32 v118, v52, v53, v118
	s_waitcnt lgkmcnt(4)
	v_add_f64 v[52:53], v[34:35], v[50:51]
	v_add_f64 v[54:55], v[32:33], v[48:49]
	v_cvt_f32_f64_e32 v54, v[54:55]
	v_cvt_f32_f64_e32 v52, v[52:53]
	v_min3_f32 v117, v54, v52, v117
	v_add_f64 v[52:53], v[30:31], v[50:51]
	v_add_f64 v[54:55], v[28:29], v[48:49]
	v_cvt_f32_f64_e32 v54, v[54:55]
	v_cvt_f32_f64_e32 v52, v[52:53]
	v_min3_f32 v116, v54, v52, v116
	v_add_f64 v[52:53], v[26:27], v[50:51]
	v_add_f64 v[54:55], v[24:25], v[48:49]
	v_cvt_f32_f64_e32 v54, v[54:55]
	v_cvt_f32_f64_e32 v52, v[52:53]
	v_min3_f32 v115, v54, v52, v115
	v_add_f64 v[52:53], v[18:19], v[50:51]
	v_add_f64 v[54:55], v[16:17], v[48:49]
	v_cvt_f32_f64_e32 v54, v[54:55]
	v_cvt_f32_f64_e32 v52, v[52:53]
	v_min3_f32 v114, v54, v52, v114
	v_add_f64 v[52:53], v[14:15], v[50:51]
	v_add_f64 v[54:55], v[12:13], v[48:49]
	v_cvt_f32_f64_e32 v54, v[54:55]
	v_cvt_f32_f64_e32 v52, v[52:53]
	v_min3_f32 v113, v54, v52, v113
	v_add_f64 v[52:53], v[10:11], v[50:51]
	v_add_f64 v[54:55], v[8:9], v[48:49]
	v_cvt_f32_f64_e32 v54, v[54:55]
	v_cvt_f32_f64_e32 v52, v[52:53]
	v_min3_f32 v112, v54, v52, v112
	;; [unrolled: 38-line block ×5, first 2 shown]
	v_add_f64 v[40:41], v[6:7], v[38:39]
	v_add_f64 v[42:43], v[4:5], v[36:37]
	;; [unrolled: 1-line block ×4, first 2 shown]
	s_waitcnt lgkmcnt(0)
	v_add_f64 v[34:35], v[34:35], v[22:23]
	v_add_f64 v[32:33], v[32:33], v[20:21]
	;; [unrolled: 1-line block ×16, first 2 shown]
	v_min3_f32 v128, v66, v151, v128
	v_cvt_f32_f64_e32 v66, v[154:155]
	v_cvt_f32_f64_e32 v151, v[152:153]
	;; [unrolled: 1-line block ×30, first 2 shown]
	v_min3_f32 v127, v66, v151, v127
	v_min3_f32 v119, v58, v56, v119
	;; [unrolled: 1-line block ×15, first 2 shown]
	s_mov_b32 s35, 2
	s_mov_b64 s[12:13], 0
	s_cbranch_vccz .LBB110_55
; %bb.56:                               ;   in Loop: Header=BB110_32 Depth=1
	s_add_i32 s38, s38, 8
	s_add_i32 s34, s34, 8
	s_cmp_ge_i32 s34, s39
	ds_write2st64_b64 v148, v[68:69], v[70:71] offset1:4
	ds_write2st64_b64 v148, v[72:73], v[74:75] offset0:8 offset1:12
	ds_write_b64 v149, v[76:77]
	s_waitcnt lgkmcnt(0)
	s_barrier
	s_cbranch_scc0 .LBB110_32
.LBB110_57:
	s_mov_b32 s4, 0
	s_mov_b64 s[2:3], -1
.LBB110_58:                             ; =>This Inner Loop Header: Depth=1
	v_cndmask_b32_e64 v0, 0, 1, s[2:3]
	s_lshl_b32 s2, s4, 3
	v_cmp_ne_u32_e32 vcc, 1, v0
	v_lshl_add_u32 v0, v132, 5, s2
	v_lshl_add_u32 v20, v133, 5, s2
	ds_read_b128 v[32:35], v0 offset:8192
	ds_read_b128 v[28:31], v0 offset:9216
	;; [unrolled: 1-line block ×16, first 2 shown]
	s_waitcnt lgkmcnt(7)
	v_add_f64 v[64:65], v[34:35], v[62:63]
	v_add_f64 v[66:67], v[32:33], v[60:61]
	v_cvt_f32_f64_e32 v66, v[66:67]
	v_cvt_f32_f64_e32 v64, v[64:65]
	v_min3_f32 v143, v66, v64, v143
	v_add_f64 v[64:65], v[30:31], v[62:63]
	v_add_f64 v[66:67], v[28:29], v[60:61]
	v_cvt_f32_f64_e32 v66, v[66:67]
	v_cvt_f32_f64_e32 v64, v[64:65]
	v_min3_f32 v142, v66, v64, v142
	v_add_f64 v[64:65], v[26:27], v[62:63]
	v_add_f64 v[66:67], v[24:25], v[60:61]
	v_cvt_f32_f64_e32 v66, v[66:67]
	v_cvt_f32_f64_e32 v64, v[64:65]
	v_min3_f32 v141, v66, v64, v141
	v_add_f64 v[64:65], v[18:19], v[62:63]
	v_add_f64 v[66:67], v[16:17], v[60:61]
	v_cvt_f32_f64_e32 v66, v[66:67]
	v_cvt_f32_f64_e32 v64, v[64:65]
	v_min3_f32 v140, v66, v64, v140
	v_add_f64 v[64:65], v[14:15], v[62:63]
	v_add_f64 v[66:67], v[12:13], v[60:61]
	v_cvt_f32_f64_e32 v66, v[66:67]
	v_cvt_f32_f64_e32 v64, v[64:65]
	v_min3_f32 v139, v66, v64, v139
	v_add_f64 v[64:65], v[10:11], v[62:63]
	v_add_f64 v[66:67], v[8:9], v[60:61]
	v_cvt_f32_f64_e32 v66, v[66:67]
	v_cvt_f32_f64_e32 v64, v[64:65]
	v_min3_f32 v138, v66, v64, v138
	v_add_f64 v[64:65], v[6:7], v[62:63]
	v_add_f64 v[66:67], v[4:5], v[60:61]
	v_add_f64 v[62:63], v[2:3], v[62:63]
	v_add_f64 v[60:61], v[0:1], v[60:61]
	v_cvt_f32_f64_e32 v60, v[60:61]
	v_cvt_f32_f64_e32 v61, v[62:63]
	v_min3_f32 v136, v60, v61, v136
	s_waitcnt lgkmcnt(6)
	v_add_f64 v[60:61], v[34:35], v[58:59]
	v_add_f64 v[62:63], v[32:33], v[56:57]
	v_cvt_f32_f64_e32 v62, v[62:63]
	v_cvt_f32_f64_e32 v60, v[60:61]
	v_min3_f32 v135, v62, v60, v135
	v_add_f64 v[60:61], v[30:31], v[58:59]
	v_add_f64 v[62:63], v[28:29], v[56:57]
	v_cvt_f32_f64_e32 v62, v[62:63]
	v_cvt_f32_f64_e32 v60, v[60:61]
	v_min3_f32 v134, v62, v60, v134
	v_add_f64 v[60:61], v[26:27], v[58:59]
	v_add_f64 v[62:63], v[24:25], v[56:57]
	v_cvt_f32_f64_e32 v62, v[62:63]
	v_cvt_f32_f64_e32 v60, v[60:61]
	v_min3_f32 v131, v62, v60, v131
	v_add_f64 v[60:61], v[18:19], v[58:59]
	v_add_f64 v[62:63], v[16:17], v[56:57]
	v_cvt_f32_f64_e32 v62, v[62:63]
	v_cvt_f32_f64_e32 v60, v[60:61]
	v_min3_f32 v130, v62, v60, v130
	v_add_f64 v[60:61], v[14:15], v[58:59]
	v_add_f64 v[62:63], v[12:13], v[56:57]
	v_cvt_f32_f64_e32 v62, v[62:63]
	v_cvt_f32_f64_e32 v60, v[60:61]
	v_min3_f32 v129, v62, v60, v129
	v_add_f64 v[60:61], v[10:11], v[58:59]
	v_add_f64 v[62:63], v[8:9], v[56:57]
	v_cvt_f32_f64_e32 v62, v[62:63]
	v_cvt_f32_f64_e32 v60, v[60:61]
	v_min3_f32 v128, v62, v60, v128
	v_add_f64 v[60:61], v[6:7], v[58:59]
	v_add_f64 v[62:63], v[4:5], v[56:57]
	v_add_f64 v[58:59], v[2:3], v[58:59]
	v_add_f64 v[56:57], v[0:1], v[56:57]
	v_cvt_f32_f64_e32 v56, v[56:57]
	v_cvt_f32_f64_e32 v57, v[58:59]
	v_min3_f32 v126, v56, v57, v126
	;; [unrolled: 38-line block ×6, first 2 shown]
	s_waitcnt lgkmcnt(1)
	v_add_f64 v[40:41], v[34:35], v[38:39]
	v_add_f64 v[42:43], v[32:33], v[36:37]
	v_cvt_f32_f64_e32 v42, v[42:43]
	v_cvt_f32_f64_e32 v40, v[40:41]
	v_min3_f32 v93, v42, v40, v93
	v_add_f64 v[40:41], v[30:31], v[38:39]
	v_add_f64 v[42:43], v[28:29], v[36:37]
	v_cvt_f32_f64_e32 v42, v[42:43]
	v_cvt_f32_f64_e32 v40, v[40:41]
	v_min3_f32 v92, v42, v40, v92
	;; [unrolled: 5-line block ×6, first 2 shown]
	v_add_f64 v[40:41], v[6:7], v[38:39]
	v_add_f64 v[42:43], v[4:5], v[36:37]
	;; [unrolled: 1-line block ×4, first 2 shown]
	s_waitcnt lgkmcnt(0)
	v_add_f64 v[34:35], v[34:35], v[22:23]
	v_add_f64 v[32:33], v[32:33], v[20:21]
	;; [unrolled: 1-line block ×16, first 2 shown]
	v_cvt_f32_f64_e32 v66, v[66:67]
	v_cvt_f32_f64_e32 v64, v[64:65]
	;; [unrolled: 1-line block ×32, first 2 shown]
	v_min3_f32 v137, v66, v64, v137
	v_min3_f32 v127, v62, v60, v127
	;; [unrolled: 1-line block ×16, first 2 shown]
	s_mov_b32 s4, 2
	s_mov_b64 s[2:3], 0
	s_cbranch_vccz .LBB110_58
; %bb.59:
	s_load_dwordx2 s[2:3], s[0:1], 0x78
	s_load_dword s31, s[0:1], 0x58
	s_load_dword s30, s[0:1], 0x70
	v_add_u32_e32 v22, s33, v133
	v_add_u32_e32 v0, s27, v132
	s_waitcnt lgkmcnt(0)
	s_lshl_b64 s[0:1], s[2:3], 3
	s_add_u32 s26, s18, s0
	s_addc_u32 s27, s19, s1
	v_mad_i64_i32 v[2:3], s[0:1], v22, s31, 0
	v_lshl_add_u64 v[18:19], v[2:3], 3, s[20:21]
	v_mad_i64_i32 v[2:3], s[0:1], v22, s30, 0
	v_cmp_gt_i32_e64 s[2:3], s24, v0
	v_cmp_gt_i32_e64 s[18:19], s25, v22
	v_lshl_add_u64 v[16:17], v[2:3], 3, s[26:27]
	v_cndmask_b32_e64 v2, 0, 1, s[14:15]
	v_ashrrev_i32_e32 v1, 31, v0
	s_and_b64 s[6:7], s[2:3], s[18:19]
	v_cmp_ne_u32_e64 s[0:1], 1, v2
	s_and_saveexec_b64 s[4:5], s[6:7]
	s_cbranch_execz .LBB110_64
; %bb.60:
	s_and_b64 vcc, exec, s[0:1]
	s_cbranch_vccnz .LBB110_62
; %bb.61:
	v_lshl_add_u64 v[2:3], v[0:1], 3, v[18:19]
	flat_load_dwordx2 v[2:3], v[2:3]
	s_waitcnt vmcnt(0) lgkmcnt(0)
	v_mul_f64 v[2:3], v[2:3], s[22:23]
	s_branch .LBB110_63
.LBB110_62:
	v_mov_b64_e32 v[2:3], 0
.LBB110_63:
	v_cvt_f32_f64_e32 v2, v[2:3]
	v_max_f32_e32 v3, v143, v143
	v_min_f32_e32 v2, v2, v3
	v_cvt_f64_f32_e32 v[2:3], v2
	v_lshl_add_u64 v[4:5], v[0:1], 3, v[16:17]
	global_store_dwordx2 v[4:5], v[2:3], off
.LBB110_64:
	s_or_b64 exec, exec, s[4:5]
	v_add_u32_e32 v2, 32, v0
	v_cmp_gt_i32_e64 s[4:5], s24, v2
	v_ashrrev_i32_e32 v3, 31, v2
	s_and_b64 s[8:9], s[4:5], s[18:19]
	s_and_saveexec_b64 s[6:7], s[8:9]
	s_cbranch_execz .LBB110_69
; %bb.65:
	s_and_b64 vcc, exec, s[0:1]
	s_cbranch_vccnz .LBB110_67
; %bb.66:
	v_lshl_add_u64 v[4:5], v[2:3], 3, v[18:19]
	flat_load_dwordx2 v[4:5], v[4:5]
	s_waitcnt vmcnt(0) lgkmcnt(0)
	v_mul_f64 v[4:5], v[4:5], s[22:23]
	s_branch .LBB110_68
.LBB110_67:
	v_mov_b64_e32 v[4:5], 0
.LBB110_68:
	v_cvt_f32_f64_e32 v4, v[4:5]
	v_max_f32_e32 v5, v142, v142
	v_min_f32_e32 v4, v4, v5
	v_cvt_f64_f32_e32 v[4:5], v4
	v_lshl_add_u64 v[6:7], v[2:3], 3, v[16:17]
	global_store_dwordx2 v[6:7], v[4:5], off
.LBB110_69:
	s_or_b64 exec, exec, s[6:7]
	v_add_u32_e32 v4, 64, v0
	v_cmp_gt_i32_e64 s[6:7], s24, v4
	v_ashrrev_i32_e32 v5, 31, v4
	s_and_b64 s[10:11], s[6:7], s[18:19]
	s_and_saveexec_b64 s[8:9], s[10:11]
	s_cbranch_execz .LBB110_74
; %bb.70:
	s_and_b64 vcc, exec, s[0:1]
	s_cbranch_vccnz .LBB110_72
; %bb.71:
	v_lshl_add_u64 v[6:7], v[4:5], 3, v[18:19]
	flat_load_dwordx2 v[6:7], v[6:7]
	s_waitcnt vmcnt(0) lgkmcnt(0)
	v_mul_f64 v[6:7], v[6:7], s[22:23]
	s_branch .LBB110_73
.LBB110_72:
	v_mov_b64_e32 v[6:7], 0
.LBB110_73:
	v_cvt_f32_f64_e32 v6, v[6:7]
	v_max_f32_e32 v7, v141, v141
	v_min_f32_e32 v6, v6, v7
	v_cvt_f64_f32_e32 v[6:7], v6
	v_lshl_add_u64 v[8:9], v[4:5], 3, v[16:17]
	global_store_dwordx2 v[8:9], v[6:7], off
.LBB110_74:
	s_or_b64 exec, exec, s[8:9]
	v_add_u32_e32 v6, 0x60, v0
	v_cmp_gt_i32_e64 s[8:9], s24, v6
	v_ashrrev_i32_e32 v7, 31, v6
	s_and_b64 s[12:13], s[8:9], s[18:19]
	s_and_saveexec_b64 s[10:11], s[12:13]
	s_cbranch_execz .LBB110_79
; %bb.75:
	s_and_b64 vcc, exec, s[0:1]
	s_cbranch_vccnz .LBB110_77
; %bb.76:
	v_lshl_add_u64 v[8:9], v[6:7], 3, v[18:19]
	flat_load_dwordx2 v[8:9], v[8:9]
	s_waitcnt vmcnt(0) lgkmcnt(0)
	v_mul_f64 v[8:9], v[8:9], s[22:23]
	s_branch .LBB110_78
.LBB110_77:
	v_mov_b64_e32 v[8:9], 0
.LBB110_78:
	v_cvt_f32_f64_e32 v8, v[8:9]
	v_max_f32_e32 v9, v140, v140
	v_min_f32_e32 v8, v8, v9
	v_cvt_f64_f32_e32 v[8:9], v8
	v_lshl_add_u64 v[10:11], v[6:7], 3, v[16:17]
	global_store_dwordx2 v[10:11], v[8:9], off
.LBB110_79:
	s_or_b64 exec, exec, s[10:11]
	v_add_u32_e32 v8, 0x80, v0
	v_cmp_gt_i32_e64 s[10:11], s24, v8
	v_ashrrev_i32_e32 v9, 31, v8
	s_and_b64 s[14:15], s[10:11], s[18:19]
	s_and_saveexec_b64 s[12:13], s[14:15]
	s_cbranch_execz .LBB110_84
; %bb.80:
	s_and_b64 vcc, exec, s[0:1]
	s_cbranch_vccnz .LBB110_82
; %bb.81:
	v_lshl_add_u64 v[10:11], v[8:9], 3, v[18:19]
	flat_load_dwordx2 v[10:11], v[10:11]
	s_waitcnt vmcnt(0) lgkmcnt(0)
	v_mul_f64 v[10:11], v[10:11], s[22:23]
	s_branch .LBB110_83
.LBB110_82:
	v_mov_b64_e32 v[10:11], 0
.LBB110_83:
	v_cvt_f32_f64_e32 v10, v[10:11]
	v_max_f32_e32 v11, v139, v139
	v_min_f32_e32 v10, v10, v11
	v_cvt_f64_f32_e32 v[10:11], v10
	v_lshl_add_u64 v[12:13], v[8:9], 3, v[16:17]
	global_store_dwordx2 v[12:13], v[10:11], off
.LBB110_84:
	s_or_b64 exec, exec, s[12:13]
	v_add_u32_e32 v10, 0xa0, v0
	v_cmp_gt_i32_e64 s[12:13], s24, v10
	v_ashrrev_i32_e32 v11, 31, v10
	s_and_b64 s[16:17], s[12:13], s[18:19]
	s_and_saveexec_b64 s[14:15], s[16:17]
	s_cbranch_execz .LBB110_89
; %bb.85:
	s_and_b64 vcc, exec, s[0:1]
	s_cbranch_vccnz .LBB110_87
; %bb.86:
	v_lshl_add_u64 v[12:13], v[10:11], 3, v[18:19]
	flat_load_dwordx2 v[12:13], v[12:13]
	s_waitcnt vmcnt(0) lgkmcnt(0)
	v_mul_f64 v[12:13], v[12:13], s[22:23]
	s_branch .LBB110_88
.LBB110_87:
	v_mov_b64_e32 v[12:13], 0
.LBB110_88:
	v_cvt_f32_f64_e32 v12, v[12:13]
	v_max_f32_e32 v13, v138, v138
	v_min_f32_e32 v12, v12, v13
	v_cvt_f64_f32_e32 v[12:13], v12
	v_lshl_add_u64 v[14:15], v[10:11], 3, v[16:17]
	global_store_dwordx2 v[14:15], v[12:13], off
.LBB110_89:
	s_or_b64 exec, exec, s[14:15]
	v_add_u32_e32 v12, 0xc0, v0
	v_cmp_gt_i32_e64 s[14:15], s24, v12
	v_ashrrev_i32_e32 v13, 31, v12
	s_and_b64 s[28:29], s[14:15], s[18:19]
	s_and_saveexec_b64 s[16:17], s[28:29]
	s_cbranch_execz .LBB110_94
; %bb.90:
	s_and_b64 vcc, exec, s[0:1]
	s_cbranch_vccnz .LBB110_92
; %bb.91:
	v_lshl_add_u64 v[14:15], v[12:13], 3, v[18:19]
	flat_load_dwordx2 v[14:15], v[14:15]
	s_waitcnt vmcnt(0) lgkmcnt(0)
	v_mul_f64 v[14:15], v[14:15], s[22:23]
	s_branch .LBB110_93
.LBB110_92:
	v_mov_b64_e32 v[14:15], 0
.LBB110_93:
	v_cvt_f32_f64_e32 v14, v[14:15]
	v_max_f32_e32 v15, v137, v137
	v_min_f32_e32 v14, v14, v15
	v_cvt_f64_f32_e32 v[14:15], v14
	v_lshl_add_u64 v[20:21], v[12:13], 3, v[16:17]
	global_store_dwordx2 v[20:21], v[14:15], off
.LBB110_94:
	s_or_b64 exec, exec, s[16:17]
	v_add_u32_e32 v14, 0xe0, v0
	v_cmp_gt_i32_e64 s[16:17], s24, v14
	v_ashrrev_i32_e32 v15, 31, v14
	s_and_b64 s[28:29], s[16:17], s[18:19]
	s_and_saveexec_b64 s[18:19], s[28:29]
	s_cbranch_execz .LBB110_99
; %bb.95:
	s_and_b64 vcc, exec, s[0:1]
	s_cbranch_vccnz .LBB110_97
; %bb.96:
	v_lshl_add_u64 v[18:19], v[14:15], 3, v[18:19]
	flat_load_dwordx2 v[18:19], v[18:19]
	s_waitcnt vmcnt(0) lgkmcnt(0)
	v_mul_f64 v[18:19], v[18:19], s[22:23]
	s_branch .LBB110_98
.LBB110_97:
	v_mov_b64_e32 v[18:19], 0
.LBB110_98:
	v_cvt_f32_f64_e32 v18, v[18:19]
	v_max_f32_e32 v19, v136, v136
	v_min_f32_e32 v18, v18, v19
	v_cvt_f64_f32_e32 v[18:19], v18
	v_lshl_add_u64 v[16:17], v[14:15], 3, v[16:17]
	global_store_dwordx2 v[16:17], v[18:19], off
.LBB110_99:
	s_or_b64 exec, exec, s[18:19]
	v_add_u32_e32 v20, 8, v22
	v_mad_i64_i32 v[16:17], s[28:29], v20, s31, 0
	v_cmp_gt_i32_e64 s[18:19], s25, v20
	v_lshl_add_u64 v[18:19], v[16:17], 3, s[20:21]
	v_mad_i64_i32 v[16:17], s[28:29], v20, s30, 0
	v_lshl_add_u64 v[16:17], v[16:17], 3, s[26:27]
	s_and_b64 s[34:35], s[2:3], s[18:19]
	s_and_saveexec_b64 s[28:29], s[34:35]
	s_cbranch_execnz .LBB110_107
; %bb.100:
	s_or_b64 exec, exec, s[28:29]
	s_and_b64 s[34:35], s[4:5], s[18:19]
	s_and_saveexec_b64 s[28:29], s[34:35]
	s_cbranch_execnz .LBB110_111
.LBB110_101:
	s_or_b64 exec, exec, s[28:29]
	s_and_b64 s[34:35], s[6:7], s[18:19]
	s_and_saveexec_b64 s[28:29], s[34:35]
	s_cbranch_execnz .LBB110_115
.LBB110_102:
	s_or_b64 exec, exec, s[28:29]
	s_and_b64 s[34:35], s[8:9], s[18:19]
	s_and_saveexec_b64 s[28:29], s[34:35]
	s_cbranch_execnz .LBB110_119
.LBB110_103:
	s_or_b64 exec, exec, s[28:29]
	s_and_b64 s[34:35], s[10:11], s[18:19]
	s_and_saveexec_b64 s[28:29], s[34:35]
	s_cbranch_execnz .LBB110_123
.LBB110_104:
	s_or_b64 exec, exec, s[28:29]
	s_and_b64 s[34:35], s[12:13], s[18:19]
	s_and_saveexec_b64 s[28:29], s[34:35]
	s_cbranch_execnz .LBB110_127
.LBB110_105:
	s_or_b64 exec, exec, s[28:29]
	s_and_b64 s[34:35], s[14:15], s[18:19]
	s_and_saveexec_b64 s[28:29], s[34:35]
	s_cbranch_execnz .LBB110_131
.LBB110_106:
	s_or_b64 exec, exec, s[28:29]
	s_and_b64 s[28:29], s[16:17], s[18:19]
	s_and_saveexec_b64 s[18:19], s[28:29]
	s_cbranch_execnz .LBB110_135
	s_branch .LBB110_139
.LBB110_107:
	s_and_b64 vcc, exec, s[0:1]
	s_cbranch_vccnz .LBB110_109
; %bb.108:
	v_lshl_add_u64 v[20:21], v[0:1], 3, v[18:19]
	flat_load_dwordx2 v[20:21], v[20:21]
	s_waitcnt vmcnt(0) lgkmcnt(0)
	v_mul_f64 v[20:21], v[20:21], s[22:23]
	s_branch .LBB110_110
.LBB110_109:
	v_mov_b64_e32 v[20:21], 0
.LBB110_110:
	v_cvt_f32_f64_e32 v20, v[20:21]
	v_max_f32_e32 v21, v135, v135
	v_min_f32_e32 v20, v20, v21
	v_cvt_f64_f32_e32 v[20:21], v20
	v_lshl_add_u64 v[24:25], v[0:1], 3, v[16:17]
	global_store_dwordx2 v[24:25], v[20:21], off
	s_or_b64 exec, exec, s[28:29]
	s_and_b64 s[34:35], s[4:5], s[18:19]
	s_and_saveexec_b64 s[28:29], s[34:35]
	s_cbranch_execz .LBB110_101
.LBB110_111:
	s_and_b64 vcc, exec, s[0:1]
	s_cbranch_vccnz .LBB110_113
; %bb.112:
	v_lshl_add_u64 v[20:21], v[2:3], 3, v[18:19]
	flat_load_dwordx2 v[20:21], v[20:21]
	s_waitcnt vmcnt(0) lgkmcnt(0)
	v_mul_f64 v[20:21], v[20:21], s[22:23]
	s_branch .LBB110_114
.LBB110_113:
	v_mov_b64_e32 v[20:21], 0
.LBB110_114:
	v_cvt_f32_f64_e32 v20, v[20:21]
	v_max_f32_e32 v21, v134, v134
	v_min_f32_e32 v20, v20, v21
	v_cvt_f64_f32_e32 v[20:21], v20
	v_lshl_add_u64 v[24:25], v[2:3], 3, v[16:17]
	global_store_dwordx2 v[24:25], v[20:21], off
	s_or_b64 exec, exec, s[28:29]
	s_and_b64 s[34:35], s[6:7], s[18:19]
	s_and_saveexec_b64 s[28:29], s[34:35]
	s_cbranch_execz .LBB110_102
.LBB110_115:
	s_and_b64 vcc, exec, s[0:1]
	s_cbranch_vccnz .LBB110_117
; %bb.116:
	v_lshl_add_u64 v[20:21], v[4:5], 3, v[18:19]
	flat_load_dwordx2 v[20:21], v[20:21]
	s_waitcnt vmcnt(0) lgkmcnt(0)
	v_mul_f64 v[20:21], v[20:21], s[22:23]
	s_branch .LBB110_118
.LBB110_117:
	v_mov_b64_e32 v[20:21], 0
.LBB110_118:
	v_cvt_f32_f64_e32 v20, v[20:21]
	v_max_f32_e32 v21, v131, v131
	v_min_f32_e32 v20, v20, v21
	v_cvt_f64_f32_e32 v[20:21], v20
	v_lshl_add_u64 v[24:25], v[4:5], 3, v[16:17]
	global_store_dwordx2 v[24:25], v[20:21], off
	s_or_b64 exec, exec, s[28:29]
	s_and_b64 s[34:35], s[8:9], s[18:19]
	s_and_saveexec_b64 s[28:29], s[34:35]
	s_cbranch_execz .LBB110_103
.LBB110_119:
	s_and_b64 vcc, exec, s[0:1]
	s_cbranch_vccnz .LBB110_121
; %bb.120:
	v_lshl_add_u64 v[20:21], v[6:7], 3, v[18:19]
	flat_load_dwordx2 v[20:21], v[20:21]
	s_waitcnt vmcnt(0) lgkmcnt(0)
	v_mul_f64 v[20:21], v[20:21], s[22:23]
	s_branch .LBB110_122
.LBB110_121:
	v_mov_b64_e32 v[20:21], 0
.LBB110_122:
	v_cvt_f32_f64_e32 v20, v[20:21]
	v_max_f32_e32 v21, v130, v130
	v_min_f32_e32 v20, v20, v21
	v_cvt_f64_f32_e32 v[20:21], v20
	v_lshl_add_u64 v[24:25], v[6:7], 3, v[16:17]
	global_store_dwordx2 v[24:25], v[20:21], off
	s_or_b64 exec, exec, s[28:29]
	s_and_b64 s[34:35], s[10:11], s[18:19]
	s_and_saveexec_b64 s[28:29], s[34:35]
	s_cbranch_execz .LBB110_104
.LBB110_123:
	s_and_b64 vcc, exec, s[0:1]
	s_cbranch_vccnz .LBB110_125
; %bb.124:
	v_lshl_add_u64 v[20:21], v[8:9], 3, v[18:19]
	flat_load_dwordx2 v[20:21], v[20:21]
	s_waitcnt vmcnt(0) lgkmcnt(0)
	v_mul_f64 v[20:21], v[20:21], s[22:23]
	s_branch .LBB110_126
.LBB110_125:
	v_mov_b64_e32 v[20:21], 0
.LBB110_126:
	v_cvt_f32_f64_e32 v20, v[20:21]
	v_max_f32_e32 v21, v129, v129
	v_min_f32_e32 v20, v20, v21
	v_cvt_f64_f32_e32 v[20:21], v20
	v_lshl_add_u64 v[24:25], v[8:9], 3, v[16:17]
	global_store_dwordx2 v[24:25], v[20:21], off
	s_or_b64 exec, exec, s[28:29]
	s_and_b64 s[34:35], s[12:13], s[18:19]
	s_and_saveexec_b64 s[28:29], s[34:35]
	s_cbranch_execz .LBB110_105
.LBB110_127:
	s_and_b64 vcc, exec, s[0:1]
	s_cbranch_vccnz .LBB110_129
; %bb.128:
	v_lshl_add_u64 v[20:21], v[10:11], 3, v[18:19]
	flat_load_dwordx2 v[20:21], v[20:21]
	s_waitcnt vmcnt(0) lgkmcnt(0)
	v_mul_f64 v[20:21], v[20:21], s[22:23]
	s_branch .LBB110_130
.LBB110_129:
	v_mov_b64_e32 v[20:21], 0
.LBB110_130:
	v_cvt_f32_f64_e32 v20, v[20:21]
	v_max_f32_e32 v21, v128, v128
	v_min_f32_e32 v20, v20, v21
	v_cvt_f64_f32_e32 v[20:21], v20
	v_lshl_add_u64 v[24:25], v[10:11], 3, v[16:17]
	global_store_dwordx2 v[24:25], v[20:21], off
	s_or_b64 exec, exec, s[28:29]
	s_and_b64 s[34:35], s[14:15], s[18:19]
	s_and_saveexec_b64 s[28:29], s[34:35]
	s_cbranch_execz .LBB110_106
.LBB110_131:
	s_and_b64 vcc, exec, s[0:1]
	s_cbranch_vccnz .LBB110_133
; %bb.132:
	v_lshl_add_u64 v[20:21], v[12:13], 3, v[18:19]
	flat_load_dwordx2 v[20:21], v[20:21]
	s_waitcnt vmcnt(0) lgkmcnt(0)
	v_mul_f64 v[20:21], v[20:21], s[22:23]
	s_branch .LBB110_134
.LBB110_133:
	v_mov_b64_e32 v[20:21], 0
.LBB110_134:
	v_cvt_f32_f64_e32 v20, v[20:21]
	v_max_f32_e32 v21, v127, v127
	v_min_f32_e32 v20, v20, v21
	v_cvt_f64_f32_e32 v[20:21], v20
	v_lshl_add_u64 v[24:25], v[12:13], 3, v[16:17]
	global_store_dwordx2 v[24:25], v[20:21], off
	s_or_b64 exec, exec, s[28:29]
	s_and_b64 s[28:29], s[16:17], s[18:19]
	s_and_saveexec_b64 s[18:19], s[28:29]
	s_cbranch_execz .LBB110_139
.LBB110_135:
	s_and_b64 vcc, exec, s[0:1]
	s_cbranch_vccnz .LBB110_137
; %bb.136:
	v_lshl_add_u64 v[18:19], v[14:15], 3, v[18:19]
	flat_load_dwordx2 v[18:19], v[18:19]
	s_waitcnt vmcnt(0) lgkmcnt(0)
	v_mul_f64 v[18:19], v[18:19], s[22:23]
	s_branch .LBB110_138
.LBB110_137:
	v_mov_b64_e32 v[18:19], 0
.LBB110_138:
	v_cvt_f32_f64_e32 v18, v[18:19]
	v_max_f32_e32 v19, v126, v126
	v_min_f32_e32 v18, v18, v19
	v_cvt_f64_f32_e32 v[18:19], v18
	v_lshl_add_u64 v[16:17], v[14:15], 3, v[16:17]
	global_store_dwordx2 v[16:17], v[18:19], off
.LBB110_139:
	s_or_b64 exec, exec, s[18:19]
	v_add_u32_e32 v20, 16, v22
	v_mad_i64_i32 v[16:17], s[28:29], v20, s31, 0
	v_cmp_gt_i32_e64 s[18:19], s25, v20
	v_lshl_add_u64 v[18:19], v[16:17], 3, s[20:21]
	v_mad_i64_i32 v[16:17], s[28:29], v20, s30, 0
	v_lshl_add_u64 v[16:17], v[16:17], 3, s[26:27]
	s_and_b64 s[34:35], s[2:3], s[18:19]
	s_and_saveexec_b64 s[28:29], s[34:35]
	s_cbranch_execnz .LBB110_147
; %bb.140:
	s_or_b64 exec, exec, s[28:29]
	s_and_b64 s[34:35], s[4:5], s[18:19]
	s_and_saveexec_b64 s[28:29], s[34:35]
	s_cbranch_execnz .LBB110_151
.LBB110_141:
	s_or_b64 exec, exec, s[28:29]
	s_and_b64 s[34:35], s[6:7], s[18:19]
	s_and_saveexec_b64 s[28:29], s[34:35]
	s_cbranch_execnz .LBB110_155
.LBB110_142:
	s_or_b64 exec, exec, s[28:29]
	s_and_b64 s[34:35], s[8:9], s[18:19]
	s_and_saveexec_b64 s[28:29], s[34:35]
	s_cbranch_execnz .LBB110_159
.LBB110_143:
	s_or_b64 exec, exec, s[28:29]
	s_and_b64 s[34:35], s[10:11], s[18:19]
	s_and_saveexec_b64 s[28:29], s[34:35]
	s_cbranch_execnz .LBB110_163
.LBB110_144:
	s_or_b64 exec, exec, s[28:29]
	s_and_b64 s[34:35], s[12:13], s[18:19]
	s_and_saveexec_b64 s[28:29], s[34:35]
	s_cbranch_execnz .LBB110_167
.LBB110_145:
	s_or_b64 exec, exec, s[28:29]
	s_and_b64 s[34:35], s[14:15], s[18:19]
	s_and_saveexec_b64 s[28:29], s[34:35]
	s_cbranch_execnz .LBB110_171
.LBB110_146:
	s_or_b64 exec, exec, s[28:29]
	s_and_b64 s[28:29], s[16:17], s[18:19]
	s_and_saveexec_b64 s[18:19], s[28:29]
	s_cbranch_execnz .LBB110_175
	s_branch .LBB110_179
.LBB110_147:
	s_and_b64 vcc, exec, s[0:1]
	s_cbranch_vccnz .LBB110_149
; %bb.148:
	v_lshl_add_u64 v[20:21], v[0:1], 3, v[18:19]
	flat_load_dwordx2 v[20:21], v[20:21]
	s_waitcnt vmcnt(0) lgkmcnt(0)
	v_mul_f64 v[20:21], v[20:21], s[22:23]
	s_branch .LBB110_150
.LBB110_149:
	v_mov_b64_e32 v[20:21], 0
.LBB110_150:
	v_cvt_f32_f64_e32 v20, v[20:21]
	v_max_f32_e32 v21, v125, v125
	v_min_f32_e32 v20, v20, v21
	v_cvt_f64_f32_e32 v[20:21], v20
	v_lshl_add_u64 v[24:25], v[0:1], 3, v[16:17]
	global_store_dwordx2 v[24:25], v[20:21], off
	s_or_b64 exec, exec, s[28:29]
	s_and_b64 s[34:35], s[4:5], s[18:19]
	s_and_saveexec_b64 s[28:29], s[34:35]
	s_cbranch_execz .LBB110_141
.LBB110_151:
	s_and_b64 vcc, exec, s[0:1]
	s_cbranch_vccnz .LBB110_153
; %bb.152:
	v_lshl_add_u64 v[20:21], v[2:3], 3, v[18:19]
	flat_load_dwordx2 v[20:21], v[20:21]
	s_waitcnt vmcnt(0) lgkmcnt(0)
	v_mul_f64 v[20:21], v[20:21], s[22:23]
	s_branch .LBB110_154
.LBB110_153:
	v_mov_b64_e32 v[20:21], 0
.LBB110_154:
	v_cvt_f32_f64_e32 v20, v[20:21]
	v_max_f32_e32 v21, v124, v124
	v_min_f32_e32 v20, v20, v21
	v_cvt_f64_f32_e32 v[20:21], v20
	v_lshl_add_u64 v[24:25], v[2:3], 3, v[16:17]
	global_store_dwordx2 v[24:25], v[20:21], off
	s_or_b64 exec, exec, s[28:29]
	s_and_b64 s[34:35], s[6:7], s[18:19]
	s_and_saveexec_b64 s[28:29], s[34:35]
	s_cbranch_execz .LBB110_142
.LBB110_155:
	s_and_b64 vcc, exec, s[0:1]
	s_cbranch_vccnz .LBB110_157
; %bb.156:
	v_lshl_add_u64 v[20:21], v[4:5], 3, v[18:19]
	flat_load_dwordx2 v[20:21], v[20:21]
	s_waitcnt vmcnt(0) lgkmcnt(0)
	v_mul_f64 v[20:21], v[20:21], s[22:23]
	s_branch .LBB110_158
.LBB110_157:
	v_mov_b64_e32 v[20:21], 0
.LBB110_158:
	v_cvt_f32_f64_e32 v20, v[20:21]
	v_max_f32_e32 v21, v123, v123
	v_min_f32_e32 v20, v20, v21
	v_cvt_f64_f32_e32 v[20:21], v20
	v_lshl_add_u64 v[24:25], v[4:5], 3, v[16:17]
	global_store_dwordx2 v[24:25], v[20:21], off
	s_or_b64 exec, exec, s[28:29]
	s_and_b64 s[34:35], s[8:9], s[18:19]
	s_and_saveexec_b64 s[28:29], s[34:35]
	s_cbranch_execz .LBB110_143
.LBB110_159:
	s_and_b64 vcc, exec, s[0:1]
	s_cbranch_vccnz .LBB110_161
; %bb.160:
	v_lshl_add_u64 v[20:21], v[6:7], 3, v[18:19]
	flat_load_dwordx2 v[20:21], v[20:21]
	s_waitcnt vmcnt(0) lgkmcnt(0)
	v_mul_f64 v[20:21], v[20:21], s[22:23]
	s_branch .LBB110_162
.LBB110_161:
	v_mov_b64_e32 v[20:21], 0
.LBB110_162:
	v_cvt_f32_f64_e32 v20, v[20:21]
	v_max_f32_e32 v21, v122, v122
	v_min_f32_e32 v20, v20, v21
	v_cvt_f64_f32_e32 v[20:21], v20
	v_lshl_add_u64 v[24:25], v[6:7], 3, v[16:17]
	global_store_dwordx2 v[24:25], v[20:21], off
	s_or_b64 exec, exec, s[28:29]
	s_and_b64 s[34:35], s[10:11], s[18:19]
	s_and_saveexec_b64 s[28:29], s[34:35]
	s_cbranch_execz .LBB110_144
.LBB110_163:
	s_and_b64 vcc, exec, s[0:1]
	s_cbranch_vccnz .LBB110_165
; %bb.164:
	v_lshl_add_u64 v[20:21], v[8:9], 3, v[18:19]
	flat_load_dwordx2 v[20:21], v[20:21]
	s_waitcnt vmcnt(0) lgkmcnt(0)
	v_mul_f64 v[20:21], v[20:21], s[22:23]
	s_branch .LBB110_166
.LBB110_165:
	v_mov_b64_e32 v[20:21], 0
.LBB110_166:
	v_cvt_f32_f64_e32 v20, v[20:21]
	v_max_f32_e32 v21, v121, v121
	v_min_f32_e32 v20, v20, v21
	v_cvt_f64_f32_e32 v[20:21], v20
	v_lshl_add_u64 v[24:25], v[8:9], 3, v[16:17]
	global_store_dwordx2 v[24:25], v[20:21], off
	s_or_b64 exec, exec, s[28:29]
	s_and_b64 s[34:35], s[12:13], s[18:19]
	s_and_saveexec_b64 s[28:29], s[34:35]
	s_cbranch_execz .LBB110_145
.LBB110_167:
	s_and_b64 vcc, exec, s[0:1]
	s_cbranch_vccnz .LBB110_169
; %bb.168:
	v_lshl_add_u64 v[20:21], v[10:11], 3, v[18:19]
	flat_load_dwordx2 v[20:21], v[20:21]
	s_waitcnt vmcnt(0) lgkmcnt(0)
	v_mul_f64 v[20:21], v[20:21], s[22:23]
	s_branch .LBB110_170
.LBB110_169:
	v_mov_b64_e32 v[20:21], 0
.LBB110_170:
	v_cvt_f32_f64_e32 v20, v[20:21]
	v_max_f32_e32 v21, v120, v120
	v_min_f32_e32 v20, v20, v21
	v_cvt_f64_f32_e32 v[20:21], v20
	v_lshl_add_u64 v[24:25], v[10:11], 3, v[16:17]
	global_store_dwordx2 v[24:25], v[20:21], off
	s_or_b64 exec, exec, s[28:29]
	s_and_b64 s[34:35], s[14:15], s[18:19]
	s_and_saveexec_b64 s[28:29], s[34:35]
	s_cbranch_execz .LBB110_146
.LBB110_171:
	s_and_b64 vcc, exec, s[0:1]
	s_cbranch_vccnz .LBB110_173
; %bb.172:
	v_lshl_add_u64 v[20:21], v[12:13], 3, v[18:19]
	flat_load_dwordx2 v[20:21], v[20:21]
	s_waitcnt vmcnt(0) lgkmcnt(0)
	v_mul_f64 v[20:21], v[20:21], s[22:23]
	s_branch .LBB110_174
.LBB110_173:
	v_mov_b64_e32 v[20:21], 0
.LBB110_174:
	v_cvt_f32_f64_e32 v20, v[20:21]
	v_max_f32_e32 v21, v119, v119
	v_min_f32_e32 v20, v20, v21
	v_cvt_f64_f32_e32 v[20:21], v20
	v_lshl_add_u64 v[24:25], v[12:13], 3, v[16:17]
	global_store_dwordx2 v[24:25], v[20:21], off
	s_or_b64 exec, exec, s[28:29]
	s_and_b64 s[28:29], s[16:17], s[18:19]
	s_and_saveexec_b64 s[18:19], s[28:29]
	s_cbranch_execz .LBB110_179
.LBB110_175:
	s_and_b64 vcc, exec, s[0:1]
	s_cbranch_vccnz .LBB110_177
; %bb.176:
	v_lshl_add_u64 v[18:19], v[14:15], 3, v[18:19]
	flat_load_dwordx2 v[18:19], v[18:19]
	s_waitcnt vmcnt(0) lgkmcnt(0)
	v_mul_f64 v[18:19], v[18:19], s[22:23]
	s_branch .LBB110_178
.LBB110_177:
	v_mov_b64_e32 v[18:19], 0
.LBB110_178:
	v_cvt_f32_f64_e32 v18, v[18:19]
	v_max_f32_e32 v19, v118, v118
	v_min_f32_e32 v18, v18, v19
	v_cvt_f64_f32_e32 v[18:19], v18
	v_lshl_add_u64 v[16:17], v[14:15], 3, v[16:17]
	global_store_dwordx2 v[16:17], v[18:19], off
.LBB110_179:
	s_or_b64 exec, exec, s[18:19]
	v_add_u32_e32 v20, 24, v22
	v_mad_i64_i32 v[16:17], s[28:29], v20, s31, 0
	v_cmp_gt_i32_e64 s[18:19], s25, v20
	v_lshl_add_u64 v[18:19], v[16:17], 3, s[20:21]
	v_mad_i64_i32 v[16:17], s[28:29], v20, s30, 0
	v_lshl_add_u64 v[16:17], v[16:17], 3, s[26:27]
	s_and_b64 s[34:35], s[2:3], s[18:19]
	s_and_saveexec_b64 s[28:29], s[34:35]
	s_cbranch_execnz .LBB110_187
; %bb.180:
	s_or_b64 exec, exec, s[28:29]
	s_and_b64 s[34:35], s[4:5], s[18:19]
	s_and_saveexec_b64 s[28:29], s[34:35]
	s_cbranch_execnz .LBB110_191
.LBB110_181:
	s_or_b64 exec, exec, s[28:29]
	s_and_b64 s[34:35], s[6:7], s[18:19]
	s_and_saveexec_b64 s[28:29], s[34:35]
	s_cbranch_execnz .LBB110_195
.LBB110_182:
	s_or_b64 exec, exec, s[28:29]
	s_and_b64 s[34:35], s[8:9], s[18:19]
	s_and_saveexec_b64 s[28:29], s[34:35]
	s_cbranch_execnz .LBB110_199
.LBB110_183:
	s_or_b64 exec, exec, s[28:29]
	s_and_b64 s[34:35], s[10:11], s[18:19]
	s_and_saveexec_b64 s[28:29], s[34:35]
	s_cbranch_execnz .LBB110_203
.LBB110_184:
	s_or_b64 exec, exec, s[28:29]
	s_and_b64 s[34:35], s[12:13], s[18:19]
	s_and_saveexec_b64 s[28:29], s[34:35]
	s_cbranch_execnz .LBB110_207
.LBB110_185:
	s_or_b64 exec, exec, s[28:29]
	s_and_b64 s[34:35], s[14:15], s[18:19]
	s_and_saveexec_b64 s[28:29], s[34:35]
	s_cbranch_execnz .LBB110_211
.LBB110_186:
	s_or_b64 exec, exec, s[28:29]
	s_and_b64 s[28:29], s[16:17], s[18:19]
	s_and_saveexec_b64 s[18:19], s[28:29]
	s_cbranch_execnz .LBB110_215
	s_branch .LBB110_219
.LBB110_187:
	s_and_b64 vcc, exec, s[0:1]
	s_cbranch_vccnz .LBB110_189
; %bb.188:
	v_lshl_add_u64 v[20:21], v[0:1], 3, v[18:19]
	flat_load_dwordx2 v[20:21], v[20:21]
	s_waitcnt vmcnt(0) lgkmcnt(0)
	v_mul_f64 v[20:21], v[20:21], s[22:23]
	s_branch .LBB110_190
.LBB110_189:
	v_mov_b64_e32 v[20:21], 0
.LBB110_190:
	v_cvt_f32_f64_e32 v20, v[20:21]
	v_max_f32_e32 v21, v117, v117
	v_min_f32_e32 v20, v20, v21
	v_cvt_f64_f32_e32 v[20:21], v20
	v_lshl_add_u64 v[24:25], v[0:1], 3, v[16:17]
	global_store_dwordx2 v[24:25], v[20:21], off
	s_or_b64 exec, exec, s[28:29]
	s_and_b64 s[34:35], s[4:5], s[18:19]
	s_and_saveexec_b64 s[28:29], s[34:35]
	s_cbranch_execz .LBB110_181
.LBB110_191:
	s_and_b64 vcc, exec, s[0:1]
	s_cbranch_vccnz .LBB110_193
; %bb.192:
	v_lshl_add_u64 v[20:21], v[2:3], 3, v[18:19]
	flat_load_dwordx2 v[20:21], v[20:21]
	s_waitcnt vmcnt(0) lgkmcnt(0)
	v_mul_f64 v[20:21], v[20:21], s[22:23]
	s_branch .LBB110_194
.LBB110_193:
	v_mov_b64_e32 v[20:21], 0
.LBB110_194:
	v_cvt_f32_f64_e32 v20, v[20:21]
	v_max_f32_e32 v21, v116, v116
	v_min_f32_e32 v20, v20, v21
	v_cvt_f64_f32_e32 v[20:21], v20
	v_lshl_add_u64 v[24:25], v[2:3], 3, v[16:17]
	global_store_dwordx2 v[24:25], v[20:21], off
	s_or_b64 exec, exec, s[28:29]
	s_and_b64 s[34:35], s[6:7], s[18:19]
	s_and_saveexec_b64 s[28:29], s[34:35]
	s_cbranch_execz .LBB110_182
.LBB110_195:
	s_and_b64 vcc, exec, s[0:1]
	s_cbranch_vccnz .LBB110_197
; %bb.196:
	v_lshl_add_u64 v[20:21], v[4:5], 3, v[18:19]
	flat_load_dwordx2 v[20:21], v[20:21]
	s_waitcnt vmcnt(0) lgkmcnt(0)
	v_mul_f64 v[20:21], v[20:21], s[22:23]
	s_branch .LBB110_198
.LBB110_197:
	v_mov_b64_e32 v[20:21], 0
.LBB110_198:
	v_cvt_f32_f64_e32 v20, v[20:21]
	v_max_f32_e32 v21, v115, v115
	v_min_f32_e32 v20, v20, v21
	v_cvt_f64_f32_e32 v[20:21], v20
	v_lshl_add_u64 v[24:25], v[4:5], 3, v[16:17]
	global_store_dwordx2 v[24:25], v[20:21], off
	s_or_b64 exec, exec, s[28:29]
	s_and_b64 s[34:35], s[8:9], s[18:19]
	s_and_saveexec_b64 s[28:29], s[34:35]
	s_cbranch_execz .LBB110_183
.LBB110_199:
	s_and_b64 vcc, exec, s[0:1]
	s_cbranch_vccnz .LBB110_201
; %bb.200:
	v_lshl_add_u64 v[20:21], v[6:7], 3, v[18:19]
	flat_load_dwordx2 v[20:21], v[20:21]
	s_waitcnt vmcnt(0) lgkmcnt(0)
	v_mul_f64 v[20:21], v[20:21], s[22:23]
	s_branch .LBB110_202
.LBB110_201:
	v_mov_b64_e32 v[20:21], 0
.LBB110_202:
	v_cvt_f32_f64_e32 v20, v[20:21]
	v_max_f32_e32 v21, v114, v114
	v_min_f32_e32 v20, v20, v21
	v_cvt_f64_f32_e32 v[20:21], v20
	v_lshl_add_u64 v[24:25], v[6:7], 3, v[16:17]
	global_store_dwordx2 v[24:25], v[20:21], off
	s_or_b64 exec, exec, s[28:29]
	s_and_b64 s[34:35], s[10:11], s[18:19]
	s_and_saveexec_b64 s[28:29], s[34:35]
	s_cbranch_execz .LBB110_184
.LBB110_203:
	s_and_b64 vcc, exec, s[0:1]
	s_cbranch_vccnz .LBB110_205
; %bb.204:
	v_lshl_add_u64 v[20:21], v[8:9], 3, v[18:19]
	flat_load_dwordx2 v[20:21], v[20:21]
	s_waitcnt vmcnt(0) lgkmcnt(0)
	v_mul_f64 v[20:21], v[20:21], s[22:23]
	s_branch .LBB110_206
.LBB110_205:
	v_mov_b64_e32 v[20:21], 0
.LBB110_206:
	v_cvt_f32_f64_e32 v20, v[20:21]
	v_max_f32_e32 v21, v113, v113
	v_min_f32_e32 v20, v20, v21
	v_cvt_f64_f32_e32 v[20:21], v20
	v_lshl_add_u64 v[24:25], v[8:9], 3, v[16:17]
	global_store_dwordx2 v[24:25], v[20:21], off
	s_or_b64 exec, exec, s[28:29]
	s_and_b64 s[34:35], s[12:13], s[18:19]
	s_and_saveexec_b64 s[28:29], s[34:35]
	s_cbranch_execz .LBB110_185
.LBB110_207:
	s_and_b64 vcc, exec, s[0:1]
	s_cbranch_vccnz .LBB110_209
; %bb.208:
	v_lshl_add_u64 v[20:21], v[10:11], 3, v[18:19]
	flat_load_dwordx2 v[20:21], v[20:21]
	s_waitcnt vmcnt(0) lgkmcnt(0)
	v_mul_f64 v[20:21], v[20:21], s[22:23]
	s_branch .LBB110_210
.LBB110_209:
	v_mov_b64_e32 v[20:21], 0
.LBB110_210:
	v_cvt_f32_f64_e32 v20, v[20:21]
	v_max_f32_e32 v21, v112, v112
	v_min_f32_e32 v20, v20, v21
	v_cvt_f64_f32_e32 v[20:21], v20
	v_lshl_add_u64 v[24:25], v[10:11], 3, v[16:17]
	global_store_dwordx2 v[24:25], v[20:21], off
	s_or_b64 exec, exec, s[28:29]
	s_and_b64 s[34:35], s[14:15], s[18:19]
	s_and_saveexec_b64 s[28:29], s[34:35]
	s_cbranch_execz .LBB110_186
.LBB110_211:
	s_and_b64 vcc, exec, s[0:1]
	s_cbranch_vccnz .LBB110_213
; %bb.212:
	v_lshl_add_u64 v[20:21], v[12:13], 3, v[18:19]
	flat_load_dwordx2 v[20:21], v[20:21]
	s_waitcnt vmcnt(0) lgkmcnt(0)
	v_mul_f64 v[20:21], v[20:21], s[22:23]
	s_branch .LBB110_214
.LBB110_213:
	v_mov_b64_e32 v[20:21], 0
.LBB110_214:
	v_cvt_f32_f64_e32 v20, v[20:21]
	v_max_f32_e32 v21, v111, v111
	v_min_f32_e32 v20, v20, v21
	v_cvt_f64_f32_e32 v[20:21], v20
	v_lshl_add_u64 v[24:25], v[12:13], 3, v[16:17]
	global_store_dwordx2 v[24:25], v[20:21], off
	s_or_b64 exec, exec, s[28:29]
	s_and_b64 s[28:29], s[16:17], s[18:19]
	s_and_saveexec_b64 s[18:19], s[28:29]
	s_cbranch_execz .LBB110_219
.LBB110_215:
	s_and_b64 vcc, exec, s[0:1]
	s_cbranch_vccnz .LBB110_217
; %bb.216:
	v_lshl_add_u64 v[18:19], v[14:15], 3, v[18:19]
	flat_load_dwordx2 v[18:19], v[18:19]
	s_waitcnt vmcnt(0) lgkmcnt(0)
	v_mul_f64 v[18:19], v[18:19], s[22:23]
	s_branch .LBB110_218
.LBB110_217:
	v_mov_b64_e32 v[18:19], 0
.LBB110_218:
	v_cvt_f32_f64_e32 v18, v[18:19]
	v_max_f32_e32 v19, v110, v110
	v_min_f32_e32 v18, v18, v19
	v_cvt_f64_f32_e32 v[18:19], v18
	v_lshl_add_u64 v[16:17], v[14:15], 3, v[16:17]
	global_store_dwordx2 v[16:17], v[18:19], off
.LBB110_219:
	s_or_b64 exec, exec, s[18:19]
	v_add_u32_e32 v20, 32, v22
	v_mad_i64_i32 v[16:17], s[28:29], v20, s31, 0
	v_cmp_gt_i32_e64 s[18:19], s25, v20
	v_lshl_add_u64 v[18:19], v[16:17], 3, s[20:21]
	v_mad_i64_i32 v[16:17], s[28:29], v20, s30, 0
	v_lshl_add_u64 v[16:17], v[16:17], 3, s[26:27]
	s_and_b64 s[34:35], s[2:3], s[18:19]
	s_and_saveexec_b64 s[28:29], s[34:35]
	s_cbranch_execnz .LBB110_227
; %bb.220:
	s_or_b64 exec, exec, s[28:29]
	s_and_b64 s[34:35], s[4:5], s[18:19]
	s_and_saveexec_b64 s[28:29], s[34:35]
	s_cbranch_execnz .LBB110_231
.LBB110_221:
	s_or_b64 exec, exec, s[28:29]
	s_and_b64 s[34:35], s[6:7], s[18:19]
	s_and_saveexec_b64 s[28:29], s[34:35]
	s_cbranch_execnz .LBB110_235
.LBB110_222:
	s_or_b64 exec, exec, s[28:29]
	s_and_b64 s[34:35], s[8:9], s[18:19]
	s_and_saveexec_b64 s[28:29], s[34:35]
	s_cbranch_execnz .LBB110_239
.LBB110_223:
	s_or_b64 exec, exec, s[28:29]
	s_and_b64 s[34:35], s[10:11], s[18:19]
	s_and_saveexec_b64 s[28:29], s[34:35]
	s_cbranch_execnz .LBB110_243
.LBB110_224:
	s_or_b64 exec, exec, s[28:29]
	s_and_b64 s[34:35], s[12:13], s[18:19]
	s_and_saveexec_b64 s[28:29], s[34:35]
	s_cbranch_execnz .LBB110_247
.LBB110_225:
	s_or_b64 exec, exec, s[28:29]
	s_and_b64 s[34:35], s[14:15], s[18:19]
	s_and_saveexec_b64 s[28:29], s[34:35]
	s_cbranch_execnz .LBB110_251
.LBB110_226:
	s_or_b64 exec, exec, s[28:29]
	s_and_b64 s[28:29], s[16:17], s[18:19]
	s_and_saveexec_b64 s[18:19], s[28:29]
	s_cbranch_execnz .LBB110_255
	s_branch .LBB110_259
.LBB110_227:
	s_and_b64 vcc, exec, s[0:1]
	s_cbranch_vccnz .LBB110_229
; %bb.228:
	v_lshl_add_u64 v[20:21], v[0:1], 3, v[18:19]
	flat_load_dwordx2 v[20:21], v[20:21]
	s_waitcnt vmcnt(0) lgkmcnt(0)
	v_mul_f64 v[20:21], v[20:21], s[22:23]
	s_branch .LBB110_230
.LBB110_229:
	v_mov_b64_e32 v[20:21], 0
.LBB110_230:
	v_cvt_f32_f64_e32 v20, v[20:21]
	v_max_f32_e32 v21, v109, v109
	v_min_f32_e32 v20, v20, v21
	v_cvt_f64_f32_e32 v[20:21], v20
	v_lshl_add_u64 v[24:25], v[0:1], 3, v[16:17]
	global_store_dwordx2 v[24:25], v[20:21], off
	s_or_b64 exec, exec, s[28:29]
	s_and_b64 s[34:35], s[4:5], s[18:19]
	s_and_saveexec_b64 s[28:29], s[34:35]
	s_cbranch_execz .LBB110_221
.LBB110_231:
	s_and_b64 vcc, exec, s[0:1]
	s_cbranch_vccnz .LBB110_233
; %bb.232:
	v_lshl_add_u64 v[20:21], v[2:3], 3, v[18:19]
	flat_load_dwordx2 v[20:21], v[20:21]
	s_waitcnt vmcnt(0) lgkmcnt(0)
	v_mul_f64 v[20:21], v[20:21], s[22:23]
	s_branch .LBB110_234
.LBB110_233:
	v_mov_b64_e32 v[20:21], 0
.LBB110_234:
	v_cvt_f32_f64_e32 v20, v[20:21]
	v_max_f32_e32 v21, v108, v108
	v_min_f32_e32 v20, v20, v21
	v_cvt_f64_f32_e32 v[20:21], v20
	v_lshl_add_u64 v[24:25], v[2:3], 3, v[16:17]
	global_store_dwordx2 v[24:25], v[20:21], off
	s_or_b64 exec, exec, s[28:29]
	s_and_b64 s[34:35], s[6:7], s[18:19]
	s_and_saveexec_b64 s[28:29], s[34:35]
	s_cbranch_execz .LBB110_222
.LBB110_235:
	s_and_b64 vcc, exec, s[0:1]
	s_cbranch_vccnz .LBB110_237
; %bb.236:
	v_lshl_add_u64 v[20:21], v[4:5], 3, v[18:19]
	flat_load_dwordx2 v[20:21], v[20:21]
	s_waitcnt vmcnt(0) lgkmcnt(0)
	v_mul_f64 v[20:21], v[20:21], s[22:23]
	s_branch .LBB110_238
.LBB110_237:
	v_mov_b64_e32 v[20:21], 0
.LBB110_238:
	v_cvt_f32_f64_e32 v20, v[20:21]
	v_max_f32_e32 v21, v107, v107
	v_min_f32_e32 v20, v20, v21
	v_cvt_f64_f32_e32 v[20:21], v20
	v_lshl_add_u64 v[24:25], v[4:5], 3, v[16:17]
	global_store_dwordx2 v[24:25], v[20:21], off
	s_or_b64 exec, exec, s[28:29]
	s_and_b64 s[34:35], s[8:9], s[18:19]
	s_and_saveexec_b64 s[28:29], s[34:35]
	s_cbranch_execz .LBB110_223
.LBB110_239:
	s_and_b64 vcc, exec, s[0:1]
	s_cbranch_vccnz .LBB110_241
; %bb.240:
	v_lshl_add_u64 v[20:21], v[6:7], 3, v[18:19]
	flat_load_dwordx2 v[20:21], v[20:21]
	s_waitcnt vmcnt(0) lgkmcnt(0)
	v_mul_f64 v[20:21], v[20:21], s[22:23]
	s_branch .LBB110_242
.LBB110_241:
	v_mov_b64_e32 v[20:21], 0
.LBB110_242:
	v_cvt_f32_f64_e32 v20, v[20:21]
	v_max_f32_e32 v21, v106, v106
	v_min_f32_e32 v20, v20, v21
	v_cvt_f64_f32_e32 v[20:21], v20
	v_lshl_add_u64 v[24:25], v[6:7], 3, v[16:17]
	global_store_dwordx2 v[24:25], v[20:21], off
	s_or_b64 exec, exec, s[28:29]
	s_and_b64 s[34:35], s[10:11], s[18:19]
	s_and_saveexec_b64 s[28:29], s[34:35]
	s_cbranch_execz .LBB110_224
.LBB110_243:
	s_and_b64 vcc, exec, s[0:1]
	s_cbranch_vccnz .LBB110_245
; %bb.244:
	v_lshl_add_u64 v[20:21], v[8:9], 3, v[18:19]
	flat_load_dwordx2 v[20:21], v[20:21]
	s_waitcnt vmcnt(0) lgkmcnt(0)
	v_mul_f64 v[20:21], v[20:21], s[22:23]
	s_branch .LBB110_246
.LBB110_245:
	v_mov_b64_e32 v[20:21], 0
.LBB110_246:
	v_cvt_f32_f64_e32 v20, v[20:21]
	v_max_f32_e32 v21, v105, v105
	v_min_f32_e32 v20, v20, v21
	v_cvt_f64_f32_e32 v[20:21], v20
	v_lshl_add_u64 v[24:25], v[8:9], 3, v[16:17]
	global_store_dwordx2 v[24:25], v[20:21], off
	s_or_b64 exec, exec, s[28:29]
	s_and_b64 s[34:35], s[12:13], s[18:19]
	s_and_saveexec_b64 s[28:29], s[34:35]
	s_cbranch_execz .LBB110_225
.LBB110_247:
	s_and_b64 vcc, exec, s[0:1]
	s_cbranch_vccnz .LBB110_249
; %bb.248:
	v_lshl_add_u64 v[20:21], v[10:11], 3, v[18:19]
	flat_load_dwordx2 v[20:21], v[20:21]
	s_waitcnt vmcnt(0) lgkmcnt(0)
	v_mul_f64 v[20:21], v[20:21], s[22:23]
	s_branch .LBB110_250
.LBB110_249:
	v_mov_b64_e32 v[20:21], 0
.LBB110_250:
	v_cvt_f32_f64_e32 v20, v[20:21]
	v_max_f32_e32 v21, v104, v104
	v_min_f32_e32 v20, v20, v21
	v_cvt_f64_f32_e32 v[20:21], v20
	v_lshl_add_u64 v[24:25], v[10:11], 3, v[16:17]
	global_store_dwordx2 v[24:25], v[20:21], off
	s_or_b64 exec, exec, s[28:29]
	s_and_b64 s[34:35], s[14:15], s[18:19]
	s_and_saveexec_b64 s[28:29], s[34:35]
	s_cbranch_execz .LBB110_226
.LBB110_251:
	s_and_b64 vcc, exec, s[0:1]
	s_cbranch_vccnz .LBB110_253
; %bb.252:
	v_lshl_add_u64 v[20:21], v[12:13], 3, v[18:19]
	flat_load_dwordx2 v[20:21], v[20:21]
	s_waitcnt vmcnt(0) lgkmcnt(0)
	v_mul_f64 v[20:21], v[20:21], s[22:23]
	s_branch .LBB110_254
.LBB110_253:
	v_mov_b64_e32 v[20:21], 0
.LBB110_254:
	v_cvt_f32_f64_e32 v20, v[20:21]
	v_max_f32_e32 v21, v103, v103
	v_min_f32_e32 v20, v20, v21
	v_cvt_f64_f32_e32 v[20:21], v20
	v_lshl_add_u64 v[24:25], v[12:13], 3, v[16:17]
	global_store_dwordx2 v[24:25], v[20:21], off
	s_or_b64 exec, exec, s[28:29]
	s_and_b64 s[28:29], s[16:17], s[18:19]
	s_and_saveexec_b64 s[18:19], s[28:29]
	s_cbranch_execz .LBB110_259
.LBB110_255:
	s_and_b64 vcc, exec, s[0:1]
	s_cbranch_vccnz .LBB110_257
; %bb.256:
	v_lshl_add_u64 v[18:19], v[14:15], 3, v[18:19]
	flat_load_dwordx2 v[18:19], v[18:19]
	s_waitcnt vmcnt(0) lgkmcnt(0)
	v_mul_f64 v[18:19], v[18:19], s[22:23]
	s_branch .LBB110_258
.LBB110_257:
	v_mov_b64_e32 v[18:19], 0
.LBB110_258:
	v_cvt_f32_f64_e32 v18, v[18:19]
	v_max_f32_e32 v19, v102, v102
	v_min_f32_e32 v18, v18, v19
	v_cvt_f64_f32_e32 v[18:19], v18
	v_lshl_add_u64 v[16:17], v[14:15], 3, v[16:17]
	global_store_dwordx2 v[16:17], v[18:19], off
.LBB110_259:
	s_or_b64 exec, exec, s[18:19]
	v_add_u32_e32 v20, 40, v22
	v_mad_i64_i32 v[16:17], s[28:29], v20, s31, 0
	v_cmp_gt_i32_e64 s[18:19], s25, v20
	v_lshl_add_u64 v[18:19], v[16:17], 3, s[20:21]
	v_mad_i64_i32 v[16:17], s[28:29], v20, s30, 0
	v_lshl_add_u64 v[16:17], v[16:17], 3, s[26:27]
	s_and_b64 s[34:35], s[2:3], s[18:19]
	s_and_saveexec_b64 s[28:29], s[34:35]
	s_cbranch_execnz .LBB110_267
; %bb.260:
	s_or_b64 exec, exec, s[28:29]
	s_and_b64 s[34:35], s[4:5], s[18:19]
	s_and_saveexec_b64 s[28:29], s[34:35]
	s_cbranch_execnz .LBB110_271
.LBB110_261:
	s_or_b64 exec, exec, s[28:29]
	s_and_b64 s[34:35], s[6:7], s[18:19]
	s_and_saveexec_b64 s[28:29], s[34:35]
	s_cbranch_execnz .LBB110_275
.LBB110_262:
	s_or_b64 exec, exec, s[28:29]
	s_and_b64 s[34:35], s[8:9], s[18:19]
	s_and_saveexec_b64 s[28:29], s[34:35]
	s_cbranch_execnz .LBB110_279
.LBB110_263:
	s_or_b64 exec, exec, s[28:29]
	s_and_b64 s[34:35], s[10:11], s[18:19]
	s_and_saveexec_b64 s[28:29], s[34:35]
	s_cbranch_execnz .LBB110_283
.LBB110_264:
	s_or_b64 exec, exec, s[28:29]
	s_and_b64 s[34:35], s[12:13], s[18:19]
	s_and_saveexec_b64 s[28:29], s[34:35]
	s_cbranch_execnz .LBB110_287
.LBB110_265:
	s_or_b64 exec, exec, s[28:29]
	s_and_b64 s[34:35], s[14:15], s[18:19]
	s_and_saveexec_b64 s[28:29], s[34:35]
	s_cbranch_execnz .LBB110_291
.LBB110_266:
	s_or_b64 exec, exec, s[28:29]
	s_and_b64 s[28:29], s[16:17], s[18:19]
	s_and_saveexec_b64 s[18:19], s[28:29]
	s_cbranch_execnz .LBB110_295
	s_branch .LBB110_299
.LBB110_267:
	s_and_b64 vcc, exec, s[0:1]
	s_cbranch_vccnz .LBB110_269
; %bb.268:
	v_lshl_add_u64 v[20:21], v[0:1], 3, v[18:19]
	flat_load_dwordx2 v[20:21], v[20:21]
	s_waitcnt vmcnt(0) lgkmcnt(0)
	v_mul_f64 v[20:21], v[20:21], s[22:23]
	s_branch .LBB110_270
.LBB110_269:
	v_mov_b64_e32 v[20:21], 0
.LBB110_270:
	v_cvt_f32_f64_e32 v20, v[20:21]
	v_max_f32_e32 v21, v101, v101
	v_min_f32_e32 v20, v20, v21
	v_cvt_f64_f32_e32 v[20:21], v20
	v_lshl_add_u64 v[24:25], v[0:1], 3, v[16:17]
	global_store_dwordx2 v[24:25], v[20:21], off
	s_or_b64 exec, exec, s[28:29]
	s_and_b64 s[34:35], s[4:5], s[18:19]
	s_and_saveexec_b64 s[28:29], s[34:35]
	s_cbranch_execz .LBB110_261
.LBB110_271:
	s_and_b64 vcc, exec, s[0:1]
	s_cbranch_vccnz .LBB110_273
; %bb.272:
	v_lshl_add_u64 v[20:21], v[2:3], 3, v[18:19]
	flat_load_dwordx2 v[20:21], v[20:21]
	s_waitcnt vmcnt(0) lgkmcnt(0)
	v_mul_f64 v[20:21], v[20:21], s[22:23]
	s_branch .LBB110_274
.LBB110_273:
	v_mov_b64_e32 v[20:21], 0
.LBB110_274:
	v_cvt_f32_f64_e32 v20, v[20:21]
	v_max_f32_e32 v21, v100, v100
	v_min_f32_e32 v20, v20, v21
	v_cvt_f64_f32_e32 v[20:21], v20
	v_lshl_add_u64 v[24:25], v[2:3], 3, v[16:17]
	global_store_dwordx2 v[24:25], v[20:21], off
	s_or_b64 exec, exec, s[28:29]
	s_and_b64 s[34:35], s[6:7], s[18:19]
	s_and_saveexec_b64 s[28:29], s[34:35]
	s_cbranch_execz .LBB110_262
.LBB110_275:
	s_and_b64 vcc, exec, s[0:1]
	s_cbranch_vccnz .LBB110_277
; %bb.276:
	v_lshl_add_u64 v[20:21], v[4:5], 3, v[18:19]
	flat_load_dwordx2 v[20:21], v[20:21]
	s_waitcnt vmcnt(0) lgkmcnt(0)
	v_mul_f64 v[20:21], v[20:21], s[22:23]
	s_branch .LBB110_278
.LBB110_277:
	v_mov_b64_e32 v[20:21], 0
.LBB110_278:
	v_cvt_f32_f64_e32 v20, v[20:21]
	v_max_f32_e32 v21, v99, v99
	v_min_f32_e32 v20, v20, v21
	v_cvt_f64_f32_e32 v[20:21], v20
	v_lshl_add_u64 v[24:25], v[4:5], 3, v[16:17]
	global_store_dwordx2 v[24:25], v[20:21], off
	s_or_b64 exec, exec, s[28:29]
	s_and_b64 s[34:35], s[8:9], s[18:19]
	s_and_saveexec_b64 s[28:29], s[34:35]
	s_cbranch_execz .LBB110_263
.LBB110_279:
	s_and_b64 vcc, exec, s[0:1]
	s_cbranch_vccnz .LBB110_281
; %bb.280:
	v_lshl_add_u64 v[20:21], v[6:7], 3, v[18:19]
	flat_load_dwordx2 v[20:21], v[20:21]
	s_waitcnt vmcnt(0) lgkmcnt(0)
	v_mul_f64 v[20:21], v[20:21], s[22:23]
	s_branch .LBB110_282
.LBB110_281:
	v_mov_b64_e32 v[20:21], 0
.LBB110_282:
	v_cvt_f32_f64_e32 v20, v[20:21]
	v_max_f32_e32 v21, v98, v98
	v_min_f32_e32 v20, v20, v21
	v_cvt_f64_f32_e32 v[20:21], v20
	v_lshl_add_u64 v[24:25], v[6:7], 3, v[16:17]
	global_store_dwordx2 v[24:25], v[20:21], off
	s_or_b64 exec, exec, s[28:29]
	s_and_b64 s[34:35], s[10:11], s[18:19]
	s_and_saveexec_b64 s[28:29], s[34:35]
	s_cbranch_execz .LBB110_264
.LBB110_283:
	s_and_b64 vcc, exec, s[0:1]
	s_cbranch_vccnz .LBB110_285
; %bb.284:
	v_lshl_add_u64 v[20:21], v[8:9], 3, v[18:19]
	flat_load_dwordx2 v[20:21], v[20:21]
	s_waitcnt vmcnt(0) lgkmcnt(0)
	v_mul_f64 v[20:21], v[20:21], s[22:23]
	s_branch .LBB110_286
.LBB110_285:
	v_mov_b64_e32 v[20:21], 0
.LBB110_286:
	v_cvt_f32_f64_e32 v20, v[20:21]
	v_max_f32_e32 v21, v97, v97
	v_min_f32_e32 v20, v20, v21
	v_cvt_f64_f32_e32 v[20:21], v20
	v_lshl_add_u64 v[24:25], v[8:9], 3, v[16:17]
	global_store_dwordx2 v[24:25], v[20:21], off
	s_or_b64 exec, exec, s[28:29]
	s_and_b64 s[34:35], s[12:13], s[18:19]
	s_and_saveexec_b64 s[28:29], s[34:35]
	s_cbranch_execz .LBB110_265
.LBB110_287:
	s_and_b64 vcc, exec, s[0:1]
	s_cbranch_vccnz .LBB110_289
; %bb.288:
	v_lshl_add_u64 v[20:21], v[10:11], 3, v[18:19]
	flat_load_dwordx2 v[20:21], v[20:21]
	s_waitcnt vmcnt(0) lgkmcnt(0)
	v_mul_f64 v[20:21], v[20:21], s[22:23]
	s_branch .LBB110_290
.LBB110_289:
	v_mov_b64_e32 v[20:21], 0
.LBB110_290:
	v_cvt_f32_f64_e32 v20, v[20:21]
	v_max_f32_e32 v21, v96, v96
	v_min_f32_e32 v20, v20, v21
	v_cvt_f64_f32_e32 v[20:21], v20
	v_lshl_add_u64 v[24:25], v[10:11], 3, v[16:17]
	global_store_dwordx2 v[24:25], v[20:21], off
	s_or_b64 exec, exec, s[28:29]
	s_and_b64 s[34:35], s[14:15], s[18:19]
	s_and_saveexec_b64 s[28:29], s[34:35]
	s_cbranch_execz .LBB110_266
.LBB110_291:
	s_and_b64 vcc, exec, s[0:1]
	s_cbranch_vccnz .LBB110_293
; %bb.292:
	v_lshl_add_u64 v[20:21], v[12:13], 3, v[18:19]
	flat_load_dwordx2 v[20:21], v[20:21]
	s_waitcnt vmcnt(0) lgkmcnt(0)
	v_mul_f64 v[20:21], v[20:21], s[22:23]
	s_branch .LBB110_294
.LBB110_293:
	v_mov_b64_e32 v[20:21], 0
.LBB110_294:
	v_cvt_f32_f64_e32 v20, v[20:21]
	v_max_f32_e32 v21, v95, v95
	v_min_f32_e32 v20, v20, v21
	v_cvt_f64_f32_e32 v[20:21], v20
	v_lshl_add_u64 v[24:25], v[12:13], 3, v[16:17]
	global_store_dwordx2 v[24:25], v[20:21], off
	s_or_b64 exec, exec, s[28:29]
	s_and_b64 s[28:29], s[16:17], s[18:19]
	s_and_saveexec_b64 s[18:19], s[28:29]
	s_cbranch_execz .LBB110_299
.LBB110_295:
	s_and_b64 vcc, exec, s[0:1]
	s_cbranch_vccnz .LBB110_297
; %bb.296:
	v_lshl_add_u64 v[18:19], v[14:15], 3, v[18:19]
	flat_load_dwordx2 v[18:19], v[18:19]
	s_waitcnt vmcnt(0) lgkmcnt(0)
	v_mul_f64 v[18:19], v[18:19], s[22:23]
	s_branch .LBB110_298
.LBB110_297:
	v_mov_b64_e32 v[18:19], 0
.LBB110_298:
	v_cvt_f32_f64_e32 v18, v[18:19]
	v_max_f32_e32 v19, v94, v94
	v_min_f32_e32 v18, v18, v19
	v_cvt_f64_f32_e32 v[18:19], v18
	v_lshl_add_u64 v[16:17], v[14:15], 3, v[16:17]
	global_store_dwordx2 v[16:17], v[18:19], off
.LBB110_299:
	s_or_b64 exec, exec, s[18:19]
	v_add_u32_e32 v20, 48, v22
	v_mad_i64_i32 v[16:17], s[28:29], v20, s31, 0
	v_cmp_gt_i32_e64 s[18:19], s25, v20
	v_lshl_add_u64 v[18:19], v[16:17], 3, s[20:21]
	v_mad_i64_i32 v[16:17], s[28:29], v20, s30, 0
	v_lshl_add_u64 v[16:17], v[16:17], 3, s[26:27]
	s_and_b64 s[34:35], s[2:3], s[18:19]
	s_and_saveexec_b64 s[28:29], s[34:35]
	s_cbranch_execnz .LBB110_307
; %bb.300:
	s_or_b64 exec, exec, s[28:29]
	s_and_b64 s[34:35], s[4:5], s[18:19]
	s_and_saveexec_b64 s[28:29], s[34:35]
	s_cbranch_execnz .LBB110_311
.LBB110_301:
	s_or_b64 exec, exec, s[28:29]
	s_and_b64 s[34:35], s[6:7], s[18:19]
	s_and_saveexec_b64 s[28:29], s[34:35]
	s_cbranch_execnz .LBB110_315
.LBB110_302:
	s_or_b64 exec, exec, s[28:29]
	s_and_b64 s[34:35], s[8:9], s[18:19]
	s_and_saveexec_b64 s[28:29], s[34:35]
	s_cbranch_execnz .LBB110_319
.LBB110_303:
	s_or_b64 exec, exec, s[28:29]
	s_and_b64 s[34:35], s[10:11], s[18:19]
	s_and_saveexec_b64 s[28:29], s[34:35]
	s_cbranch_execnz .LBB110_323
.LBB110_304:
	s_or_b64 exec, exec, s[28:29]
	s_and_b64 s[34:35], s[12:13], s[18:19]
	s_and_saveexec_b64 s[28:29], s[34:35]
	s_cbranch_execnz .LBB110_327
.LBB110_305:
	s_or_b64 exec, exec, s[28:29]
	s_and_b64 s[34:35], s[14:15], s[18:19]
	s_and_saveexec_b64 s[28:29], s[34:35]
	s_cbranch_execnz .LBB110_331
.LBB110_306:
	s_or_b64 exec, exec, s[28:29]
	s_and_b64 s[28:29], s[16:17], s[18:19]
	s_and_saveexec_b64 s[18:19], s[28:29]
	s_cbranch_execnz .LBB110_335
	s_branch .LBB110_339
.LBB110_307:
	s_and_b64 vcc, exec, s[0:1]
	s_cbranch_vccnz .LBB110_309
; %bb.308:
	v_lshl_add_u64 v[20:21], v[0:1], 3, v[18:19]
	flat_load_dwordx2 v[20:21], v[20:21]
	s_waitcnt vmcnt(0) lgkmcnt(0)
	v_mul_f64 v[20:21], v[20:21], s[22:23]
	s_branch .LBB110_310
.LBB110_309:
	v_mov_b64_e32 v[20:21], 0
.LBB110_310:
	v_cvt_f32_f64_e32 v20, v[20:21]
	v_max_f32_e32 v21, v93, v93
	v_min_f32_e32 v20, v20, v21
	v_cvt_f64_f32_e32 v[20:21], v20
	v_lshl_add_u64 v[24:25], v[0:1], 3, v[16:17]
	global_store_dwordx2 v[24:25], v[20:21], off
	s_or_b64 exec, exec, s[28:29]
	s_and_b64 s[34:35], s[4:5], s[18:19]
	s_and_saveexec_b64 s[28:29], s[34:35]
	s_cbranch_execz .LBB110_301
.LBB110_311:
	s_and_b64 vcc, exec, s[0:1]
	s_cbranch_vccnz .LBB110_313
; %bb.312:
	v_lshl_add_u64 v[20:21], v[2:3], 3, v[18:19]
	flat_load_dwordx2 v[20:21], v[20:21]
	s_waitcnt vmcnt(0) lgkmcnt(0)
	v_mul_f64 v[20:21], v[20:21], s[22:23]
	s_branch .LBB110_314
.LBB110_313:
	v_mov_b64_e32 v[20:21], 0
.LBB110_314:
	v_cvt_f32_f64_e32 v20, v[20:21]
	v_max_f32_e32 v21, v92, v92
	v_min_f32_e32 v20, v20, v21
	v_cvt_f64_f32_e32 v[20:21], v20
	v_lshl_add_u64 v[24:25], v[2:3], 3, v[16:17]
	global_store_dwordx2 v[24:25], v[20:21], off
	s_or_b64 exec, exec, s[28:29]
	s_and_b64 s[34:35], s[6:7], s[18:19]
	s_and_saveexec_b64 s[28:29], s[34:35]
	s_cbranch_execz .LBB110_302
.LBB110_315:
	s_and_b64 vcc, exec, s[0:1]
	s_cbranch_vccnz .LBB110_317
; %bb.316:
	v_lshl_add_u64 v[20:21], v[4:5], 3, v[18:19]
	flat_load_dwordx2 v[20:21], v[20:21]
	s_waitcnt vmcnt(0) lgkmcnt(0)
	v_mul_f64 v[20:21], v[20:21], s[22:23]
	s_branch .LBB110_318
.LBB110_317:
	v_mov_b64_e32 v[20:21], 0
.LBB110_318:
	v_cvt_f32_f64_e32 v20, v[20:21]
	v_max_f32_e32 v21, v91, v91
	v_min_f32_e32 v20, v20, v21
	v_cvt_f64_f32_e32 v[20:21], v20
	v_lshl_add_u64 v[24:25], v[4:5], 3, v[16:17]
	global_store_dwordx2 v[24:25], v[20:21], off
	s_or_b64 exec, exec, s[28:29]
	s_and_b64 s[34:35], s[8:9], s[18:19]
	s_and_saveexec_b64 s[28:29], s[34:35]
	s_cbranch_execz .LBB110_303
.LBB110_319:
	s_and_b64 vcc, exec, s[0:1]
	s_cbranch_vccnz .LBB110_321
; %bb.320:
	v_lshl_add_u64 v[20:21], v[6:7], 3, v[18:19]
	flat_load_dwordx2 v[20:21], v[20:21]
	s_waitcnt vmcnt(0) lgkmcnt(0)
	v_mul_f64 v[20:21], v[20:21], s[22:23]
	s_branch .LBB110_322
.LBB110_321:
	v_mov_b64_e32 v[20:21], 0
.LBB110_322:
	v_cvt_f32_f64_e32 v20, v[20:21]
	v_max_f32_e32 v21, v90, v90
	v_min_f32_e32 v20, v20, v21
	v_cvt_f64_f32_e32 v[20:21], v20
	v_lshl_add_u64 v[24:25], v[6:7], 3, v[16:17]
	global_store_dwordx2 v[24:25], v[20:21], off
	s_or_b64 exec, exec, s[28:29]
	s_and_b64 s[34:35], s[10:11], s[18:19]
	s_and_saveexec_b64 s[28:29], s[34:35]
	s_cbranch_execz .LBB110_304
.LBB110_323:
	s_and_b64 vcc, exec, s[0:1]
	s_cbranch_vccnz .LBB110_325
; %bb.324:
	v_lshl_add_u64 v[20:21], v[8:9], 3, v[18:19]
	flat_load_dwordx2 v[20:21], v[20:21]
	s_waitcnt vmcnt(0) lgkmcnt(0)
	v_mul_f64 v[20:21], v[20:21], s[22:23]
	s_branch .LBB110_326
.LBB110_325:
	v_mov_b64_e32 v[20:21], 0
.LBB110_326:
	v_cvt_f32_f64_e32 v20, v[20:21]
	v_max_f32_e32 v21, v89, v89
	v_min_f32_e32 v20, v20, v21
	v_cvt_f64_f32_e32 v[20:21], v20
	v_lshl_add_u64 v[24:25], v[8:9], 3, v[16:17]
	global_store_dwordx2 v[24:25], v[20:21], off
	s_or_b64 exec, exec, s[28:29]
	s_and_b64 s[34:35], s[12:13], s[18:19]
	s_and_saveexec_b64 s[28:29], s[34:35]
	s_cbranch_execz .LBB110_305
.LBB110_327:
	s_and_b64 vcc, exec, s[0:1]
	s_cbranch_vccnz .LBB110_329
; %bb.328:
	v_lshl_add_u64 v[20:21], v[10:11], 3, v[18:19]
	flat_load_dwordx2 v[20:21], v[20:21]
	s_waitcnt vmcnt(0) lgkmcnt(0)
	v_mul_f64 v[20:21], v[20:21], s[22:23]
	s_branch .LBB110_330
.LBB110_329:
	v_mov_b64_e32 v[20:21], 0
.LBB110_330:
	v_cvt_f32_f64_e32 v20, v[20:21]
	v_max_f32_e32 v21, v88, v88
	v_min_f32_e32 v20, v20, v21
	v_cvt_f64_f32_e32 v[20:21], v20
	v_lshl_add_u64 v[24:25], v[10:11], 3, v[16:17]
	global_store_dwordx2 v[24:25], v[20:21], off
	s_or_b64 exec, exec, s[28:29]
	s_and_b64 s[34:35], s[14:15], s[18:19]
	s_and_saveexec_b64 s[28:29], s[34:35]
	s_cbranch_execz .LBB110_306
.LBB110_331:
	s_and_b64 vcc, exec, s[0:1]
	s_cbranch_vccnz .LBB110_333
; %bb.332:
	v_lshl_add_u64 v[20:21], v[12:13], 3, v[18:19]
	flat_load_dwordx2 v[20:21], v[20:21]
	s_waitcnt vmcnt(0) lgkmcnt(0)
	v_mul_f64 v[20:21], v[20:21], s[22:23]
	s_branch .LBB110_334
.LBB110_333:
	v_mov_b64_e32 v[20:21], 0
.LBB110_334:
	v_cvt_f32_f64_e32 v20, v[20:21]
	v_max_f32_e32 v21, v87, v87
	v_min_f32_e32 v20, v20, v21
	v_cvt_f64_f32_e32 v[20:21], v20
	v_lshl_add_u64 v[24:25], v[12:13], 3, v[16:17]
	global_store_dwordx2 v[24:25], v[20:21], off
	s_or_b64 exec, exec, s[28:29]
	s_and_b64 s[28:29], s[16:17], s[18:19]
	s_and_saveexec_b64 s[18:19], s[28:29]
	s_cbranch_execz .LBB110_339
.LBB110_335:
	s_and_b64 vcc, exec, s[0:1]
	s_cbranch_vccnz .LBB110_337
; %bb.336:
	v_lshl_add_u64 v[18:19], v[14:15], 3, v[18:19]
	flat_load_dwordx2 v[18:19], v[18:19]
	s_waitcnt vmcnt(0) lgkmcnt(0)
	v_mul_f64 v[18:19], v[18:19], s[22:23]
	s_branch .LBB110_338
.LBB110_337:
	v_mov_b64_e32 v[18:19], 0
.LBB110_338:
	v_cvt_f32_f64_e32 v18, v[18:19]
	v_max_f32_e32 v19, v86, v86
	v_min_f32_e32 v18, v18, v19
	v_cvt_f64_f32_e32 v[18:19], v18
	v_lshl_add_u64 v[16:17], v[14:15], 3, v[16:17]
	global_store_dwordx2 v[16:17], v[18:19], off
.LBB110_339:
	s_or_b64 exec, exec, s[18:19]
	v_add_u32_e32 v20, 56, v22
	v_cmp_gt_i32_e64 s[18:19], s25, v20
	v_mad_i64_i32 v[16:17], s[24:25], v20, s31, 0
	v_lshl_add_u64 v[18:19], v[16:17], 3, s[20:21]
	v_mad_i64_i32 v[16:17], s[20:21], v20, s30, 0
	v_lshl_add_u64 v[16:17], v[16:17], 3, s[26:27]
	s_and_b64 s[20:21], s[2:3], s[18:19]
	s_and_saveexec_b64 s[2:3], s[20:21]
	s_cbranch_execnz .LBB110_348
; %bb.340:
	s_or_b64 exec, exec, s[2:3]
	s_and_b64 s[4:5], s[4:5], s[18:19]
	s_and_saveexec_b64 s[2:3], s[4:5]
	s_cbranch_execnz .LBB110_352
.LBB110_341:
	s_or_b64 exec, exec, s[2:3]
	s_and_b64 s[4:5], s[6:7], s[18:19]
	s_and_saveexec_b64 s[2:3], s[4:5]
	s_cbranch_execnz .LBB110_356
.LBB110_342:
	s_or_b64 exec, exec, s[2:3]
	s_and_b64 s[4:5], s[8:9], s[18:19]
	s_and_saveexec_b64 s[2:3], s[4:5]
	s_cbranch_execnz .LBB110_360
.LBB110_343:
	s_or_b64 exec, exec, s[2:3]
	s_and_b64 s[4:5], s[10:11], s[18:19]
	s_and_saveexec_b64 s[2:3], s[4:5]
	s_cbranch_execnz .LBB110_364
.LBB110_344:
	s_or_b64 exec, exec, s[2:3]
	s_and_b64 s[4:5], s[12:13], s[18:19]
	s_and_saveexec_b64 s[2:3], s[4:5]
	s_cbranch_execnz .LBB110_368
.LBB110_345:
	s_or_b64 exec, exec, s[2:3]
	s_and_b64 s[4:5], s[14:15], s[18:19]
	s_and_saveexec_b64 s[2:3], s[4:5]
	s_cbranch_execnz .LBB110_372
.LBB110_346:
	s_or_b64 exec, exec, s[2:3]
	s_and_b64 s[2:3], s[16:17], s[18:19]
	s_and_saveexec_b64 s[4:5], s[2:3]
	s_cbranch_execnz .LBB110_376
.LBB110_347:
	s_endpgm
.LBB110_348:
	s_and_b64 vcc, exec, s[0:1]
	s_cbranch_vccnz .LBB110_350
; %bb.349:
	v_lshl_add_u64 v[20:21], v[0:1], 3, v[18:19]
	flat_load_dwordx2 v[20:21], v[20:21]
	s_waitcnt vmcnt(0) lgkmcnt(0)
	v_mul_f64 v[20:21], v[20:21], s[22:23]
	v_cvt_f32_f64_e32 v20, v[20:21]
	s_branch .LBB110_351
.LBB110_350:
	v_mov_b32_e32 v20, 0
.LBB110_351:
	v_max_f32_e32 v21, v85, v85
	v_max_f32_e32 v20, v20, v20
	v_min_f32_e32 v20, v20, v21
	v_cvt_f64_f32_e32 v[20:21], v20
	v_lshl_add_u64 v[0:1], v[0:1], 3, v[16:17]
	global_store_dwordx2 v[0:1], v[20:21], off
	s_or_b64 exec, exec, s[2:3]
	s_and_b64 s[4:5], s[4:5], s[18:19]
	s_and_saveexec_b64 s[2:3], s[4:5]
	s_cbranch_execz .LBB110_341
.LBB110_352:
	s_and_b64 vcc, exec, s[0:1]
	s_cbranch_vccnz .LBB110_354
; %bb.353:
	v_lshl_add_u64 v[0:1], v[2:3], 3, v[18:19]
	flat_load_dwordx2 v[0:1], v[0:1]
	s_waitcnt vmcnt(0) lgkmcnt(0)
	v_mul_f64 v[0:1], v[0:1], s[22:23]
	v_cvt_f32_f64_e32 v0, v[0:1]
	s_branch .LBB110_355
.LBB110_354:
	v_mov_b32_e32 v0, 0
.LBB110_355:
	v_max_f32_e32 v1, v84, v84
	v_max_f32_e32 v0, v0, v0
	v_min_f32_e32 v0, v0, v1
	v_cvt_f64_f32_e32 v[0:1], v0
	v_lshl_add_u64 v[2:3], v[2:3], 3, v[16:17]
	global_store_dwordx2 v[2:3], v[0:1], off
	s_or_b64 exec, exec, s[2:3]
	s_and_b64 s[4:5], s[6:7], s[18:19]
	s_and_saveexec_b64 s[2:3], s[4:5]
	s_cbranch_execz .LBB110_342
.LBB110_356:
	s_and_b64 vcc, exec, s[0:1]
	s_cbranch_vccnz .LBB110_358
; %bb.357:
	v_lshl_add_u64 v[0:1], v[4:5], 3, v[18:19]
	flat_load_dwordx2 v[0:1], v[0:1]
	s_waitcnt vmcnt(0) lgkmcnt(0)
	v_mul_f64 v[0:1], v[0:1], s[22:23]
	v_cvt_f32_f64_e32 v0, v[0:1]
	s_branch .LBB110_359
.LBB110_358:
	v_mov_b32_e32 v0, 0
.LBB110_359:
	v_max_f32_e32 v1, v83, v83
	v_max_f32_e32 v0, v0, v0
	v_min_f32_e32 v0, v0, v1
	v_cvt_f64_f32_e32 v[0:1], v0
	v_lshl_add_u64 v[2:3], v[4:5], 3, v[16:17]
	global_store_dwordx2 v[2:3], v[0:1], off
	s_or_b64 exec, exec, s[2:3]
	s_and_b64 s[4:5], s[8:9], s[18:19]
	s_and_saveexec_b64 s[2:3], s[4:5]
	s_cbranch_execz .LBB110_343
.LBB110_360:
	s_and_b64 vcc, exec, s[0:1]
	s_cbranch_vccnz .LBB110_362
; %bb.361:
	v_lshl_add_u64 v[0:1], v[6:7], 3, v[18:19]
	flat_load_dwordx2 v[0:1], v[0:1]
	s_waitcnt vmcnt(0) lgkmcnt(0)
	v_mul_f64 v[0:1], v[0:1], s[22:23]
	v_cvt_f32_f64_e32 v0, v[0:1]
	s_branch .LBB110_363
.LBB110_362:
	v_mov_b32_e32 v0, 0
.LBB110_363:
	v_max_f32_e32 v1, v82, v82
	v_max_f32_e32 v0, v0, v0
	v_min_f32_e32 v0, v0, v1
	v_cvt_f64_f32_e32 v[0:1], v0
	v_lshl_add_u64 v[2:3], v[6:7], 3, v[16:17]
	global_store_dwordx2 v[2:3], v[0:1], off
	s_or_b64 exec, exec, s[2:3]
	s_and_b64 s[4:5], s[10:11], s[18:19]
	s_and_saveexec_b64 s[2:3], s[4:5]
	s_cbranch_execz .LBB110_344
.LBB110_364:
	s_and_b64 vcc, exec, s[0:1]
	s_cbranch_vccnz .LBB110_366
; %bb.365:
	v_lshl_add_u64 v[0:1], v[8:9], 3, v[18:19]
	flat_load_dwordx2 v[0:1], v[0:1]
	s_waitcnt vmcnt(0) lgkmcnt(0)
	v_mul_f64 v[0:1], v[0:1], s[22:23]
	v_cvt_f32_f64_e32 v0, v[0:1]
	s_branch .LBB110_367
.LBB110_366:
	v_mov_b32_e32 v0, 0
.LBB110_367:
	v_max_f32_e32 v1, v81, v81
	v_max_f32_e32 v0, v0, v0
	v_min_f32_e32 v0, v0, v1
	v_cvt_f64_f32_e32 v[0:1], v0
	v_lshl_add_u64 v[2:3], v[8:9], 3, v[16:17]
	global_store_dwordx2 v[2:3], v[0:1], off
	s_or_b64 exec, exec, s[2:3]
	s_and_b64 s[4:5], s[12:13], s[18:19]
	s_and_saveexec_b64 s[2:3], s[4:5]
	s_cbranch_execz .LBB110_345
.LBB110_368:
	s_and_b64 vcc, exec, s[0:1]
	s_cbranch_vccnz .LBB110_370
; %bb.369:
	v_lshl_add_u64 v[0:1], v[10:11], 3, v[18:19]
	flat_load_dwordx2 v[0:1], v[0:1]
	s_waitcnt vmcnt(0) lgkmcnt(0)
	v_mul_f64 v[0:1], v[0:1], s[22:23]
	v_cvt_f32_f64_e32 v0, v[0:1]
	s_branch .LBB110_371
.LBB110_370:
	v_mov_b32_e32 v0, 0
.LBB110_371:
	v_max_f32_e32 v1, v80, v80
	v_max_f32_e32 v0, v0, v0
	v_min_f32_e32 v0, v0, v1
	v_cvt_f64_f32_e32 v[0:1], v0
	v_lshl_add_u64 v[2:3], v[10:11], 3, v[16:17]
	global_store_dwordx2 v[2:3], v[0:1], off
	s_or_b64 exec, exec, s[2:3]
	s_and_b64 s[4:5], s[14:15], s[18:19]
	s_and_saveexec_b64 s[2:3], s[4:5]
	s_cbranch_execz .LBB110_346
.LBB110_372:
	s_and_b64 vcc, exec, s[0:1]
	s_cbranch_vccnz .LBB110_374
; %bb.373:
	v_lshl_add_u64 v[0:1], v[12:13], 3, v[18:19]
	flat_load_dwordx2 v[0:1], v[0:1]
	s_waitcnt vmcnt(0) lgkmcnt(0)
	v_mul_f64 v[0:1], v[0:1], s[22:23]
	v_cvt_f32_f64_e32 v0, v[0:1]
	s_branch .LBB110_375
.LBB110_374:
	v_mov_b32_e32 v0, 0
.LBB110_375:
	v_max_f32_e32 v1, v79, v79
	v_max_f32_e32 v0, v0, v0
	v_min_f32_e32 v0, v0, v1
	v_cvt_f64_f32_e32 v[0:1], v0
	v_lshl_add_u64 v[2:3], v[12:13], 3, v[16:17]
	global_store_dwordx2 v[2:3], v[0:1], off
	s_or_b64 exec, exec, s[2:3]
	s_and_b64 s[2:3], s[16:17], s[18:19]
	s_and_saveexec_b64 s[4:5], s[2:3]
	s_cbranch_execz .LBB110_347
.LBB110_376:
	s_and_b64 vcc, exec, s[0:1]
	s_cbranch_vccnz .LBB110_378
; %bb.377:
	v_lshl_add_u64 v[0:1], v[14:15], 3, v[18:19]
	flat_load_dwordx2 v[0:1], v[0:1]
	s_waitcnt vmcnt(0) lgkmcnt(0)
	v_mul_f64 v[0:1], v[0:1], s[22:23]
	v_cvt_f32_f64_e32 v0, v[0:1]
	s_branch .LBB110_379
.LBB110_378:
	v_mov_b32_e32 v0, 0
.LBB110_379:
	v_max_f32_e32 v1, v78, v78
	v_max_f32_e32 v0, v0, v0
	v_min_f32_e32 v0, v0, v1
	v_cvt_f64_f32_e32 v[0:1], v0
	v_lshl_add_u64 v[2:3], v[14:15], 3, v[16:17]
	global_store_dwordx2 v[2:3], v[0:1], off
	s_endpgm
	.section	.rodata,"a",@progbits
	.p2align	6, 0x0
	.amdhsa_kernel _ZN12_GLOBAL__N_120geam_min_plus_kernelId15HIP_vector_typeIdLj2EEdLi32ELi8ELi256ELi64ELi4ELi64ELi4ELi4ELi64ELc78ELc78ELb0ELb1ELb1EdKPKdKPdEEviiiT16_PT17_ilSA_ilS8_SA_ilPT18_ili26rocblas_geam_ex_operation_
		.amdhsa_group_segment_fixed_size 20480
		.amdhsa_private_segment_fixed_size 0
		.amdhsa_kernarg_size 136
		.amdhsa_user_sgpr_count 2
		.amdhsa_user_sgpr_dispatch_ptr 0
		.amdhsa_user_sgpr_queue_ptr 0
		.amdhsa_user_sgpr_kernarg_segment_ptr 1
		.amdhsa_user_sgpr_dispatch_id 0
		.amdhsa_user_sgpr_kernarg_preload_length 0
		.amdhsa_user_sgpr_kernarg_preload_offset 0
		.amdhsa_user_sgpr_private_segment_size 0
		.amdhsa_uses_dynamic_stack 0
		.amdhsa_enable_private_segment 0
		.amdhsa_system_sgpr_workgroup_id_x 1
		.amdhsa_system_sgpr_workgroup_id_y 0
		.amdhsa_system_sgpr_workgroup_id_z 1
		.amdhsa_system_sgpr_workgroup_info 0
		.amdhsa_system_vgpr_workitem_id 1
		.amdhsa_next_free_vgpr 160
		.amdhsa_next_free_sgpr 44
		.amdhsa_accum_offset 160
		.amdhsa_reserve_vcc 1
		.amdhsa_float_round_mode_32 0
		.amdhsa_float_round_mode_16_64 0
		.amdhsa_float_denorm_mode_32 3
		.amdhsa_float_denorm_mode_16_64 3
		.amdhsa_dx10_clamp 1
		.amdhsa_ieee_mode 1
		.amdhsa_fp16_overflow 0
		.amdhsa_tg_split 0
		.amdhsa_exception_fp_ieee_invalid_op 0
		.amdhsa_exception_fp_denorm_src 0
		.amdhsa_exception_fp_ieee_div_zero 0
		.amdhsa_exception_fp_ieee_overflow 0
		.amdhsa_exception_fp_ieee_underflow 0
		.amdhsa_exception_fp_ieee_inexact 0
		.amdhsa_exception_int_div_zero 0
	.end_amdhsa_kernel
	.section	.text._ZN12_GLOBAL__N_120geam_min_plus_kernelId15HIP_vector_typeIdLj2EEdLi32ELi8ELi256ELi64ELi4ELi64ELi4ELi4ELi64ELc78ELc78ELb0ELb1ELb1EdKPKdKPdEEviiiT16_PT17_ilSA_ilS8_SA_ilPT18_ili26rocblas_geam_ex_operation_,"axG",@progbits,_ZN12_GLOBAL__N_120geam_min_plus_kernelId15HIP_vector_typeIdLj2EEdLi32ELi8ELi256ELi64ELi4ELi64ELi4ELi4ELi64ELc78ELc78ELb0ELb1ELb1EdKPKdKPdEEviiiT16_PT17_ilSA_ilS8_SA_ilPT18_ili26rocblas_geam_ex_operation_,comdat
.Lfunc_end110:
	.size	_ZN12_GLOBAL__N_120geam_min_plus_kernelId15HIP_vector_typeIdLj2EEdLi32ELi8ELi256ELi64ELi4ELi64ELi4ELi4ELi64ELc78ELc78ELb0ELb1ELb1EdKPKdKPdEEviiiT16_PT17_ilSA_ilS8_SA_ilPT18_ili26rocblas_geam_ex_operation_, .Lfunc_end110-_ZN12_GLOBAL__N_120geam_min_plus_kernelId15HIP_vector_typeIdLj2EEdLi32ELi8ELi256ELi64ELi4ELi64ELi4ELi4ELi64ELc78ELc78ELb0ELb1ELb1EdKPKdKPdEEviiiT16_PT17_ilSA_ilS8_SA_ilPT18_ili26rocblas_geam_ex_operation_
                                        ; -- End function
	.section	.AMDGPU.csdata,"",@progbits
; Kernel info:
; codeLenInByte = 19160
; NumSgprs: 50
; NumVgprs: 160
; NumAgprs: 0
; TotalNumVgprs: 160
; ScratchSize: 0
; MemoryBound: 0
; FloatMode: 240
; IeeeMode: 1
; LDSByteSize: 20480 bytes/workgroup (compile time only)
; SGPRBlocks: 6
; VGPRBlocks: 19
; NumSGPRsForWavesPerEU: 50
; NumVGPRsForWavesPerEU: 160
; AccumOffset: 160
; Occupancy: 3
; WaveLimiterHint : 1
; COMPUTE_PGM_RSRC2:SCRATCH_EN: 0
; COMPUTE_PGM_RSRC2:USER_SGPR: 2
; COMPUTE_PGM_RSRC2:TRAP_HANDLER: 0
; COMPUTE_PGM_RSRC2:TGID_X_EN: 1
; COMPUTE_PGM_RSRC2:TGID_Y_EN: 0
; COMPUTE_PGM_RSRC2:TGID_Z_EN: 1
; COMPUTE_PGM_RSRC2:TIDIG_COMP_CNT: 1
; COMPUTE_PGM_RSRC3_GFX90A:ACCUM_OFFSET: 39
; COMPUTE_PGM_RSRC3_GFX90A:TG_SPLIT: 0
	.section	.text._ZN12_GLOBAL__N_120geam_min_plus_kernelId15HIP_vector_typeIdLj2EEdLi32ELi8ELi128ELi128ELi4ELi4ELi64ELi4ELi64ELc84ELc78ELb0ELb0ELb1EPKdKS4_KPdEEviiiT16_PT17_ilSA_ilS8_SA_ilPT18_ili26rocblas_geam_ex_operation_,"axG",@progbits,_ZN12_GLOBAL__N_120geam_min_plus_kernelId15HIP_vector_typeIdLj2EEdLi32ELi8ELi128ELi128ELi4ELi4ELi64ELi4ELi64ELc84ELc78ELb0ELb0ELb1EPKdKS4_KPdEEviiiT16_PT17_ilSA_ilS8_SA_ilPT18_ili26rocblas_geam_ex_operation_,comdat
	.globl	_ZN12_GLOBAL__N_120geam_min_plus_kernelId15HIP_vector_typeIdLj2EEdLi32ELi8ELi128ELi128ELi4ELi4ELi64ELi4ELi64ELc84ELc78ELb0ELb0ELb1EPKdKS4_KPdEEviiiT16_PT17_ilSA_ilS8_SA_ilPT18_ili26rocblas_geam_ex_operation_ ; -- Begin function _ZN12_GLOBAL__N_120geam_min_plus_kernelId15HIP_vector_typeIdLj2EEdLi32ELi8ELi128ELi128ELi4ELi4ELi64ELi4ELi64ELc84ELc78ELb0ELb0ELb1EPKdKS4_KPdEEviiiT16_PT17_ilSA_ilS8_SA_ilPT18_ili26rocblas_geam_ex_operation_
	.p2align	8
	.type	_ZN12_GLOBAL__N_120geam_min_plus_kernelId15HIP_vector_typeIdLj2EEdLi32ELi8ELi128ELi128ELi4ELi4ELi64ELi4ELi64ELc84ELc78ELb0ELb0ELb1EPKdKS4_KPdEEviiiT16_PT17_ilSA_ilS8_SA_ilPT18_ili26rocblas_geam_ex_operation_,@function
_ZN12_GLOBAL__N_120geam_min_plus_kernelId15HIP_vector_typeIdLj2EEdLi32ELi8ELi128ELi128ELi4ELi4ELi64ELi4ELi64ELc84ELc78ELb0ELb0ELb1EPKdKS4_KPdEEviiiT16_PT17_ilSA_ilS8_SA_ilPT18_ili26rocblas_geam_ex_operation_: ; @_ZN12_GLOBAL__N_120geam_min_plus_kernelId15HIP_vector_typeIdLj2EEdLi32ELi8ELi128ELi128ELi4ELi4ELi64ELi4ELi64ELc84ELc78ELb0ELb0ELb1EPKdKS4_KPdEEviiiT16_PT17_ilSA_ilS8_SA_ilPT18_ili26rocblas_geam_ex_operation_
; %bb.0:
	s_load_dwordx4 s[12:15], s[0:1], 0x10
	s_load_dwordx4 s[4:7], s[0:1], 0x28
	s_mov_b32 s8, s3
	s_mov_b32 s9, 0
	s_lshl_b64 s[22:23], s[8:9], 3
	s_waitcnt lgkmcnt(0)
	s_add_u32 s12, s12, s22
	s_load_dwordx4 s[8:11], s[0:1], 0x40
	s_addc_u32 s13, s13, s23
	s_load_dwordx2 s[16:17], s[12:13], 0x0
	s_load_dwordx2 s[24:25], s[0:1], 0x50
	s_mov_b64 s[18:19], 0
	s_mov_b64 s[20:21], 0
	s_waitcnt lgkmcnt(0)
	s_add_u32 s10, s10, s22
	v_cmp_eq_f64_e64 s[12:13], s[16:17], 0
	s_addc_u32 s11, s11, s23
	v_cmp_neq_f64_e64 s[26:27], s[16:17], 0
	s_and_b64 vcc, exec, s[12:13]
	s_cbranch_vccnz .LBB111_2
; %bb.1:
	s_add_u32 s12, s14, s22
	s_addc_u32 s13, s15, s23
	s_load_dwordx2 s[12:13], s[12:13], 0x0
	s_lshl_b64 s[4:5], s[4:5], 3
	s_waitcnt lgkmcnt(0)
	s_add_u32 s20, s12, s4
	s_addc_u32 s21, s13, s5
.LBB111_2:
	s_load_dwordx2 s[12:13], s[10:11], 0x0
	v_cndmask_b32_e64 v1, 0, 1, s[26:27]
	v_cmp_ne_u32_e64 s[4:5], 1, v1
	s_andn2_b64 vcc, exec, s[26:27]
	s_cbranch_vccnz .LBB111_4
; %bb.3:
	s_add_u32 s6, s6, s22
	s_addc_u32 s7, s7, s23
	s_load_dwordx2 s[6:7], s[6:7], 0x0
	s_lshl_b64 s[8:9], s[8:9], 3
	s_waitcnt lgkmcnt(0)
	s_add_u32 s18, s6, s8
	s_addc_u32 s19, s7, s9
.LBB111_4:
	s_load_dwordx4 s[8:11], s[0:1], 0x60
	s_waitcnt lgkmcnt(0)
	v_cmp_eq_f64_e64 s[6:7], s[12:13], 0
	s_and_b64 s[6:7], exec, s[6:7]
	s_mov_b64 s[14:15], 0
	s_mov_b64 vcc, s[6:7]
	s_cbranch_vccnz .LBB111_6
; %bb.5:
	s_add_u32 s14, s24, s22
	s_addc_u32 s15, s25, s23
	s_load_dwordx2 s[14:15], s[14:15], 0x0
	s_lshl_b64 s[8:9], s[8:9], 3
	s_waitcnt lgkmcnt(0)
	s_add_u32 s14, s14, s8
	s_addc_u32 s15, s15, s9
.LBB111_6:
	s_load_dword s3, s[0:1], 0x0
	s_load_dword s24, s[0:1], 0x20
	s_add_u32 s8, s10, s22
	s_addc_u32 s9, s11, s23
	v_and_b32_e32 v143, 0x3ff, v0
	s_waitcnt lgkmcnt(0)
	s_add_i32 s3, s3, -1
	s_ashr_i32 s10, s3, 31
	s_lshr_b32 s10, s10, 25
	s_add_i32 s3, s3, s10
	s_ashr_i32 s3, s3, 7
	s_add_i32 s10, s3, 1
	v_cvt_f32_u32_e32 v1, s10
	s_not_b32 s3, s3
	v_bfe_u32 v144, v0, 10, 10
	s_load_dwordx2 s[8:9], s[8:9], 0x0
	v_rcp_iflag_f32_e32 v1, v1
	v_lshl_add_u32 v0, v144, 5, v143
	v_lshrrev_b32_e32 v10, 2, v0
	v_and_b32_e32 v152, 3, v143
	v_mul_f32_e32 v1, 0x4f7ffffe, v1
	v_cvt_u32_f32_e32 v1, v1
	v_lshlrev_b32_e32 v0, 3, v152
	v_readfirstlane_b32 s11, v1
	s_mul_i32 s3, s3, s11
	s_mul_hi_u32 s3, s11, s3
	s_add_i32 s11, s11, s3
	s_mul_hi_u32 s3, s2, s11
	s_mul_i32 s11, s3, s10
	s_sub_i32 s11, s2, s11
	s_add_i32 s22, s3, 1
	s_sub_i32 s23, s11, s10
	s_cmp_ge_u32 s11, s10
	s_cselect_b32 s3, s22, s3
	s_cselect_b32 s11, s23, s11
	s_add_i32 s22, s3, 1
	s_cmp_ge_u32 s11, s10
	s_cselect_b32 s3, s22, s3
	s_mul_i32 s10, s3, s10
	s_sub_i32 s2, s2, s10
	s_lshl_b32 s10, s2, 7
	v_add_u32_e32 v81, s10, v10
	s_and_b64 vcc, exec, s[4:5]
	v_add_u32_e32 v80, 64, v81
	s_cbranch_vccnz .LBB111_8
; %bb.7:
	v_mov_b32_e32 v1, 0
	v_lshl_add_u64 v[2:3], s[20:21], 0, v[0:1]
	v_mad_i64_i32 v[4:5], s[22:23], v81, s24, 0
	v_lshl_add_u64 v[4:5], v[4:5], 3, v[2:3]
	v_mad_i64_i32 v[6:7], s[22:23], v80, s24, 0
	v_lshl_add_u64 v[2:3], v[6:7], 3, v[2:3]
	flat_load_dwordx2 v[6:7], v[4:5]
	flat_load_dwordx2 v[8:9], v[2:3]
	s_waitcnt vmcnt(0) lgkmcnt(0)
	v_mul_f64 v[2:3], s[16:17], v[6:7]
	v_mul_f64 v[4:5], s[16:17], v[8:9]
	s_branch .LBB111_9
.LBB111_8:
	v_mov_b64_e32 v[2:3], 0
	v_mov_b64_e32 v[4:5], 0
.LBB111_9:
	s_load_dword s25, s[0:1], 0x38
	s_lshl_b32 s11, s3, 7
	v_add_u32_e32 v83, s11, v10
	s_and_b64 vcc, exec, s[4:5]
	v_add_u32_e32 v82, 64, v83
	s_cbranch_vccnz .LBB111_13
; %bb.10:
	v_mov_b32_e32 v1, 0
	v_lshl_add_u64 v[6:7], s[18:19], 0, v[0:1]
	s_waitcnt lgkmcnt(0)
	v_mad_i64_i32 v[8:9], s[2:3], v83, s25, 0
	v_lshl_add_u64 v[8:9], v[8:9], 3, v[6:7]
	v_mad_i64_i32 v[12:13], s[2:3], v82, s25, 0
	v_lshl_add_u64 v[6:7], v[12:13], 3, v[6:7]
	flat_load_dwordx2 v[12:13], v[8:9]
	flat_load_dwordx2 v[14:15], v[6:7]
	s_waitcnt vmcnt(0) lgkmcnt(0)
	v_mul_f64 v[6:7], s[16:17], v[12:13]
	v_mul_f64 v[8:9], s[16:17], v[14:15]
	s_and_b64 vcc, exec, s[4:5]
	s_cbranch_vccnz .LBB111_14
.LBB111_11:
	v_mov_b32_e32 v1, 0
	v_lshl_add_u64 v[12:13], s[20:21], 0, v[0:1]
	v_mad_i64_i32 v[14:15], s[2:3], v81, s24, 0
	v_lshl_add_u64 v[14:15], v[14:15], 3, v[12:13]
	v_mad_i64_i32 v[16:17], s[2:3], v80, s24, 0
	v_lshl_add_u64 v[12:13], v[16:17], 3, v[12:13]
	flat_load_dwordx2 v[16:17], v[14:15] offset:32
	flat_load_dwordx2 v[18:19], v[12:13] offset:32
	s_waitcnt vmcnt(0) lgkmcnt(0)
	v_mul_f64 v[72:73], s[16:17], v[16:17]
	v_mul_f64 v[74:75], s[16:17], v[18:19]
	s_and_b64 vcc, exec, s[4:5]
	s_cbranch_vccnz .LBB111_15
.LBB111_12:
	v_mov_b32_e32 v1, 0
	v_lshl_add_u64 v[12:13], s[18:19], 0, v[0:1]
	s_waitcnt lgkmcnt(0)
	v_mad_i64_i32 v[14:15], s[2:3], v83, s25, 0
	v_lshl_add_u64 v[14:15], v[14:15], 3, v[12:13]
	v_mad_i64_i32 v[16:17], s[2:3], v82, s25, 0
	v_lshl_add_u64 v[12:13], v[16:17], 3, v[12:13]
	flat_load_dwordx2 v[16:17], v[14:15] offset:32
	flat_load_dwordx2 v[18:19], v[12:13] offset:32
	s_waitcnt vmcnt(0) lgkmcnt(0)
	v_mul_f64 v[76:77], s[16:17], v[16:17]
	v_mul_f64 v[78:79], s[16:17], v[18:19]
	s_branch .LBB111_16
.LBB111_13:
	v_mov_b64_e32 v[6:7], 0
	v_mov_b64_e32 v[8:9], 0
	s_and_b64 vcc, exec, s[4:5]
	s_cbranch_vccz .LBB111_11
.LBB111_14:
	v_mov_b64_e32 v[72:73], 0
	v_mov_b64_e32 v[74:75], 0
	s_and_b64 vcc, exec, s[4:5]
	s_cbranch_vccz .LBB111_12
.LBB111_15:
	v_mov_b64_e32 v[76:77], 0
	v_mov_b64_e32 v[78:79], 0
.LBB111_16:
	v_lshl_or_b32 v153, v10, 5, v0
	v_add_u32_e32 v154, 0x2000, v153
	s_mov_b32 s22, 0
	s_mov_b64 s[2:3], -1
	v_mov_b32_e32 v86, 0x7f800000
	v_mov_b32_e32 v87, 0x7f800000
	;; [unrolled: 1-line block ×64, first 2 shown]
	ds_write2st64_b64 v153, v[2:3], v[4:5] offset1:4
	ds_write2st64_b64 v153, v[6:7], v[8:9] offset0:16 offset1:20
	s_waitcnt lgkmcnt(0)
	s_barrier
.LBB111_17:                             ; =>This Inner Loop Header: Depth=1
	v_cndmask_b32_e64 v0, 0, 1, s[2:3]
	s_lshl_b32 s2, s22, 3
	v_cmp_ne_u32_e32 vcc, 1, v0
	v_lshl_add_u32 v0, v143, 5, s2
	ds_read_b128 v[12:15], v0
	ds_read_b128 v[8:11], v0 offset:1024
	ds_read_b128 v[4:7], v0 offset:2048
	;; [unrolled: 1-line block ×3, first 2 shown]
	v_lshl_add_u32 v16, v144, 5, s2
	ds_read_b128 v[156:159], v16 offset:8192
	ds_read_b128 v[160:163], v16 offset:8448
	;; [unrolled: 1-line block ×16, first 2 shown]
	s_waitcnt lgkmcnt(14)
	v_add_f64 v[84:85], v[14:15], v[158:159]
	v_add_f64 v[164:165], v[12:13], v[156:157]
	v_cvt_f32_f64_e32 v155, v[164:165]
	v_cvt_f32_f64_e32 v84, v[84:85]
	v_min3_f32 v151, v155, v84, v151
	v_add_f64 v[84:85], v[10:11], v[158:159]
	v_add_f64 v[164:165], v[8:9], v[156:157]
	v_cvt_f32_f64_e32 v155, v[164:165]
	v_cvt_f32_f64_e32 v84, v[84:85]
	v_min3_f32 v150, v155, v84, v150
	;; [unrolled: 5-line block ×8, first 2 shown]
	s_waitcnt lgkmcnt(13)
	v_add_f64 v[84:85], v[14:15], v[70:71]
	v_add_f64 v[156:157], v[12:13], v[68:69]
	v_cvt_f32_f64_e32 v155, v[156:157]
	v_cvt_f32_f64_e32 v84, v[84:85]
	v_min3_f32 v141, v155, v84, v141
	v_add_f64 v[84:85], v[10:11], v[70:71]
	v_add_f64 v[156:157], v[8:9], v[68:69]
	v_cvt_f32_f64_e32 v155, v[156:157]
	v_cvt_f32_f64_e32 v84, v[84:85]
	v_min3_f32 v140, v155, v84, v140
	v_add_f64 v[84:85], v[6:7], v[70:71]
	v_add_f64 v[156:157], v[4:5], v[68:69]
	v_add_f64 v[70:71], v[2:3], v[70:71]
	v_add_f64 v[68:69], v[0:1], v[68:69]
	v_cvt_f32_f64_e32 v68, v[68:69]
	v_cvt_f32_f64_e32 v69, v[70:71]
	v_min3_f32 v138, v68, v69, v138
	s_waitcnt lgkmcnt(12)
	v_add_f64 v[68:69], v[14:15], v[66:67]
	v_add_f64 v[70:71], v[12:13], v[64:65]
	v_cvt_f32_f64_e32 v70, v[70:71]
	v_cvt_f32_f64_e32 v68, v[68:69]
	v_min3_f32 v137, v70, v68, v137
	v_add_f64 v[68:69], v[10:11], v[66:67]
	v_add_f64 v[70:71], v[8:9], v[64:65]
	v_cvt_f32_f64_e32 v70, v[70:71]
	v_cvt_f32_f64_e32 v68, v[68:69]
	v_min3_f32 v136, v70, v68, v136
	v_add_f64 v[68:69], v[6:7], v[66:67]
	v_add_f64 v[70:71], v[4:5], v[64:65]
	v_add_f64 v[66:67], v[2:3], v[66:67]
	v_add_f64 v[64:65], v[0:1], v[64:65]
	v_cvt_f32_f64_e32 v64, v[64:65]
	v_cvt_f32_f64_e32 v65, v[66:67]
	v_min3_f32 v134, v64, v65, v134
	;; [unrolled: 18-line block ×12, first 2 shown]
	s_waitcnt lgkmcnt(1)
	v_add_f64 v[24:25], v[14:15], v[22:23]
	v_add_f64 v[26:27], v[12:13], v[20:21]
	v_cvt_f32_f64_e32 v26, v[26:27]
	v_cvt_f32_f64_e32 v24, v[24:25]
	v_min3_f32 v93, v26, v24, v93
	v_add_f64 v[24:25], v[10:11], v[22:23]
	v_add_f64 v[26:27], v[8:9], v[20:21]
	v_cvt_f32_f64_e32 v26, v[26:27]
	v_cvt_f32_f64_e32 v24, v[24:25]
	v_min3_f32 v92, v26, v24, v92
	v_add_f64 v[24:25], v[6:7], v[22:23]
	v_add_f64 v[26:27], v[4:5], v[20:21]
	;; [unrolled: 1-line block ×4, first 2 shown]
	s_waitcnt lgkmcnt(0)
	v_add_f64 v[14:15], v[14:15], v[18:19]
	v_add_f64 v[12:13], v[12:13], v[16:17]
	;; [unrolled: 1-line block ×8, first 2 shown]
	v_cvt_f32_f64_e32 v155, v[156:157]
	v_cvt_f32_f64_e32 v84, v[84:85]
	;; [unrolled: 1-line block ×36, first 2 shown]
	v_min3_f32 v139, v155, v84, v139
	v_min3_f32 v135, v70, v68, v135
	;; [unrolled: 1-line block ×18, first 2 shown]
	s_mov_b32 s22, 2
	s_mov_b64 s[2:3], 0
	s_cbranch_vccz .LBB111_17
; %bb.18:
	s_load_dword s23, s[0:1], 0x8
	s_mov_b32 s22, 8
	ds_write2st64_b64 v153, v[72:73], v[74:75] offset0:8 offset1:12
	ds_write2st64_b64 v153, v[76:77], v[78:79] offset0:24 offset1:28
	s_waitcnt lgkmcnt(0)
	s_barrier
	s_cmp_gt_i32 s23, 8
	s_cbranch_scc0 .LBB111_35
; %bb.19:
	v_add_u32_e32 v155, 0x1000, v153
	v_add_u32_e32 v156, 0x3000, v153
	s_add_i32 s23, s23, -8
	v_mad_i64_i32 v[68:69], s[2:3], v81, s24, 0
	v_mad_i64_i32 v[70:71], s[2:3], v80, s24, 0
	;; [unrolled: 1-line block ×4, first 2 shown]
	s_mov_b32 s24, 0
	v_mov_b32_e32 v77, 0
.LBB111_20:                             ; =>This Loop Header: Depth=1
                                        ;     Child Loop BB111_26 Depth 2
                                        ;     Child Loop BB111_33 Depth 2
	s_and_b64 vcc, exec, s[4:5]
	v_or_b32_e32 v76, s22, v152
	s_cbranch_vccnz .LBB111_23
; %bb.21:                               ;   in Loop: Header=BB111_20 Depth=1
	v_lshl_add_u64 v[0:1], v[76:77], 3, s[20:21]
	v_lshl_add_u64 v[2:3], v[68:69], 3, v[0:1]
	;; [unrolled: 1-line block ×3, first 2 shown]
	flat_load_dwordx2 v[4:5], v[2:3]
	flat_load_dwordx2 v[6:7], v[0:1]
	s_waitcnt vmcnt(0) lgkmcnt(0)
	v_mul_f64 v[78:79], s[16:17], v[4:5]
	v_mul_f64 v[80:81], s[16:17], v[6:7]
	s_and_b64 vcc, exec, s[4:5]
	s_cbranch_vccnz .LBB111_24
.LBB111_22:                             ;   in Loop: Header=BB111_20 Depth=1
	v_lshl_add_u64 v[0:1], v[76:77], 3, s[18:19]
	v_lshl_add_u64 v[2:3], v[72:73], 3, v[0:1]
	;; [unrolled: 1-line block ×3, first 2 shown]
	flat_load_dwordx2 v[4:5], v[2:3]
	flat_load_dwordx2 v[6:7], v[0:1]
	s_waitcnt vmcnt(0) lgkmcnt(0)
	v_mul_f64 v[82:83], s[16:17], v[4:5]
	v_mul_f64 v[84:85], s[16:17], v[6:7]
	s_branch .LBB111_25
.LBB111_23:                             ;   in Loop: Header=BB111_20 Depth=1
	v_mov_b64_e32 v[78:79], 0
	v_mov_b64_e32 v[80:81], 0
	s_and_b64 vcc, exec, s[4:5]
	s_cbranch_vccz .LBB111_22
.LBB111_24:                             ;   in Loop: Header=BB111_20 Depth=1
	v_mov_b64_e32 v[82:83], 0
	v_mov_b64_e32 v[84:85], 0
.LBB111_25:                             ;   in Loop: Header=BB111_20 Depth=1
	s_mov_b32 s25, 0
	s_mov_b64 s[2:3], -1
.LBB111_26:                             ;   Parent Loop BB111_20 Depth=1
                                        ; =>  This Inner Loop Header: Depth=2
	v_cndmask_b32_e64 v0, 0, 1, s[2:3]
	s_lshl_b32 s2, s25, 3
	v_cmp_ne_u32_e32 vcc, 1, v0
	v_lshl_add_u32 v0, v143, 5, s2
	ds_read_b128 v[12:15], v0 offset:4096
	ds_read_b128 v[8:11], v0 offset:5120
	;; [unrolled: 1-line block ×4, first 2 shown]
	v_lshl_add_u32 v16, v144, 5, s2
	ds_read_b128 v[158:161], v16 offset:12288
	ds_read_b128 v[162:165], v16 offset:12544
	;; [unrolled: 1-line block ×16, first 2 shown]
	s_waitcnt lgkmcnt(14)
	v_add_f64 v[170:171], v[14:15], v[160:161]
	v_add_f64 v[172:173], v[12:13], v[158:159]
	v_cvt_f32_f64_e32 v157, v[172:173]
	v_cvt_f32_f64_e32 v170, v[170:171]
	v_min3_f32 v151, v157, v170, v151
	v_add_f64 v[170:171], v[10:11], v[160:161]
	v_add_f64 v[172:173], v[8:9], v[158:159]
	v_cvt_f32_f64_e32 v157, v[172:173]
	v_cvt_f32_f64_e32 v170, v[170:171]
	v_min3_f32 v150, v157, v170, v150
	v_add_f64 v[170:171], v[6:7], v[160:161]
	v_add_f64 v[172:173], v[4:5], v[158:159]
	v_cvt_f32_f64_e32 v157, v[172:173]
	v_cvt_f32_f64_e32 v170, v[170:171]
	v_add_f64 v[160:161], v[2:3], v[160:161]
	v_add_f64 v[158:159], v[0:1], v[158:159]
	v_min3_f32 v149, v157, v170, v149
	v_cvt_f32_f64_e32 v157, v[158:159]
	v_cvt_f32_f64_e32 v158, v[160:161]
	v_min3_f32 v148, v157, v158, v148
	v_add_f64 v[158:159], v[14:15], v[164:165]
	v_add_f64 v[160:161], v[12:13], v[162:163]
	v_cvt_f32_f64_e32 v157, v[160:161]
	v_cvt_f32_f64_e32 v158, v[158:159]
	v_min3_f32 v147, v157, v158, v147
	v_add_f64 v[158:159], v[10:11], v[164:165]
	v_add_f64 v[160:161], v[8:9], v[162:163]
	;; [unrolled: 5-line block ×4, first 2 shown]
	v_cvt_f32_f64_e32 v157, v[160:161]
	v_cvt_f32_f64_e32 v158, v[158:159]
	v_min3_f32 v142, v157, v158, v142
	s_waitcnt lgkmcnt(13)
	v_add_f64 v[158:159], v[14:15], v[168:169]
	v_add_f64 v[160:161], v[12:13], v[166:167]
	v_cvt_f32_f64_e32 v157, v[160:161]
	v_cvt_f32_f64_e32 v158, v[158:159]
	v_min3_f32 v141, v157, v158, v141
	v_add_f64 v[158:159], v[10:11], v[168:169]
	v_add_f64 v[160:161], v[8:9], v[166:167]
	v_cvt_f32_f64_e32 v157, v[160:161]
	v_cvt_f32_f64_e32 v158, v[158:159]
	v_min3_f32 v140, v157, v158, v140
	;; [unrolled: 5-line block ×4, first 2 shown]
	s_waitcnt lgkmcnt(12)
	v_add_f64 v[158:159], v[14:15], v[66:67]
	v_add_f64 v[160:161], v[12:13], v[64:65]
	v_cvt_f32_f64_e32 v157, v[160:161]
	v_cvt_f32_f64_e32 v158, v[158:159]
	v_min3_f32 v137, v157, v158, v137
	v_add_f64 v[158:159], v[10:11], v[66:67]
	v_add_f64 v[160:161], v[8:9], v[64:65]
	v_cvt_f32_f64_e32 v157, v[160:161]
	v_cvt_f32_f64_e32 v158, v[158:159]
	v_min3_f32 v136, v157, v158, v136
	v_add_f64 v[158:159], v[6:7], v[66:67]
	v_add_f64 v[160:161], v[4:5], v[64:65]
	v_add_f64 v[66:67], v[2:3], v[66:67]
	v_add_f64 v[64:65], v[0:1], v[64:65]
	v_cvt_f32_f64_e32 v64, v[64:65]
	v_cvt_f32_f64_e32 v65, v[66:67]
	v_min3_f32 v134, v64, v65, v134
	s_waitcnt lgkmcnt(11)
	v_add_f64 v[64:65], v[14:15], v[62:63]
	v_add_f64 v[66:67], v[12:13], v[60:61]
	v_cvt_f32_f64_e32 v66, v[66:67]
	v_cvt_f32_f64_e32 v64, v[64:65]
	v_min3_f32 v133, v66, v64, v133
	v_add_f64 v[64:65], v[10:11], v[62:63]
	v_add_f64 v[66:67], v[8:9], v[60:61]
	v_cvt_f32_f64_e32 v66, v[66:67]
	v_cvt_f32_f64_e32 v64, v[64:65]
	v_min3_f32 v132, v66, v64, v132
	v_add_f64 v[64:65], v[6:7], v[62:63]
	v_add_f64 v[66:67], v[4:5], v[60:61]
	v_add_f64 v[62:63], v[2:3], v[62:63]
	v_add_f64 v[60:61], v[0:1], v[60:61]
	v_cvt_f32_f64_e32 v60, v[60:61]
	v_cvt_f32_f64_e32 v61, v[62:63]
	v_min3_f32 v130, v60, v61, v130
	;; [unrolled: 18-line block ×11, first 2 shown]
	s_waitcnt lgkmcnt(1)
	v_add_f64 v[24:25], v[14:15], v[22:23]
	v_add_f64 v[26:27], v[12:13], v[20:21]
	v_cvt_f32_f64_e32 v26, v[26:27]
	v_cvt_f32_f64_e32 v24, v[24:25]
	v_min3_f32 v93, v26, v24, v93
	v_add_f64 v[24:25], v[10:11], v[22:23]
	v_add_f64 v[26:27], v[8:9], v[20:21]
	v_cvt_f32_f64_e32 v26, v[26:27]
	v_cvt_f32_f64_e32 v24, v[24:25]
	v_min3_f32 v92, v26, v24, v92
	v_add_f64 v[24:25], v[6:7], v[22:23]
	v_add_f64 v[26:27], v[4:5], v[20:21]
	;; [unrolled: 1-line block ×4, first 2 shown]
	s_waitcnt lgkmcnt(0)
	v_add_f64 v[14:15], v[14:15], v[18:19]
	v_add_f64 v[12:13], v[12:13], v[16:17]
	;; [unrolled: 1-line block ×8, first 2 shown]
	v_cvt_f32_f64_e32 v157, v[160:161]
	v_cvt_f32_f64_e32 v158, v[158:159]
	;; [unrolled: 1-line block ×34, first 2 shown]
	v_min3_f32 v135, v157, v158, v135
	v_min3_f32 v131, v66, v64, v131
	;; [unrolled: 1-line block ×17, first 2 shown]
	s_mov_b32 s25, 2
	s_mov_b64 s[2:3], 0
	s_cbranch_vccz .LBB111_26
; %bb.27:                               ;   in Loop: Header=BB111_20 Depth=1
	s_and_b64 vcc, exec, s[4:5]
	ds_write2st64_b64 v153, v[78:79], v[80:81] offset1:4
	ds_write2st64_b64 v154, v[82:83], v[84:85] offset1:4
	s_waitcnt lgkmcnt(0)
	s_barrier
	s_cbranch_vccnz .LBB111_30
; %bb.28:                               ;   in Loop: Header=BB111_20 Depth=1
	v_lshl_add_u64 v[0:1], v[76:77], 3, s[20:21]
	v_lshl_add_u64 v[2:3], v[68:69], 3, v[0:1]
	;; [unrolled: 1-line block ×3, first 2 shown]
	flat_load_dwordx2 v[4:5], v[2:3] offset:32
	flat_load_dwordx2 v[6:7], v[0:1] offset:32
	s_waitcnt vmcnt(0) lgkmcnt(0)
	v_mul_f64 v[78:79], s[16:17], v[4:5]
	v_mul_f64 v[80:81], s[16:17], v[6:7]
	s_and_b64 vcc, exec, s[4:5]
	s_cbranch_vccnz .LBB111_31
.LBB111_29:                             ;   in Loop: Header=BB111_20 Depth=1
	v_lshl_add_u64 v[0:1], v[76:77], 3, s[18:19]
	v_lshl_add_u64 v[2:3], v[72:73], 3, v[0:1]
	v_lshl_add_u64 v[0:1], v[74:75], 3, v[0:1]
	flat_load_dwordx2 v[4:5], v[2:3] offset:32
	flat_load_dwordx2 v[6:7], v[0:1] offset:32
	s_waitcnt vmcnt(0) lgkmcnt(0)
	v_mul_f64 v[82:83], s[16:17], v[4:5]
	v_mul_f64 v[84:85], s[16:17], v[6:7]
	s_branch .LBB111_32
.LBB111_30:                             ;   in Loop: Header=BB111_20 Depth=1
	v_mov_b64_e32 v[78:79], 0
	v_mov_b64_e32 v[80:81], 0
	s_and_b64 vcc, exec, s[4:5]
	s_cbranch_vccz .LBB111_29
.LBB111_31:                             ;   in Loop: Header=BB111_20 Depth=1
	v_mov_b64_e32 v[82:83], 0
	v_mov_b64_e32 v[84:85], 0
.LBB111_32:                             ;   in Loop: Header=BB111_20 Depth=1
	s_mov_b32 s25, 0
	s_mov_b64 s[2:3], -1
.LBB111_33:                             ;   Parent Loop BB111_20 Depth=1
                                        ; =>  This Inner Loop Header: Depth=2
	v_cndmask_b32_e64 v0, 0, 1, s[2:3]
	s_lshl_b32 s2, s25, 3
	v_cmp_ne_u32_e32 vcc, 1, v0
	v_lshl_add_u32 v0, v143, 5, s2
	ds_read_b128 v[12:15], v0
	ds_read_b128 v[8:11], v0 offset:1024
	ds_read_b128 v[4:7], v0 offset:2048
	;; [unrolled: 1-line block ×3, first 2 shown]
	v_lshl_add_u32 v16, v144, 5, s2
	ds_read_b128 v[158:161], v16 offset:8192
	ds_read_b128 v[162:165], v16 offset:8448
	;; [unrolled: 1-line block ×16, first 2 shown]
	s_waitcnt lgkmcnt(14)
	v_add_f64 v[170:171], v[14:15], v[160:161]
	v_add_f64 v[172:173], v[12:13], v[158:159]
	v_cvt_f32_f64_e32 v76, v[172:173]
	v_cvt_f32_f64_e32 v157, v[170:171]
	v_add_f64 v[170:171], v[10:11], v[160:161]
	v_add_f64 v[172:173], v[8:9], v[158:159]
	v_min3_f32 v151, v76, v157, v151
	v_cvt_f32_f64_e32 v76, v[172:173]
	v_cvt_f32_f64_e32 v157, v[170:171]
	v_add_f64 v[170:171], v[6:7], v[160:161]
	v_add_f64 v[172:173], v[4:5], v[158:159]
	v_min3_f32 v150, v76, v157, v150
	;; [unrolled: 5-line block ×7, first 2 shown]
	v_cvt_f32_f64_e32 v76, v[160:161]
	v_cvt_f32_f64_e32 v157, v[158:159]
	s_waitcnt lgkmcnt(13)
	v_add_f64 v[158:159], v[14:15], v[168:169]
	v_add_f64 v[160:161], v[12:13], v[166:167]
	v_min3_f32 v142, v76, v157, v142
	v_cvt_f32_f64_e32 v76, v[160:161]
	v_cvt_f32_f64_e32 v157, v[158:159]
	v_add_f64 v[158:159], v[10:11], v[168:169]
	v_add_f64 v[160:161], v[8:9], v[166:167]
	v_min3_f32 v141, v76, v157, v141
	v_cvt_f32_f64_e32 v76, v[160:161]
	v_cvt_f32_f64_e32 v157, v[158:159]
	;; [unrolled: 5-line block ×4, first 2 shown]
	s_waitcnt lgkmcnt(12)
	v_add_f64 v[158:159], v[14:15], v[66:67]
	v_add_f64 v[160:161], v[12:13], v[64:65]
	v_min3_f32 v138, v76, v157, v138
	v_cvt_f32_f64_e32 v76, v[160:161]
	v_cvt_f32_f64_e32 v157, v[158:159]
	v_add_f64 v[158:159], v[10:11], v[66:67]
	v_add_f64 v[160:161], v[8:9], v[64:65]
	v_min3_f32 v137, v76, v157, v137
	v_cvt_f32_f64_e32 v76, v[160:161]
	v_cvt_f32_f64_e32 v157, v[158:159]
	v_add_f64 v[158:159], v[6:7], v[66:67]
	v_add_f64 v[160:161], v[4:5], v[64:65]
	v_add_f64 v[66:67], v[2:3], v[66:67]
	v_add_f64 v[64:65], v[0:1], v[64:65]
	v_cvt_f32_f64_e32 v64, v[64:65]
	v_cvt_f32_f64_e32 v65, v[66:67]
	v_min3_f32 v134, v64, v65, v134
	s_waitcnt lgkmcnt(11)
	v_add_f64 v[64:65], v[14:15], v[62:63]
	v_add_f64 v[66:67], v[12:13], v[60:61]
	v_cvt_f32_f64_e32 v66, v[66:67]
	v_cvt_f32_f64_e32 v64, v[64:65]
	v_min3_f32 v133, v66, v64, v133
	v_add_f64 v[64:65], v[10:11], v[62:63]
	v_add_f64 v[66:67], v[8:9], v[60:61]
	v_cvt_f32_f64_e32 v66, v[66:67]
	v_cvt_f32_f64_e32 v64, v[64:65]
	v_min3_f32 v132, v66, v64, v132
	v_add_f64 v[64:65], v[6:7], v[62:63]
	v_add_f64 v[66:67], v[4:5], v[60:61]
	v_add_f64 v[62:63], v[2:3], v[62:63]
	v_add_f64 v[60:61], v[0:1], v[60:61]
	v_cvt_f32_f64_e32 v60, v[60:61]
	v_cvt_f32_f64_e32 v61, v[62:63]
	v_min3_f32 v130, v60, v61, v130
	s_waitcnt lgkmcnt(10)
	v_add_f64 v[60:61], v[14:15], v[58:59]
	v_add_f64 v[62:63], v[12:13], v[56:57]
	v_cvt_f32_f64_e32 v62, v[62:63]
	v_cvt_f32_f64_e32 v60, v[60:61]
	v_min3_f32 v129, v62, v60, v129
	v_add_f64 v[60:61], v[10:11], v[58:59]
	v_add_f64 v[62:63], v[8:9], v[56:57]
	v_cvt_f32_f64_e32 v62, v[62:63]
	v_cvt_f32_f64_e32 v60, v[60:61]
	v_min3_f32 v128, v62, v60, v128
	;; [unrolled: 18-line block ×11, first 2 shown]
	v_add_f64 v[24:25], v[6:7], v[22:23]
	v_add_f64 v[26:27], v[4:5], v[20:21]
	;; [unrolled: 1-line block ×4, first 2 shown]
	s_waitcnt lgkmcnt(0)
	v_add_f64 v[14:15], v[14:15], v[18:19]
	v_add_f64 v[12:13], v[12:13], v[16:17]
	;; [unrolled: 1-line block ×8, first 2 shown]
	v_min3_f32 v136, v76, v157, v136
	v_cvt_f32_f64_e32 v76, v[160:161]
	v_cvt_f32_f64_e32 v157, v[158:159]
	;; [unrolled: 1-line block ×34, first 2 shown]
	v_min3_f32 v135, v76, v157, v135
	v_min3_f32 v131, v66, v64, v131
	;; [unrolled: 1-line block ×17, first 2 shown]
	s_mov_b32 s25, 2
	s_mov_b64 s[2:3], 0
	s_cbranch_vccz .LBB111_33
; %bb.34:                               ;   in Loop: Header=BB111_20 Depth=1
	s_add_i32 s22, s22, 8
	s_add_i32 s24, s24, 8
	s_cmp_ge_i32 s24, s23
	ds_write2st64_b64 v155, v[78:79], v[80:81] offset1:4
	ds_write2st64_b64 v156, v[82:83], v[84:85] offset1:4
	s_waitcnt lgkmcnt(0)
	s_barrier
	s_cbranch_scc0 .LBB111_20
.LBB111_35:
	s_mov_b32 s4, 0
	s_mov_b64 s[2:3], -1
.LBB111_36:                             ; =>This Inner Loop Header: Depth=1
	v_cndmask_b32_e64 v0, 0, 1, s[2:3]
	s_lshl_b32 s2, s4, 3
	v_cmp_ne_u32_e32 vcc, 1, v0
	v_lshl_add_u32 v0, v143, 5, s2
	ds_read_b128 v[12:15], v0 offset:4096
	ds_read_b128 v[8:11], v0 offset:5120
	ds_read_b128 v[4:7], v0 offset:6144
	ds_read_b128 v[0:3], v0 offset:7168
	v_lshl_add_u32 v16, v144, 5, s2
	ds_read_b128 v[68:71], v16 offset:12288
	ds_read_b128 v[72:75], v16 offset:12544
	;; [unrolled: 1-line block ×16, first 2 shown]
	s_waitcnt lgkmcnt(14)
	v_add_f64 v[80:81], v[14:15], v[70:71]
	v_add_f64 v[82:83], v[12:13], v[68:69]
	v_cvt_f32_f64_e32 v82, v[82:83]
	v_cvt_f32_f64_e32 v80, v[80:81]
	v_min3_f32 v151, v82, v80, v151
	v_add_f64 v[80:81], v[10:11], v[70:71]
	v_add_f64 v[82:83], v[8:9], v[68:69]
	v_cvt_f32_f64_e32 v82, v[82:83]
	v_cvt_f32_f64_e32 v80, v[80:81]
	v_min3_f32 v150, v82, v80, v150
	v_add_f64 v[80:81], v[6:7], v[70:71]
	v_add_f64 v[82:83], v[4:5], v[68:69]
	;; [unrolled: 1-line block ×4, first 2 shown]
	v_cvt_f32_f64_e32 v68, v[68:69]
	v_cvt_f32_f64_e32 v69, v[70:71]
	v_min3_f32 v148, v68, v69, v148
	v_add_f64 v[68:69], v[14:15], v[74:75]
	v_add_f64 v[70:71], v[12:13], v[72:73]
	v_cvt_f32_f64_e32 v70, v[70:71]
	v_cvt_f32_f64_e32 v68, v[68:69]
	v_min3_f32 v147, v70, v68, v147
	v_add_f64 v[68:69], v[10:11], v[74:75]
	v_add_f64 v[70:71], v[8:9], v[72:73]
	;; [unrolled: 5-line block ×4, first 2 shown]
	v_cvt_f32_f64_e32 v70, v[70:71]
	v_cvt_f32_f64_e32 v68, v[68:69]
	v_min3_f32 v142, v70, v68, v142
	s_waitcnt lgkmcnt(13)
	v_add_f64 v[68:69], v[14:15], v[78:79]
	v_add_f64 v[70:71], v[12:13], v[76:77]
	v_cvt_f32_f64_e32 v70, v[70:71]
	v_cvt_f32_f64_e32 v68, v[68:69]
	v_min3_f32 v141, v70, v68, v141
	v_add_f64 v[68:69], v[10:11], v[78:79]
	v_add_f64 v[70:71], v[8:9], v[76:77]
	v_cvt_f32_f64_e32 v70, v[70:71]
	v_cvt_f32_f64_e32 v68, v[68:69]
	v_min3_f32 v140, v70, v68, v140
	v_add_f64 v[68:69], v[6:7], v[78:79]
	v_add_f64 v[70:71], v[4:5], v[76:77]
	v_cvt_f32_f64_e32 v70, v[70:71]
	v_cvt_f32_f64_e32 v68, v[68:69]
	v_min3_f32 v139, v70, v68, v139
	v_add_f64 v[68:69], v[2:3], v[78:79]
	v_add_f64 v[70:71], v[0:1], v[76:77]
	v_cvt_f32_f64_e32 v70, v[70:71]
	v_cvt_f32_f64_e32 v68, v[68:69]
	v_min3_f32 v138, v70, v68, v138
	s_waitcnt lgkmcnt(12)
	v_add_f64 v[68:69], v[14:15], v[66:67]
	v_add_f64 v[70:71], v[12:13], v[64:65]
	v_cvt_f32_f64_e32 v70, v[70:71]
	v_cvt_f32_f64_e32 v68, v[68:69]
	v_min3_f32 v137, v70, v68, v137
	v_add_f64 v[68:69], v[10:11], v[66:67]
	v_add_f64 v[70:71], v[8:9], v[64:65]
	v_cvt_f32_f64_e32 v70, v[70:71]
	v_cvt_f32_f64_e32 v68, v[68:69]
	v_min3_f32 v136, v70, v68, v136
	v_add_f64 v[68:69], v[6:7], v[66:67]
	v_add_f64 v[70:71], v[4:5], v[64:65]
	v_add_f64 v[66:67], v[2:3], v[66:67]
	v_add_f64 v[64:65], v[0:1], v[64:65]
	v_cvt_f32_f64_e32 v64, v[64:65]
	v_cvt_f32_f64_e32 v65, v[66:67]
	v_min3_f32 v134, v64, v65, v134
	s_waitcnt lgkmcnt(11)
	v_add_f64 v[64:65], v[14:15], v[62:63]
	v_add_f64 v[66:67], v[12:13], v[60:61]
	v_cvt_f32_f64_e32 v66, v[66:67]
	v_cvt_f32_f64_e32 v64, v[64:65]
	v_min3_f32 v133, v66, v64, v133
	v_add_f64 v[64:65], v[10:11], v[62:63]
	v_add_f64 v[66:67], v[8:9], v[60:61]
	v_cvt_f32_f64_e32 v66, v[66:67]
	v_cvt_f32_f64_e32 v64, v[64:65]
	v_min3_f32 v132, v66, v64, v132
	v_add_f64 v[64:65], v[6:7], v[62:63]
	v_add_f64 v[66:67], v[4:5], v[60:61]
	v_add_f64 v[62:63], v[2:3], v[62:63]
	v_add_f64 v[60:61], v[0:1], v[60:61]
	v_cvt_f32_f64_e32 v60, v[60:61]
	v_cvt_f32_f64_e32 v61, v[62:63]
	v_min3_f32 v130, v60, v61, v130
	;; [unrolled: 18-line block ×11, first 2 shown]
	s_waitcnt lgkmcnt(1)
	v_add_f64 v[24:25], v[14:15], v[22:23]
	v_add_f64 v[26:27], v[12:13], v[20:21]
	v_cvt_f32_f64_e32 v26, v[26:27]
	v_cvt_f32_f64_e32 v24, v[24:25]
	v_min3_f32 v93, v26, v24, v93
	v_add_f64 v[24:25], v[10:11], v[22:23]
	v_add_f64 v[26:27], v[8:9], v[20:21]
	v_cvt_f32_f64_e32 v26, v[26:27]
	v_cvt_f32_f64_e32 v24, v[24:25]
	v_min3_f32 v92, v26, v24, v92
	v_add_f64 v[24:25], v[6:7], v[22:23]
	v_add_f64 v[26:27], v[4:5], v[20:21]
	v_add_f64 v[22:23], v[2:3], v[22:23]
	v_add_f64 v[20:21], v[0:1], v[20:21]
	s_waitcnt lgkmcnt(0)
	v_add_f64 v[14:15], v[14:15], v[18:19]
	v_add_f64 v[12:13], v[12:13], v[16:17]
	;; [unrolled: 1-line block ×8, first 2 shown]
	v_cvt_f32_f64_e32 v82, v[82:83]
	v_cvt_f32_f64_e32 v80, v[80:81]
	;; [unrolled: 1-line block ×36, first 2 shown]
	v_min3_f32 v149, v82, v80, v149
	v_min3_f32 v135, v70, v68, v135
	v_min3_f32 v131, v66, v64, v131
	v_min3_f32 v127, v62, v60, v127
	v_min3_f32 v123, v58, v56, v123
	v_min3_f32 v119, v54, v52, v119
	v_min3_f32 v115, v50, v48, v115
	v_min3_f32 v111, v46, v44, v111
	v_min3_f32 v107, v42, v40, v107
	v_min3_f32 v103, v38, v36, v103
	v_min3_f32 v99, v34, v32, v99
	v_min3_f32 v95, v30, v28, v95
	v_min3_f32 v91, v26, v24, v91
	v_min3_f32 v90, v20, v21, v90
	v_min3_f32 v89, v12, v13, v89
	v_min3_f32 v88, v8, v9, v88
	v_min3_f32 v87, v4, v5, v87
	v_min3_f32 v86, v0, v1, v86
	s_mov_b32 s4, 2
	s_mov_b64 s[2:3], 0
	s_cbranch_vccz .LBB111_36
; %bb.37:
	s_load_dwordx2 s[2:3], s[0:1], 0x78
	s_load_dword s16, s[0:1], 0x58
	s_load_dword s17, s[0:1], 0x70
	v_add_u32_e32 v4, s10, v143
	v_add_u32_e32 v18, s11, v144
	s_waitcnt lgkmcnt(0)
	s_lshl_b64 s[0:1], s[2:3], 3
	s_add_u32 s0, s8, s0
	s_addc_u32 s1, s9, s1
	v_add_u32_e32 v0, 32, v4
	v_mad_i64_i32 v[2:3], s[2:3], v18, s17, 0
	v_ashrrev_i32_e32 v5, 31, v4
	v_ashrrev_i32_e32 v1, 31, v0
	v_lshl_add_u64 v[12:13], v[2:3], 3, s[0:1]
	v_mad_i64_i32 v[2:3], s[2:3], v18, s16, 0
	v_max_f32_e32 v6, v151, v151
	s_mov_b64 vcc, s[6:7]
	s_cbranch_vccz .LBB111_40
; %bb.38:
	v_min_f32_e32 v7, 0, v6
	v_cvt_f64_f32_e32 v[8:9], v7
	v_lshl_add_u64 v[10:11], v[4:5], 3, v[12:13]
	global_store_dwordx2 v[10:11], v[8:9], off
	s_mov_b64 s[2:3], 0
	v_lshl_add_u64 v[14:15], v[2:3], 3, s[14:15]
	v_lshlrev_b64 v[8:9], 3, v[4:5]
	s_cbranch_execz .LBB111_41
; %bb.39:
	v_mov_b64_e32 v[10:11], s[2:3]
	s_branch .LBB111_42
.LBB111_40:
                                        ; implicit-def: $sgpr2_sgpr3
	v_lshl_add_u64 v[14:15], v[2:3], 3, s[14:15]
	v_lshlrev_b64 v[8:9], 3, v[4:5]
.LBB111_41:
	v_lshl_add_u64 v[2:3], v[14:15], 0, v[8:9]
	flat_load_dwordx2 v[2:3], v[2:3]
	v_lshl_add_u64 v[10:11], v[12:13], 0, v[8:9]
	s_waitcnt vmcnt(0) lgkmcnt(0)
	v_mul_f64 v[2:3], s[12:13], v[2:3]
	v_cvt_f32_f64_e32 v2, v[2:3]
	v_min_f32_e32 v2, v2, v6
	v_cvt_f64_f32_e32 v[2:3], v2
	global_store_dwordx2 v[10:11], v[2:3], off
	v_lshl_add_u64 v[2:3], v[0:1], 3, v[14:15]
	flat_load_dwordx2 v[2:3], v[2:3]
	s_waitcnt vmcnt(0) lgkmcnt(0)
	v_mul_f64 v[10:11], s[12:13], v[2:3]
.LBB111_42:
	v_cvt_f32_f64_e32 v10, v[10:11]
	v_max_f32_e32 v11, v150, v150
	v_min_f32_e32 v10, v10, v11
	v_add_u32_e32 v6, 64, v4
	v_add_u32_e32 v2, 0x60, v4
	v_cvt_f64_f32_e32 v[10:11], v10
	v_lshl_add_u64 v[16:17], v[0:1], 3, v[12:13]
	v_ashrrev_i32_e32 v7, 31, v6
	v_ashrrev_i32_e32 v3, 31, v2
	global_store_dwordx2 v[16:17], v[10:11], off
	v_max_f32_e32 v16, v149, v149
	s_mov_b64 vcc, s[6:7]
	s_cbranch_vccz .LBB111_45
; %bb.43:
	v_min_f32_e32 v10, 0, v16
	v_cvt_f64_f32_e32 v[10:11], v10
	v_lshl_add_u64 v[20:21], v[6:7], 3, v[12:13]
	global_store_dwordx2 v[20:21], v[10:11], off
	s_mov_b64 s[2:3], 0
	v_lshlrev_b64 v[10:11], 3, v[6:7]
	s_cbranch_execz .LBB111_46
; %bb.44:
	v_mov_b64_e32 v[14:15], s[2:3]
	s_branch .LBB111_47
.LBB111_45:
                                        ; implicit-def: $sgpr2_sgpr3
	v_lshlrev_b64 v[10:11], 3, v[6:7]
.LBB111_46:
	v_lshl_add_u64 v[20:21], v[14:15], 0, v[10:11]
	flat_load_dwordx2 v[20:21], v[20:21]
	v_lshl_add_u64 v[22:23], v[12:13], 0, v[10:11]
	v_lshl_add_u64 v[14:15], v[2:3], 3, v[14:15]
	s_waitcnt vmcnt(0) lgkmcnt(0)
	v_mul_f64 v[20:21], s[12:13], v[20:21]
	v_cvt_f32_f64_e32 v17, v[20:21]
	v_min_f32_e32 v16, v17, v16
	v_cvt_f64_f32_e32 v[16:17], v16
	global_store_dwordx2 v[22:23], v[16:17], off
	flat_load_dwordx2 v[14:15], v[14:15]
	s_waitcnt vmcnt(0) lgkmcnt(0)
	v_mul_f64 v[14:15], s[12:13], v[14:15]
.LBB111_47:
	v_cvt_f32_f64_e32 v14, v[14:15]
	v_max_f32_e32 v15, v148, v148
	v_min_f32_e32 v14, v14, v15
	v_cvt_f64_f32_e32 v[14:15], v14
	v_lshl_add_u64 v[12:13], v[2:3], 3, v[12:13]
	global_store_dwordx2 v[12:13], v[14:15], off
	v_add_u32_e32 v14, 8, v18
	v_mad_i64_i32 v[12:13], s[2:3], v14, s17, 0
	v_lshl_add_u64 v[12:13], v[12:13], 3, s[0:1]
	v_mad_i64_i32 v[14:15], s[2:3], v14, s16, 0
	v_max_f32_e32 v16, v147, v147
	s_mov_b64 vcc, s[6:7]
	s_cbranch_vccz .LBB111_50
; %bb.48:
	v_min_f32_e32 v17, 0, v16
	v_cvt_f64_f32_e32 v[20:21], v17
	v_lshl_add_u64 v[22:23], v[4:5], 3, v[12:13]
	global_store_dwordx2 v[22:23], v[20:21], off
	s_mov_b64 s[2:3], 0
	v_lshl_add_u64 v[14:15], v[14:15], 3, s[14:15]
	s_cbranch_execz .LBB111_51
; %bb.49:
	v_mov_b64_e32 v[16:17], s[2:3]
	s_branch .LBB111_52
.LBB111_50:
                                        ; implicit-def: $sgpr2_sgpr3
	v_lshl_add_u64 v[14:15], v[14:15], 3, s[14:15]
.LBB111_51:
	v_lshl_add_u64 v[20:21], v[14:15], 0, v[8:9]
	flat_load_dwordx2 v[20:21], v[20:21]
	v_lshl_add_u64 v[22:23], v[12:13], 0, v[8:9]
	s_waitcnt vmcnt(0) lgkmcnt(0)
	v_mul_f64 v[20:21], s[12:13], v[20:21]
	v_cvt_f32_f64_e32 v17, v[20:21]
	v_min_f32_e32 v16, v17, v16
	v_cvt_f64_f32_e32 v[16:17], v16
	global_store_dwordx2 v[22:23], v[16:17], off
	v_lshl_add_u64 v[16:17], v[0:1], 3, v[14:15]
	flat_load_dwordx2 v[16:17], v[16:17]
	s_waitcnt vmcnt(0) lgkmcnt(0)
	v_mul_f64 v[16:17], s[12:13], v[16:17]
.LBB111_52:
	v_cvt_f32_f64_e32 v16, v[16:17]
	v_max_f32_e32 v17, v146, v146
	v_min_f32_e32 v16, v16, v17
	v_cvt_f64_f32_e32 v[16:17], v16
	v_lshl_add_u64 v[20:21], v[0:1], 3, v[12:13]
	global_store_dwordx2 v[20:21], v[16:17], off
	v_max_f32_e32 v16, v145, v145
	s_mov_b64 vcc, s[6:7]
	s_cbranch_vccz .LBB111_55
; %bb.53:
	v_min_f32_e32 v17, 0, v16
	v_cvt_f64_f32_e32 v[20:21], v17
	v_lshl_add_u64 v[22:23], v[6:7], 3, v[12:13]
	global_store_dwordx2 v[22:23], v[20:21], off
	s_mov_b64 s[2:3], 0
	s_cbranch_execz .LBB111_56
; %bb.54:
	v_mov_b64_e32 v[14:15], s[2:3]
	s_branch .LBB111_57
.LBB111_55:
                                        ; implicit-def: $sgpr2_sgpr3
.LBB111_56:
	v_lshl_add_u64 v[20:21], v[14:15], 0, v[10:11]
	flat_load_dwordx2 v[20:21], v[20:21]
	v_lshl_add_u64 v[22:23], v[12:13], 0, v[10:11]
	v_lshl_add_u64 v[14:15], v[2:3], 3, v[14:15]
	s_waitcnt vmcnt(0) lgkmcnt(0)
	v_mul_f64 v[20:21], s[12:13], v[20:21]
	v_cvt_f32_f64_e32 v17, v[20:21]
	v_min_f32_e32 v16, v17, v16
	v_cvt_f64_f32_e32 v[16:17], v16
	global_store_dwordx2 v[22:23], v[16:17], off
	flat_load_dwordx2 v[14:15], v[14:15]
	s_waitcnt vmcnt(0) lgkmcnt(0)
	v_mul_f64 v[14:15], s[12:13], v[14:15]
.LBB111_57:
	v_cvt_f32_f64_e32 v14, v[14:15]
	v_max_f32_e32 v15, v142, v142
	v_min_f32_e32 v14, v14, v15
	v_cvt_f64_f32_e32 v[14:15], v14
	v_lshl_add_u64 v[12:13], v[2:3], 3, v[12:13]
	global_store_dwordx2 v[12:13], v[14:15], off
	v_add_u32_e32 v14, 16, v18
	v_mad_i64_i32 v[12:13], s[2:3], v14, s17, 0
	v_lshl_add_u64 v[12:13], v[12:13], 3, s[0:1]
	v_mad_i64_i32 v[14:15], s[2:3], v14, s16, 0
	v_max_f32_e32 v16, v141, v141
	s_mov_b64 vcc, s[6:7]
	s_cbranch_vccz .LBB111_60
; %bb.58:
	v_min_f32_e32 v17, 0, v16
	v_cvt_f64_f32_e32 v[20:21], v17
	v_lshl_add_u64 v[22:23], v[4:5], 3, v[12:13]
	global_store_dwordx2 v[22:23], v[20:21], off
	s_mov_b64 s[2:3], 0
	v_lshl_add_u64 v[14:15], v[14:15], 3, s[14:15]
	s_cbranch_execz .LBB111_61
; %bb.59:
	v_mov_b64_e32 v[16:17], s[2:3]
	s_branch .LBB111_62
.LBB111_60:
                                        ; implicit-def: $sgpr2_sgpr3
	v_lshl_add_u64 v[14:15], v[14:15], 3, s[14:15]
.LBB111_61:
	v_lshl_add_u64 v[20:21], v[14:15], 0, v[8:9]
	flat_load_dwordx2 v[20:21], v[20:21]
	v_lshl_add_u64 v[22:23], v[12:13], 0, v[8:9]
	s_waitcnt vmcnt(0) lgkmcnt(0)
	v_mul_f64 v[20:21], s[12:13], v[20:21]
	v_cvt_f32_f64_e32 v17, v[20:21]
	v_min_f32_e32 v16, v17, v16
	v_cvt_f64_f32_e32 v[16:17], v16
	global_store_dwordx2 v[22:23], v[16:17], off
	v_lshl_add_u64 v[16:17], v[0:1], 3, v[14:15]
	flat_load_dwordx2 v[16:17], v[16:17]
	s_waitcnt vmcnt(0) lgkmcnt(0)
	v_mul_f64 v[16:17], s[12:13], v[16:17]
.LBB111_62:
	v_cvt_f32_f64_e32 v16, v[16:17]
	v_max_f32_e32 v17, v140, v140
	v_min_f32_e32 v16, v16, v17
	v_cvt_f64_f32_e32 v[16:17], v16
	v_lshl_add_u64 v[20:21], v[0:1], 3, v[12:13]
	global_store_dwordx2 v[20:21], v[16:17], off
	v_max_f32_e32 v16, v139, v139
	s_mov_b64 vcc, s[6:7]
	s_cbranch_vccz .LBB111_65
; %bb.63:
	v_min_f32_e32 v17, 0, v16
	v_cvt_f64_f32_e32 v[20:21], v17
	v_lshl_add_u64 v[22:23], v[6:7], 3, v[12:13]
	global_store_dwordx2 v[22:23], v[20:21], off
	s_mov_b64 s[2:3], 0
	s_cbranch_execz .LBB111_66
; %bb.64:
	v_mov_b64_e32 v[14:15], s[2:3]
	s_branch .LBB111_67
.LBB111_65:
                                        ; implicit-def: $sgpr2_sgpr3
.LBB111_66:
	v_lshl_add_u64 v[20:21], v[14:15], 0, v[10:11]
	flat_load_dwordx2 v[20:21], v[20:21]
	v_lshl_add_u64 v[22:23], v[12:13], 0, v[10:11]
	v_lshl_add_u64 v[14:15], v[2:3], 3, v[14:15]
	s_waitcnt vmcnt(0) lgkmcnt(0)
	v_mul_f64 v[20:21], s[12:13], v[20:21]
	v_cvt_f32_f64_e32 v17, v[20:21]
	v_min_f32_e32 v16, v17, v16
	v_cvt_f64_f32_e32 v[16:17], v16
	global_store_dwordx2 v[22:23], v[16:17], off
	flat_load_dwordx2 v[14:15], v[14:15]
	s_waitcnt vmcnt(0) lgkmcnt(0)
	v_mul_f64 v[14:15], s[12:13], v[14:15]
.LBB111_67:
	v_cvt_f32_f64_e32 v14, v[14:15]
	v_max_f32_e32 v15, v138, v138
	v_min_f32_e32 v14, v14, v15
	v_cvt_f64_f32_e32 v[14:15], v14
	v_lshl_add_u64 v[12:13], v[2:3], 3, v[12:13]
	global_store_dwordx2 v[12:13], v[14:15], off
	v_add_u32_e32 v14, 24, v18
	v_mad_i64_i32 v[12:13], s[2:3], v14, s17, 0
	v_lshl_add_u64 v[12:13], v[12:13], 3, s[0:1]
	v_mad_i64_i32 v[14:15], s[2:3], v14, s16, 0
	v_max_f32_e32 v16, v137, v137
	s_mov_b64 vcc, s[6:7]
	s_cbranch_vccz .LBB111_70
; %bb.68:
	v_min_f32_e32 v17, 0, v16
	v_cvt_f64_f32_e32 v[20:21], v17
	v_lshl_add_u64 v[22:23], v[4:5], 3, v[12:13]
	global_store_dwordx2 v[22:23], v[20:21], off
	s_mov_b64 s[2:3], 0
	v_lshl_add_u64 v[14:15], v[14:15], 3, s[14:15]
	s_cbranch_execz .LBB111_71
; %bb.69:
	v_mov_b64_e32 v[16:17], s[2:3]
	s_branch .LBB111_72
.LBB111_70:
                                        ; implicit-def: $sgpr2_sgpr3
	v_lshl_add_u64 v[14:15], v[14:15], 3, s[14:15]
.LBB111_71:
	v_lshl_add_u64 v[20:21], v[14:15], 0, v[8:9]
	flat_load_dwordx2 v[20:21], v[20:21]
	v_lshl_add_u64 v[22:23], v[12:13], 0, v[8:9]
	s_waitcnt vmcnt(0) lgkmcnt(0)
	v_mul_f64 v[20:21], s[12:13], v[20:21]
	v_cvt_f32_f64_e32 v17, v[20:21]
	v_min_f32_e32 v16, v17, v16
	v_cvt_f64_f32_e32 v[16:17], v16
	global_store_dwordx2 v[22:23], v[16:17], off
	v_lshl_add_u64 v[16:17], v[0:1], 3, v[14:15]
	flat_load_dwordx2 v[16:17], v[16:17]
	s_waitcnt vmcnt(0) lgkmcnt(0)
	v_mul_f64 v[16:17], s[12:13], v[16:17]
.LBB111_72:
	v_cvt_f32_f64_e32 v16, v[16:17]
	v_max_f32_e32 v17, v136, v136
	v_min_f32_e32 v16, v16, v17
	v_cvt_f64_f32_e32 v[16:17], v16
	v_lshl_add_u64 v[20:21], v[0:1], 3, v[12:13]
	global_store_dwordx2 v[20:21], v[16:17], off
	v_max_f32_e32 v16, v135, v135
	s_mov_b64 vcc, s[6:7]
	s_cbranch_vccz .LBB111_75
; %bb.73:
	v_min_f32_e32 v17, 0, v16
	v_cvt_f64_f32_e32 v[20:21], v17
	v_lshl_add_u64 v[22:23], v[6:7], 3, v[12:13]
	global_store_dwordx2 v[22:23], v[20:21], off
	s_mov_b64 s[2:3], 0
	s_cbranch_execz .LBB111_76
; %bb.74:
	v_mov_b64_e32 v[14:15], s[2:3]
	s_branch .LBB111_77
.LBB111_75:
                                        ; implicit-def: $sgpr2_sgpr3
.LBB111_76:
	v_lshl_add_u64 v[20:21], v[14:15], 0, v[10:11]
	flat_load_dwordx2 v[20:21], v[20:21]
	v_lshl_add_u64 v[22:23], v[12:13], 0, v[10:11]
	v_lshl_add_u64 v[14:15], v[2:3], 3, v[14:15]
	s_waitcnt vmcnt(0) lgkmcnt(0)
	v_mul_f64 v[20:21], s[12:13], v[20:21]
	v_cvt_f32_f64_e32 v17, v[20:21]
	v_min_f32_e32 v16, v17, v16
	v_cvt_f64_f32_e32 v[16:17], v16
	global_store_dwordx2 v[22:23], v[16:17], off
	flat_load_dwordx2 v[14:15], v[14:15]
	s_waitcnt vmcnt(0) lgkmcnt(0)
	v_mul_f64 v[14:15], s[12:13], v[14:15]
.LBB111_77:
	v_cvt_f32_f64_e32 v14, v[14:15]
	v_max_f32_e32 v15, v134, v134
	v_min_f32_e32 v14, v14, v15
	v_cvt_f64_f32_e32 v[14:15], v14
	v_lshl_add_u64 v[12:13], v[2:3], 3, v[12:13]
	global_store_dwordx2 v[12:13], v[14:15], off
	v_add_u32_e32 v14, 32, v18
	v_mad_i64_i32 v[12:13], s[2:3], v14, s17, 0
	v_lshl_add_u64 v[12:13], v[12:13], 3, s[0:1]
	v_mad_i64_i32 v[14:15], s[2:3], v14, s16, 0
	v_max_f32_e32 v16, v133, v133
	s_mov_b64 vcc, s[6:7]
	s_cbranch_vccz .LBB111_80
; %bb.78:
	v_min_f32_e32 v17, 0, v16
	v_cvt_f64_f32_e32 v[20:21], v17
	v_lshl_add_u64 v[22:23], v[4:5], 3, v[12:13]
	global_store_dwordx2 v[22:23], v[20:21], off
	s_mov_b64 s[2:3], 0
	v_lshl_add_u64 v[14:15], v[14:15], 3, s[14:15]
	s_cbranch_execz .LBB111_81
; %bb.79:
	v_mov_b64_e32 v[16:17], s[2:3]
	s_branch .LBB111_82
.LBB111_80:
                                        ; implicit-def: $sgpr2_sgpr3
	v_lshl_add_u64 v[14:15], v[14:15], 3, s[14:15]
.LBB111_81:
	v_lshl_add_u64 v[20:21], v[14:15], 0, v[8:9]
	flat_load_dwordx2 v[20:21], v[20:21]
	v_lshl_add_u64 v[22:23], v[12:13], 0, v[8:9]
	s_waitcnt vmcnt(0) lgkmcnt(0)
	v_mul_f64 v[20:21], s[12:13], v[20:21]
	v_cvt_f32_f64_e32 v17, v[20:21]
	v_min_f32_e32 v16, v17, v16
	v_cvt_f64_f32_e32 v[16:17], v16
	global_store_dwordx2 v[22:23], v[16:17], off
	v_lshl_add_u64 v[16:17], v[0:1], 3, v[14:15]
	flat_load_dwordx2 v[16:17], v[16:17]
	s_waitcnt vmcnt(0) lgkmcnt(0)
	v_mul_f64 v[16:17], s[12:13], v[16:17]
.LBB111_82:
	v_cvt_f32_f64_e32 v16, v[16:17]
	v_max_f32_e32 v17, v132, v132
	v_min_f32_e32 v16, v16, v17
	v_cvt_f64_f32_e32 v[16:17], v16
	v_lshl_add_u64 v[20:21], v[0:1], 3, v[12:13]
	global_store_dwordx2 v[20:21], v[16:17], off
	v_max_f32_e32 v16, v131, v131
	s_mov_b64 vcc, s[6:7]
	s_cbranch_vccz .LBB111_85
; %bb.83:
	v_min_f32_e32 v17, 0, v16
	v_cvt_f64_f32_e32 v[20:21], v17
	v_lshl_add_u64 v[22:23], v[6:7], 3, v[12:13]
	global_store_dwordx2 v[22:23], v[20:21], off
	s_mov_b64 s[2:3], 0
	s_cbranch_execz .LBB111_86
; %bb.84:
	v_mov_b64_e32 v[14:15], s[2:3]
	s_branch .LBB111_87
.LBB111_85:
                                        ; implicit-def: $sgpr2_sgpr3
.LBB111_86:
	v_lshl_add_u64 v[20:21], v[14:15], 0, v[10:11]
	flat_load_dwordx2 v[20:21], v[20:21]
	v_lshl_add_u64 v[22:23], v[12:13], 0, v[10:11]
	v_lshl_add_u64 v[14:15], v[2:3], 3, v[14:15]
	s_waitcnt vmcnt(0) lgkmcnt(0)
	v_mul_f64 v[20:21], s[12:13], v[20:21]
	v_cvt_f32_f64_e32 v17, v[20:21]
	v_min_f32_e32 v16, v17, v16
	v_cvt_f64_f32_e32 v[16:17], v16
	global_store_dwordx2 v[22:23], v[16:17], off
	flat_load_dwordx2 v[14:15], v[14:15]
	s_waitcnt vmcnt(0) lgkmcnt(0)
	v_mul_f64 v[14:15], s[12:13], v[14:15]
.LBB111_87:
	v_cvt_f32_f64_e32 v14, v[14:15]
	v_max_f32_e32 v15, v130, v130
	v_min_f32_e32 v14, v14, v15
	v_cvt_f64_f32_e32 v[14:15], v14
	v_lshl_add_u64 v[12:13], v[2:3], 3, v[12:13]
	global_store_dwordx2 v[12:13], v[14:15], off
	v_add_u32_e32 v14, 40, v18
	v_mad_i64_i32 v[12:13], s[2:3], v14, s17, 0
	v_lshl_add_u64 v[12:13], v[12:13], 3, s[0:1]
	v_mad_i64_i32 v[14:15], s[2:3], v14, s16, 0
	v_max_f32_e32 v16, v129, v129
	s_mov_b64 vcc, s[6:7]
	s_cbranch_vccz .LBB111_90
; %bb.88:
	v_min_f32_e32 v17, 0, v16
	v_cvt_f64_f32_e32 v[20:21], v17
	v_lshl_add_u64 v[22:23], v[4:5], 3, v[12:13]
	global_store_dwordx2 v[22:23], v[20:21], off
	s_mov_b64 s[2:3], 0
	v_lshl_add_u64 v[14:15], v[14:15], 3, s[14:15]
	s_cbranch_execz .LBB111_91
; %bb.89:
	v_mov_b64_e32 v[16:17], s[2:3]
	s_branch .LBB111_92
.LBB111_90:
                                        ; implicit-def: $sgpr2_sgpr3
	v_lshl_add_u64 v[14:15], v[14:15], 3, s[14:15]
.LBB111_91:
	v_lshl_add_u64 v[20:21], v[14:15], 0, v[8:9]
	flat_load_dwordx2 v[20:21], v[20:21]
	v_lshl_add_u64 v[22:23], v[12:13], 0, v[8:9]
	s_waitcnt vmcnt(0) lgkmcnt(0)
	v_mul_f64 v[20:21], s[12:13], v[20:21]
	v_cvt_f32_f64_e32 v17, v[20:21]
	v_min_f32_e32 v16, v17, v16
	v_cvt_f64_f32_e32 v[16:17], v16
	global_store_dwordx2 v[22:23], v[16:17], off
	v_lshl_add_u64 v[16:17], v[0:1], 3, v[14:15]
	flat_load_dwordx2 v[16:17], v[16:17]
	s_waitcnt vmcnt(0) lgkmcnt(0)
	v_mul_f64 v[16:17], s[12:13], v[16:17]
.LBB111_92:
	v_cvt_f32_f64_e32 v16, v[16:17]
	v_max_f32_e32 v17, v128, v128
	v_min_f32_e32 v16, v16, v17
	v_cvt_f64_f32_e32 v[16:17], v16
	v_lshl_add_u64 v[20:21], v[0:1], 3, v[12:13]
	global_store_dwordx2 v[20:21], v[16:17], off
	v_max_f32_e32 v16, v127, v127
	s_mov_b64 vcc, s[6:7]
	s_cbranch_vccz .LBB111_95
; %bb.93:
	v_min_f32_e32 v17, 0, v16
	v_cvt_f64_f32_e32 v[20:21], v17
	v_lshl_add_u64 v[22:23], v[6:7], 3, v[12:13]
	global_store_dwordx2 v[22:23], v[20:21], off
	s_mov_b64 s[2:3], 0
	s_cbranch_execz .LBB111_96
; %bb.94:
	v_mov_b64_e32 v[14:15], s[2:3]
	s_branch .LBB111_97
.LBB111_95:
                                        ; implicit-def: $sgpr2_sgpr3
.LBB111_96:
	v_lshl_add_u64 v[20:21], v[14:15], 0, v[10:11]
	flat_load_dwordx2 v[20:21], v[20:21]
	v_lshl_add_u64 v[22:23], v[12:13], 0, v[10:11]
	v_lshl_add_u64 v[14:15], v[2:3], 3, v[14:15]
	s_waitcnt vmcnt(0) lgkmcnt(0)
	v_mul_f64 v[20:21], s[12:13], v[20:21]
	v_cvt_f32_f64_e32 v17, v[20:21]
	v_min_f32_e32 v16, v17, v16
	v_cvt_f64_f32_e32 v[16:17], v16
	global_store_dwordx2 v[22:23], v[16:17], off
	flat_load_dwordx2 v[14:15], v[14:15]
	s_waitcnt vmcnt(0) lgkmcnt(0)
	v_mul_f64 v[14:15], s[12:13], v[14:15]
.LBB111_97:
	v_cvt_f32_f64_e32 v14, v[14:15]
	v_max_f32_e32 v15, v126, v126
	v_min_f32_e32 v14, v14, v15
	v_cvt_f64_f32_e32 v[14:15], v14
	v_lshl_add_u64 v[12:13], v[2:3], 3, v[12:13]
	global_store_dwordx2 v[12:13], v[14:15], off
	v_add_u32_e32 v14, 48, v18
	v_mad_i64_i32 v[12:13], s[2:3], v14, s17, 0
	v_lshl_add_u64 v[12:13], v[12:13], 3, s[0:1]
	v_mad_i64_i32 v[14:15], s[2:3], v14, s16, 0
	v_max_f32_e32 v16, v125, v125
	s_mov_b64 vcc, s[6:7]
	s_cbranch_vccz .LBB111_100
; %bb.98:
	v_min_f32_e32 v17, 0, v16
	v_cvt_f64_f32_e32 v[20:21], v17
	v_lshl_add_u64 v[22:23], v[4:5], 3, v[12:13]
	global_store_dwordx2 v[22:23], v[20:21], off
	s_mov_b64 s[2:3], 0
	v_lshl_add_u64 v[14:15], v[14:15], 3, s[14:15]
	s_cbranch_execz .LBB111_101
; %bb.99:
	v_mov_b64_e32 v[16:17], s[2:3]
	s_branch .LBB111_102
.LBB111_100:
                                        ; implicit-def: $sgpr2_sgpr3
	v_lshl_add_u64 v[14:15], v[14:15], 3, s[14:15]
.LBB111_101:
	v_lshl_add_u64 v[20:21], v[14:15], 0, v[8:9]
	flat_load_dwordx2 v[20:21], v[20:21]
	v_lshl_add_u64 v[22:23], v[12:13], 0, v[8:9]
	s_waitcnt vmcnt(0) lgkmcnt(0)
	v_mul_f64 v[20:21], s[12:13], v[20:21]
	v_cvt_f32_f64_e32 v17, v[20:21]
	v_min_f32_e32 v16, v17, v16
	v_cvt_f64_f32_e32 v[16:17], v16
	global_store_dwordx2 v[22:23], v[16:17], off
	v_lshl_add_u64 v[16:17], v[0:1], 3, v[14:15]
	flat_load_dwordx2 v[16:17], v[16:17]
	s_waitcnt vmcnt(0) lgkmcnt(0)
	v_mul_f64 v[16:17], s[12:13], v[16:17]
.LBB111_102:
	v_cvt_f32_f64_e32 v16, v[16:17]
	v_max_f32_e32 v17, v124, v124
	v_min_f32_e32 v16, v16, v17
	v_cvt_f64_f32_e32 v[16:17], v16
	v_lshl_add_u64 v[20:21], v[0:1], 3, v[12:13]
	global_store_dwordx2 v[20:21], v[16:17], off
	v_max_f32_e32 v16, v123, v123
	s_mov_b64 vcc, s[6:7]
	s_cbranch_vccz .LBB111_105
; %bb.103:
	v_min_f32_e32 v17, 0, v16
	v_cvt_f64_f32_e32 v[20:21], v17
	v_lshl_add_u64 v[22:23], v[6:7], 3, v[12:13]
	global_store_dwordx2 v[22:23], v[20:21], off
	s_mov_b64 s[2:3], 0
	s_cbranch_execz .LBB111_106
; %bb.104:
	v_mov_b64_e32 v[14:15], s[2:3]
	s_branch .LBB111_107
.LBB111_105:
                                        ; implicit-def: $sgpr2_sgpr3
.LBB111_106:
	v_lshl_add_u64 v[20:21], v[14:15], 0, v[10:11]
	flat_load_dwordx2 v[20:21], v[20:21]
	v_lshl_add_u64 v[22:23], v[12:13], 0, v[10:11]
	v_lshl_add_u64 v[14:15], v[2:3], 3, v[14:15]
	s_waitcnt vmcnt(0) lgkmcnt(0)
	v_mul_f64 v[20:21], s[12:13], v[20:21]
	v_cvt_f32_f64_e32 v17, v[20:21]
	v_min_f32_e32 v16, v17, v16
	v_cvt_f64_f32_e32 v[16:17], v16
	global_store_dwordx2 v[22:23], v[16:17], off
	flat_load_dwordx2 v[14:15], v[14:15]
	s_waitcnt vmcnt(0) lgkmcnt(0)
	v_mul_f64 v[14:15], s[12:13], v[14:15]
.LBB111_107:
	v_cvt_f32_f64_e32 v14, v[14:15]
	v_max_f32_e32 v15, v122, v122
	v_min_f32_e32 v14, v14, v15
	v_cvt_f64_f32_e32 v[14:15], v14
	v_lshl_add_u64 v[12:13], v[2:3], 3, v[12:13]
	global_store_dwordx2 v[12:13], v[14:15], off
	v_add_u32_e32 v14, 56, v18
	v_mad_i64_i32 v[12:13], s[2:3], v14, s17, 0
	v_lshl_add_u64 v[12:13], v[12:13], 3, s[0:1]
	v_mad_i64_i32 v[14:15], s[2:3], v14, s16, 0
	v_max_f32_e32 v16, v121, v121
	s_mov_b64 vcc, s[6:7]
	s_cbranch_vccz .LBB111_110
; %bb.108:
	v_min_f32_e32 v17, 0, v16
	v_cvt_f64_f32_e32 v[20:21], v17
	v_lshl_add_u64 v[22:23], v[4:5], 3, v[12:13]
	global_store_dwordx2 v[22:23], v[20:21], off
	s_mov_b64 s[2:3], 0
	v_lshl_add_u64 v[14:15], v[14:15], 3, s[14:15]
	s_cbranch_execz .LBB111_111
; %bb.109:
	v_mov_b64_e32 v[16:17], s[2:3]
	s_branch .LBB111_112
.LBB111_110:
                                        ; implicit-def: $sgpr2_sgpr3
	v_lshl_add_u64 v[14:15], v[14:15], 3, s[14:15]
.LBB111_111:
	v_lshl_add_u64 v[20:21], v[14:15], 0, v[8:9]
	flat_load_dwordx2 v[20:21], v[20:21]
	v_lshl_add_u64 v[22:23], v[12:13], 0, v[8:9]
	s_waitcnt vmcnt(0) lgkmcnt(0)
	v_mul_f64 v[20:21], s[12:13], v[20:21]
	v_cvt_f32_f64_e32 v17, v[20:21]
	v_min_f32_e32 v16, v17, v16
	v_cvt_f64_f32_e32 v[16:17], v16
	global_store_dwordx2 v[22:23], v[16:17], off
	v_lshl_add_u64 v[16:17], v[0:1], 3, v[14:15]
	flat_load_dwordx2 v[16:17], v[16:17]
	s_waitcnt vmcnt(0) lgkmcnt(0)
	v_mul_f64 v[16:17], s[12:13], v[16:17]
.LBB111_112:
	v_cvt_f32_f64_e32 v16, v[16:17]
	v_max_f32_e32 v17, v120, v120
	v_min_f32_e32 v16, v16, v17
	v_cvt_f64_f32_e32 v[16:17], v16
	v_lshl_add_u64 v[20:21], v[0:1], 3, v[12:13]
	global_store_dwordx2 v[20:21], v[16:17], off
	v_max_f32_e32 v16, v119, v119
	s_mov_b64 vcc, s[6:7]
	s_cbranch_vccz .LBB111_115
; %bb.113:
	v_min_f32_e32 v17, 0, v16
	v_cvt_f64_f32_e32 v[20:21], v17
	v_lshl_add_u64 v[22:23], v[6:7], 3, v[12:13]
	global_store_dwordx2 v[22:23], v[20:21], off
	s_mov_b64 s[2:3], 0
	s_cbranch_execz .LBB111_116
; %bb.114:
	v_mov_b64_e32 v[14:15], s[2:3]
	s_branch .LBB111_117
.LBB111_115:
                                        ; implicit-def: $sgpr2_sgpr3
.LBB111_116:
	v_lshl_add_u64 v[20:21], v[14:15], 0, v[10:11]
	flat_load_dwordx2 v[20:21], v[20:21]
	v_lshl_add_u64 v[22:23], v[12:13], 0, v[10:11]
	v_lshl_add_u64 v[14:15], v[2:3], 3, v[14:15]
	s_waitcnt vmcnt(0) lgkmcnt(0)
	v_mul_f64 v[20:21], s[12:13], v[20:21]
	v_cvt_f32_f64_e32 v17, v[20:21]
	v_min_f32_e32 v16, v17, v16
	v_cvt_f64_f32_e32 v[16:17], v16
	global_store_dwordx2 v[22:23], v[16:17], off
	flat_load_dwordx2 v[14:15], v[14:15]
	s_waitcnt vmcnt(0) lgkmcnt(0)
	v_mul_f64 v[14:15], s[12:13], v[14:15]
.LBB111_117:
	v_cvt_f32_f64_e32 v14, v[14:15]
	v_max_f32_e32 v15, v118, v118
	v_min_f32_e32 v14, v14, v15
	v_cvt_f64_f32_e32 v[14:15], v14
	v_lshl_add_u64 v[12:13], v[2:3], 3, v[12:13]
	global_store_dwordx2 v[12:13], v[14:15], off
	v_add_u32_e32 v14, 64, v18
	v_mad_i64_i32 v[12:13], s[2:3], v14, s17, 0
	v_lshl_add_u64 v[12:13], v[12:13], 3, s[0:1]
	v_mad_i64_i32 v[14:15], s[2:3], v14, s16, 0
	v_max_f32_e32 v16, v117, v117
	s_mov_b64 vcc, s[6:7]
	s_cbranch_vccz .LBB111_120
; %bb.118:
	v_min_f32_e32 v17, 0, v16
	v_cvt_f64_f32_e32 v[20:21], v17
	v_lshl_add_u64 v[22:23], v[4:5], 3, v[12:13]
	global_store_dwordx2 v[22:23], v[20:21], off
	s_mov_b64 s[2:3], 0
	v_lshl_add_u64 v[14:15], v[14:15], 3, s[14:15]
	s_cbranch_execz .LBB111_121
; %bb.119:
	v_mov_b64_e32 v[16:17], s[2:3]
	s_branch .LBB111_122
.LBB111_120:
                                        ; implicit-def: $sgpr2_sgpr3
	v_lshl_add_u64 v[14:15], v[14:15], 3, s[14:15]
.LBB111_121:
	v_lshl_add_u64 v[20:21], v[14:15], 0, v[8:9]
	flat_load_dwordx2 v[20:21], v[20:21]
	v_lshl_add_u64 v[22:23], v[12:13], 0, v[8:9]
	s_waitcnt vmcnt(0) lgkmcnt(0)
	v_mul_f64 v[20:21], s[12:13], v[20:21]
	v_cvt_f32_f64_e32 v17, v[20:21]
	v_min_f32_e32 v16, v17, v16
	v_cvt_f64_f32_e32 v[16:17], v16
	global_store_dwordx2 v[22:23], v[16:17], off
	v_lshl_add_u64 v[16:17], v[0:1], 3, v[14:15]
	flat_load_dwordx2 v[16:17], v[16:17]
	s_waitcnt vmcnt(0) lgkmcnt(0)
	v_mul_f64 v[16:17], s[12:13], v[16:17]
.LBB111_122:
	v_cvt_f32_f64_e32 v16, v[16:17]
	v_max_f32_e32 v17, v116, v116
	v_min_f32_e32 v16, v16, v17
	v_cvt_f64_f32_e32 v[16:17], v16
	v_lshl_add_u64 v[20:21], v[0:1], 3, v[12:13]
	global_store_dwordx2 v[20:21], v[16:17], off
	v_max_f32_e32 v16, v115, v115
	s_mov_b64 vcc, s[6:7]
	s_cbranch_vccz .LBB111_125
; %bb.123:
	v_min_f32_e32 v17, 0, v16
	v_cvt_f64_f32_e32 v[20:21], v17
	v_lshl_add_u64 v[22:23], v[6:7], 3, v[12:13]
	global_store_dwordx2 v[22:23], v[20:21], off
	s_mov_b64 s[2:3], 0
	s_cbranch_execz .LBB111_126
; %bb.124:
	v_mov_b64_e32 v[14:15], s[2:3]
	s_branch .LBB111_127
.LBB111_125:
                                        ; implicit-def: $sgpr2_sgpr3
.LBB111_126:
	v_lshl_add_u64 v[20:21], v[14:15], 0, v[10:11]
	flat_load_dwordx2 v[20:21], v[20:21]
	v_lshl_add_u64 v[22:23], v[12:13], 0, v[10:11]
	v_lshl_add_u64 v[14:15], v[2:3], 3, v[14:15]
	s_waitcnt vmcnt(0) lgkmcnt(0)
	v_mul_f64 v[20:21], s[12:13], v[20:21]
	v_cvt_f32_f64_e32 v17, v[20:21]
	v_min_f32_e32 v16, v17, v16
	v_cvt_f64_f32_e32 v[16:17], v16
	global_store_dwordx2 v[22:23], v[16:17], off
	flat_load_dwordx2 v[14:15], v[14:15]
	s_waitcnt vmcnt(0) lgkmcnt(0)
	v_mul_f64 v[14:15], s[12:13], v[14:15]
.LBB111_127:
	v_cvt_f32_f64_e32 v14, v[14:15]
	v_max_f32_e32 v15, v114, v114
	v_min_f32_e32 v14, v14, v15
	v_cvt_f64_f32_e32 v[14:15], v14
	v_lshl_add_u64 v[12:13], v[2:3], 3, v[12:13]
	global_store_dwordx2 v[12:13], v[14:15], off
	v_add_u32_e32 v14, 0x48, v18
	v_mad_i64_i32 v[12:13], s[2:3], v14, s17, 0
	v_lshl_add_u64 v[12:13], v[12:13], 3, s[0:1]
	v_mad_i64_i32 v[14:15], s[2:3], v14, s16, 0
	v_max_f32_e32 v16, v113, v113
	s_mov_b64 vcc, s[6:7]
	s_cbranch_vccz .LBB111_130
; %bb.128:
	v_min_f32_e32 v17, 0, v16
	v_cvt_f64_f32_e32 v[20:21], v17
	v_lshl_add_u64 v[22:23], v[4:5], 3, v[12:13]
	global_store_dwordx2 v[22:23], v[20:21], off
	s_mov_b64 s[2:3], 0
	v_lshl_add_u64 v[14:15], v[14:15], 3, s[14:15]
	s_cbranch_execz .LBB111_131
; %bb.129:
	v_mov_b64_e32 v[16:17], s[2:3]
	s_branch .LBB111_132
.LBB111_130:
                                        ; implicit-def: $sgpr2_sgpr3
	v_lshl_add_u64 v[14:15], v[14:15], 3, s[14:15]
.LBB111_131:
	v_lshl_add_u64 v[20:21], v[14:15], 0, v[8:9]
	flat_load_dwordx2 v[20:21], v[20:21]
	v_lshl_add_u64 v[22:23], v[12:13], 0, v[8:9]
	s_waitcnt vmcnt(0) lgkmcnt(0)
	v_mul_f64 v[20:21], s[12:13], v[20:21]
	v_cvt_f32_f64_e32 v17, v[20:21]
	v_min_f32_e32 v16, v17, v16
	v_cvt_f64_f32_e32 v[16:17], v16
	global_store_dwordx2 v[22:23], v[16:17], off
	v_lshl_add_u64 v[16:17], v[0:1], 3, v[14:15]
	flat_load_dwordx2 v[16:17], v[16:17]
	s_waitcnt vmcnt(0) lgkmcnt(0)
	v_mul_f64 v[16:17], s[12:13], v[16:17]
.LBB111_132:
	v_cvt_f32_f64_e32 v16, v[16:17]
	v_max_f32_e32 v17, v112, v112
	v_min_f32_e32 v16, v16, v17
	v_cvt_f64_f32_e32 v[16:17], v16
	v_lshl_add_u64 v[20:21], v[0:1], 3, v[12:13]
	global_store_dwordx2 v[20:21], v[16:17], off
	v_max_f32_e32 v16, v111, v111
	s_mov_b64 vcc, s[6:7]
	s_cbranch_vccz .LBB111_135
; %bb.133:
	v_min_f32_e32 v17, 0, v16
	v_cvt_f64_f32_e32 v[20:21], v17
	v_lshl_add_u64 v[22:23], v[6:7], 3, v[12:13]
	global_store_dwordx2 v[22:23], v[20:21], off
	s_mov_b64 s[2:3], 0
	s_cbranch_execz .LBB111_136
; %bb.134:
	v_mov_b64_e32 v[14:15], s[2:3]
	s_branch .LBB111_137
.LBB111_135:
                                        ; implicit-def: $sgpr2_sgpr3
.LBB111_136:
	v_lshl_add_u64 v[20:21], v[14:15], 0, v[10:11]
	flat_load_dwordx2 v[20:21], v[20:21]
	v_lshl_add_u64 v[22:23], v[12:13], 0, v[10:11]
	v_lshl_add_u64 v[14:15], v[2:3], 3, v[14:15]
	s_waitcnt vmcnt(0) lgkmcnt(0)
	v_mul_f64 v[20:21], s[12:13], v[20:21]
	v_cvt_f32_f64_e32 v17, v[20:21]
	v_min_f32_e32 v16, v17, v16
	v_cvt_f64_f32_e32 v[16:17], v16
	global_store_dwordx2 v[22:23], v[16:17], off
	flat_load_dwordx2 v[14:15], v[14:15]
	s_waitcnt vmcnt(0) lgkmcnt(0)
	v_mul_f64 v[14:15], s[12:13], v[14:15]
.LBB111_137:
	v_cvt_f32_f64_e32 v14, v[14:15]
	v_max_f32_e32 v15, v110, v110
	v_min_f32_e32 v14, v14, v15
	v_cvt_f64_f32_e32 v[14:15], v14
	v_lshl_add_u64 v[12:13], v[2:3], 3, v[12:13]
	global_store_dwordx2 v[12:13], v[14:15], off
	v_add_u32_e32 v14, 0x50, v18
	v_mad_i64_i32 v[12:13], s[2:3], v14, s17, 0
	v_lshl_add_u64 v[12:13], v[12:13], 3, s[0:1]
	v_mad_i64_i32 v[14:15], s[2:3], v14, s16, 0
	v_max_f32_e32 v16, v109, v109
	s_mov_b64 vcc, s[6:7]
	s_cbranch_vccz .LBB111_140
; %bb.138:
	v_min_f32_e32 v17, 0, v16
	v_cvt_f64_f32_e32 v[20:21], v17
	v_lshl_add_u64 v[22:23], v[4:5], 3, v[12:13]
	global_store_dwordx2 v[22:23], v[20:21], off
	s_mov_b64 s[2:3], 0
	v_lshl_add_u64 v[14:15], v[14:15], 3, s[14:15]
	s_cbranch_execz .LBB111_141
; %bb.139:
	v_mov_b64_e32 v[16:17], s[2:3]
	s_branch .LBB111_142
.LBB111_140:
                                        ; implicit-def: $sgpr2_sgpr3
	v_lshl_add_u64 v[14:15], v[14:15], 3, s[14:15]
.LBB111_141:
	v_lshl_add_u64 v[20:21], v[14:15], 0, v[8:9]
	flat_load_dwordx2 v[20:21], v[20:21]
	v_lshl_add_u64 v[22:23], v[12:13], 0, v[8:9]
	s_waitcnt vmcnt(0) lgkmcnt(0)
	v_mul_f64 v[20:21], s[12:13], v[20:21]
	v_cvt_f32_f64_e32 v17, v[20:21]
	v_min_f32_e32 v16, v17, v16
	v_cvt_f64_f32_e32 v[16:17], v16
	global_store_dwordx2 v[22:23], v[16:17], off
	v_lshl_add_u64 v[16:17], v[0:1], 3, v[14:15]
	flat_load_dwordx2 v[16:17], v[16:17]
	s_waitcnt vmcnt(0) lgkmcnt(0)
	v_mul_f64 v[16:17], s[12:13], v[16:17]
.LBB111_142:
	v_cvt_f32_f64_e32 v16, v[16:17]
	v_max_f32_e32 v17, v108, v108
	v_min_f32_e32 v16, v16, v17
	v_cvt_f64_f32_e32 v[16:17], v16
	v_lshl_add_u64 v[20:21], v[0:1], 3, v[12:13]
	global_store_dwordx2 v[20:21], v[16:17], off
	v_max_f32_e32 v16, v107, v107
	s_mov_b64 vcc, s[6:7]
	s_cbranch_vccz .LBB111_145
; %bb.143:
	v_min_f32_e32 v17, 0, v16
	v_cvt_f64_f32_e32 v[20:21], v17
	v_lshl_add_u64 v[22:23], v[6:7], 3, v[12:13]
	s_mov_b32 s4, 0
	global_store_dwordx2 v[22:23], v[20:21], off
	s_cbranch_execz .LBB111_146
; %bb.144:
	v_mov_b32_e32 v14, s4
	s_branch .LBB111_147
.LBB111_145:
                                        ; implicit-def: $sgpr4
.LBB111_146:
	v_lshl_add_u64 v[20:21], v[14:15], 0, v[10:11]
	flat_load_dwordx2 v[20:21], v[20:21]
	v_lshl_add_u64 v[22:23], v[12:13], 0, v[10:11]
	v_lshl_add_u64 v[14:15], v[2:3], 3, v[14:15]
	s_waitcnt vmcnt(0) lgkmcnt(0)
	v_mul_f64 v[20:21], s[12:13], v[20:21]
	v_cvt_f32_f64_e32 v17, v[20:21]
	v_min_f32_e32 v16, v17, v16
	v_cvt_f64_f32_e32 v[16:17], v16
	global_store_dwordx2 v[22:23], v[16:17], off
	flat_load_dwordx2 v[14:15], v[14:15]
	s_waitcnt vmcnt(0) lgkmcnt(0)
	v_mul_f64 v[14:15], s[12:13], v[14:15]
	v_cvt_f32_f64_e32 v14, v[14:15]
.LBB111_147:
	v_max_f32_e32 v15, v106, v106
	v_max_f32_e32 v14, v14, v14
	v_min_f32_e32 v14, v14, v15
	v_cvt_f64_f32_e32 v[14:15], v14
	v_lshl_add_u64 v[12:13], v[2:3], 3, v[12:13]
	global_store_dwordx2 v[12:13], v[14:15], off
	v_add_u32_e32 v14, 0x58, v18
	v_mad_i64_i32 v[12:13], s[2:3], v14, s17, 0
	v_lshl_add_u64 v[12:13], v[12:13], 3, s[0:1]
	v_mad_i64_i32 v[14:15], s[2:3], v14, s16, 0
	v_max_f32_e32 v16, v105, v105
	s_mov_b64 vcc, s[6:7]
	s_cbranch_vccz .LBB111_150
; %bb.148:
	v_min_f32_e32 v17, 0, v16
	v_cvt_f64_f32_e32 v[20:21], v17
	v_lshl_add_u64 v[22:23], v[4:5], 3, v[12:13]
	s_mov_b32 s4, 0
	global_store_dwordx2 v[22:23], v[20:21], off
	v_lshl_add_u64 v[14:15], v[14:15], 3, s[14:15]
	s_cbranch_execz .LBB111_151
; %bb.149:
	v_mov_b32_e32 v16, s4
	s_branch .LBB111_152
.LBB111_150:
                                        ; implicit-def: $sgpr4
	v_lshl_add_u64 v[14:15], v[14:15], 3, s[14:15]
.LBB111_151:
	v_lshl_add_u64 v[20:21], v[14:15], 0, v[8:9]
	flat_load_dwordx2 v[20:21], v[20:21]
	v_lshl_add_u64 v[22:23], v[12:13], 0, v[8:9]
	s_waitcnt vmcnt(0) lgkmcnt(0)
	v_mul_f64 v[20:21], s[12:13], v[20:21]
	v_cvt_f32_f64_e32 v17, v[20:21]
	v_min_f32_e32 v16, v17, v16
	v_cvt_f64_f32_e32 v[16:17], v16
	global_store_dwordx2 v[22:23], v[16:17], off
	v_lshl_add_u64 v[16:17], v[0:1], 3, v[14:15]
	flat_load_dwordx2 v[16:17], v[16:17]
	s_waitcnt vmcnt(0) lgkmcnt(0)
	v_mul_f64 v[16:17], s[12:13], v[16:17]
	v_cvt_f32_f64_e32 v16, v[16:17]
.LBB111_152:
	v_max_f32_e32 v17, v104, v104
	v_max_f32_e32 v16, v16, v16
	v_min_f32_e32 v16, v16, v17
	v_cvt_f64_f32_e32 v[16:17], v16
	v_lshl_add_u64 v[20:21], v[0:1], 3, v[12:13]
	global_store_dwordx2 v[20:21], v[16:17], off
	v_max_f32_e32 v16, v103, v103
	s_mov_b64 vcc, s[6:7]
	s_cbranch_vccz .LBB111_155
; %bb.153:
	v_min_f32_e32 v17, 0, v16
	v_cvt_f64_f32_e32 v[20:21], v17
	v_lshl_add_u64 v[22:23], v[6:7], 3, v[12:13]
	s_mov_b32 s4, 0
	global_store_dwordx2 v[22:23], v[20:21], off
	s_cbranch_execz .LBB111_156
; %bb.154:
	v_mov_b32_e32 v14, s4
	s_branch .LBB111_157
.LBB111_155:
                                        ; implicit-def: $sgpr4
.LBB111_156:
	v_lshl_add_u64 v[20:21], v[14:15], 0, v[10:11]
	flat_load_dwordx2 v[20:21], v[20:21]
	v_lshl_add_u64 v[22:23], v[12:13], 0, v[10:11]
	v_lshl_add_u64 v[14:15], v[2:3], 3, v[14:15]
	s_waitcnt vmcnt(0) lgkmcnt(0)
	v_mul_f64 v[20:21], s[12:13], v[20:21]
	v_cvt_f32_f64_e32 v17, v[20:21]
	v_min_f32_e32 v16, v17, v16
	v_cvt_f64_f32_e32 v[16:17], v16
	global_store_dwordx2 v[22:23], v[16:17], off
	flat_load_dwordx2 v[14:15], v[14:15]
	s_waitcnt vmcnt(0) lgkmcnt(0)
	v_mul_f64 v[14:15], s[12:13], v[14:15]
	v_cvt_f32_f64_e32 v14, v[14:15]
.LBB111_157:
	v_max_f32_e32 v15, v102, v102
	v_max_f32_e32 v14, v14, v14
	v_min_f32_e32 v14, v14, v15
	v_cvt_f64_f32_e32 v[14:15], v14
	v_lshl_add_u64 v[12:13], v[2:3], 3, v[12:13]
	global_store_dwordx2 v[12:13], v[14:15], off
	v_add_u32_e32 v14, 0x60, v18
	v_mad_i64_i32 v[12:13], s[2:3], v14, s17, 0
	v_lshl_add_u64 v[12:13], v[12:13], 3, s[0:1]
	v_mad_i64_i32 v[14:15], s[2:3], v14, s16, 0
	v_max_f32_e32 v16, v101, v101
	s_mov_b64 vcc, s[6:7]
	s_cbranch_vccz .LBB111_160
; %bb.158:
	v_min_f32_e32 v17, 0, v16
	v_cvt_f64_f32_e32 v[20:21], v17
	v_lshl_add_u64 v[22:23], v[4:5], 3, v[12:13]
	s_mov_b32 s4, 0
	global_store_dwordx2 v[22:23], v[20:21], off
	v_lshl_add_u64 v[14:15], v[14:15], 3, s[14:15]
	s_cbranch_execz .LBB111_161
; %bb.159:
	v_mov_b32_e32 v16, s4
	s_branch .LBB111_162
.LBB111_160:
                                        ; implicit-def: $sgpr4
	v_lshl_add_u64 v[14:15], v[14:15], 3, s[14:15]
.LBB111_161:
	v_lshl_add_u64 v[20:21], v[14:15], 0, v[8:9]
	flat_load_dwordx2 v[20:21], v[20:21]
	v_lshl_add_u64 v[22:23], v[12:13], 0, v[8:9]
	s_waitcnt vmcnt(0) lgkmcnt(0)
	v_mul_f64 v[20:21], s[12:13], v[20:21]
	v_cvt_f32_f64_e32 v17, v[20:21]
	v_min_f32_e32 v16, v17, v16
	v_cvt_f64_f32_e32 v[16:17], v16
	global_store_dwordx2 v[22:23], v[16:17], off
	v_lshl_add_u64 v[16:17], v[0:1], 3, v[14:15]
	flat_load_dwordx2 v[16:17], v[16:17]
	s_waitcnt vmcnt(0) lgkmcnt(0)
	v_mul_f64 v[16:17], s[12:13], v[16:17]
	v_cvt_f32_f64_e32 v16, v[16:17]
.LBB111_162:
	v_max_f32_e32 v17, v100, v100
	v_max_f32_e32 v16, v16, v16
	v_min_f32_e32 v16, v16, v17
	v_cvt_f64_f32_e32 v[16:17], v16
	v_lshl_add_u64 v[20:21], v[0:1], 3, v[12:13]
	global_store_dwordx2 v[20:21], v[16:17], off
	v_max_f32_e32 v16, v99, v99
	s_mov_b64 vcc, s[6:7]
	s_cbranch_vccz .LBB111_165
; %bb.163:
	v_min_f32_e32 v17, 0, v16
	v_cvt_f64_f32_e32 v[20:21], v17
	v_lshl_add_u64 v[22:23], v[6:7], 3, v[12:13]
	s_mov_b32 s4, 0
	global_store_dwordx2 v[22:23], v[20:21], off
	s_cbranch_execz .LBB111_166
; %bb.164:
	v_mov_b32_e32 v14, s4
	s_branch .LBB111_167
.LBB111_165:
                                        ; implicit-def: $sgpr4
.LBB111_166:
	v_lshl_add_u64 v[20:21], v[14:15], 0, v[10:11]
	flat_load_dwordx2 v[20:21], v[20:21]
	v_lshl_add_u64 v[22:23], v[12:13], 0, v[10:11]
	v_lshl_add_u64 v[14:15], v[2:3], 3, v[14:15]
	s_waitcnt vmcnt(0) lgkmcnt(0)
	v_mul_f64 v[20:21], s[12:13], v[20:21]
	v_cvt_f32_f64_e32 v17, v[20:21]
	v_min_f32_e32 v16, v17, v16
	v_cvt_f64_f32_e32 v[16:17], v16
	global_store_dwordx2 v[22:23], v[16:17], off
	flat_load_dwordx2 v[14:15], v[14:15]
	s_waitcnt vmcnt(0) lgkmcnt(0)
	v_mul_f64 v[14:15], s[12:13], v[14:15]
	v_cvt_f32_f64_e32 v14, v[14:15]
.LBB111_167:
	v_max_f32_e32 v15, v98, v98
	v_max_f32_e32 v14, v14, v14
	v_min_f32_e32 v14, v14, v15
	v_cvt_f64_f32_e32 v[14:15], v14
	v_lshl_add_u64 v[12:13], v[2:3], 3, v[12:13]
	global_store_dwordx2 v[12:13], v[14:15], off
	v_add_u32_e32 v14, 0x68, v18
	v_mad_i64_i32 v[12:13], s[2:3], v14, s17, 0
	v_lshl_add_u64 v[12:13], v[12:13], 3, s[0:1]
	v_mad_i64_i32 v[14:15], s[2:3], v14, s16, 0
	v_max_f32_e32 v16, v97, v97
	s_mov_b64 vcc, s[6:7]
	s_cbranch_vccz .LBB111_170
; %bb.168:
	v_min_f32_e32 v17, 0, v16
	v_cvt_f64_f32_e32 v[20:21], v17
	v_lshl_add_u64 v[22:23], v[4:5], 3, v[12:13]
	s_mov_b32 s4, 0
	global_store_dwordx2 v[22:23], v[20:21], off
	v_lshl_add_u64 v[14:15], v[14:15], 3, s[14:15]
	s_cbranch_execz .LBB111_171
; %bb.169:
	v_mov_b32_e32 v16, s4
	s_branch .LBB111_172
.LBB111_170:
                                        ; implicit-def: $sgpr4
	v_lshl_add_u64 v[14:15], v[14:15], 3, s[14:15]
.LBB111_171:
	v_lshl_add_u64 v[20:21], v[14:15], 0, v[8:9]
	flat_load_dwordx2 v[20:21], v[20:21]
	v_lshl_add_u64 v[22:23], v[12:13], 0, v[8:9]
	s_waitcnt vmcnt(0) lgkmcnt(0)
	v_mul_f64 v[20:21], s[12:13], v[20:21]
	v_cvt_f32_f64_e32 v17, v[20:21]
	v_min_f32_e32 v16, v17, v16
	v_cvt_f64_f32_e32 v[16:17], v16
	global_store_dwordx2 v[22:23], v[16:17], off
	v_lshl_add_u64 v[16:17], v[0:1], 3, v[14:15]
	flat_load_dwordx2 v[16:17], v[16:17]
	s_waitcnt vmcnt(0) lgkmcnt(0)
	v_mul_f64 v[16:17], s[12:13], v[16:17]
	v_cvt_f32_f64_e32 v16, v[16:17]
.LBB111_172:
	v_max_f32_e32 v17, v96, v96
	v_max_f32_e32 v16, v16, v16
	v_min_f32_e32 v16, v16, v17
	v_cvt_f64_f32_e32 v[16:17], v16
	v_lshl_add_u64 v[20:21], v[0:1], 3, v[12:13]
	global_store_dwordx2 v[20:21], v[16:17], off
	v_max_f32_e32 v16, v95, v95
	s_mov_b64 vcc, s[6:7]
	s_cbranch_vccz .LBB111_175
; %bb.173:
	v_min_f32_e32 v17, 0, v16
	v_cvt_f64_f32_e32 v[20:21], v17
	v_lshl_add_u64 v[22:23], v[6:7], 3, v[12:13]
	s_mov_b32 s4, 0
	global_store_dwordx2 v[22:23], v[20:21], off
	s_cbranch_execz .LBB111_176
; %bb.174:
	v_mov_b32_e32 v14, s4
	s_branch .LBB111_177
.LBB111_175:
                                        ; implicit-def: $sgpr4
.LBB111_176:
	v_lshl_add_u64 v[20:21], v[14:15], 0, v[10:11]
	flat_load_dwordx2 v[20:21], v[20:21]
	v_lshl_add_u64 v[22:23], v[12:13], 0, v[10:11]
	v_lshl_add_u64 v[14:15], v[2:3], 3, v[14:15]
	s_waitcnt vmcnt(0) lgkmcnt(0)
	v_mul_f64 v[20:21], s[12:13], v[20:21]
	v_cvt_f32_f64_e32 v17, v[20:21]
	v_min_f32_e32 v16, v17, v16
	v_cvt_f64_f32_e32 v[16:17], v16
	global_store_dwordx2 v[22:23], v[16:17], off
	flat_load_dwordx2 v[14:15], v[14:15]
	s_waitcnt vmcnt(0) lgkmcnt(0)
	v_mul_f64 v[14:15], s[12:13], v[14:15]
	v_cvt_f32_f64_e32 v14, v[14:15]
.LBB111_177:
	v_max_f32_e32 v15, v94, v94
	v_max_f32_e32 v14, v14, v14
	v_min_f32_e32 v14, v14, v15
	v_cvt_f64_f32_e32 v[14:15], v14
	v_lshl_add_u64 v[12:13], v[2:3], 3, v[12:13]
	global_store_dwordx2 v[12:13], v[14:15], off
	v_add_u32_e32 v14, 0x70, v18
	v_mad_i64_i32 v[12:13], s[2:3], v14, s17, 0
	v_lshl_add_u64 v[12:13], v[12:13], 3, s[0:1]
	v_mad_i64_i32 v[14:15], s[2:3], v14, s16, 0
	v_max_f32_e32 v16, v93, v93
	s_mov_b64 vcc, s[6:7]
	s_cbranch_vccz .LBB111_180
; %bb.178:
	v_min_f32_e32 v17, 0, v16
	v_cvt_f64_f32_e32 v[20:21], v17
	v_lshl_add_u64 v[22:23], v[4:5], 3, v[12:13]
	s_mov_b32 s4, 0
	global_store_dwordx2 v[22:23], v[20:21], off
	v_lshl_add_u64 v[14:15], v[14:15], 3, s[14:15]
	s_cbranch_execz .LBB111_181
; %bb.179:
	v_mov_b32_e32 v16, s4
	s_branch .LBB111_182
.LBB111_180:
                                        ; implicit-def: $sgpr4
	v_lshl_add_u64 v[14:15], v[14:15], 3, s[14:15]
.LBB111_181:
	v_lshl_add_u64 v[20:21], v[14:15], 0, v[8:9]
	flat_load_dwordx2 v[20:21], v[20:21]
	v_lshl_add_u64 v[22:23], v[12:13], 0, v[8:9]
	s_waitcnt vmcnt(0) lgkmcnt(0)
	v_mul_f64 v[20:21], s[12:13], v[20:21]
	v_cvt_f32_f64_e32 v17, v[20:21]
	v_min_f32_e32 v16, v17, v16
	v_cvt_f64_f32_e32 v[16:17], v16
	global_store_dwordx2 v[22:23], v[16:17], off
	v_lshl_add_u64 v[16:17], v[0:1], 3, v[14:15]
	flat_load_dwordx2 v[16:17], v[16:17]
	s_waitcnt vmcnt(0) lgkmcnt(0)
	v_mul_f64 v[16:17], s[12:13], v[16:17]
	v_cvt_f32_f64_e32 v16, v[16:17]
.LBB111_182:
	v_max_f32_e32 v17, v92, v92
	v_max_f32_e32 v16, v16, v16
	v_min_f32_e32 v16, v16, v17
	v_cvt_f64_f32_e32 v[16:17], v16
	v_lshl_add_u64 v[20:21], v[0:1], 3, v[12:13]
	global_store_dwordx2 v[20:21], v[16:17], off
	v_max_f32_e32 v16, v91, v91
	s_mov_b64 vcc, s[6:7]
	s_cbranch_vccz .LBB111_185
; %bb.183:
	v_min_f32_e32 v17, 0, v16
	v_cvt_f64_f32_e32 v[20:21], v17
	v_lshl_add_u64 v[22:23], v[6:7], 3, v[12:13]
	s_mov_b32 s4, 0
	global_store_dwordx2 v[22:23], v[20:21], off
	s_cbranch_execz .LBB111_186
; %bb.184:
	v_mov_b32_e32 v14, s4
	s_branch .LBB111_187
.LBB111_185:
                                        ; implicit-def: $sgpr4
.LBB111_186:
	v_lshl_add_u64 v[20:21], v[14:15], 0, v[10:11]
	flat_load_dwordx2 v[20:21], v[20:21]
	v_lshl_add_u64 v[22:23], v[12:13], 0, v[10:11]
	v_lshl_add_u64 v[14:15], v[2:3], 3, v[14:15]
	s_waitcnt vmcnt(0) lgkmcnt(0)
	v_mul_f64 v[20:21], s[12:13], v[20:21]
	v_cvt_f32_f64_e32 v17, v[20:21]
	v_min_f32_e32 v16, v17, v16
	v_cvt_f64_f32_e32 v[16:17], v16
	global_store_dwordx2 v[22:23], v[16:17], off
	flat_load_dwordx2 v[14:15], v[14:15]
	s_waitcnt vmcnt(0) lgkmcnt(0)
	v_mul_f64 v[14:15], s[12:13], v[14:15]
	v_cvt_f32_f64_e32 v14, v[14:15]
.LBB111_187:
	v_max_f32_e32 v15, v90, v90
	v_max_f32_e32 v14, v14, v14
	v_min_f32_e32 v14, v14, v15
	v_cvt_f64_f32_e32 v[14:15], v14
	v_lshl_add_u64 v[12:13], v[2:3], 3, v[12:13]
	global_store_dwordx2 v[12:13], v[14:15], off
	v_add_u32_e32 v14, 0x78, v18
	v_mad_i64_i32 v[12:13], s[2:3], v14, s17, 0
	v_lshl_add_u64 v[12:13], v[12:13], 3, s[0:1]
	v_mad_i64_i32 v[14:15], s[0:1], v14, s16, 0
	v_max_f32_e32 v16, v89, v89
	s_mov_b64 vcc, s[6:7]
	s_cbranch_vccz .LBB111_190
; %bb.188:
	v_min_f32_e32 v17, 0, v16
	v_cvt_f64_f32_e32 v[18:19], v17
	v_lshl_add_u64 v[4:5], v[4:5], 3, v[12:13]
	s_mov_b32 s2, 0
	global_store_dwordx2 v[4:5], v[18:19], off
	v_lshl_add_u64 v[4:5], v[14:15], 3, s[14:15]
	s_cbranch_execz .LBB111_191
; %bb.189:
	v_mov_b32_e32 v8, s2
	s_branch .LBB111_192
.LBB111_190:
                                        ; implicit-def: $sgpr2
	v_lshl_add_u64 v[4:5], v[14:15], 3, s[14:15]
.LBB111_191:
	v_lshl_add_u64 v[14:15], v[4:5], 0, v[8:9]
	flat_load_dwordx2 v[14:15], v[14:15]
	v_lshl_add_u64 v[8:9], v[12:13], 0, v[8:9]
	s_waitcnt vmcnt(0) lgkmcnt(0)
	v_mul_f64 v[14:15], s[12:13], v[14:15]
	v_cvt_f32_f64_e32 v14, v[14:15]
	v_min_f32_e32 v14, v14, v16
	v_cvt_f64_f32_e32 v[14:15], v14
	global_store_dwordx2 v[8:9], v[14:15], off
	v_lshl_add_u64 v[8:9], v[0:1], 3, v[4:5]
	flat_load_dwordx2 v[8:9], v[8:9]
	s_waitcnt vmcnt(0) lgkmcnt(0)
	v_mul_f64 v[8:9], s[12:13], v[8:9]
	v_cvt_f32_f64_e32 v8, v[8:9]
.LBB111_192:
	v_max_f32_e32 v9, v88, v88
	v_max_f32_e32 v8, v8, v8
	v_min_f32_e32 v8, v8, v9
	v_cvt_f64_f32_e32 v[8:9], v8
	v_lshl_add_u64 v[0:1], v[0:1], 3, v[12:13]
	global_store_dwordx2 v[0:1], v[8:9], off
	v_max_f32_e32 v0, v87, v87
	s_mov_b64 vcc, s[6:7]
	s_cbranch_vccz .LBB111_195
; %bb.193:
	v_min_f32_e32 v1, 0, v0
	v_cvt_f64_f32_e32 v[8:9], v1
	v_lshl_add_u64 v[6:7], v[6:7], 3, v[12:13]
	s_mov_b32 s2, 0
	global_store_dwordx2 v[6:7], v[8:9], off
	s_cbranch_execz .LBB111_196
; %bb.194:
	v_mov_b32_e32 v0, s2
	s_branch .LBB111_197
.LBB111_195:
                                        ; implicit-def: $sgpr2
.LBB111_196:
	v_lshl_add_u64 v[6:7], v[4:5], 0, v[10:11]
	flat_load_dwordx2 v[6:7], v[6:7]
	v_lshl_add_u64 v[8:9], v[12:13], 0, v[10:11]
	s_waitcnt vmcnt(0) lgkmcnt(0)
	v_mul_f64 v[6:7], s[12:13], v[6:7]
	v_cvt_f32_f64_e32 v1, v[6:7]
	v_min_f32_e32 v0, v1, v0
	v_cvt_f64_f32_e32 v[0:1], v0
	global_store_dwordx2 v[8:9], v[0:1], off
	v_lshl_add_u64 v[0:1], v[2:3], 3, v[4:5]
	flat_load_dwordx2 v[0:1], v[0:1]
	s_waitcnt vmcnt(0) lgkmcnt(0)
	v_mul_f64 v[0:1], s[12:13], v[0:1]
	v_cvt_f32_f64_e32 v0, v[0:1]
.LBB111_197:
	v_max_f32_e32 v1, v86, v86
	v_max_f32_e32 v0, v0, v0
	v_min_f32_e32 v0, v0, v1
	v_cvt_f64_f32_e32 v[0:1], v0
	v_lshl_add_u64 v[2:3], v[2:3], 3, v[12:13]
	global_store_dwordx2 v[2:3], v[0:1], off
	s_endpgm
	.section	.rodata,"a",@progbits
	.p2align	6, 0x0
	.amdhsa_kernel _ZN12_GLOBAL__N_120geam_min_plus_kernelId15HIP_vector_typeIdLj2EEdLi32ELi8ELi128ELi128ELi4ELi4ELi64ELi4ELi64ELc84ELc78ELb0ELb0ELb1EPKdKS4_KPdEEviiiT16_PT17_ilSA_ilS8_SA_ilPT18_ili26rocblas_geam_ex_operation_
		.amdhsa_group_segment_fixed_size 16384
		.amdhsa_private_segment_fixed_size 0
		.amdhsa_kernarg_size 136
		.amdhsa_user_sgpr_count 2
		.amdhsa_user_sgpr_dispatch_ptr 0
		.amdhsa_user_sgpr_queue_ptr 0
		.amdhsa_user_sgpr_kernarg_segment_ptr 1
		.amdhsa_user_sgpr_dispatch_id 0
		.amdhsa_user_sgpr_kernarg_preload_length 0
		.amdhsa_user_sgpr_kernarg_preload_offset 0
		.amdhsa_user_sgpr_private_segment_size 0
		.amdhsa_uses_dynamic_stack 0
		.amdhsa_enable_private_segment 0
		.amdhsa_system_sgpr_workgroup_id_x 1
		.amdhsa_system_sgpr_workgroup_id_y 0
		.amdhsa_system_sgpr_workgroup_id_z 1
		.amdhsa_system_sgpr_workgroup_info 0
		.amdhsa_system_vgpr_workitem_id 1
		.amdhsa_next_free_vgpr 174
		.amdhsa_next_free_sgpr 28
		.amdhsa_accum_offset 176
		.amdhsa_reserve_vcc 1
		.amdhsa_float_round_mode_32 0
		.amdhsa_float_round_mode_16_64 0
		.amdhsa_float_denorm_mode_32 3
		.amdhsa_float_denorm_mode_16_64 3
		.amdhsa_dx10_clamp 1
		.amdhsa_ieee_mode 1
		.amdhsa_fp16_overflow 0
		.amdhsa_tg_split 0
		.amdhsa_exception_fp_ieee_invalid_op 0
		.amdhsa_exception_fp_denorm_src 0
		.amdhsa_exception_fp_ieee_div_zero 0
		.amdhsa_exception_fp_ieee_overflow 0
		.amdhsa_exception_fp_ieee_underflow 0
		.amdhsa_exception_fp_ieee_inexact 0
		.amdhsa_exception_int_div_zero 0
	.end_amdhsa_kernel
	.section	.text._ZN12_GLOBAL__N_120geam_min_plus_kernelId15HIP_vector_typeIdLj2EEdLi32ELi8ELi128ELi128ELi4ELi4ELi64ELi4ELi64ELc84ELc78ELb0ELb0ELb1EPKdKS4_KPdEEviiiT16_PT17_ilSA_ilS8_SA_ilPT18_ili26rocblas_geam_ex_operation_,"axG",@progbits,_ZN12_GLOBAL__N_120geam_min_plus_kernelId15HIP_vector_typeIdLj2EEdLi32ELi8ELi128ELi128ELi4ELi4ELi64ELi4ELi64ELc84ELc78ELb0ELb0ELb1EPKdKS4_KPdEEviiiT16_PT17_ilSA_ilS8_SA_ilPT18_ili26rocblas_geam_ex_operation_,comdat
.Lfunc_end111:
	.size	_ZN12_GLOBAL__N_120geam_min_plus_kernelId15HIP_vector_typeIdLj2EEdLi32ELi8ELi128ELi128ELi4ELi4ELi64ELi4ELi64ELc84ELc78ELb0ELb0ELb1EPKdKS4_KPdEEviiiT16_PT17_ilSA_ilS8_SA_ilPT18_ili26rocblas_geam_ex_operation_, .Lfunc_end111-_ZN12_GLOBAL__N_120geam_min_plus_kernelId15HIP_vector_typeIdLj2EEdLi32ELi8ELi128ELi128ELi4ELi4ELi64ELi4ELi64ELc84ELc78ELb0ELb0ELb1EPKdKS4_KPdEEviiiT16_PT17_ilSA_ilS8_SA_ilPT18_ili26rocblas_geam_ex_operation_
                                        ; -- End function
	.section	.AMDGPU.csdata,"",@progbits
; Kernel info:
; codeLenInByte = 17504
; NumSgprs: 34
; NumVgprs: 174
; NumAgprs: 0
; TotalNumVgprs: 174
; ScratchSize: 0
; MemoryBound: 0
; FloatMode: 240
; IeeeMode: 1
; LDSByteSize: 16384 bytes/workgroup (compile time only)
; SGPRBlocks: 4
; VGPRBlocks: 21
; NumSGPRsForWavesPerEU: 34
; NumVGPRsForWavesPerEU: 174
; AccumOffset: 176
; Occupancy: 2
; WaveLimiterHint : 1
; COMPUTE_PGM_RSRC2:SCRATCH_EN: 0
; COMPUTE_PGM_RSRC2:USER_SGPR: 2
; COMPUTE_PGM_RSRC2:TRAP_HANDLER: 0
; COMPUTE_PGM_RSRC2:TGID_X_EN: 1
; COMPUTE_PGM_RSRC2:TGID_Y_EN: 0
; COMPUTE_PGM_RSRC2:TGID_Z_EN: 1
; COMPUTE_PGM_RSRC2:TIDIG_COMP_CNT: 1
; COMPUTE_PGM_RSRC3_GFX90A:ACCUM_OFFSET: 43
; COMPUTE_PGM_RSRC3_GFX90A:TG_SPLIT: 0
	.section	.text._ZN12_GLOBAL__N_120geam_min_plus_kernelId15HIP_vector_typeIdLj2EEdLi32ELi8ELi128ELi128ELi4ELi4ELi64ELi4ELi64ELc84ELc78ELb1ELb0ELb1EdKPKdKPdEEviiiT16_PT17_ilSA_ilS8_SA_ilPT18_ili26rocblas_geam_ex_operation_,"axG",@progbits,_ZN12_GLOBAL__N_120geam_min_plus_kernelId15HIP_vector_typeIdLj2EEdLi32ELi8ELi128ELi128ELi4ELi4ELi64ELi4ELi64ELc84ELc78ELb1ELb0ELb1EdKPKdKPdEEviiiT16_PT17_ilSA_ilS8_SA_ilPT18_ili26rocblas_geam_ex_operation_,comdat
	.globl	_ZN12_GLOBAL__N_120geam_min_plus_kernelId15HIP_vector_typeIdLj2EEdLi32ELi8ELi128ELi128ELi4ELi4ELi64ELi4ELi64ELc84ELc78ELb1ELb0ELb1EdKPKdKPdEEviiiT16_PT17_ilSA_ilS8_SA_ilPT18_ili26rocblas_geam_ex_operation_ ; -- Begin function _ZN12_GLOBAL__N_120geam_min_plus_kernelId15HIP_vector_typeIdLj2EEdLi32ELi8ELi128ELi128ELi4ELi4ELi64ELi4ELi64ELc84ELc78ELb1ELb0ELb1EdKPKdKPdEEviiiT16_PT17_ilSA_ilS8_SA_ilPT18_ili26rocblas_geam_ex_operation_
	.p2align	8
	.type	_ZN12_GLOBAL__N_120geam_min_plus_kernelId15HIP_vector_typeIdLj2EEdLi32ELi8ELi128ELi128ELi4ELi4ELi64ELi4ELi64ELc84ELc78ELb1ELb0ELb1EdKPKdKPdEEviiiT16_PT17_ilSA_ilS8_SA_ilPT18_ili26rocblas_geam_ex_operation_,@function
_ZN12_GLOBAL__N_120geam_min_plus_kernelId15HIP_vector_typeIdLj2EEdLi32ELi8ELi128ELi128ELi4ELi4ELi64ELi4ELi64ELc84ELc78ELb1ELb0ELb1EdKPKdKPdEEviiiT16_PT17_ilSA_ilS8_SA_ilPT18_ili26rocblas_geam_ex_operation_: ; @_ZN12_GLOBAL__N_120geam_min_plus_kernelId15HIP_vector_typeIdLj2EEdLi32ELi8ELi128ELi128ELi4ELi4ELi64ELi4ELi64ELc84ELc78ELb1ELb0ELb1EdKPKdKPdEEviiiT16_PT17_ilSA_ilS8_SA_ilPT18_ili26rocblas_geam_ex_operation_
; %bb.0:
	s_load_dwordx4 s[4:7], s[0:1], 0x10
	s_load_dwordx4 s[8:11], s[0:1], 0x28
	s_mov_b32 s18, s3
	s_mov_b64 s[14:15], 0
	s_waitcnt lgkmcnt(0)
	v_cmp_eq_f64_e64 s[12:13], s[4:5], 0
	s_and_b64 vcc, exec, s[12:13]
	s_cbranch_vccnz .LBB112_2
; %bb.1:
	s_mov_b32 s19, 0
	s_lshl_b64 s[4:5], s[18:19], 3
	s_add_u32 s4, s6, s4
	s_addc_u32 s5, s7, s5
	s_load_dwordx2 s[4:5], s[4:5], 0x0
	s_lshl_b64 s[6:7], s[8:9], 3
	s_waitcnt lgkmcnt(0)
	s_add_u32 s14, s4, s6
	s_addc_u32 s15, s5, s7
.LBB112_2:
	s_load_dwordx4 s[4:7], s[0:1], 0x40
	s_load_dwordx2 s[20:21], s[0:1], 0x50
	s_andn2_b64 vcc, exec, s[12:13]
	s_cbranch_vccnz .LBB112_4
; %bb.3:
	s_mov_b32 s19, 0
	s_mov_b64 s[16:17], 0
	s_cbranch_execz .LBB112_5
	s_branch .LBB112_6
.LBB112_4:
                                        ; implicit-def: $sgpr16_sgpr17
.LBB112_5:
	s_mov_b32 s19, 0
	s_lshl_b64 s[8:9], s[18:19], 3
	s_add_u32 s8, s10, s8
	s_addc_u32 s9, s11, s9
	s_load_dwordx2 s[8:9], s[8:9], 0x0
	s_waitcnt lgkmcnt(0)
	s_lshl_b64 s[4:5], s[4:5], 3
	s_add_u32 s16, s8, s4
	s_addc_u32 s17, s9, s5
.LBB112_6:
	s_load_dwordx4 s[8:11], s[0:1], 0x60
	s_waitcnt lgkmcnt(0)
	v_cmp_eq_f64_e64 s[4:5], s[6:7], 0
	s_and_b64 s[4:5], exec, s[4:5]
	s_mov_b64 s[12:13], 0
	s_mov_b64 vcc, s[4:5]
	s_cbranch_vccnz .LBB112_8
; %bb.7:
	s_lshl_b64 s[12:13], s[18:19], 3
	s_add_u32 s12, s20, s12
	s_addc_u32 s13, s21, s13
	s_load_dwordx2 s[12:13], s[12:13], 0x0
	s_lshl_b64 s[8:9], s[8:9], 3
	s_waitcnt lgkmcnt(0)
	s_add_u32 s12, s12, s8
	s_addc_u32 s13, s13, s9
.LBB112_8:
	s_load_dword s3, s[0:1], 0x0
	s_load_dword s20, s[0:1], 0x20
	;; [unrolled: 1-line block ×3, first 2 shown]
	s_lshl_b64 s[8:9], s[18:19], 3
	s_add_u32 s10, s10, s8
	s_addc_u32 s11, s11, s9
	s_waitcnt lgkmcnt(0)
	s_add_i32 s3, s3, -1
	s_ashr_i32 s8, s3, 31
	s_lshr_b32 s8, s8, 25
	s_add_i32 s3, s3, s8
	s_ashr_i32 s3, s3, 7
	s_add_i32 s8, s3, 1
	v_cvt_f32_u32_e32 v1, s8
	s_not_b32 s3, s3
	v_and_b32_e32 v154, 0x3ff, v0
	v_bfe_u32 v155, v0, 10, 10
	v_rcp_iflag_f32_e32 v1, v1
	v_lshl_add_u32 v0, v155, 5, v154
	v_lshrrev_b32_e32 v18, 2, v0
	v_and_b32_e32 v160, 3, v154
	v_mul_f32_e32 v1, 0x4f7ffffe, v1
	v_cvt_u32_f32_e32 v1, v1
	v_lshlrev_b32_e32 v0, 3, v160
	v_lshl_or_b32 v161, v18, 5, v0
	v_mov_b32_e32 v94, 0x7f800000
	v_readfirstlane_b32 s9, v1
	s_mul_i32 s3, s3, s9
	s_mul_hi_u32 s3, s9, s3
	s_add_i32 s9, s9, s3
	s_mul_hi_u32 s3, s2, s9
	s_mul_i32 s9, s3, s8
	s_sub_i32 s9, s2, s9
	s_add_i32 s18, s3, 1
	s_sub_i32 s19, s9, s8
	s_cmp_ge_u32 s9, s8
	s_cselect_b32 s3, s18, s3
	s_cselect_b32 s9, s19, s9
	s_add_i32 s18, s3, 1
	s_cmp_ge_u32 s9, s8
	s_cselect_b32 s3, s18, s3
	s_mul_i32 s8, s3, s8
	s_sub_i32 s2, s2, s8
	s_lshl_b32 s18, s2, 7
	s_lshl_b32 s19, s3, 7
	v_add_u32_e32 v8, s18, v18
	v_mov_b32_e32 v1, 0
	v_mad_i64_i32 v[72:73], s[2:3], v8, s20, 0
	v_add_u32_e32 v8, 64, v8
	v_add_u32_e32 v14, s19, v18
	v_mad_i64_i32 v[74:75], s[2:3], v8, s20, 0
	v_lshl_add_u64 v[8:9], s[16:17], 0, v[0:1]
	v_mad_i64_i32 v[76:77], s[2:3], v14, s21, 0
	v_lshl_add_u64 v[2:3], s[14:15], 0, v[0:1]
	v_lshl_add_u64 v[10:11], v[76:77], 3, v[8:9]
	;; [unrolled: 1-line block ×3, first 2 shown]
	flat_load_dwordx2 v[12:13], v[10:11]
	flat_load_dwordx2 v[6:7], v[4:5]
	v_add_u32_e32 v1, 64, v14
	v_mad_i64_i32 v[78:79], s[2:3], v1, s21, 0
	v_lshl_add_u64 v[8:9], v[78:79], 3, v[8:9]
	v_lshl_add_u64 v[2:3], v[74:75], 3, v[2:3]
	flat_load_dwordx2 v[14:15], v[8:9]
	flat_load_dwordx2 v[16:17], v[2:3]
	flat_load_dwordx2 v[80:81], v[2:3] offset:32
	flat_load_dwordx2 v[82:83], v[8:9] offset:32
	flat_load_dwordx2 v[84:85], v[10:11] offset:32
	flat_load_dwordx2 v[86:87], v[4:5] offset:32
	s_load_dwordx2 s[2:3], s[10:11], 0x0
	s_mov_b32 s20, 0
	s_mov_b64 s[8:9], -1
	v_mov_b32_e32 v95, 0x7f800000
	v_mov_b32_e32 v96, 0x7f800000
	;; [unrolled: 1-line block ×45, first 2 shown]
	v_add_u32_e32 v162, 0x2000, v161
	v_mov_b32_e32 v140, 0x7f800000
	v_mov_b32_e32 v141, 0x7f800000
	;; [unrolled: 1-line block ×18, first 2 shown]
	s_waitcnt vmcnt(0) lgkmcnt(0)
	ds_write2st64_b64 v161, v[12:13], v[14:15] offset0:16 offset1:20
	ds_write2st64_b64 v161, v[6:7], v[16:17] offset1:4
	s_waitcnt lgkmcnt(0)
	s_barrier
.LBB112_9:                              ; =>This Inner Loop Header: Depth=1
	v_cndmask_b32_e64 v0, 0, 1, s[8:9]
	s_lshl_b32 s8, s20, 3
	v_cmp_ne_u32_e32 vcc, 1, v0
	v_lshl_add_u32 v0, v154, 5, s8
	ds_read_b128 v[12:15], v0
	ds_read_b128 v[8:11], v0 offset:1024
	ds_read_b128 v[4:7], v0 offset:2048
	;; [unrolled: 1-line block ×3, first 2 shown]
	v_lshl_add_u32 v16, v155, 5, s8
	ds_read_b128 v[88:91], v16 offset:8192
	ds_read_b128 v[164:167], v16 offset:8448
	;; [unrolled: 1-line block ×16, first 2 shown]
	s_waitcnt lgkmcnt(14)
	v_add_f64 v[92:93], v[14:15], v[90:91]
	v_add_f64 v[168:169], v[12:13], v[88:89]
	v_cvt_f32_f64_e32 v163, v[168:169]
	v_cvt_f32_f64_e32 v92, v[92:93]
	v_min3_f32 v159, v163, v92, v159
	v_add_f64 v[92:93], v[10:11], v[90:91]
	v_add_f64 v[168:169], v[8:9], v[88:89]
	v_cvt_f32_f64_e32 v163, v[168:169]
	v_cvt_f32_f64_e32 v92, v[92:93]
	v_min3_f32 v158, v163, v92, v158
	v_add_f64 v[92:93], v[6:7], v[90:91]
	v_add_f64 v[168:169], v[4:5], v[88:89]
	;; [unrolled: 1-line block ×4, first 2 shown]
	v_cvt_f32_f64_e32 v88, v[88:89]
	v_cvt_f32_f64_e32 v89, v[90:91]
	v_min3_f32 v156, v88, v89, v156
	v_add_f64 v[88:89], v[14:15], v[166:167]
	v_add_f64 v[90:91], v[12:13], v[164:165]
	v_cvt_f32_f64_e32 v90, v[90:91]
	v_cvt_f32_f64_e32 v88, v[88:89]
	v_min3_f32 v153, v90, v88, v153
	v_add_f64 v[88:89], v[10:11], v[166:167]
	v_add_f64 v[90:91], v[8:9], v[164:165]
	;; [unrolled: 5-line block ×4, first 2 shown]
	v_cvt_f32_f64_e32 v90, v[90:91]
	v_cvt_f32_f64_e32 v88, v[88:89]
	v_min3_f32 v150, v90, v88, v150
	s_waitcnt lgkmcnt(13)
	v_add_f64 v[88:89], v[14:15], v[70:71]
	v_add_f64 v[90:91], v[12:13], v[68:69]
	v_cvt_f32_f64_e32 v90, v[90:91]
	v_cvt_f32_f64_e32 v88, v[88:89]
	v_min3_f32 v149, v90, v88, v149
	v_add_f64 v[88:89], v[10:11], v[70:71]
	v_add_f64 v[90:91], v[8:9], v[68:69]
	v_cvt_f32_f64_e32 v90, v[90:91]
	v_cvt_f32_f64_e32 v88, v[88:89]
	v_min3_f32 v148, v90, v88, v148
	v_add_f64 v[88:89], v[6:7], v[70:71]
	v_add_f64 v[90:91], v[4:5], v[68:69]
	v_add_f64 v[70:71], v[2:3], v[70:71]
	v_add_f64 v[68:69], v[0:1], v[68:69]
	v_cvt_f32_f64_e32 v68, v[68:69]
	v_cvt_f32_f64_e32 v69, v[70:71]
	v_min3_f32 v146, v68, v69, v146
	s_waitcnt lgkmcnt(12)
	v_add_f64 v[68:69], v[14:15], v[66:67]
	v_add_f64 v[70:71], v[12:13], v[64:65]
	v_cvt_f32_f64_e32 v70, v[70:71]
	v_cvt_f32_f64_e32 v68, v[68:69]
	v_min3_f32 v145, v70, v68, v145
	v_add_f64 v[68:69], v[10:11], v[66:67]
	v_add_f64 v[70:71], v[8:9], v[64:65]
	v_cvt_f32_f64_e32 v70, v[70:71]
	v_cvt_f32_f64_e32 v68, v[68:69]
	v_min3_f32 v144, v70, v68, v144
	v_add_f64 v[68:69], v[6:7], v[66:67]
	v_add_f64 v[70:71], v[4:5], v[64:65]
	v_add_f64 v[66:67], v[2:3], v[66:67]
	v_add_f64 v[64:65], v[0:1], v[64:65]
	;; [unrolled: 18-line block ×13, first 2 shown]
	s_waitcnt lgkmcnt(0)
	v_add_f64 v[14:15], v[14:15], v[18:19]
	v_add_f64 v[12:13], v[12:13], v[16:17]
	v_add_f64 v[10:11], v[10:11], v[18:19]
	v_add_f64 v[8:9], v[8:9], v[16:17]
	v_add_f64 v[6:7], v[6:7], v[18:19]
	v_add_f64 v[4:5], v[4:5], v[16:17]
	v_add_f64 v[2:3], v[2:3], v[18:19]
	v_add_f64 v[0:1], v[0:1], v[16:17]
	v_cvt_f32_f64_e32 v163, v[168:169]
	v_cvt_f32_f64_e32 v92, v[92:93]
	;; [unrolled: 1-line block ×38, first 2 shown]
	v_min3_f32 v157, v163, v92, v157
	v_min3_f32 v147, v90, v88, v147
	;; [unrolled: 1-line block ×19, first 2 shown]
	s_mov_b64 s[8:9], 0
	s_mov_b32 s20, 2
	s_cbranch_vccz .LBB112_9
; %bb.10:
	s_load_dword s10, s[0:1], 0x8
	ds_write2st64_b64 v161, v[86:87], v[80:81] offset0:8 offset1:12
	ds_write2st64_b64 v161, v[84:85], v[82:83] offset0:24 offset1:28
	s_waitcnt lgkmcnt(0)
	s_barrier
	s_cmp_lt_i32 s10, 9
	s_cbranch_scc1 .LBB112_17
; %bb.11:
	v_add_u32_e32 v163, 0x1000, v161
	v_add_u32_e32 v164, 0x3000, v161
	s_add_i32 s10, s10, -8
	s_mov_b32 s11, 8
	s_mov_b32 s20, 0
	v_mov_b32_e32 v69, 0
.LBB112_12:                             ; =>This Loop Header: Depth=1
                                        ;     Child Loop BB112_13 Depth 2
                                        ;     Child Loop BB112_15 Depth 2
	v_or_b32_e32 v68, s11, v160
	v_lshlrev_b64 v[0:1], 3, v[68:69]
	v_lshl_add_u64 v[2:3], s[14:15], 0, v[0:1]
	v_lshl_add_u64 v[0:1], s[16:17], 0, v[0:1]
	;; [unrolled: 1-line block ×5, first 2 shown]
	flat_load_dwordx2 v[86:87], v[70:71]
	flat_load_dwordx2 v[88:89], v[80:81]
	v_lshl_add_u64 v[82:83], v[78:79], 3, v[0:1]
	flat_load_dwordx2 v[90:91], v[84:85]
	flat_load_dwordx2 v[92:93], v[82:83]
	s_mov_b64 s[8:9], -1
	s_mov_b32 s21, 0
.LBB112_13:                             ;   Parent Loop BB112_12 Depth=1
                                        ; =>  This Inner Loop Header: Depth=2
	v_cndmask_b32_e64 v0, 0, 1, s[8:9]
	s_lshl_b32 s8, s21, 3
	v_cmp_ne_u32_e32 vcc, 1, v0
	v_lshl_add_u32 v0, v154, 5, s8
	ds_read_b128 v[12:15], v0 offset:4096
	ds_read_b128 v[8:11], v0 offset:5120
	;; [unrolled: 1-line block ×4, first 2 shown]
	v_lshl_add_u32 v16, v155, 5, s8
	ds_read_b128 v[166:169], v16 offset:12288
	ds_read_b128 v[170:173], v16 offset:12544
	;; [unrolled: 1-line block ×16, first 2 shown]
	s_waitcnt lgkmcnt(0)
	v_add_f64 v[178:179], v[14:15], v[168:169]
	v_add_f64 v[180:181], v[12:13], v[166:167]
	v_cvt_f32_f64_e32 v68, v[180:181]
	v_cvt_f32_f64_e32 v165, v[178:179]
	v_add_f64 v[178:179], v[10:11], v[168:169]
	v_add_f64 v[180:181], v[8:9], v[166:167]
	v_min3_f32 v159, v68, v165, v159
	v_cvt_f32_f64_e32 v68, v[180:181]
	v_cvt_f32_f64_e32 v165, v[178:179]
	v_add_f64 v[178:179], v[6:7], v[168:169]
	v_add_f64 v[180:181], v[4:5], v[166:167]
	v_min3_f32 v158, v68, v165, v158
	v_cvt_f32_f64_e32 v68, v[180:181]
	v_cvt_f32_f64_e32 v165, v[178:179]
	v_add_f64 v[168:169], v[2:3], v[168:169]
	v_add_f64 v[166:167], v[0:1], v[166:167]
	v_min3_f32 v157, v68, v165, v157
	v_cvt_f32_f64_e32 v68, v[166:167]
	v_cvt_f32_f64_e32 v165, v[168:169]
	v_add_f64 v[166:167], v[14:15], v[172:173]
	v_add_f64 v[168:169], v[12:13], v[170:171]
	v_min3_f32 v156, v68, v165, v156
	v_cvt_f32_f64_e32 v68, v[168:169]
	v_cvt_f32_f64_e32 v165, v[166:167]
	v_add_f64 v[166:167], v[10:11], v[172:173]
	v_add_f64 v[168:169], v[8:9], v[170:171]
	v_min3_f32 v153, v68, v165, v153
	v_cvt_f32_f64_e32 v68, v[168:169]
	v_cvt_f32_f64_e32 v165, v[166:167]
	v_add_f64 v[166:167], v[6:7], v[172:173]
	v_add_f64 v[168:169], v[4:5], v[170:171]
	v_min3_f32 v152, v68, v165, v152
	v_cvt_f32_f64_e32 v68, v[168:169]
	v_cvt_f32_f64_e32 v165, v[166:167]
	v_add_f64 v[166:167], v[2:3], v[172:173]
	v_add_f64 v[168:169], v[0:1], v[170:171]
	v_min3_f32 v151, v68, v165, v151
	v_cvt_f32_f64_e32 v68, v[168:169]
	v_cvt_f32_f64_e32 v165, v[166:167]
	v_add_f64 v[166:167], v[14:15], v[176:177]
	v_add_f64 v[168:169], v[12:13], v[174:175]
	v_min3_f32 v150, v68, v165, v150
	v_cvt_f32_f64_e32 v68, v[168:169]
	v_cvt_f32_f64_e32 v165, v[166:167]
	v_add_f64 v[166:167], v[10:11], v[176:177]
	v_add_f64 v[168:169], v[8:9], v[174:175]
	v_min3_f32 v149, v68, v165, v149
	v_cvt_f32_f64_e32 v68, v[168:169]
	v_cvt_f32_f64_e32 v165, v[166:167]
	v_add_f64 v[166:167], v[6:7], v[176:177]
	v_add_f64 v[168:169], v[4:5], v[174:175]
	v_min3_f32 v148, v68, v165, v148
	v_cvt_f32_f64_e32 v68, v[168:169]
	v_cvt_f32_f64_e32 v165, v[166:167]
	v_add_f64 v[166:167], v[2:3], v[176:177]
	v_add_f64 v[168:169], v[0:1], v[174:175]
	v_min3_f32 v147, v68, v165, v147
	v_cvt_f32_f64_e32 v68, v[168:169]
	v_cvt_f32_f64_e32 v165, v[166:167]
	v_add_f64 v[166:167], v[14:15], v[66:67]
	v_add_f64 v[168:169], v[12:13], v[64:65]
	v_min3_f32 v146, v68, v165, v146
	v_cvt_f32_f64_e32 v68, v[168:169]
	v_cvt_f32_f64_e32 v165, v[166:167]
	v_add_f64 v[166:167], v[10:11], v[66:67]
	v_add_f64 v[168:169], v[8:9], v[64:65]
	v_min3_f32 v145, v68, v165, v145
	v_cvt_f32_f64_e32 v68, v[168:169]
	v_cvt_f32_f64_e32 v165, v[166:167]
	v_add_f64 v[166:167], v[6:7], v[66:67]
	v_add_f64 v[168:169], v[4:5], v[64:65]
	v_add_f64 v[66:67], v[2:3], v[66:67]
	v_add_f64 v[64:65], v[0:1], v[64:65]
	v_cvt_f32_f64_e32 v64, v[64:65]
	v_cvt_f32_f64_e32 v65, v[66:67]
	v_min3_f32 v142, v64, v65, v142
	v_add_f64 v[64:65], v[14:15], v[62:63]
	v_add_f64 v[66:67], v[12:13], v[60:61]
	v_cvt_f32_f64_e32 v66, v[66:67]
	v_cvt_f32_f64_e32 v64, v[64:65]
	v_min3_f32 v141, v66, v64, v141
	v_add_f64 v[64:65], v[10:11], v[62:63]
	v_add_f64 v[66:67], v[8:9], v[60:61]
	v_cvt_f32_f64_e32 v66, v[66:67]
	v_cvt_f32_f64_e32 v64, v[64:65]
	v_min3_f32 v140, v66, v64, v140
	v_add_f64 v[64:65], v[6:7], v[62:63]
	v_add_f64 v[66:67], v[4:5], v[60:61]
	v_add_f64 v[62:63], v[2:3], v[62:63]
	v_add_f64 v[60:61], v[0:1], v[60:61]
	v_cvt_f32_f64_e32 v60, v[60:61]
	v_cvt_f32_f64_e32 v61, v[62:63]
	v_min3_f32 v138, v60, v61, v138
	v_add_f64 v[60:61], v[14:15], v[58:59]
	v_add_f64 v[62:63], v[12:13], v[56:57]
	v_cvt_f32_f64_e32 v62, v[62:63]
	v_cvt_f32_f64_e32 v60, v[60:61]
	v_min3_f32 v137, v62, v60, v137
	v_add_f64 v[60:61], v[10:11], v[58:59]
	v_add_f64 v[62:63], v[8:9], v[56:57]
	v_cvt_f32_f64_e32 v62, v[62:63]
	v_cvt_f32_f64_e32 v60, v[60:61]
	v_min3_f32 v136, v62, v60, v136
	;; [unrolled: 17-line block ×11, first 2 shown]
	v_add_f64 v[24:25], v[6:7], v[22:23]
	v_add_f64 v[26:27], v[4:5], v[20:21]
	;; [unrolled: 1-line block ×12, first 2 shown]
	v_min3_f32 v144, v68, v165, v144
	v_cvt_f32_f64_e32 v68, v[168:169]
	v_cvt_f32_f64_e32 v165, v[166:167]
	;; [unrolled: 1-line block ×34, first 2 shown]
	v_min3_f32 v143, v68, v165, v143
	v_min3_f32 v139, v66, v64, v139
	;; [unrolled: 1-line block ×17, first 2 shown]
	s_mov_b32 s21, 2
	s_mov_b64 s[8:9], 0
	s_cbranch_vccz .LBB112_13
; %bb.14:                               ;   in Loop: Header=BB112_12 Depth=1
	s_waitcnt vmcnt(0)
	ds_write2st64_b64 v161, v[86:87], v[88:89] offset1:4
	ds_write2st64_b64 v162, v[90:91], v[92:93] offset1:4
	s_waitcnt lgkmcnt(0)
	s_barrier
	flat_load_dwordx2 v[86:87], v[70:71] offset:32
	flat_load_dwordx2 v[88:89], v[80:81] offset:32
	;; [unrolled: 1-line block ×4, first 2 shown]
	s_mov_b32 s21, 0
	s_mov_b64 s[8:9], -1
.LBB112_15:                             ;   Parent Loop BB112_12 Depth=1
                                        ; =>  This Inner Loop Header: Depth=2
	v_cndmask_b32_e64 v0, 0, 1, s[8:9]
	s_lshl_b32 s8, s21, 3
	v_cmp_ne_u32_e32 vcc, 1, v0
	v_lshl_add_u32 v0, v154, 5, s8
	ds_read_b128 v[12:15], v0
	ds_read_b128 v[8:11], v0 offset:1024
	ds_read_b128 v[4:7], v0 offset:2048
	;; [unrolled: 1-line block ×3, first 2 shown]
	v_lshl_add_u32 v16, v155, 5, s8
	ds_read_b128 v[80:83], v16 offset:8192
	ds_read_b128 v[166:169], v16 offset:8448
	;; [unrolled: 1-line block ×16, first 2 shown]
	s_waitcnt lgkmcnt(0)
	v_add_f64 v[70:71], v[14:15], v[82:83]
	v_add_f64 v[84:85], v[12:13], v[80:81]
	v_cvt_f32_f64_e32 v68, v[84:85]
	v_cvt_f32_f64_e32 v70, v[70:71]
	v_min3_f32 v159, v68, v70, v159
	v_add_f64 v[70:71], v[10:11], v[82:83]
	v_add_f64 v[84:85], v[8:9], v[80:81]
	v_cvt_f32_f64_e32 v68, v[84:85]
	v_cvt_f32_f64_e32 v70, v[70:71]
	v_min3_f32 v158, v68, v70, v158
	;; [unrolled: 5-line block ×14, first 2 shown]
	v_add_f64 v[70:71], v[6:7], v[66:67]
	v_add_f64 v[80:81], v[4:5], v[64:65]
	v_add_f64 v[66:67], v[2:3], v[66:67]
	v_add_f64 v[64:65], v[0:1], v[64:65]
	v_cvt_f32_f64_e32 v64, v[64:65]
	v_cvt_f32_f64_e32 v65, v[66:67]
	v_min3_f32 v142, v64, v65, v142
	v_add_f64 v[64:65], v[14:15], v[62:63]
	v_add_f64 v[66:67], v[12:13], v[60:61]
	v_cvt_f32_f64_e32 v66, v[66:67]
	v_cvt_f32_f64_e32 v64, v[64:65]
	v_min3_f32 v141, v66, v64, v141
	v_add_f64 v[64:65], v[10:11], v[62:63]
	v_add_f64 v[66:67], v[8:9], v[60:61]
	v_cvt_f32_f64_e32 v66, v[66:67]
	v_cvt_f32_f64_e32 v64, v[64:65]
	v_min3_f32 v140, v66, v64, v140
	v_add_f64 v[64:65], v[6:7], v[62:63]
	v_add_f64 v[66:67], v[4:5], v[60:61]
	v_add_f64 v[62:63], v[2:3], v[62:63]
	v_add_f64 v[60:61], v[0:1], v[60:61]
	v_cvt_f32_f64_e32 v60, v[60:61]
	v_cvt_f32_f64_e32 v61, v[62:63]
	v_min3_f32 v138, v60, v61, v138
	v_add_f64 v[60:61], v[14:15], v[58:59]
	v_add_f64 v[62:63], v[12:13], v[56:57]
	v_cvt_f32_f64_e32 v62, v[62:63]
	v_cvt_f32_f64_e32 v60, v[60:61]
	v_min3_f32 v137, v62, v60, v137
	v_add_f64 v[60:61], v[10:11], v[58:59]
	v_add_f64 v[62:63], v[8:9], v[56:57]
	v_cvt_f32_f64_e32 v62, v[62:63]
	v_cvt_f32_f64_e32 v60, v[60:61]
	v_min3_f32 v136, v62, v60, v136
	;; [unrolled: 17-line block ×11, first 2 shown]
	v_add_f64 v[24:25], v[6:7], v[22:23]
	v_add_f64 v[26:27], v[4:5], v[20:21]
	;; [unrolled: 1-line block ×12, first 2 shown]
	v_cvt_f32_f64_e32 v68, v[80:81]
	v_cvt_f32_f64_e32 v70, v[70:71]
	;; [unrolled: 1-line block ×34, first 2 shown]
	v_min3_f32 v143, v68, v70, v143
	v_min3_f32 v139, v66, v64, v139
	;; [unrolled: 1-line block ×17, first 2 shown]
	s_mov_b32 s21, 2
	s_mov_b64 s[8:9], 0
	s_cbranch_vccz .LBB112_15
; %bb.16:                               ;   in Loop: Header=BB112_12 Depth=1
	s_add_i32 s11, s11, 8
	s_add_i32 s20, s20, 8
	s_cmp_ge_i32 s20, s10
	s_waitcnt vmcnt(0)
	ds_write2st64_b64 v163, v[86:87], v[88:89] offset1:4
	ds_write2st64_b64 v164, v[90:91], v[92:93] offset1:4
	s_waitcnt lgkmcnt(0)
	s_barrier
	s_cbranch_scc0 .LBB112_12
.LBB112_17:
	s_mov_b32 s10, 0
	s_mov_b64 s[8:9], -1
.LBB112_18:                             ; =>This Inner Loop Header: Depth=1
	v_cndmask_b32_e64 v0, 0, 1, s[8:9]
	s_lshl_b32 s8, s10, 3
	v_cmp_ne_u32_e32 vcc, 1, v0
	v_lshl_add_u32 v0, v154, 5, s8
	ds_read_b128 v[12:15], v0 offset:4096
	ds_read_b128 v[8:11], v0 offset:5120
	;; [unrolled: 1-line block ×4, first 2 shown]
	v_lshl_add_u32 v16, v155, 5, s8
	ds_read_b128 v[68:71], v16 offset:12288
	ds_read_b128 v[72:75], v16 offset:12544
	;; [unrolled: 1-line block ×16, first 2 shown]
	s_waitcnt lgkmcnt(14)
	v_add_f64 v[80:81], v[14:15], v[70:71]
	v_add_f64 v[82:83], v[12:13], v[68:69]
	v_cvt_f32_f64_e32 v82, v[82:83]
	v_cvt_f32_f64_e32 v80, v[80:81]
	v_min3_f32 v159, v82, v80, v159
	v_add_f64 v[80:81], v[10:11], v[70:71]
	v_add_f64 v[82:83], v[8:9], v[68:69]
	v_cvt_f32_f64_e32 v82, v[82:83]
	v_cvt_f32_f64_e32 v80, v[80:81]
	v_min3_f32 v158, v82, v80, v158
	v_add_f64 v[80:81], v[6:7], v[70:71]
	v_add_f64 v[82:83], v[4:5], v[68:69]
	;; [unrolled: 1-line block ×4, first 2 shown]
	v_cvt_f32_f64_e32 v68, v[68:69]
	v_cvt_f32_f64_e32 v69, v[70:71]
	v_min3_f32 v156, v68, v69, v156
	v_add_f64 v[68:69], v[14:15], v[74:75]
	v_add_f64 v[70:71], v[12:13], v[72:73]
	v_cvt_f32_f64_e32 v70, v[70:71]
	v_cvt_f32_f64_e32 v68, v[68:69]
	v_min3_f32 v153, v70, v68, v153
	v_add_f64 v[68:69], v[10:11], v[74:75]
	v_add_f64 v[70:71], v[8:9], v[72:73]
	;; [unrolled: 5-line block ×4, first 2 shown]
	v_cvt_f32_f64_e32 v70, v[70:71]
	v_cvt_f32_f64_e32 v68, v[68:69]
	v_min3_f32 v150, v70, v68, v150
	s_waitcnt lgkmcnt(13)
	v_add_f64 v[68:69], v[14:15], v[78:79]
	v_add_f64 v[70:71], v[12:13], v[76:77]
	v_cvt_f32_f64_e32 v70, v[70:71]
	v_cvt_f32_f64_e32 v68, v[68:69]
	v_min3_f32 v149, v70, v68, v149
	v_add_f64 v[68:69], v[10:11], v[78:79]
	v_add_f64 v[70:71], v[8:9], v[76:77]
	v_cvt_f32_f64_e32 v70, v[70:71]
	v_cvt_f32_f64_e32 v68, v[68:69]
	v_min3_f32 v148, v70, v68, v148
	;; [unrolled: 5-line block ×4, first 2 shown]
	s_waitcnt lgkmcnt(12)
	v_add_f64 v[68:69], v[14:15], v[66:67]
	v_add_f64 v[70:71], v[12:13], v[64:65]
	v_cvt_f32_f64_e32 v70, v[70:71]
	v_cvt_f32_f64_e32 v68, v[68:69]
	v_min3_f32 v145, v70, v68, v145
	v_add_f64 v[68:69], v[10:11], v[66:67]
	v_add_f64 v[70:71], v[8:9], v[64:65]
	v_cvt_f32_f64_e32 v70, v[70:71]
	v_cvt_f32_f64_e32 v68, v[68:69]
	v_min3_f32 v144, v70, v68, v144
	v_add_f64 v[68:69], v[6:7], v[66:67]
	v_add_f64 v[70:71], v[4:5], v[64:65]
	v_add_f64 v[66:67], v[2:3], v[66:67]
	v_add_f64 v[64:65], v[0:1], v[64:65]
	v_cvt_f32_f64_e32 v64, v[64:65]
	v_cvt_f32_f64_e32 v65, v[66:67]
	v_min3_f32 v142, v64, v65, v142
	s_waitcnt lgkmcnt(11)
	v_add_f64 v[64:65], v[14:15], v[62:63]
	v_add_f64 v[66:67], v[12:13], v[60:61]
	v_cvt_f32_f64_e32 v66, v[66:67]
	v_cvt_f32_f64_e32 v64, v[64:65]
	v_min3_f32 v141, v66, v64, v141
	v_add_f64 v[64:65], v[10:11], v[62:63]
	v_add_f64 v[66:67], v[8:9], v[60:61]
	v_cvt_f32_f64_e32 v66, v[66:67]
	v_cvt_f32_f64_e32 v64, v[64:65]
	v_min3_f32 v140, v66, v64, v140
	v_add_f64 v[64:65], v[6:7], v[62:63]
	v_add_f64 v[66:67], v[4:5], v[60:61]
	v_add_f64 v[62:63], v[2:3], v[62:63]
	v_add_f64 v[60:61], v[0:1], v[60:61]
	v_cvt_f32_f64_e32 v60, v[60:61]
	v_cvt_f32_f64_e32 v61, v[62:63]
	v_min3_f32 v138, v60, v61, v138
	;; [unrolled: 18-line block ×11, first 2 shown]
	s_waitcnt lgkmcnt(1)
	v_add_f64 v[24:25], v[14:15], v[22:23]
	v_add_f64 v[26:27], v[12:13], v[20:21]
	v_cvt_f32_f64_e32 v26, v[26:27]
	v_cvt_f32_f64_e32 v24, v[24:25]
	v_min3_f32 v101, v26, v24, v101
	v_add_f64 v[24:25], v[10:11], v[22:23]
	v_add_f64 v[26:27], v[8:9], v[20:21]
	v_cvt_f32_f64_e32 v26, v[26:27]
	v_cvt_f32_f64_e32 v24, v[24:25]
	v_min3_f32 v100, v26, v24, v100
	v_add_f64 v[24:25], v[6:7], v[22:23]
	v_add_f64 v[26:27], v[4:5], v[20:21]
	;; [unrolled: 1-line block ×4, first 2 shown]
	s_waitcnt lgkmcnt(0)
	v_add_f64 v[14:15], v[14:15], v[18:19]
	v_add_f64 v[12:13], v[12:13], v[16:17]
	;; [unrolled: 1-line block ×8, first 2 shown]
	v_cvt_f32_f64_e32 v82, v[82:83]
	v_cvt_f32_f64_e32 v80, v[80:81]
	;; [unrolled: 1-line block ×36, first 2 shown]
	v_min3_f32 v157, v82, v80, v157
	v_min3_f32 v143, v70, v68, v143
	;; [unrolled: 1-line block ×18, first 2 shown]
	s_mov_b32 s10, 2
	s_mov_b64 s[8:9], 0
	s_cbranch_vccz .LBB112_18
; %bb.19:
	s_load_dwordx2 s[8:9], s[0:1], 0x78
	s_load_dword s10, s[0:1], 0x58
	s_load_dword s11, s[0:1], 0x70
	v_add_u32_e32 v4, s18, v154
	v_add_u32_e32 v18, s19, v155
	s_waitcnt lgkmcnt(0)
	s_lshl_b64 s[0:1], s[8:9], 3
	s_add_u32 s0, s2, s0
	s_addc_u32 s1, s3, s1
	v_add_u32_e32 v0, 32, v4
	v_mad_i64_i32 v[2:3], s[2:3], v18, s11, 0
	v_ashrrev_i32_e32 v5, 31, v4
	v_ashrrev_i32_e32 v1, 31, v0
	v_lshl_add_u64 v[12:13], v[2:3], 3, s[0:1]
	v_mad_i64_i32 v[2:3], s[2:3], v18, s10, 0
	v_max_f32_e32 v6, v159, v159
	s_mov_b64 vcc, s[4:5]
	s_cbranch_vccz .LBB112_22
; %bb.20:
	v_min_f32_e32 v7, 0, v6
	v_cvt_f64_f32_e32 v[8:9], v7
	v_lshl_add_u64 v[10:11], v[4:5], 3, v[12:13]
	global_store_dwordx2 v[10:11], v[8:9], off
	s_mov_b64 s[2:3], 0
	v_lshl_add_u64 v[14:15], v[2:3], 3, s[12:13]
	v_lshlrev_b64 v[8:9], 3, v[4:5]
	s_cbranch_execz .LBB112_23
; %bb.21:
	v_mov_b64_e32 v[10:11], s[2:3]
	s_branch .LBB112_24
.LBB112_22:
                                        ; implicit-def: $sgpr2_sgpr3
	v_lshl_add_u64 v[14:15], v[2:3], 3, s[12:13]
	v_lshlrev_b64 v[8:9], 3, v[4:5]
.LBB112_23:
	v_lshl_add_u64 v[2:3], v[14:15], 0, v[8:9]
	flat_load_dwordx2 v[2:3], v[2:3]
	v_lshl_add_u64 v[10:11], v[12:13], 0, v[8:9]
	s_waitcnt vmcnt(0) lgkmcnt(0)
	v_mul_f64 v[2:3], v[2:3], s[6:7]
	v_cvt_f32_f64_e32 v2, v[2:3]
	v_min_f32_e32 v2, v2, v6
	v_cvt_f64_f32_e32 v[2:3], v2
	global_store_dwordx2 v[10:11], v[2:3], off
	v_lshl_add_u64 v[2:3], v[0:1], 3, v[14:15]
	flat_load_dwordx2 v[2:3], v[2:3]
	s_waitcnt vmcnt(0) lgkmcnt(0)
	v_mul_f64 v[10:11], v[2:3], s[6:7]
.LBB112_24:
	v_cvt_f32_f64_e32 v10, v[10:11]
	v_max_f32_e32 v11, v158, v158
	v_min_f32_e32 v10, v10, v11
	v_add_u32_e32 v6, 64, v4
	v_add_u32_e32 v2, 0x60, v4
	v_cvt_f64_f32_e32 v[10:11], v10
	v_lshl_add_u64 v[16:17], v[0:1], 3, v[12:13]
	v_ashrrev_i32_e32 v7, 31, v6
	v_ashrrev_i32_e32 v3, 31, v2
	global_store_dwordx2 v[16:17], v[10:11], off
	v_max_f32_e32 v16, v157, v157
	s_mov_b64 vcc, s[4:5]
	s_cbranch_vccz .LBB112_27
; %bb.25:
	v_min_f32_e32 v10, 0, v16
	v_cvt_f64_f32_e32 v[10:11], v10
	v_lshl_add_u64 v[20:21], v[6:7], 3, v[12:13]
	global_store_dwordx2 v[20:21], v[10:11], off
	s_mov_b64 s[2:3], 0
	v_lshlrev_b64 v[10:11], 3, v[6:7]
	s_cbranch_execz .LBB112_28
; %bb.26:
	v_mov_b64_e32 v[14:15], s[2:3]
	s_branch .LBB112_29
.LBB112_27:
                                        ; implicit-def: $sgpr2_sgpr3
	v_lshlrev_b64 v[10:11], 3, v[6:7]
.LBB112_28:
	v_lshl_add_u64 v[20:21], v[14:15], 0, v[10:11]
	flat_load_dwordx2 v[20:21], v[20:21]
	v_lshl_add_u64 v[22:23], v[12:13], 0, v[10:11]
	v_lshl_add_u64 v[14:15], v[2:3], 3, v[14:15]
	s_waitcnt vmcnt(0) lgkmcnt(0)
	v_mul_f64 v[20:21], v[20:21], s[6:7]
	v_cvt_f32_f64_e32 v17, v[20:21]
	v_min_f32_e32 v16, v17, v16
	v_cvt_f64_f32_e32 v[16:17], v16
	global_store_dwordx2 v[22:23], v[16:17], off
	flat_load_dwordx2 v[14:15], v[14:15]
	s_waitcnt vmcnt(0) lgkmcnt(0)
	v_mul_f64 v[14:15], v[14:15], s[6:7]
.LBB112_29:
	v_cvt_f32_f64_e32 v14, v[14:15]
	v_max_f32_e32 v15, v156, v156
	v_min_f32_e32 v14, v14, v15
	v_cvt_f64_f32_e32 v[14:15], v14
	v_lshl_add_u64 v[12:13], v[2:3], 3, v[12:13]
	global_store_dwordx2 v[12:13], v[14:15], off
	v_add_u32_e32 v14, 8, v18
	v_mad_i64_i32 v[12:13], s[2:3], v14, s11, 0
	v_lshl_add_u64 v[12:13], v[12:13], 3, s[0:1]
	v_mad_i64_i32 v[14:15], s[2:3], v14, s10, 0
	v_max_f32_e32 v16, v153, v153
	s_mov_b64 vcc, s[4:5]
	s_cbranch_vccz .LBB112_32
; %bb.30:
	v_min_f32_e32 v17, 0, v16
	v_cvt_f64_f32_e32 v[20:21], v17
	v_lshl_add_u64 v[22:23], v[4:5], 3, v[12:13]
	global_store_dwordx2 v[22:23], v[20:21], off
	s_mov_b64 s[2:3], 0
	v_lshl_add_u64 v[14:15], v[14:15], 3, s[12:13]
	s_cbranch_execz .LBB112_33
; %bb.31:
	v_mov_b64_e32 v[16:17], s[2:3]
	s_branch .LBB112_34
.LBB112_32:
                                        ; implicit-def: $sgpr2_sgpr3
	v_lshl_add_u64 v[14:15], v[14:15], 3, s[12:13]
.LBB112_33:
	v_lshl_add_u64 v[20:21], v[14:15], 0, v[8:9]
	flat_load_dwordx2 v[20:21], v[20:21]
	v_lshl_add_u64 v[22:23], v[12:13], 0, v[8:9]
	s_waitcnt vmcnt(0) lgkmcnt(0)
	v_mul_f64 v[20:21], v[20:21], s[6:7]
	v_cvt_f32_f64_e32 v17, v[20:21]
	v_min_f32_e32 v16, v17, v16
	v_cvt_f64_f32_e32 v[16:17], v16
	global_store_dwordx2 v[22:23], v[16:17], off
	v_lshl_add_u64 v[16:17], v[0:1], 3, v[14:15]
	flat_load_dwordx2 v[16:17], v[16:17]
	s_waitcnt vmcnt(0) lgkmcnt(0)
	v_mul_f64 v[16:17], v[16:17], s[6:7]
.LBB112_34:
	v_cvt_f32_f64_e32 v16, v[16:17]
	v_max_f32_e32 v17, v152, v152
	v_min_f32_e32 v16, v16, v17
	v_cvt_f64_f32_e32 v[16:17], v16
	v_lshl_add_u64 v[20:21], v[0:1], 3, v[12:13]
	global_store_dwordx2 v[20:21], v[16:17], off
	v_max_f32_e32 v16, v151, v151
	s_mov_b64 vcc, s[4:5]
	s_cbranch_vccz .LBB112_37
; %bb.35:
	v_min_f32_e32 v17, 0, v16
	v_cvt_f64_f32_e32 v[20:21], v17
	v_lshl_add_u64 v[22:23], v[6:7], 3, v[12:13]
	global_store_dwordx2 v[22:23], v[20:21], off
	s_mov_b64 s[2:3], 0
	s_cbranch_execz .LBB112_38
; %bb.36:
	v_mov_b64_e32 v[14:15], s[2:3]
	s_branch .LBB112_39
.LBB112_37:
                                        ; implicit-def: $sgpr2_sgpr3
.LBB112_38:
	v_lshl_add_u64 v[20:21], v[14:15], 0, v[10:11]
	flat_load_dwordx2 v[20:21], v[20:21]
	v_lshl_add_u64 v[22:23], v[12:13], 0, v[10:11]
	v_lshl_add_u64 v[14:15], v[2:3], 3, v[14:15]
	s_waitcnt vmcnt(0) lgkmcnt(0)
	v_mul_f64 v[20:21], v[20:21], s[6:7]
	v_cvt_f32_f64_e32 v17, v[20:21]
	v_min_f32_e32 v16, v17, v16
	v_cvt_f64_f32_e32 v[16:17], v16
	global_store_dwordx2 v[22:23], v[16:17], off
	flat_load_dwordx2 v[14:15], v[14:15]
	s_waitcnt vmcnt(0) lgkmcnt(0)
	v_mul_f64 v[14:15], v[14:15], s[6:7]
.LBB112_39:
	v_cvt_f32_f64_e32 v14, v[14:15]
	v_max_f32_e32 v15, v150, v150
	v_min_f32_e32 v14, v14, v15
	v_cvt_f64_f32_e32 v[14:15], v14
	v_lshl_add_u64 v[12:13], v[2:3], 3, v[12:13]
	global_store_dwordx2 v[12:13], v[14:15], off
	v_add_u32_e32 v14, 16, v18
	v_mad_i64_i32 v[12:13], s[2:3], v14, s11, 0
	v_lshl_add_u64 v[12:13], v[12:13], 3, s[0:1]
	v_mad_i64_i32 v[14:15], s[2:3], v14, s10, 0
	v_max_f32_e32 v16, v149, v149
	s_mov_b64 vcc, s[4:5]
	s_cbranch_vccz .LBB112_42
; %bb.40:
	v_min_f32_e32 v17, 0, v16
	v_cvt_f64_f32_e32 v[20:21], v17
	v_lshl_add_u64 v[22:23], v[4:5], 3, v[12:13]
	global_store_dwordx2 v[22:23], v[20:21], off
	s_mov_b64 s[2:3], 0
	v_lshl_add_u64 v[14:15], v[14:15], 3, s[12:13]
	s_cbranch_execz .LBB112_43
; %bb.41:
	v_mov_b64_e32 v[16:17], s[2:3]
	s_branch .LBB112_44
.LBB112_42:
                                        ; implicit-def: $sgpr2_sgpr3
	v_lshl_add_u64 v[14:15], v[14:15], 3, s[12:13]
.LBB112_43:
	v_lshl_add_u64 v[20:21], v[14:15], 0, v[8:9]
	flat_load_dwordx2 v[20:21], v[20:21]
	v_lshl_add_u64 v[22:23], v[12:13], 0, v[8:9]
	s_waitcnt vmcnt(0) lgkmcnt(0)
	v_mul_f64 v[20:21], v[20:21], s[6:7]
	v_cvt_f32_f64_e32 v17, v[20:21]
	v_min_f32_e32 v16, v17, v16
	v_cvt_f64_f32_e32 v[16:17], v16
	global_store_dwordx2 v[22:23], v[16:17], off
	v_lshl_add_u64 v[16:17], v[0:1], 3, v[14:15]
	flat_load_dwordx2 v[16:17], v[16:17]
	s_waitcnt vmcnt(0) lgkmcnt(0)
	v_mul_f64 v[16:17], v[16:17], s[6:7]
.LBB112_44:
	v_cvt_f32_f64_e32 v16, v[16:17]
	v_max_f32_e32 v17, v148, v148
	v_min_f32_e32 v16, v16, v17
	v_cvt_f64_f32_e32 v[16:17], v16
	v_lshl_add_u64 v[20:21], v[0:1], 3, v[12:13]
	global_store_dwordx2 v[20:21], v[16:17], off
	v_max_f32_e32 v16, v147, v147
	s_mov_b64 vcc, s[4:5]
	s_cbranch_vccz .LBB112_47
; %bb.45:
	v_min_f32_e32 v17, 0, v16
	v_cvt_f64_f32_e32 v[20:21], v17
	v_lshl_add_u64 v[22:23], v[6:7], 3, v[12:13]
	global_store_dwordx2 v[22:23], v[20:21], off
	s_mov_b64 s[2:3], 0
	s_cbranch_execz .LBB112_48
; %bb.46:
	v_mov_b64_e32 v[14:15], s[2:3]
	s_branch .LBB112_49
.LBB112_47:
                                        ; implicit-def: $sgpr2_sgpr3
.LBB112_48:
	v_lshl_add_u64 v[20:21], v[14:15], 0, v[10:11]
	flat_load_dwordx2 v[20:21], v[20:21]
	v_lshl_add_u64 v[22:23], v[12:13], 0, v[10:11]
	v_lshl_add_u64 v[14:15], v[2:3], 3, v[14:15]
	s_waitcnt vmcnt(0) lgkmcnt(0)
	v_mul_f64 v[20:21], v[20:21], s[6:7]
	v_cvt_f32_f64_e32 v17, v[20:21]
	v_min_f32_e32 v16, v17, v16
	v_cvt_f64_f32_e32 v[16:17], v16
	global_store_dwordx2 v[22:23], v[16:17], off
	flat_load_dwordx2 v[14:15], v[14:15]
	s_waitcnt vmcnt(0) lgkmcnt(0)
	v_mul_f64 v[14:15], v[14:15], s[6:7]
.LBB112_49:
	v_cvt_f32_f64_e32 v14, v[14:15]
	v_max_f32_e32 v15, v146, v146
	v_min_f32_e32 v14, v14, v15
	v_cvt_f64_f32_e32 v[14:15], v14
	v_lshl_add_u64 v[12:13], v[2:3], 3, v[12:13]
	global_store_dwordx2 v[12:13], v[14:15], off
	v_add_u32_e32 v14, 24, v18
	v_mad_i64_i32 v[12:13], s[2:3], v14, s11, 0
	v_lshl_add_u64 v[12:13], v[12:13], 3, s[0:1]
	v_mad_i64_i32 v[14:15], s[2:3], v14, s10, 0
	v_max_f32_e32 v16, v145, v145
	s_mov_b64 vcc, s[4:5]
	s_cbranch_vccz .LBB112_52
; %bb.50:
	v_min_f32_e32 v17, 0, v16
	v_cvt_f64_f32_e32 v[20:21], v17
	v_lshl_add_u64 v[22:23], v[4:5], 3, v[12:13]
	global_store_dwordx2 v[22:23], v[20:21], off
	s_mov_b64 s[2:3], 0
	v_lshl_add_u64 v[14:15], v[14:15], 3, s[12:13]
	s_cbranch_execz .LBB112_53
; %bb.51:
	v_mov_b64_e32 v[16:17], s[2:3]
	s_branch .LBB112_54
.LBB112_52:
                                        ; implicit-def: $sgpr2_sgpr3
	v_lshl_add_u64 v[14:15], v[14:15], 3, s[12:13]
.LBB112_53:
	v_lshl_add_u64 v[20:21], v[14:15], 0, v[8:9]
	flat_load_dwordx2 v[20:21], v[20:21]
	v_lshl_add_u64 v[22:23], v[12:13], 0, v[8:9]
	s_waitcnt vmcnt(0) lgkmcnt(0)
	v_mul_f64 v[20:21], v[20:21], s[6:7]
	v_cvt_f32_f64_e32 v17, v[20:21]
	v_min_f32_e32 v16, v17, v16
	v_cvt_f64_f32_e32 v[16:17], v16
	global_store_dwordx2 v[22:23], v[16:17], off
	v_lshl_add_u64 v[16:17], v[0:1], 3, v[14:15]
	flat_load_dwordx2 v[16:17], v[16:17]
	s_waitcnt vmcnt(0) lgkmcnt(0)
	v_mul_f64 v[16:17], v[16:17], s[6:7]
.LBB112_54:
	v_cvt_f32_f64_e32 v16, v[16:17]
	v_max_f32_e32 v17, v144, v144
	v_min_f32_e32 v16, v16, v17
	v_cvt_f64_f32_e32 v[16:17], v16
	v_lshl_add_u64 v[20:21], v[0:1], 3, v[12:13]
	global_store_dwordx2 v[20:21], v[16:17], off
	v_max_f32_e32 v16, v143, v143
	s_mov_b64 vcc, s[4:5]
	s_cbranch_vccz .LBB112_57
; %bb.55:
	v_min_f32_e32 v17, 0, v16
	v_cvt_f64_f32_e32 v[20:21], v17
	v_lshl_add_u64 v[22:23], v[6:7], 3, v[12:13]
	global_store_dwordx2 v[22:23], v[20:21], off
	s_mov_b64 s[2:3], 0
	s_cbranch_execz .LBB112_58
; %bb.56:
	v_mov_b64_e32 v[14:15], s[2:3]
	s_branch .LBB112_59
.LBB112_57:
                                        ; implicit-def: $sgpr2_sgpr3
.LBB112_58:
	v_lshl_add_u64 v[20:21], v[14:15], 0, v[10:11]
	flat_load_dwordx2 v[20:21], v[20:21]
	v_lshl_add_u64 v[22:23], v[12:13], 0, v[10:11]
	v_lshl_add_u64 v[14:15], v[2:3], 3, v[14:15]
	s_waitcnt vmcnt(0) lgkmcnt(0)
	v_mul_f64 v[20:21], v[20:21], s[6:7]
	v_cvt_f32_f64_e32 v17, v[20:21]
	v_min_f32_e32 v16, v17, v16
	v_cvt_f64_f32_e32 v[16:17], v16
	global_store_dwordx2 v[22:23], v[16:17], off
	flat_load_dwordx2 v[14:15], v[14:15]
	s_waitcnt vmcnt(0) lgkmcnt(0)
	v_mul_f64 v[14:15], v[14:15], s[6:7]
.LBB112_59:
	v_cvt_f32_f64_e32 v14, v[14:15]
	v_max_f32_e32 v15, v142, v142
	v_min_f32_e32 v14, v14, v15
	v_cvt_f64_f32_e32 v[14:15], v14
	v_lshl_add_u64 v[12:13], v[2:3], 3, v[12:13]
	global_store_dwordx2 v[12:13], v[14:15], off
	v_add_u32_e32 v14, 32, v18
	v_mad_i64_i32 v[12:13], s[2:3], v14, s11, 0
	v_lshl_add_u64 v[12:13], v[12:13], 3, s[0:1]
	v_mad_i64_i32 v[14:15], s[2:3], v14, s10, 0
	v_max_f32_e32 v16, v141, v141
	s_mov_b64 vcc, s[4:5]
	s_cbranch_vccz .LBB112_62
; %bb.60:
	v_min_f32_e32 v17, 0, v16
	v_cvt_f64_f32_e32 v[20:21], v17
	v_lshl_add_u64 v[22:23], v[4:5], 3, v[12:13]
	global_store_dwordx2 v[22:23], v[20:21], off
	s_mov_b64 s[2:3], 0
	v_lshl_add_u64 v[14:15], v[14:15], 3, s[12:13]
	s_cbranch_execz .LBB112_63
; %bb.61:
	v_mov_b64_e32 v[16:17], s[2:3]
	s_branch .LBB112_64
.LBB112_62:
                                        ; implicit-def: $sgpr2_sgpr3
	v_lshl_add_u64 v[14:15], v[14:15], 3, s[12:13]
.LBB112_63:
	v_lshl_add_u64 v[20:21], v[14:15], 0, v[8:9]
	flat_load_dwordx2 v[20:21], v[20:21]
	v_lshl_add_u64 v[22:23], v[12:13], 0, v[8:9]
	s_waitcnt vmcnt(0) lgkmcnt(0)
	v_mul_f64 v[20:21], v[20:21], s[6:7]
	v_cvt_f32_f64_e32 v17, v[20:21]
	v_min_f32_e32 v16, v17, v16
	v_cvt_f64_f32_e32 v[16:17], v16
	global_store_dwordx2 v[22:23], v[16:17], off
	v_lshl_add_u64 v[16:17], v[0:1], 3, v[14:15]
	flat_load_dwordx2 v[16:17], v[16:17]
	s_waitcnt vmcnt(0) lgkmcnt(0)
	v_mul_f64 v[16:17], v[16:17], s[6:7]
.LBB112_64:
	v_cvt_f32_f64_e32 v16, v[16:17]
	v_max_f32_e32 v17, v140, v140
	v_min_f32_e32 v16, v16, v17
	v_cvt_f64_f32_e32 v[16:17], v16
	v_lshl_add_u64 v[20:21], v[0:1], 3, v[12:13]
	global_store_dwordx2 v[20:21], v[16:17], off
	v_max_f32_e32 v16, v139, v139
	s_mov_b64 vcc, s[4:5]
	s_cbranch_vccz .LBB112_67
; %bb.65:
	v_min_f32_e32 v17, 0, v16
	v_cvt_f64_f32_e32 v[20:21], v17
	v_lshl_add_u64 v[22:23], v[6:7], 3, v[12:13]
	global_store_dwordx2 v[22:23], v[20:21], off
	s_mov_b64 s[2:3], 0
	s_cbranch_execz .LBB112_68
; %bb.66:
	v_mov_b64_e32 v[14:15], s[2:3]
	s_branch .LBB112_69
.LBB112_67:
                                        ; implicit-def: $sgpr2_sgpr3
.LBB112_68:
	v_lshl_add_u64 v[20:21], v[14:15], 0, v[10:11]
	flat_load_dwordx2 v[20:21], v[20:21]
	v_lshl_add_u64 v[22:23], v[12:13], 0, v[10:11]
	v_lshl_add_u64 v[14:15], v[2:3], 3, v[14:15]
	s_waitcnt vmcnt(0) lgkmcnt(0)
	v_mul_f64 v[20:21], v[20:21], s[6:7]
	v_cvt_f32_f64_e32 v17, v[20:21]
	v_min_f32_e32 v16, v17, v16
	v_cvt_f64_f32_e32 v[16:17], v16
	global_store_dwordx2 v[22:23], v[16:17], off
	flat_load_dwordx2 v[14:15], v[14:15]
	s_waitcnt vmcnt(0) lgkmcnt(0)
	v_mul_f64 v[14:15], v[14:15], s[6:7]
.LBB112_69:
	v_cvt_f32_f64_e32 v14, v[14:15]
	v_max_f32_e32 v15, v138, v138
	v_min_f32_e32 v14, v14, v15
	v_cvt_f64_f32_e32 v[14:15], v14
	v_lshl_add_u64 v[12:13], v[2:3], 3, v[12:13]
	global_store_dwordx2 v[12:13], v[14:15], off
	v_add_u32_e32 v14, 40, v18
	v_mad_i64_i32 v[12:13], s[2:3], v14, s11, 0
	v_lshl_add_u64 v[12:13], v[12:13], 3, s[0:1]
	v_mad_i64_i32 v[14:15], s[2:3], v14, s10, 0
	v_max_f32_e32 v16, v137, v137
	s_mov_b64 vcc, s[4:5]
	s_cbranch_vccz .LBB112_72
; %bb.70:
	v_min_f32_e32 v17, 0, v16
	v_cvt_f64_f32_e32 v[20:21], v17
	v_lshl_add_u64 v[22:23], v[4:5], 3, v[12:13]
	global_store_dwordx2 v[22:23], v[20:21], off
	s_mov_b64 s[2:3], 0
	v_lshl_add_u64 v[14:15], v[14:15], 3, s[12:13]
	s_cbranch_execz .LBB112_73
; %bb.71:
	v_mov_b64_e32 v[16:17], s[2:3]
	s_branch .LBB112_74
.LBB112_72:
                                        ; implicit-def: $sgpr2_sgpr3
	v_lshl_add_u64 v[14:15], v[14:15], 3, s[12:13]
.LBB112_73:
	v_lshl_add_u64 v[20:21], v[14:15], 0, v[8:9]
	flat_load_dwordx2 v[20:21], v[20:21]
	v_lshl_add_u64 v[22:23], v[12:13], 0, v[8:9]
	s_waitcnt vmcnt(0) lgkmcnt(0)
	v_mul_f64 v[20:21], v[20:21], s[6:7]
	v_cvt_f32_f64_e32 v17, v[20:21]
	v_min_f32_e32 v16, v17, v16
	v_cvt_f64_f32_e32 v[16:17], v16
	global_store_dwordx2 v[22:23], v[16:17], off
	v_lshl_add_u64 v[16:17], v[0:1], 3, v[14:15]
	flat_load_dwordx2 v[16:17], v[16:17]
	s_waitcnt vmcnt(0) lgkmcnt(0)
	v_mul_f64 v[16:17], v[16:17], s[6:7]
.LBB112_74:
	v_cvt_f32_f64_e32 v16, v[16:17]
	v_max_f32_e32 v17, v136, v136
	v_min_f32_e32 v16, v16, v17
	v_cvt_f64_f32_e32 v[16:17], v16
	v_lshl_add_u64 v[20:21], v[0:1], 3, v[12:13]
	global_store_dwordx2 v[20:21], v[16:17], off
	v_max_f32_e32 v16, v135, v135
	s_mov_b64 vcc, s[4:5]
	s_cbranch_vccz .LBB112_77
; %bb.75:
	v_min_f32_e32 v17, 0, v16
	v_cvt_f64_f32_e32 v[20:21], v17
	v_lshl_add_u64 v[22:23], v[6:7], 3, v[12:13]
	global_store_dwordx2 v[22:23], v[20:21], off
	s_mov_b64 s[2:3], 0
	s_cbranch_execz .LBB112_78
; %bb.76:
	v_mov_b64_e32 v[14:15], s[2:3]
	s_branch .LBB112_79
.LBB112_77:
                                        ; implicit-def: $sgpr2_sgpr3
.LBB112_78:
	v_lshl_add_u64 v[20:21], v[14:15], 0, v[10:11]
	flat_load_dwordx2 v[20:21], v[20:21]
	v_lshl_add_u64 v[22:23], v[12:13], 0, v[10:11]
	v_lshl_add_u64 v[14:15], v[2:3], 3, v[14:15]
	s_waitcnt vmcnt(0) lgkmcnt(0)
	v_mul_f64 v[20:21], v[20:21], s[6:7]
	v_cvt_f32_f64_e32 v17, v[20:21]
	v_min_f32_e32 v16, v17, v16
	v_cvt_f64_f32_e32 v[16:17], v16
	global_store_dwordx2 v[22:23], v[16:17], off
	flat_load_dwordx2 v[14:15], v[14:15]
	s_waitcnt vmcnt(0) lgkmcnt(0)
	v_mul_f64 v[14:15], v[14:15], s[6:7]
.LBB112_79:
	v_cvt_f32_f64_e32 v14, v[14:15]
	v_max_f32_e32 v15, v134, v134
	v_min_f32_e32 v14, v14, v15
	v_cvt_f64_f32_e32 v[14:15], v14
	v_lshl_add_u64 v[12:13], v[2:3], 3, v[12:13]
	global_store_dwordx2 v[12:13], v[14:15], off
	v_add_u32_e32 v14, 48, v18
	v_mad_i64_i32 v[12:13], s[2:3], v14, s11, 0
	v_lshl_add_u64 v[12:13], v[12:13], 3, s[0:1]
	v_mad_i64_i32 v[14:15], s[2:3], v14, s10, 0
	v_max_f32_e32 v16, v133, v133
	s_mov_b64 vcc, s[4:5]
	s_cbranch_vccz .LBB112_82
; %bb.80:
	v_min_f32_e32 v17, 0, v16
	v_cvt_f64_f32_e32 v[20:21], v17
	v_lshl_add_u64 v[22:23], v[4:5], 3, v[12:13]
	global_store_dwordx2 v[22:23], v[20:21], off
	s_mov_b64 s[2:3], 0
	v_lshl_add_u64 v[14:15], v[14:15], 3, s[12:13]
	s_cbranch_execz .LBB112_83
; %bb.81:
	v_mov_b64_e32 v[16:17], s[2:3]
	s_branch .LBB112_84
.LBB112_82:
                                        ; implicit-def: $sgpr2_sgpr3
	v_lshl_add_u64 v[14:15], v[14:15], 3, s[12:13]
.LBB112_83:
	v_lshl_add_u64 v[20:21], v[14:15], 0, v[8:9]
	flat_load_dwordx2 v[20:21], v[20:21]
	v_lshl_add_u64 v[22:23], v[12:13], 0, v[8:9]
	s_waitcnt vmcnt(0) lgkmcnt(0)
	v_mul_f64 v[20:21], v[20:21], s[6:7]
	v_cvt_f32_f64_e32 v17, v[20:21]
	v_min_f32_e32 v16, v17, v16
	v_cvt_f64_f32_e32 v[16:17], v16
	global_store_dwordx2 v[22:23], v[16:17], off
	v_lshl_add_u64 v[16:17], v[0:1], 3, v[14:15]
	flat_load_dwordx2 v[16:17], v[16:17]
	s_waitcnt vmcnt(0) lgkmcnt(0)
	v_mul_f64 v[16:17], v[16:17], s[6:7]
.LBB112_84:
	v_cvt_f32_f64_e32 v16, v[16:17]
	v_max_f32_e32 v17, v132, v132
	v_min_f32_e32 v16, v16, v17
	v_cvt_f64_f32_e32 v[16:17], v16
	v_lshl_add_u64 v[20:21], v[0:1], 3, v[12:13]
	global_store_dwordx2 v[20:21], v[16:17], off
	v_max_f32_e32 v16, v131, v131
	s_mov_b64 vcc, s[4:5]
	s_cbranch_vccz .LBB112_87
; %bb.85:
	v_min_f32_e32 v17, 0, v16
	v_cvt_f64_f32_e32 v[20:21], v17
	v_lshl_add_u64 v[22:23], v[6:7], 3, v[12:13]
	global_store_dwordx2 v[22:23], v[20:21], off
	s_mov_b64 s[2:3], 0
	s_cbranch_execz .LBB112_88
; %bb.86:
	v_mov_b64_e32 v[14:15], s[2:3]
	s_branch .LBB112_89
.LBB112_87:
                                        ; implicit-def: $sgpr2_sgpr3
.LBB112_88:
	v_lshl_add_u64 v[20:21], v[14:15], 0, v[10:11]
	flat_load_dwordx2 v[20:21], v[20:21]
	v_lshl_add_u64 v[22:23], v[12:13], 0, v[10:11]
	v_lshl_add_u64 v[14:15], v[2:3], 3, v[14:15]
	s_waitcnt vmcnt(0) lgkmcnt(0)
	v_mul_f64 v[20:21], v[20:21], s[6:7]
	v_cvt_f32_f64_e32 v17, v[20:21]
	v_min_f32_e32 v16, v17, v16
	v_cvt_f64_f32_e32 v[16:17], v16
	global_store_dwordx2 v[22:23], v[16:17], off
	flat_load_dwordx2 v[14:15], v[14:15]
	s_waitcnt vmcnt(0) lgkmcnt(0)
	v_mul_f64 v[14:15], v[14:15], s[6:7]
.LBB112_89:
	v_cvt_f32_f64_e32 v14, v[14:15]
	v_max_f32_e32 v15, v130, v130
	v_min_f32_e32 v14, v14, v15
	v_cvt_f64_f32_e32 v[14:15], v14
	v_lshl_add_u64 v[12:13], v[2:3], 3, v[12:13]
	global_store_dwordx2 v[12:13], v[14:15], off
	v_add_u32_e32 v14, 56, v18
	v_mad_i64_i32 v[12:13], s[2:3], v14, s11, 0
	v_lshl_add_u64 v[12:13], v[12:13], 3, s[0:1]
	v_mad_i64_i32 v[14:15], s[2:3], v14, s10, 0
	v_max_f32_e32 v16, v129, v129
	s_mov_b64 vcc, s[4:5]
	s_cbranch_vccz .LBB112_92
; %bb.90:
	v_min_f32_e32 v17, 0, v16
	v_cvt_f64_f32_e32 v[20:21], v17
	v_lshl_add_u64 v[22:23], v[4:5], 3, v[12:13]
	global_store_dwordx2 v[22:23], v[20:21], off
	s_mov_b64 s[2:3], 0
	v_lshl_add_u64 v[14:15], v[14:15], 3, s[12:13]
	s_cbranch_execz .LBB112_93
; %bb.91:
	v_mov_b64_e32 v[16:17], s[2:3]
	s_branch .LBB112_94
.LBB112_92:
                                        ; implicit-def: $sgpr2_sgpr3
	v_lshl_add_u64 v[14:15], v[14:15], 3, s[12:13]
.LBB112_93:
	v_lshl_add_u64 v[20:21], v[14:15], 0, v[8:9]
	flat_load_dwordx2 v[20:21], v[20:21]
	v_lshl_add_u64 v[22:23], v[12:13], 0, v[8:9]
	s_waitcnt vmcnt(0) lgkmcnt(0)
	v_mul_f64 v[20:21], v[20:21], s[6:7]
	v_cvt_f32_f64_e32 v17, v[20:21]
	v_min_f32_e32 v16, v17, v16
	v_cvt_f64_f32_e32 v[16:17], v16
	global_store_dwordx2 v[22:23], v[16:17], off
	v_lshl_add_u64 v[16:17], v[0:1], 3, v[14:15]
	flat_load_dwordx2 v[16:17], v[16:17]
	s_waitcnt vmcnt(0) lgkmcnt(0)
	v_mul_f64 v[16:17], v[16:17], s[6:7]
.LBB112_94:
	v_cvt_f32_f64_e32 v16, v[16:17]
	v_max_f32_e32 v17, v128, v128
	v_min_f32_e32 v16, v16, v17
	v_cvt_f64_f32_e32 v[16:17], v16
	v_lshl_add_u64 v[20:21], v[0:1], 3, v[12:13]
	global_store_dwordx2 v[20:21], v[16:17], off
	v_max_f32_e32 v16, v127, v127
	s_mov_b64 vcc, s[4:5]
	s_cbranch_vccz .LBB112_97
; %bb.95:
	v_min_f32_e32 v17, 0, v16
	v_cvt_f64_f32_e32 v[20:21], v17
	v_lshl_add_u64 v[22:23], v[6:7], 3, v[12:13]
	global_store_dwordx2 v[22:23], v[20:21], off
	s_mov_b64 s[2:3], 0
	s_cbranch_execz .LBB112_98
; %bb.96:
	v_mov_b64_e32 v[14:15], s[2:3]
	s_branch .LBB112_99
.LBB112_97:
                                        ; implicit-def: $sgpr2_sgpr3
.LBB112_98:
	v_lshl_add_u64 v[20:21], v[14:15], 0, v[10:11]
	flat_load_dwordx2 v[20:21], v[20:21]
	v_lshl_add_u64 v[22:23], v[12:13], 0, v[10:11]
	v_lshl_add_u64 v[14:15], v[2:3], 3, v[14:15]
	s_waitcnt vmcnt(0) lgkmcnt(0)
	v_mul_f64 v[20:21], v[20:21], s[6:7]
	v_cvt_f32_f64_e32 v17, v[20:21]
	v_min_f32_e32 v16, v17, v16
	v_cvt_f64_f32_e32 v[16:17], v16
	global_store_dwordx2 v[22:23], v[16:17], off
	flat_load_dwordx2 v[14:15], v[14:15]
	s_waitcnt vmcnt(0) lgkmcnt(0)
	v_mul_f64 v[14:15], v[14:15], s[6:7]
.LBB112_99:
	v_cvt_f32_f64_e32 v14, v[14:15]
	v_max_f32_e32 v15, v126, v126
	v_min_f32_e32 v14, v14, v15
	v_cvt_f64_f32_e32 v[14:15], v14
	v_lshl_add_u64 v[12:13], v[2:3], 3, v[12:13]
	global_store_dwordx2 v[12:13], v[14:15], off
	v_add_u32_e32 v14, 64, v18
	v_mad_i64_i32 v[12:13], s[2:3], v14, s11, 0
	v_lshl_add_u64 v[12:13], v[12:13], 3, s[0:1]
	v_mad_i64_i32 v[14:15], s[2:3], v14, s10, 0
	v_max_f32_e32 v16, v125, v125
	s_mov_b64 vcc, s[4:5]
	s_cbranch_vccz .LBB112_102
; %bb.100:
	v_min_f32_e32 v17, 0, v16
	v_cvt_f64_f32_e32 v[20:21], v17
	v_lshl_add_u64 v[22:23], v[4:5], 3, v[12:13]
	global_store_dwordx2 v[22:23], v[20:21], off
	s_mov_b64 s[2:3], 0
	v_lshl_add_u64 v[14:15], v[14:15], 3, s[12:13]
	s_cbranch_execz .LBB112_103
; %bb.101:
	v_mov_b64_e32 v[16:17], s[2:3]
	s_branch .LBB112_104
.LBB112_102:
                                        ; implicit-def: $sgpr2_sgpr3
	v_lshl_add_u64 v[14:15], v[14:15], 3, s[12:13]
.LBB112_103:
	v_lshl_add_u64 v[20:21], v[14:15], 0, v[8:9]
	flat_load_dwordx2 v[20:21], v[20:21]
	v_lshl_add_u64 v[22:23], v[12:13], 0, v[8:9]
	s_waitcnt vmcnt(0) lgkmcnt(0)
	v_mul_f64 v[20:21], v[20:21], s[6:7]
	v_cvt_f32_f64_e32 v17, v[20:21]
	v_min_f32_e32 v16, v17, v16
	v_cvt_f64_f32_e32 v[16:17], v16
	global_store_dwordx2 v[22:23], v[16:17], off
	v_lshl_add_u64 v[16:17], v[0:1], 3, v[14:15]
	flat_load_dwordx2 v[16:17], v[16:17]
	s_waitcnt vmcnt(0) lgkmcnt(0)
	v_mul_f64 v[16:17], v[16:17], s[6:7]
.LBB112_104:
	v_cvt_f32_f64_e32 v16, v[16:17]
	v_max_f32_e32 v17, v124, v124
	v_min_f32_e32 v16, v16, v17
	v_cvt_f64_f32_e32 v[16:17], v16
	v_lshl_add_u64 v[20:21], v[0:1], 3, v[12:13]
	global_store_dwordx2 v[20:21], v[16:17], off
	v_max_f32_e32 v16, v123, v123
	s_mov_b64 vcc, s[4:5]
	s_cbranch_vccz .LBB112_107
; %bb.105:
	v_min_f32_e32 v17, 0, v16
	v_cvt_f64_f32_e32 v[20:21], v17
	v_lshl_add_u64 v[22:23], v[6:7], 3, v[12:13]
	global_store_dwordx2 v[22:23], v[20:21], off
	s_mov_b64 s[2:3], 0
	s_cbranch_execz .LBB112_108
; %bb.106:
	v_mov_b64_e32 v[14:15], s[2:3]
	s_branch .LBB112_109
.LBB112_107:
                                        ; implicit-def: $sgpr2_sgpr3
.LBB112_108:
	v_lshl_add_u64 v[20:21], v[14:15], 0, v[10:11]
	flat_load_dwordx2 v[20:21], v[20:21]
	v_lshl_add_u64 v[22:23], v[12:13], 0, v[10:11]
	v_lshl_add_u64 v[14:15], v[2:3], 3, v[14:15]
	s_waitcnt vmcnt(0) lgkmcnt(0)
	v_mul_f64 v[20:21], v[20:21], s[6:7]
	v_cvt_f32_f64_e32 v17, v[20:21]
	v_min_f32_e32 v16, v17, v16
	v_cvt_f64_f32_e32 v[16:17], v16
	global_store_dwordx2 v[22:23], v[16:17], off
	flat_load_dwordx2 v[14:15], v[14:15]
	s_waitcnt vmcnt(0) lgkmcnt(0)
	v_mul_f64 v[14:15], v[14:15], s[6:7]
.LBB112_109:
	v_cvt_f32_f64_e32 v14, v[14:15]
	v_max_f32_e32 v15, v122, v122
	v_min_f32_e32 v14, v14, v15
	v_cvt_f64_f32_e32 v[14:15], v14
	v_lshl_add_u64 v[12:13], v[2:3], 3, v[12:13]
	global_store_dwordx2 v[12:13], v[14:15], off
	v_add_u32_e32 v14, 0x48, v18
	v_mad_i64_i32 v[12:13], s[2:3], v14, s11, 0
	v_lshl_add_u64 v[12:13], v[12:13], 3, s[0:1]
	v_mad_i64_i32 v[14:15], s[2:3], v14, s10, 0
	v_max_f32_e32 v16, v121, v121
	s_mov_b64 vcc, s[4:5]
	s_cbranch_vccz .LBB112_112
; %bb.110:
	v_min_f32_e32 v17, 0, v16
	v_cvt_f64_f32_e32 v[20:21], v17
	v_lshl_add_u64 v[22:23], v[4:5], 3, v[12:13]
	global_store_dwordx2 v[22:23], v[20:21], off
	s_mov_b64 s[2:3], 0
	v_lshl_add_u64 v[14:15], v[14:15], 3, s[12:13]
	s_cbranch_execz .LBB112_113
; %bb.111:
	v_mov_b64_e32 v[16:17], s[2:3]
	s_branch .LBB112_114
.LBB112_112:
                                        ; implicit-def: $sgpr2_sgpr3
	v_lshl_add_u64 v[14:15], v[14:15], 3, s[12:13]
.LBB112_113:
	v_lshl_add_u64 v[20:21], v[14:15], 0, v[8:9]
	flat_load_dwordx2 v[20:21], v[20:21]
	v_lshl_add_u64 v[22:23], v[12:13], 0, v[8:9]
	s_waitcnt vmcnt(0) lgkmcnt(0)
	v_mul_f64 v[20:21], v[20:21], s[6:7]
	v_cvt_f32_f64_e32 v17, v[20:21]
	v_min_f32_e32 v16, v17, v16
	v_cvt_f64_f32_e32 v[16:17], v16
	global_store_dwordx2 v[22:23], v[16:17], off
	v_lshl_add_u64 v[16:17], v[0:1], 3, v[14:15]
	flat_load_dwordx2 v[16:17], v[16:17]
	s_waitcnt vmcnt(0) lgkmcnt(0)
	v_mul_f64 v[16:17], v[16:17], s[6:7]
.LBB112_114:
	v_cvt_f32_f64_e32 v16, v[16:17]
	v_max_f32_e32 v17, v120, v120
	v_min_f32_e32 v16, v16, v17
	v_cvt_f64_f32_e32 v[16:17], v16
	v_lshl_add_u64 v[20:21], v[0:1], 3, v[12:13]
	global_store_dwordx2 v[20:21], v[16:17], off
	v_max_f32_e32 v16, v119, v119
	s_mov_b64 vcc, s[4:5]
	s_cbranch_vccz .LBB112_117
; %bb.115:
	v_min_f32_e32 v17, 0, v16
	v_cvt_f64_f32_e32 v[20:21], v17
	v_lshl_add_u64 v[22:23], v[6:7], 3, v[12:13]
	global_store_dwordx2 v[22:23], v[20:21], off
	s_mov_b64 s[2:3], 0
	s_cbranch_execz .LBB112_118
; %bb.116:
	v_mov_b64_e32 v[14:15], s[2:3]
	s_branch .LBB112_119
.LBB112_117:
                                        ; implicit-def: $sgpr2_sgpr3
.LBB112_118:
	v_lshl_add_u64 v[20:21], v[14:15], 0, v[10:11]
	flat_load_dwordx2 v[20:21], v[20:21]
	v_lshl_add_u64 v[22:23], v[12:13], 0, v[10:11]
	v_lshl_add_u64 v[14:15], v[2:3], 3, v[14:15]
	s_waitcnt vmcnt(0) lgkmcnt(0)
	v_mul_f64 v[20:21], v[20:21], s[6:7]
	v_cvt_f32_f64_e32 v17, v[20:21]
	v_min_f32_e32 v16, v17, v16
	v_cvt_f64_f32_e32 v[16:17], v16
	global_store_dwordx2 v[22:23], v[16:17], off
	flat_load_dwordx2 v[14:15], v[14:15]
	s_waitcnt vmcnt(0) lgkmcnt(0)
	v_mul_f64 v[14:15], v[14:15], s[6:7]
.LBB112_119:
	v_cvt_f32_f64_e32 v14, v[14:15]
	v_max_f32_e32 v15, v118, v118
	v_min_f32_e32 v14, v14, v15
	v_cvt_f64_f32_e32 v[14:15], v14
	v_lshl_add_u64 v[12:13], v[2:3], 3, v[12:13]
	global_store_dwordx2 v[12:13], v[14:15], off
	v_add_u32_e32 v14, 0x50, v18
	v_mad_i64_i32 v[12:13], s[2:3], v14, s11, 0
	v_lshl_add_u64 v[12:13], v[12:13], 3, s[0:1]
	v_mad_i64_i32 v[14:15], s[2:3], v14, s10, 0
	v_max_f32_e32 v16, v117, v117
	s_mov_b64 vcc, s[4:5]
	s_cbranch_vccz .LBB112_122
; %bb.120:
	v_min_f32_e32 v17, 0, v16
	v_cvt_f64_f32_e32 v[20:21], v17
	v_lshl_add_u64 v[22:23], v[4:5], 3, v[12:13]
	global_store_dwordx2 v[22:23], v[20:21], off
	s_mov_b64 s[2:3], 0
	v_lshl_add_u64 v[14:15], v[14:15], 3, s[12:13]
	s_cbranch_execz .LBB112_123
; %bb.121:
	v_mov_b64_e32 v[16:17], s[2:3]
	s_branch .LBB112_124
.LBB112_122:
                                        ; implicit-def: $sgpr2_sgpr3
	v_lshl_add_u64 v[14:15], v[14:15], 3, s[12:13]
.LBB112_123:
	v_lshl_add_u64 v[20:21], v[14:15], 0, v[8:9]
	flat_load_dwordx2 v[20:21], v[20:21]
	v_lshl_add_u64 v[22:23], v[12:13], 0, v[8:9]
	s_waitcnt vmcnt(0) lgkmcnt(0)
	v_mul_f64 v[20:21], v[20:21], s[6:7]
	v_cvt_f32_f64_e32 v17, v[20:21]
	v_min_f32_e32 v16, v17, v16
	v_cvt_f64_f32_e32 v[16:17], v16
	global_store_dwordx2 v[22:23], v[16:17], off
	v_lshl_add_u64 v[16:17], v[0:1], 3, v[14:15]
	flat_load_dwordx2 v[16:17], v[16:17]
	s_waitcnt vmcnt(0) lgkmcnt(0)
	v_mul_f64 v[16:17], v[16:17], s[6:7]
.LBB112_124:
	v_cvt_f32_f64_e32 v16, v[16:17]
	v_max_f32_e32 v17, v116, v116
	v_min_f32_e32 v16, v16, v17
	v_cvt_f64_f32_e32 v[16:17], v16
	v_lshl_add_u64 v[20:21], v[0:1], 3, v[12:13]
	global_store_dwordx2 v[20:21], v[16:17], off
	v_max_f32_e32 v16, v115, v115
	s_mov_b64 vcc, s[4:5]
	s_cbranch_vccz .LBB112_127
; %bb.125:
	v_min_f32_e32 v17, 0, v16
	v_cvt_f64_f32_e32 v[20:21], v17
	v_lshl_add_u64 v[22:23], v[6:7], 3, v[12:13]
	s_mov_b32 s8, 0
	global_store_dwordx2 v[22:23], v[20:21], off
	s_cbranch_execz .LBB112_128
; %bb.126:
	v_mov_b32_e32 v14, s8
	s_branch .LBB112_129
.LBB112_127:
                                        ; implicit-def: $sgpr8
.LBB112_128:
	v_lshl_add_u64 v[20:21], v[14:15], 0, v[10:11]
	flat_load_dwordx2 v[20:21], v[20:21]
	v_lshl_add_u64 v[22:23], v[12:13], 0, v[10:11]
	v_lshl_add_u64 v[14:15], v[2:3], 3, v[14:15]
	s_waitcnt vmcnt(0) lgkmcnt(0)
	v_mul_f64 v[20:21], v[20:21], s[6:7]
	v_cvt_f32_f64_e32 v17, v[20:21]
	v_min_f32_e32 v16, v17, v16
	v_cvt_f64_f32_e32 v[16:17], v16
	global_store_dwordx2 v[22:23], v[16:17], off
	flat_load_dwordx2 v[14:15], v[14:15]
	s_waitcnt vmcnt(0) lgkmcnt(0)
	v_mul_f64 v[14:15], v[14:15], s[6:7]
	v_cvt_f32_f64_e32 v14, v[14:15]
.LBB112_129:
	v_max_f32_e32 v15, v114, v114
	v_max_f32_e32 v14, v14, v14
	v_min_f32_e32 v14, v14, v15
	v_cvt_f64_f32_e32 v[14:15], v14
	v_lshl_add_u64 v[12:13], v[2:3], 3, v[12:13]
	global_store_dwordx2 v[12:13], v[14:15], off
	v_add_u32_e32 v14, 0x58, v18
	v_mad_i64_i32 v[12:13], s[2:3], v14, s11, 0
	v_lshl_add_u64 v[12:13], v[12:13], 3, s[0:1]
	v_mad_i64_i32 v[14:15], s[2:3], v14, s10, 0
	v_max_f32_e32 v16, v113, v113
	s_mov_b64 vcc, s[4:5]
	s_cbranch_vccz .LBB112_132
; %bb.130:
	v_min_f32_e32 v17, 0, v16
	v_cvt_f64_f32_e32 v[20:21], v17
	v_lshl_add_u64 v[22:23], v[4:5], 3, v[12:13]
	s_mov_b32 s8, 0
	global_store_dwordx2 v[22:23], v[20:21], off
	v_lshl_add_u64 v[14:15], v[14:15], 3, s[12:13]
	s_cbranch_execz .LBB112_133
; %bb.131:
	v_mov_b32_e32 v16, s8
	s_branch .LBB112_134
.LBB112_132:
                                        ; implicit-def: $sgpr8
	v_lshl_add_u64 v[14:15], v[14:15], 3, s[12:13]
.LBB112_133:
	v_lshl_add_u64 v[20:21], v[14:15], 0, v[8:9]
	flat_load_dwordx2 v[20:21], v[20:21]
	v_lshl_add_u64 v[22:23], v[12:13], 0, v[8:9]
	s_waitcnt vmcnt(0) lgkmcnt(0)
	v_mul_f64 v[20:21], v[20:21], s[6:7]
	v_cvt_f32_f64_e32 v17, v[20:21]
	v_min_f32_e32 v16, v17, v16
	v_cvt_f64_f32_e32 v[16:17], v16
	global_store_dwordx2 v[22:23], v[16:17], off
	v_lshl_add_u64 v[16:17], v[0:1], 3, v[14:15]
	flat_load_dwordx2 v[16:17], v[16:17]
	s_waitcnt vmcnt(0) lgkmcnt(0)
	v_mul_f64 v[16:17], v[16:17], s[6:7]
	v_cvt_f32_f64_e32 v16, v[16:17]
.LBB112_134:
	v_max_f32_e32 v17, v112, v112
	v_max_f32_e32 v16, v16, v16
	v_min_f32_e32 v16, v16, v17
	v_cvt_f64_f32_e32 v[16:17], v16
	v_lshl_add_u64 v[20:21], v[0:1], 3, v[12:13]
	global_store_dwordx2 v[20:21], v[16:17], off
	v_max_f32_e32 v16, v111, v111
	s_mov_b64 vcc, s[4:5]
	s_cbranch_vccz .LBB112_137
; %bb.135:
	v_min_f32_e32 v17, 0, v16
	v_cvt_f64_f32_e32 v[20:21], v17
	v_lshl_add_u64 v[22:23], v[6:7], 3, v[12:13]
	s_mov_b32 s8, 0
	global_store_dwordx2 v[22:23], v[20:21], off
	s_cbranch_execz .LBB112_138
; %bb.136:
	v_mov_b32_e32 v14, s8
	s_branch .LBB112_139
.LBB112_137:
                                        ; implicit-def: $sgpr8
.LBB112_138:
	v_lshl_add_u64 v[20:21], v[14:15], 0, v[10:11]
	flat_load_dwordx2 v[20:21], v[20:21]
	v_lshl_add_u64 v[22:23], v[12:13], 0, v[10:11]
	v_lshl_add_u64 v[14:15], v[2:3], 3, v[14:15]
	s_waitcnt vmcnt(0) lgkmcnt(0)
	v_mul_f64 v[20:21], v[20:21], s[6:7]
	v_cvt_f32_f64_e32 v17, v[20:21]
	v_min_f32_e32 v16, v17, v16
	v_cvt_f64_f32_e32 v[16:17], v16
	global_store_dwordx2 v[22:23], v[16:17], off
	flat_load_dwordx2 v[14:15], v[14:15]
	s_waitcnt vmcnt(0) lgkmcnt(0)
	v_mul_f64 v[14:15], v[14:15], s[6:7]
	v_cvt_f32_f64_e32 v14, v[14:15]
.LBB112_139:
	v_max_f32_e32 v15, v110, v110
	v_max_f32_e32 v14, v14, v14
	v_min_f32_e32 v14, v14, v15
	v_cvt_f64_f32_e32 v[14:15], v14
	v_lshl_add_u64 v[12:13], v[2:3], 3, v[12:13]
	global_store_dwordx2 v[12:13], v[14:15], off
	v_add_u32_e32 v14, 0x60, v18
	v_mad_i64_i32 v[12:13], s[2:3], v14, s11, 0
	v_lshl_add_u64 v[12:13], v[12:13], 3, s[0:1]
	v_mad_i64_i32 v[14:15], s[2:3], v14, s10, 0
	v_max_f32_e32 v16, v109, v109
	s_mov_b64 vcc, s[4:5]
	s_cbranch_vccz .LBB112_142
; %bb.140:
	v_min_f32_e32 v17, 0, v16
	v_cvt_f64_f32_e32 v[20:21], v17
	v_lshl_add_u64 v[22:23], v[4:5], 3, v[12:13]
	s_mov_b32 s8, 0
	global_store_dwordx2 v[22:23], v[20:21], off
	v_lshl_add_u64 v[14:15], v[14:15], 3, s[12:13]
	s_cbranch_execz .LBB112_143
; %bb.141:
	v_mov_b32_e32 v16, s8
	s_branch .LBB112_144
.LBB112_142:
                                        ; implicit-def: $sgpr8
	v_lshl_add_u64 v[14:15], v[14:15], 3, s[12:13]
.LBB112_143:
	v_lshl_add_u64 v[20:21], v[14:15], 0, v[8:9]
	flat_load_dwordx2 v[20:21], v[20:21]
	v_lshl_add_u64 v[22:23], v[12:13], 0, v[8:9]
	s_waitcnt vmcnt(0) lgkmcnt(0)
	v_mul_f64 v[20:21], v[20:21], s[6:7]
	v_cvt_f32_f64_e32 v17, v[20:21]
	v_min_f32_e32 v16, v17, v16
	v_cvt_f64_f32_e32 v[16:17], v16
	global_store_dwordx2 v[22:23], v[16:17], off
	v_lshl_add_u64 v[16:17], v[0:1], 3, v[14:15]
	flat_load_dwordx2 v[16:17], v[16:17]
	s_waitcnt vmcnt(0) lgkmcnt(0)
	v_mul_f64 v[16:17], v[16:17], s[6:7]
	v_cvt_f32_f64_e32 v16, v[16:17]
.LBB112_144:
	v_max_f32_e32 v17, v108, v108
	v_max_f32_e32 v16, v16, v16
	v_min_f32_e32 v16, v16, v17
	v_cvt_f64_f32_e32 v[16:17], v16
	v_lshl_add_u64 v[20:21], v[0:1], 3, v[12:13]
	global_store_dwordx2 v[20:21], v[16:17], off
	v_max_f32_e32 v16, v107, v107
	s_mov_b64 vcc, s[4:5]
	s_cbranch_vccz .LBB112_147
; %bb.145:
	v_min_f32_e32 v17, 0, v16
	v_cvt_f64_f32_e32 v[20:21], v17
	v_lshl_add_u64 v[22:23], v[6:7], 3, v[12:13]
	s_mov_b32 s8, 0
	global_store_dwordx2 v[22:23], v[20:21], off
	s_cbranch_execz .LBB112_148
; %bb.146:
	v_mov_b32_e32 v14, s8
	s_branch .LBB112_149
.LBB112_147:
                                        ; implicit-def: $sgpr8
.LBB112_148:
	v_lshl_add_u64 v[20:21], v[14:15], 0, v[10:11]
	flat_load_dwordx2 v[20:21], v[20:21]
	v_lshl_add_u64 v[22:23], v[12:13], 0, v[10:11]
	v_lshl_add_u64 v[14:15], v[2:3], 3, v[14:15]
	s_waitcnt vmcnt(0) lgkmcnt(0)
	v_mul_f64 v[20:21], v[20:21], s[6:7]
	v_cvt_f32_f64_e32 v17, v[20:21]
	v_min_f32_e32 v16, v17, v16
	v_cvt_f64_f32_e32 v[16:17], v16
	global_store_dwordx2 v[22:23], v[16:17], off
	flat_load_dwordx2 v[14:15], v[14:15]
	s_waitcnt vmcnt(0) lgkmcnt(0)
	v_mul_f64 v[14:15], v[14:15], s[6:7]
	v_cvt_f32_f64_e32 v14, v[14:15]
.LBB112_149:
	v_max_f32_e32 v15, v106, v106
	v_max_f32_e32 v14, v14, v14
	v_min_f32_e32 v14, v14, v15
	v_cvt_f64_f32_e32 v[14:15], v14
	v_lshl_add_u64 v[12:13], v[2:3], 3, v[12:13]
	global_store_dwordx2 v[12:13], v[14:15], off
	v_add_u32_e32 v14, 0x68, v18
	v_mad_i64_i32 v[12:13], s[2:3], v14, s11, 0
	v_lshl_add_u64 v[12:13], v[12:13], 3, s[0:1]
	v_mad_i64_i32 v[14:15], s[2:3], v14, s10, 0
	v_max_f32_e32 v16, v105, v105
	s_mov_b64 vcc, s[4:5]
	s_cbranch_vccz .LBB112_152
; %bb.150:
	v_min_f32_e32 v17, 0, v16
	v_cvt_f64_f32_e32 v[20:21], v17
	v_lshl_add_u64 v[22:23], v[4:5], 3, v[12:13]
	s_mov_b32 s8, 0
	global_store_dwordx2 v[22:23], v[20:21], off
	v_lshl_add_u64 v[14:15], v[14:15], 3, s[12:13]
	s_cbranch_execz .LBB112_153
; %bb.151:
	v_mov_b32_e32 v16, s8
	s_branch .LBB112_154
.LBB112_152:
                                        ; implicit-def: $sgpr8
	v_lshl_add_u64 v[14:15], v[14:15], 3, s[12:13]
.LBB112_153:
	v_lshl_add_u64 v[20:21], v[14:15], 0, v[8:9]
	flat_load_dwordx2 v[20:21], v[20:21]
	v_lshl_add_u64 v[22:23], v[12:13], 0, v[8:9]
	s_waitcnt vmcnt(0) lgkmcnt(0)
	v_mul_f64 v[20:21], v[20:21], s[6:7]
	v_cvt_f32_f64_e32 v17, v[20:21]
	v_min_f32_e32 v16, v17, v16
	v_cvt_f64_f32_e32 v[16:17], v16
	global_store_dwordx2 v[22:23], v[16:17], off
	v_lshl_add_u64 v[16:17], v[0:1], 3, v[14:15]
	flat_load_dwordx2 v[16:17], v[16:17]
	s_waitcnt vmcnt(0) lgkmcnt(0)
	v_mul_f64 v[16:17], v[16:17], s[6:7]
	v_cvt_f32_f64_e32 v16, v[16:17]
.LBB112_154:
	v_max_f32_e32 v17, v104, v104
	v_max_f32_e32 v16, v16, v16
	v_min_f32_e32 v16, v16, v17
	v_cvt_f64_f32_e32 v[16:17], v16
	v_lshl_add_u64 v[20:21], v[0:1], 3, v[12:13]
	global_store_dwordx2 v[20:21], v[16:17], off
	v_max_f32_e32 v16, v103, v103
	s_mov_b64 vcc, s[4:5]
	s_cbranch_vccz .LBB112_157
; %bb.155:
	v_min_f32_e32 v17, 0, v16
	v_cvt_f64_f32_e32 v[20:21], v17
	v_lshl_add_u64 v[22:23], v[6:7], 3, v[12:13]
	s_mov_b32 s8, 0
	global_store_dwordx2 v[22:23], v[20:21], off
	s_cbranch_execz .LBB112_158
; %bb.156:
	v_mov_b32_e32 v14, s8
	s_branch .LBB112_159
.LBB112_157:
                                        ; implicit-def: $sgpr8
.LBB112_158:
	v_lshl_add_u64 v[20:21], v[14:15], 0, v[10:11]
	flat_load_dwordx2 v[20:21], v[20:21]
	v_lshl_add_u64 v[22:23], v[12:13], 0, v[10:11]
	v_lshl_add_u64 v[14:15], v[2:3], 3, v[14:15]
	s_waitcnt vmcnt(0) lgkmcnt(0)
	v_mul_f64 v[20:21], v[20:21], s[6:7]
	v_cvt_f32_f64_e32 v17, v[20:21]
	v_min_f32_e32 v16, v17, v16
	v_cvt_f64_f32_e32 v[16:17], v16
	global_store_dwordx2 v[22:23], v[16:17], off
	flat_load_dwordx2 v[14:15], v[14:15]
	s_waitcnt vmcnt(0) lgkmcnt(0)
	v_mul_f64 v[14:15], v[14:15], s[6:7]
	v_cvt_f32_f64_e32 v14, v[14:15]
.LBB112_159:
	v_max_f32_e32 v15, v102, v102
	v_max_f32_e32 v14, v14, v14
	v_min_f32_e32 v14, v14, v15
	v_cvt_f64_f32_e32 v[14:15], v14
	v_lshl_add_u64 v[12:13], v[2:3], 3, v[12:13]
	global_store_dwordx2 v[12:13], v[14:15], off
	v_add_u32_e32 v14, 0x70, v18
	v_mad_i64_i32 v[12:13], s[2:3], v14, s11, 0
	v_lshl_add_u64 v[12:13], v[12:13], 3, s[0:1]
	v_mad_i64_i32 v[14:15], s[2:3], v14, s10, 0
	v_max_f32_e32 v16, v101, v101
	s_mov_b64 vcc, s[4:5]
	s_cbranch_vccz .LBB112_162
; %bb.160:
	v_min_f32_e32 v17, 0, v16
	v_cvt_f64_f32_e32 v[20:21], v17
	v_lshl_add_u64 v[22:23], v[4:5], 3, v[12:13]
	s_mov_b32 s8, 0
	global_store_dwordx2 v[22:23], v[20:21], off
	v_lshl_add_u64 v[14:15], v[14:15], 3, s[12:13]
	s_cbranch_execz .LBB112_163
; %bb.161:
	v_mov_b32_e32 v16, s8
	s_branch .LBB112_164
.LBB112_162:
                                        ; implicit-def: $sgpr8
	v_lshl_add_u64 v[14:15], v[14:15], 3, s[12:13]
.LBB112_163:
	v_lshl_add_u64 v[20:21], v[14:15], 0, v[8:9]
	flat_load_dwordx2 v[20:21], v[20:21]
	v_lshl_add_u64 v[22:23], v[12:13], 0, v[8:9]
	s_waitcnt vmcnt(0) lgkmcnt(0)
	v_mul_f64 v[20:21], v[20:21], s[6:7]
	v_cvt_f32_f64_e32 v17, v[20:21]
	v_min_f32_e32 v16, v17, v16
	v_cvt_f64_f32_e32 v[16:17], v16
	global_store_dwordx2 v[22:23], v[16:17], off
	v_lshl_add_u64 v[16:17], v[0:1], 3, v[14:15]
	flat_load_dwordx2 v[16:17], v[16:17]
	s_waitcnt vmcnt(0) lgkmcnt(0)
	v_mul_f64 v[16:17], v[16:17], s[6:7]
	v_cvt_f32_f64_e32 v16, v[16:17]
.LBB112_164:
	v_max_f32_e32 v17, v100, v100
	v_max_f32_e32 v16, v16, v16
	v_min_f32_e32 v16, v16, v17
	v_cvt_f64_f32_e32 v[16:17], v16
	v_lshl_add_u64 v[20:21], v[0:1], 3, v[12:13]
	global_store_dwordx2 v[20:21], v[16:17], off
	v_max_f32_e32 v16, v99, v99
	s_mov_b64 vcc, s[4:5]
	s_cbranch_vccz .LBB112_167
; %bb.165:
	v_min_f32_e32 v17, 0, v16
	v_cvt_f64_f32_e32 v[20:21], v17
	v_lshl_add_u64 v[22:23], v[6:7], 3, v[12:13]
	s_mov_b32 s8, 0
	global_store_dwordx2 v[22:23], v[20:21], off
	s_cbranch_execz .LBB112_168
; %bb.166:
	v_mov_b32_e32 v14, s8
	s_branch .LBB112_169
.LBB112_167:
                                        ; implicit-def: $sgpr8
.LBB112_168:
	v_lshl_add_u64 v[20:21], v[14:15], 0, v[10:11]
	flat_load_dwordx2 v[20:21], v[20:21]
	v_lshl_add_u64 v[22:23], v[12:13], 0, v[10:11]
	v_lshl_add_u64 v[14:15], v[2:3], 3, v[14:15]
	s_waitcnt vmcnt(0) lgkmcnt(0)
	v_mul_f64 v[20:21], v[20:21], s[6:7]
	v_cvt_f32_f64_e32 v17, v[20:21]
	v_min_f32_e32 v16, v17, v16
	v_cvt_f64_f32_e32 v[16:17], v16
	global_store_dwordx2 v[22:23], v[16:17], off
	flat_load_dwordx2 v[14:15], v[14:15]
	s_waitcnt vmcnt(0) lgkmcnt(0)
	v_mul_f64 v[14:15], v[14:15], s[6:7]
	v_cvt_f32_f64_e32 v14, v[14:15]
.LBB112_169:
	v_max_f32_e32 v15, v98, v98
	v_max_f32_e32 v14, v14, v14
	v_min_f32_e32 v14, v14, v15
	v_cvt_f64_f32_e32 v[14:15], v14
	v_lshl_add_u64 v[12:13], v[2:3], 3, v[12:13]
	global_store_dwordx2 v[12:13], v[14:15], off
	v_add_u32_e32 v14, 0x78, v18
	v_mad_i64_i32 v[12:13], s[2:3], v14, s11, 0
	v_lshl_add_u64 v[12:13], v[12:13], 3, s[0:1]
	v_mad_i64_i32 v[14:15], s[0:1], v14, s10, 0
	v_max_f32_e32 v16, v97, v97
	s_mov_b64 vcc, s[4:5]
	s_cbranch_vccz .LBB112_172
; %bb.170:
	v_min_f32_e32 v17, 0, v16
	v_cvt_f64_f32_e32 v[18:19], v17
	v_lshl_add_u64 v[4:5], v[4:5], 3, v[12:13]
	s_mov_b32 s2, 0
	global_store_dwordx2 v[4:5], v[18:19], off
	v_lshl_add_u64 v[4:5], v[14:15], 3, s[12:13]
	s_cbranch_execz .LBB112_173
; %bb.171:
	v_mov_b32_e32 v8, s2
	s_branch .LBB112_174
.LBB112_172:
                                        ; implicit-def: $sgpr2
	v_lshl_add_u64 v[4:5], v[14:15], 3, s[12:13]
.LBB112_173:
	v_lshl_add_u64 v[14:15], v[4:5], 0, v[8:9]
	flat_load_dwordx2 v[14:15], v[14:15]
	v_lshl_add_u64 v[8:9], v[12:13], 0, v[8:9]
	s_waitcnt vmcnt(0) lgkmcnt(0)
	v_mul_f64 v[14:15], v[14:15], s[6:7]
	v_cvt_f32_f64_e32 v14, v[14:15]
	v_min_f32_e32 v14, v14, v16
	v_cvt_f64_f32_e32 v[14:15], v14
	global_store_dwordx2 v[8:9], v[14:15], off
	v_lshl_add_u64 v[8:9], v[0:1], 3, v[4:5]
	flat_load_dwordx2 v[8:9], v[8:9]
	s_waitcnt vmcnt(0) lgkmcnt(0)
	v_mul_f64 v[8:9], v[8:9], s[6:7]
	v_cvt_f32_f64_e32 v8, v[8:9]
.LBB112_174:
	v_max_f32_e32 v9, v96, v96
	v_max_f32_e32 v8, v8, v8
	v_min_f32_e32 v8, v8, v9
	v_cvt_f64_f32_e32 v[8:9], v8
	v_lshl_add_u64 v[0:1], v[0:1], 3, v[12:13]
	global_store_dwordx2 v[0:1], v[8:9], off
	v_max_f32_e32 v0, v95, v95
	s_mov_b64 vcc, s[4:5]
	s_cbranch_vccz .LBB112_177
; %bb.175:
	v_min_f32_e32 v1, 0, v0
	v_cvt_f64_f32_e32 v[8:9], v1
	v_lshl_add_u64 v[6:7], v[6:7], 3, v[12:13]
	s_mov_b32 s2, 0
	global_store_dwordx2 v[6:7], v[8:9], off
	s_cbranch_execz .LBB112_178
; %bb.176:
	v_mov_b32_e32 v0, s2
	s_branch .LBB112_179
.LBB112_177:
                                        ; implicit-def: $sgpr2
.LBB112_178:
	v_lshl_add_u64 v[6:7], v[4:5], 0, v[10:11]
	flat_load_dwordx2 v[6:7], v[6:7]
	v_lshl_add_u64 v[8:9], v[12:13], 0, v[10:11]
	s_waitcnt vmcnt(0) lgkmcnt(0)
	v_mul_f64 v[6:7], v[6:7], s[6:7]
	v_cvt_f32_f64_e32 v1, v[6:7]
	v_min_f32_e32 v0, v1, v0
	v_cvt_f64_f32_e32 v[0:1], v0
	global_store_dwordx2 v[8:9], v[0:1], off
	v_lshl_add_u64 v[0:1], v[2:3], 3, v[4:5]
	flat_load_dwordx2 v[0:1], v[0:1]
	s_waitcnt vmcnt(0) lgkmcnt(0)
	v_mul_f64 v[0:1], v[0:1], s[6:7]
	v_cvt_f32_f64_e32 v0, v[0:1]
.LBB112_179:
	v_max_f32_e32 v1, v94, v94
	v_max_f32_e32 v0, v0, v0
	v_min_f32_e32 v0, v0, v1
	v_cvt_f64_f32_e32 v[0:1], v0
	v_lshl_add_u64 v[2:3], v[2:3], 3, v[12:13]
	global_store_dwordx2 v[2:3], v[0:1], off
	s_endpgm
	.section	.rodata,"a",@progbits
	.p2align	6, 0x0
	.amdhsa_kernel _ZN12_GLOBAL__N_120geam_min_plus_kernelId15HIP_vector_typeIdLj2EEdLi32ELi8ELi128ELi128ELi4ELi4ELi64ELi4ELi64ELc84ELc78ELb1ELb0ELb1EdKPKdKPdEEviiiT16_PT17_ilSA_ilS8_SA_ilPT18_ili26rocblas_geam_ex_operation_
		.amdhsa_group_segment_fixed_size 16384
		.amdhsa_private_segment_fixed_size 0
		.amdhsa_kernarg_size 136
		.amdhsa_user_sgpr_count 2
		.amdhsa_user_sgpr_dispatch_ptr 0
		.amdhsa_user_sgpr_queue_ptr 0
		.amdhsa_user_sgpr_kernarg_segment_ptr 1
		.amdhsa_user_sgpr_dispatch_id 0
		.amdhsa_user_sgpr_kernarg_preload_length 0
		.amdhsa_user_sgpr_kernarg_preload_offset 0
		.amdhsa_user_sgpr_private_segment_size 0
		.amdhsa_uses_dynamic_stack 0
		.amdhsa_enable_private_segment 0
		.amdhsa_system_sgpr_workgroup_id_x 1
		.amdhsa_system_sgpr_workgroup_id_y 0
		.amdhsa_system_sgpr_workgroup_id_z 1
		.amdhsa_system_sgpr_workgroup_info 0
		.amdhsa_system_vgpr_workitem_id 1
		.amdhsa_next_free_vgpr 182
		.amdhsa_next_free_sgpr 22
		.amdhsa_accum_offset 184
		.amdhsa_reserve_vcc 1
		.amdhsa_float_round_mode_32 0
		.amdhsa_float_round_mode_16_64 0
		.amdhsa_float_denorm_mode_32 3
		.amdhsa_float_denorm_mode_16_64 3
		.amdhsa_dx10_clamp 1
		.amdhsa_ieee_mode 1
		.amdhsa_fp16_overflow 0
		.amdhsa_tg_split 0
		.amdhsa_exception_fp_ieee_invalid_op 0
		.amdhsa_exception_fp_denorm_src 0
		.amdhsa_exception_fp_ieee_div_zero 0
		.amdhsa_exception_fp_ieee_overflow 0
		.amdhsa_exception_fp_ieee_underflow 0
		.amdhsa_exception_fp_ieee_inexact 0
		.amdhsa_exception_int_div_zero 0
	.end_amdhsa_kernel
	.section	.text._ZN12_GLOBAL__N_120geam_min_plus_kernelId15HIP_vector_typeIdLj2EEdLi32ELi8ELi128ELi128ELi4ELi4ELi64ELi4ELi64ELc84ELc78ELb1ELb0ELb1EdKPKdKPdEEviiiT16_PT17_ilSA_ilS8_SA_ilPT18_ili26rocblas_geam_ex_operation_,"axG",@progbits,_ZN12_GLOBAL__N_120geam_min_plus_kernelId15HIP_vector_typeIdLj2EEdLi32ELi8ELi128ELi128ELi4ELi4ELi64ELi4ELi64ELc84ELc78ELb1ELb0ELb1EdKPKdKPdEEviiiT16_PT17_ilSA_ilS8_SA_ilPT18_ili26rocblas_geam_ex_operation_,comdat
.Lfunc_end112:
	.size	_ZN12_GLOBAL__N_120geam_min_plus_kernelId15HIP_vector_typeIdLj2EEdLi32ELi8ELi128ELi128ELi4ELi4ELi64ELi4ELi64ELc84ELc78ELb1ELb0ELb1EdKPKdKPdEEviiiT16_PT17_ilSA_ilS8_SA_ilPT18_ili26rocblas_geam_ex_operation_, .Lfunc_end112-_ZN12_GLOBAL__N_120geam_min_plus_kernelId15HIP_vector_typeIdLj2EEdLi32ELi8ELi128ELi128ELi4ELi4ELi64ELi4ELi64ELc84ELc78ELb1ELb0ELb1EdKPKdKPdEEviiiT16_PT17_ilSA_ilS8_SA_ilPT18_ili26rocblas_geam_ex_operation_
                                        ; -- End function
	.section	.AMDGPU.csdata,"",@progbits
; Kernel info:
; codeLenInByte = 16864
; NumSgprs: 28
; NumVgprs: 182
; NumAgprs: 0
; TotalNumVgprs: 182
; ScratchSize: 0
; MemoryBound: 0
; FloatMode: 240
; IeeeMode: 1
; LDSByteSize: 16384 bytes/workgroup (compile time only)
; SGPRBlocks: 3
; VGPRBlocks: 22
; NumSGPRsForWavesPerEU: 28
; NumVGPRsForWavesPerEU: 182
; AccumOffset: 184
; Occupancy: 2
; WaveLimiterHint : 1
; COMPUTE_PGM_RSRC2:SCRATCH_EN: 0
; COMPUTE_PGM_RSRC2:USER_SGPR: 2
; COMPUTE_PGM_RSRC2:TRAP_HANDLER: 0
; COMPUTE_PGM_RSRC2:TGID_X_EN: 1
; COMPUTE_PGM_RSRC2:TGID_Y_EN: 0
; COMPUTE_PGM_RSRC2:TGID_Z_EN: 1
; COMPUTE_PGM_RSRC2:TIDIG_COMP_CNT: 1
; COMPUTE_PGM_RSRC3_GFX90A:ACCUM_OFFSET: 45
; COMPUTE_PGM_RSRC3_GFX90A:TG_SPLIT: 0
	.section	.text._ZN12_GLOBAL__N_120geam_min_plus_kernelId15HIP_vector_typeIdLj2EEdLi32ELi8ELi128ELi128ELi4ELi4ELi64ELi4ELi64ELc84ELc78ELb0ELb0ELb1EdKPKdKPdEEviiiT16_PT17_ilSA_ilS8_SA_ilPT18_ili26rocblas_geam_ex_operation_,"axG",@progbits,_ZN12_GLOBAL__N_120geam_min_plus_kernelId15HIP_vector_typeIdLj2EEdLi32ELi8ELi128ELi128ELi4ELi4ELi64ELi4ELi64ELc84ELc78ELb0ELb0ELb1EdKPKdKPdEEviiiT16_PT17_ilSA_ilS8_SA_ilPT18_ili26rocblas_geam_ex_operation_,comdat
	.globl	_ZN12_GLOBAL__N_120geam_min_plus_kernelId15HIP_vector_typeIdLj2EEdLi32ELi8ELi128ELi128ELi4ELi4ELi64ELi4ELi64ELc84ELc78ELb0ELb0ELb1EdKPKdKPdEEviiiT16_PT17_ilSA_ilS8_SA_ilPT18_ili26rocblas_geam_ex_operation_ ; -- Begin function _ZN12_GLOBAL__N_120geam_min_plus_kernelId15HIP_vector_typeIdLj2EEdLi32ELi8ELi128ELi128ELi4ELi4ELi64ELi4ELi64ELc84ELc78ELb0ELb0ELb1EdKPKdKPdEEviiiT16_PT17_ilSA_ilS8_SA_ilPT18_ili26rocblas_geam_ex_operation_
	.p2align	8
	.type	_ZN12_GLOBAL__N_120geam_min_plus_kernelId15HIP_vector_typeIdLj2EEdLi32ELi8ELi128ELi128ELi4ELi4ELi64ELi4ELi64ELc84ELc78ELb0ELb0ELb1EdKPKdKPdEEviiiT16_PT17_ilSA_ilS8_SA_ilPT18_ili26rocblas_geam_ex_operation_,@function
_ZN12_GLOBAL__N_120geam_min_plus_kernelId15HIP_vector_typeIdLj2EEdLi32ELi8ELi128ELi128ELi4ELi4ELi64ELi4ELi64ELc84ELc78ELb0ELb0ELb1EdKPKdKPdEEviiiT16_PT17_ilSA_ilS8_SA_ilPT18_ili26rocblas_geam_ex_operation_: ; @_ZN12_GLOBAL__N_120geam_min_plus_kernelId15HIP_vector_typeIdLj2EEdLi32ELi8ELi128ELi128ELi4ELi4ELi64ELi4ELi64ELc84ELc78ELb0ELb0ELb1EdKPKdKPdEEviiiT16_PT17_ilSA_ilS8_SA_ilPT18_ili26rocblas_geam_ex_operation_
; %bb.0:
	s_load_dwordx4 s[12:15], s[0:1], 0x10
	s_load_dwordx4 s[4:7], s[0:1], 0x28
	s_mov_b32 s24, s3
	s_mov_b64 s[20:21], 0
	s_waitcnt lgkmcnt(0)
	v_cmp_eq_f64_e64 s[16:17], s[12:13], 0
	s_and_b64 vcc, exec, s[16:17]
	s_cbranch_vccnz .LBB113_2
; %bb.1:
	s_mov_b32 s25, 0
	s_lshl_b64 s[8:9], s[24:25], 3
	s_add_u32 s8, s14, s8
	s_addc_u32 s9, s15, s9
	s_load_dwordx2 s[8:9], s[8:9], 0x0
	s_lshl_b64 s[4:5], s[4:5], 3
	s_waitcnt lgkmcnt(0)
	s_add_u32 s20, s8, s4
	s_addc_u32 s21, s9, s5
.LBB113_2:
	s_load_dwordx4 s[8:11], s[0:1], 0x40
	s_load_dwordx2 s[4:5], s[0:1], 0x50
	s_andn2_b64 vcc, exec, s[16:17]
	s_cbranch_vccnz .LBB113_4
; %bb.3:
	s_mov_b32 s25, 0
	s_mov_b64 s[22:23], 0
	s_cbranch_execz .LBB113_5
	s_branch .LBB113_6
.LBB113_4:
                                        ; implicit-def: $sgpr22_sgpr23
.LBB113_5:
	s_mov_b32 s25, 0
	s_lshl_b64 s[14:15], s[24:25], 3
	s_add_u32 s6, s6, s14
	s_addc_u32 s7, s7, s15
	s_load_dwordx2 s[6:7], s[6:7], 0x0
	s_waitcnt lgkmcnt(0)
	s_lshl_b64 s[8:9], s[8:9], 3
	s_add_u32 s22, s6, s8
	s_addc_u32 s23, s7, s9
.LBB113_6:
	s_load_dwordx4 s[16:19], s[0:1], 0x60
	s_waitcnt lgkmcnt(0)
	v_cmp_eq_f64_e64 s[6:7], s[10:11], 0
	s_and_b64 s[6:7], exec, s[6:7]
	v_cmp_neq_f64_e64 s[26:27], s[12:13], 0
	s_mov_b64 s[8:9], 0
	s_mov_b64 vcc, s[6:7]
	s_cbranch_vccnz .LBB113_8
; %bb.7:
	s_lshl_b64 s[8:9], s[24:25], 3
	s_add_u32 s4, s4, s8
	s_addc_u32 s5, s5, s9
	s_load_dwordx2 s[4:5], s[4:5], 0x0
	s_lshl_b64 s[8:9], s[16:17], 3
	s_waitcnt lgkmcnt(0)
	s_add_u32 s8, s4, s8
	s_addc_u32 s9, s5, s9
.LBB113_8:
	s_load_dword s3, s[0:1], 0x0
	s_load_dword s28, s[0:1], 0x20
	s_lshl_b64 s[4:5], s[24:25], 3
	s_add_u32 s4, s18, s4
	s_addc_u32 s5, s19, s5
	s_waitcnt lgkmcnt(0)
	s_add_i32 s3, s3, -1
	s_ashr_i32 s14, s3, 31
	s_lshr_b32 s14, s14, 25
	s_add_i32 s3, s3, s14
	s_ashr_i32 s3, s3, 7
	s_add_i32 s16, s3, 1
	v_cvt_f32_u32_e32 v1, s16
	s_load_dwordx2 s[14:15], s[4:5], 0x0
	s_not_b32 s3, s3
	v_and_b32_e32 v143, 0x3ff, v0
	v_rcp_iflag_f32_e32 v1, v1
	v_bfe_u32 v144, v0, 10, 10
	v_lshl_add_u32 v0, v144, 5, v143
	v_lshrrev_b32_e32 v10, 2, v0
	v_mul_f32_e32 v1, 0x4f7ffffe, v1
	v_cvt_u32_f32_e32 v1, v1
	v_and_b32_e32 v152, 3, v143
	v_cndmask_b32_e64 v0, 0, 1, s[26:27]
	v_readfirstlane_b32 s4, v1
	s_mul_i32 s3, s3, s4
	s_mul_hi_u32 s3, s4, s3
	s_add_i32 s4, s4, s3
	s_mul_hi_u32 s3, s2, s4
	s_mul_i32 s4, s3, s16
	s_sub_i32 s4, s2, s4
	s_add_i32 s5, s3, 1
	s_sub_i32 s17, s4, s16
	s_cmp_ge_u32 s4, s16
	s_cselect_b32 s3, s5, s3
	s_cselect_b32 s4, s17, s4
	s_add_i32 s5, s3, 1
	s_cmp_ge_u32 s4, s16
	s_cselect_b32 s3, s5, s3
	s_mul_i32 s4, s3, s16
	s_sub_i32 s2, s2, s4
	s_lshl_b32 s16, s2, 7
	v_add_u32_e32 v81, s16, v10
	v_cmp_ne_u32_e64 s[4:5], 1, v0
	s_andn2_b64 vcc, exec, s[26:27]
	v_lshlrev_b32_e32 v0, 3, v152
	v_add_u32_e32 v80, 64, v81
	s_cbranch_vccnz .LBB113_10
; %bb.9:
	v_mov_b32_e32 v1, 0
	v_lshl_add_u64 v[2:3], s[20:21], 0, v[0:1]
	v_mad_i64_i32 v[4:5], s[18:19], v81, s28, 0
	v_lshl_add_u64 v[4:5], v[4:5], 3, v[2:3]
	v_mad_i64_i32 v[6:7], s[18:19], v80, s28, 0
	v_lshl_add_u64 v[2:3], v[6:7], 3, v[2:3]
	flat_load_dwordx2 v[6:7], v[4:5]
	flat_load_dwordx2 v[8:9], v[2:3]
	s_waitcnt vmcnt(0) lgkmcnt(0)
	v_mul_f64 v[2:3], v[6:7], s[12:13]
	v_mul_f64 v[4:5], v[8:9], s[12:13]
	s_branch .LBB113_11
.LBB113_10:
	v_mov_b64_e32 v[2:3], 0
	v_mov_b64_e32 v[4:5], 0
.LBB113_11:
	s_load_dword s24, s[0:1], 0x38
	s_lshl_b32 s17, s3, 7
	v_add_u32_e32 v83, s17, v10
	s_and_b64 vcc, exec, s[4:5]
	v_add_u32_e32 v82, 64, v83
	s_cbranch_vccnz .LBB113_15
; %bb.12:
	v_mov_b32_e32 v1, 0
	v_lshl_add_u64 v[6:7], s[22:23], 0, v[0:1]
	s_waitcnt lgkmcnt(0)
	v_mad_i64_i32 v[8:9], s[2:3], v83, s24, 0
	v_lshl_add_u64 v[8:9], v[8:9], 3, v[6:7]
	v_mad_i64_i32 v[12:13], s[2:3], v82, s24, 0
	v_lshl_add_u64 v[6:7], v[12:13], 3, v[6:7]
	flat_load_dwordx2 v[12:13], v[8:9]
	flat_load_dwordx2 v[14:15], v[6:7]
	s_waitcnt vmcnt(0) lgkmcnt(0)
	v_mul_f64 v[6:7], v[12:13], s[12:13]
	v_mul_f64 v[8:9], v[14:15], s[12:13]
	s_and_b64 vcc, exec, s[4:5]
	s_cbranch_vccnz .LBB113_16
.LBB113_13:
	v_mov_b32_e32 v1, 0
	v_lshl_add_u64 v[12:13], s[20:21], 0, v[0:1]
	v_mad_i64_i32 v[14:15], s[2:3], v81, s28, 0
	v_lshl_add_u64 v[14:15], v[14:15], 3, v[12:13]
	v_mad_i64_i32 v[16:17], s[2:3], v80, s28, 0
	v_lshl_add_u64 v[12:13], v[16:17], 3, v[12:13]
	flat_load_dwordx2 v[16:17], v[14:15] offset:32
	flat_load_dwordx2 v[18:19], v[12:13] offset:32
	s_waitcnt vmcnt(0) lgkmcnt(0)
	v_mul_f64 v[72:73], v[16:17], s[12:13]
	v_mul_f64 v[74:75], v[18:19], s[12:13]
	s_and_b64 vcc, exec, s[4:5]
	s_cbranch_vccnz .LBB113_17
.LBB113_14:
	v_mov_b32_e32 v1, 0
	v_lshl_add_u64 v[12:13], s[22:23], 0, v[0:1]
	s_waitcnt lgkmcnt(0)
	v_mad_i64_i32 v[14:15], s[2:3], v83, s24, 0
	v_lshl_add_u64 v[14:15], v[14:15], 3, v[12:13]
	v_mad_i64_i32 v[16:17], s[2:3], v82, s24, 0
	v_lshl_add_u64 v[12:13], v[16:17], 3, v[12:13]
	flat_load_dwordx2 v[16:17], v[14:15] offset:32
	flat_load_dwordx2 v[18:19], v[12:13] offset:32
	s_waitcnt vmcnt(0) lgkmcnt(0)
	v_mul_f64 v[76:77], v[16:17], s[12:13]
	v_mul_f64 v[78:79], v[18:19], s[12:13]
	s_branch .LBB113_18
.LBB113_15:
	v_mov_b64_e32 v[6:7], 0
	v_mov_b64_e32 v[8:9], 0
	s_and_b64 vcc, exec, s[4:5]
	s_cbranch_vccz .LBB113_13
.LBB113_16:
	v_mov_b64_e32 v[72:73], 0
	v_mov_b64_e32 v[74:75], 0
	s_and_b64 vcc, exec, s[4:5]
	s_cbranch_vccz .LBB113_14
.LBB113_17:
	v_mov_b64_e32 v[76:77], 0
	v_mov_b64_e32 v[78:79], 0
.LBB113_18:
	v_lshl_or_b32 v153, v10, 5, v0
	v_add_u32_e32 v154, 0x2000, v153
	s_mov_b32 s18, 0
	s_mov_b64 s[2:3], -1
	v_mov_b32_e32 v86, 0x7f800000
	v_mov_b32_e32 v87, 0x7f800000
	;; [unrolled: 1-line block ×64, first 2 shown]
	ds_write2st64_b64 v153, v[2:3], v[4:5] offset1:4
	ds_write2st64_b64 v153, v[6:7], v[8:9] offset0:16 offset1:20
	s_waitcnt lgkmcnt(0)
	s_barrier
.LBB113_19:                             ; =>This Inner Loop Header: Depth=1
	v_cndmask_b32_e64 v0, 0, 1, s[2:3]
	s_lshl_b32 s2, s18, 3
	v_cmp_ne_u32_e32 vcc, 1, v0
	v_lshl_add_u32 v0, v143, 5, s2
	ds_read_b128 v[12:15], v0
	ds_read_b128 v[8:11], v0 offset:1024
	ds_read_b128 v[4:7], v0 offset:2048
	;; [unrolled: 1-line block ×3, first 2 shown]
	v_lshl_add_u32 v16, v144, 5, s2
	ds_read_b128 v[156:159], v16 offset:8192
	ds_read_b128 v[160:163], v16 offset:8448
	;; [unrolled: 1-line block ×16, first 2 shown]
	s_waitcnt lgkmcnt(14)
	v_add_f64 v[84:85], v[14:15], v[158:159]
	v_add_f64 v[164:165], v[12:13], v[156:157]
	v_cvt_f32_f64_e32 v155, v[164:165]
	v_cvt_f32_f64_e32 v84, v[84:85]
	v_min3_f32 v151, v155, v84, v151
	v_add_f64 v[84:85], v[10:11], v[158:159]
	v_add_f64 v[164:165], v[8:9], v[156:157]
	v_cvt_f32_f64_e32 v155, v[164:165]
	v_cvt_f32_f64_e32 v84, v[84:85]
	v_min3_f32 v150, v155, v84, v150
	;; [unrolled: 5-line block ×8, first 2 shown]
	s_waitcnt lgkmcnt(13)
	v_add_f64 v[84:85], v[14:15], v[70:71]
	v_add_f64 v[156:157], v[12:13], v[68:69]
	v_cvt_f32_f64_e32 v155, v[156:157]
	v_cvt_f32_f64_e32 v84, v[84:85]
	v_min3_f32 v141, v155, v84, v141
	v_add_f64 v[84:85], v[10:11], v[70:71]
	v_add_f64 v[156:157], v[8:9], v[68:69]
	v_cvt_f32_f64_e32 v155, v[156:157]
	v_cvt_f32_f64_e32 v84, v[84:85]
	v_min3_f32 v140, v155, v84, v140
	v_add_f64 v[84:85], v[6:7], v[70:71]
	v_add_f64 v[156:157], v[4:5], v[68:69]
	v_add_f64 v[70:71], v[2:3], v[70:71]
	v_add_f64 v[68:69], v[0:1], v[68:69]
	v_cvt_f32_f64_e32 v68, v[68:69]
	v_cvt_f32_f64_e32 v69, v[70:71]
	v_min3_f32 v138, v68, v69, v138
	s_waitcnt lgkmcnt(12)
	v_add_f64 v[68:69], v[14:15], v[66:67]
	v_add_f64 v[70:71], v[12:13], v[64:65]
	v_cvt_f32_f64_e32 v70, v[70:71]
	v_cvt_f32_f64_e32 v68, v[68:69]
	v_min3_f32 v137, v70, v68, v137
	v_add_f64 v[68:69], v[10:11], v[66:67]
	v_add_f64 v[70:71], v[8:9], v[64:65]
	v_cvt_f32_f64_e32 v70, v[70:71]
	v_cvt_f32_f64_e32 v68, v[68:69]
	v_min3_f32 v136, v70, v68, v136
	v_add_f64 v[68:69], v[6:7], v[66:67]
	v_add_f64 v[70:71], v[4:5], v[64:65]
	v_add_f64 v[66:67], v[2:3], v[66:67]
	v_add_f64 v[64:65], v[0:1], v[64:65]
	v_cvt_f32_f64_e32 v64, v[64:65]
	v_cvt_f32_f64_e32 v65, v[66:67]
	v_min3_f32 v134, v64, v65, v134
	;; [unrolled: 18-line block ×12, first 2 shown]
	s_waitcnt lgkmcnt(1)
	v_add_f64 v[24:25], v[14:15], v[22:23]
	v_add_f64 v[26:27], v[12:13], v[20:21]
	v_cvt_f32_f64_e32 v26, v[26:27]
	v_cvt_f32_f64_e32 v24, v[24:25]
	v_min3_f32 v93, v26, v24, v93
	v_add_f64 v[24:25], v[10:11], v[22:23]
	v_add_f64 v[26:27], v[8:9], v[20:21]
	v_cvt_f32_f64_e32 v26, v[26:27]
	v_cvt_f32_f64_e32 v24, v[24:25]
	v_min3_f32 v92, v26, v24, v92
	v_add_f64 v[24:25], v[6:7], v[22:23]
	v_add_f64 v[26:27], v[4:5], v[20:21]
	;; [unrolled: 1-line block ×4, first 2 shown]
	s_waitcnt lgkmcnt(0)
	v_add_f64 v[14:15], v[14:15], v[18:19]
	v_add_f64 v[12:13], v[12:13], v[16:17]
	;; [unrolled: 1-line block ×8, first 2 shown]
	v_cvt_f32_f64_e32 v155, v[156:157]
	v_cvt_f32_f64_e32 v84, v[84:85]
	;; [unrolled: 1-line block ×36, first 2 shown]
	v_min3_f32 v139, v155, v84, v139
	v_min3_f32 v135, v70, v68, v135
	;; [unrolled: 1-line block ×18, first 2 shown]
	s_mov_b32 s18, 2
	s_mov_b64 s[2:3], 0
	s_cbranch_vccz .LBB113_19
; %bb.20:
	s_load_dword s19, s[0:1], 0x8
	s_mov_b32 s18, 8
	ds_write2st64_b64 v153, v[72:73], v[74:75] offset0:8 offset1:12
	ds_write2st64_b64 v153, v[76:77], v[78:79] offset0:24 offset1:28
	s_waitcnt lgkmcnt(0)
	s_barrier
	s_cmp_gt_i32 s19, 8
	s_cbranch_scc0 .LBB113_37
; %bb.21:
	v_add_u32_e32 v155, 0x1000, v153
	v_add_u32_e32 v156, 0x3000, v153
	s_add_i32 s19, s19, -8
	v_mad_i64_i32 v[68:69], s[2:3], v81, s28, 0
	v_mad_i64_i32 v[70:71], s[2:3], v80, s28, 0
	;; [unrolled: 1-line block ×4, first 2 shown]
	s_mov_b32 s24, 0
	v_mov_b32_e32 v77, 0
.LBB113_22:                             ; =>This Loop Header: Depth=1
                                        ;     Child Loop BB113_28 Depth 2
                                        ;     Child Loop BB113_35 Depth 2
	s_and_b64 vcc, exec, s[4:5]
	v_or_b32_e32 v76, s18, v152
	s_cbranch_vccnz .LBB113_25
; %bb.23:                               ;   in Loop: Header=BB113_22 Depth=1
	v_lshl_add_u64 v[0:1], v[76:77], 3, s[20:21]
	v_lshl_add_u64 v[2:3], v[68:69], 3, v[0:1]
	;; [unrolled: 1-line block ×3, first 2 shown]
	flat_load_dwordx2 v[4:5], v[2:3]
	flat_load_dwordx2 v[6:7], v[0:1]
	s_waitcnt vmcnt(0) lgkmcnt(0)
	v_mul_f64 v[78:79], v[4:5], s[12:13]
	v_mul_f64 v[80:81], v[6:7], s[12:13]
	s_and_b64 vcc, exec, s[4:5]
	s_cbranch_vccnz .LBB113_26
.LBB113_24:                             ;   in Loop: Header=BB113_22 Depth=1
	v_lshl_add_u64 v[0:1], v[76:77], 3, s[22:23]
	v_lshl_add_u64 v[2:3], v[72:73], 3, v[0:1]
	;; [unrolled: 1-line block ×3, first 2 shown]
	flat_load_dwordx2 v[4:5], v[2:3]
	flat_load_dwordx2 v[6:7], v[0:1]
	s_waitcnt vmcnt(0) lgkmcnt(0)
	v_mul_f64 v[82:83], v[4:5], s[12:13]
	v_mul_f64 v[84:85], v[6:7], s[12:13]
	s_branch .LBB113_27
.LBB113_25:                             ;   in Loop: Header=BB113_22 Depth=1
	v_mov_b64_e32 v[78:79], 0
	v_mov_b64_e32 v[80:81], 0
	s_and_b64 vcc, exec, s[4:5]
	s_cbranch_vccz .LBB113_24
.LBB113_26:                             ;   in Loop: Header=BB113_22 Depth=1
	v_mov_b64_e32 v[82:83], 0
	v_mov_b64_e32 v[84:85], 0
.LBB113_27:                             ;   in Loop: Header=BB113_22 Depth=1
	s_mov_b32 s25, 0
	s_mov_b64 s[2:3], -1
.LBB113_28:                             ;   Parent Loop BB113_22 Depth=1
                                        ; =>  This Inner Loop Header: Depth=2
	v_cndmask_b32_e64 v0, 0, 1, s[2:3]
	s_lshl_b32 s2, s25, 3
	v_cmp_ne_u32_e32 vcc, 1, v0
	v_lshl_add_u32 v0, v143, 5, s2
	ds_read_b128 v[12:15], v0 offset:4096
	ds_read_b128 v[8:11], v0 offset:5120
	;; [unrolled: 1-line block ×4, first 2 shown]
	v_lshl_add_u32 v16, v144, 5, s2
	ds_read_b128 v[158:161], v16 offset:12288
	ds_read_b128 v[162:165], v16 offset:12544
	;; [unrolled: 1-line block ×16, first 2 shown]
	s_waitcnt lgkmcnt(14)
	v_add_f64 v[170:171], v[14:15], v[160:161]
	v_add_f64 v[172:173], v[12:13], v[158:159]
	v_cvt_f32_f64_e32 v157, v[172:173]
	v_cvt_f32_f64_e32 v170, v[170:171]
	v_min3_f32 v151, v157, v170, v151
	v_add_f64 v[170:171], v[10:11], v[160:161]
	v_add_f64 v[172:173], v[8:9], v[158:159]
	v_cvt_f32_f64_e32 v157, v[172:173]
	v_cvt_f32_f64_e32 v170, v[170:171]
	v_min3_f32 v150, v157, v170, v150
	v_add_f64 v[170:171], v[6:7], v[160:161]
	v_add_f64 v[172:173], v[4:5], v[158:159]
	v_cvt_f32_f64_e32 v157, v[172:173]
	v_cvt_f32_f64_e32 v170, v[170:171]
	v_add_f64 v[160:161], v[2:3], v[160:161]
	v_add_f64 v[158:159], v[0:1], v[158:159]
	v_min3_f32 v149, v157, v170, v149
	v_cvt_f32_f64_e32 v157, v[158:159]
	v_cvt_f32_f64_e32 v158, v[160:161]
	v_min3_f32 v148, v157, v158, v148
	v_add_f64 v[158:159], v[14:15], v[164:165]
	v_add_f64 v[160:161], v[12:13], v[162:163]
	v_cvt_f32_f64_e32 v157, v[160:161]
	v_cvt_f32_f64_e32 v158, v[158:159]
	v_min3_f32 v147, v157, v158, v147
	v_add_f64 v[158:159], v[10:11], v[164:165]
	v_add_f64 v[160:161], v[8:9], v[162:163]
	;; [unrolled: 5-line block ×4, first 2 shown]
	v_cvt_f32_f64_e32 v157, v[160:161]
	v_cvt_f32_f64_e32 v158, v[158:159]
	v_min3_f32 v142, v157, v158, v142
	s_waitcnt lgkmcnt(13)
	v_add_f64 v[158:159], v[14:15], v[168:169]
	v_add_f64 v[160:161], v[12:13], v[166:167]
	v_cvt_f32_f64_e32 v157, v[160:161]
	v_cvt_f32_f64_e32 v158, v[158:159]
	v_min3_f32 v141, v157, v158, v141
	v_add_f64 v[158:159], v[10:11], v[168:169]
	v_add_f64 v[160:161], v[8:9], v[166:167]
	v_cvt_f32_f64_e32 v157, v[160:161]
	v_cvt_f32_f64_e32 v158, v[158:159]
	v_min3_f32 v140, v157, v158, v140
	;; [unrolled: 5-line block ×4, first 2 shown]
	s_waitcnt lgkmcnt(12)
	v_add_f64 v[158:159], v[14:15], v[66:67]
	v_add_f64 v[160:161], v[12:13], v[64:65]
	v_cvt_f32_f64_e32 v157, v[160:161]
	v_cvt_f32_f64_e32 v158, v[158:159]
	v_min3_f32 v137, v157, v158, v137
	v_add_f64 v[158:159], v[10:11], v[66:67]
	v_add_f64 v[160:161], v[8:9], v[64:65]
	v_cvt_f32_f64_e32 v157, v[160:161]
	v_cvt_f32_f64_e32 v158, v[158:159]
	v_min3_f32 v136, v157, v158, v136
	v_add_f64 v[158:159], v[6:7], v[66:67]
	v_add_f64 v[160:161], v[4:5], v[64:65]
	v_add_f64 v[66:67], v[2:3], v[66:67]
	v_add_f64 v[64:65], v[0:1], v[64:65]
	v_cvt_f32_f64_e32 v64, v[64:65]
	v_cvt_f32_f64_e32 v65, v[66:67]
	v_min3_f32 v134, v64, v65, v134
	s_waitcnt lgkmcnt(11)
	v_add_f64 v[64:65], v[14:15], v[62:63]
	v_add_f64 v[66:67], v[12:13], v[60:61]
	v_cvt_f32_f64_e32 v66, v[66:67]
	v_cvt_f32_f64_e32 v64, v[64:65]
	v_min3_f32 v133, v66, v64, v133
	v_add_f64 v[64:65], v[10:11], v[62:63]
	v_add_f64 v[66:67], v[8:9], v[60:61]
	v_cvt_f32_f64_e32 v66, v[66:67]
	v_cvt_f32_f64_e32 v64, v[64:65]
	v_min3_f32 v132, v66, v64, v132
	v_add_f64 v[64:65], v[6:7], v[62:63]
	v_add_f64 v[66:67], v[4:5], v[60:61]
	v_add_f64 v[62:63], v[2:3], v[62:63]
	v_add_f64 v[60:61], v[0:1], v[60:61]
	v_cvt_f32_f64_e32 v60, v[60:61]
	v_cvt_f32_f64_e32 v61, v[62:63]
	v_min3_f32 v130, v60, v61, v130
	;; [unrolled: 18-line block ×11, first 2 shown]
	s_waitcnt lgkmcnt(1)
	v_add_f64 v[24:25], v[14:15], v[22:23]
	v_add_f64 v[26:27], v[12:13], v[20:21]
	v_cvt_f32_f64_e32 v26, v[26:27]
	v_cvt_f32_f64_e32 v24, v[24:25]
	v_min3_f32 v93, v26, v24, v93
	v_add_f64 v[24:25], v[10:11], v[22:23]
	v_add_f64 v[26:27], v[8:9], v[20:21]
	v_cvt_f32_f64_e32 v26, v[26:27]
	v_cvt_f32_f64_e32 v24, v[24:25]
	v_min3_f32 v92, v26, v24, v92
	v_add_f64 v[24:25], v[6:7], v[22:23]
	v_add_f64 v[26:27], v[4:5], v[20:21]
	;; [unrolled: 1-line block ×4, first 2 shown]
	s_waitcnt lgkmcnt(0)
	v_add_f64 v[14:15], v[14:15], v[18:19]
	v_add_f64 v[12:13], v[12:13], v[16:17]
	;; [unrolled: 1-line block ×8, first 2 shown]
	v_cvt_f32_f64_e32 v157, v[160:161]
	v_cvt_f32_f64_e32 v158, v[158:159]
	;; [unrolled: 1-line block ×34, first 2 shown]
	v_min3_f32 v135, v157, v158, v135
	v_min3_f32 v131, v66, v64, v131
	;; [unrolled: 1-line block ×17, first 2 shown]
	s_mov_b32 s25, 2
	s_mov_b64 s[2:3], 0
	s_cbranch_vccz .LBB113_28
; %bb.29:                               ;   in Loop: Header=BB113_22 Depth=1
	s_and_b64 vcc, exec, s[4:5]
	ds_write2st64_b64 v153, v[78:79], v[80:81] offset1:4
	ds_write2st64_b64 v154, v[82:83], v[84:85] offset1:4
	s_waitcnt lgkmcnt(0)
	s_barrier
	s_cbranch_vccnz .LBB113_32
; %bb.30:                               ;   in Loop: Header=BB113_22 Depth=1
	v_lshl_add_u64 v[0:1], v[76:77], 3, s[20:21]
	v_lshl_add_u64 v[2:3], v[68:69], 3, v[0:1]
	;; [unrolled: 1-line block ×3, first 2 shown]
	flat_load_dwordx2 v[4:5], v[2:3] offset:32
	flat_load_dwordx2 v[6:7], v[0:1] offset:32
	s_waitcnt vmcnt(0) lgkmcnt(0)
	v_mul_f64 v[78:79], v[4:5], s[12:13]
	v_mul_f64 v[80:81], v[6:7], s[12:13]
	s_and_b64 vcc, exec, s[4:5]
	s_cbranch_vccnz .LBB113_33
.LBB113_31:                             ;   in Loop: Header=BB113_22 Depth=1
	v_lshl_add_u64 v[0:1], v[76:77], 3, s[22:23]
	v_lshl_add_u64 v[2:3], v[72:73], 3, v[0:1]
	;; [unrolled: 1-line block ×3, first 2 shown]
	flat_load_dwordx2 v[4:5], v[2:3] offset:32
	flat_load_dwordx2 v[6:7], v[0:1] offset:32
	s_waitcnt vmcnt(0) lgkmcnt(0)
	v_mul_f64 v[82:83], v[4:5], s[12:13]
	v_mul_f64 v[84:85], v[6:7], s[12:13]
	s_branch .LBB113_34
.LBB113_32:                             ;   in Loop: Header=BB113_22 Depth=1
	v_mov_b64_e32 v[78:79], 0
	v_mov_b64_e32 v[80:81], 0
	s_and_b64 vcc, exec, s[4:5]
	s_cbranch_vccz .LBB113_31
.LBB113_33:                             ;   in Loop: Header=BB113_22 Depth=1
	v_mov_b64_e32 v[82:83], 0
	v_mov_b64_e32 v[84:85], 0
.LBB113_34:                             ;   in Loop: Header=BB113_22 Depth=1
	s_mov_b32 s25, 0
	s_mov_b64 s[2:3], -1
.LBB113_35:                             ;   Parent Loop BB113_22 Depth=1
                                        ; =>  This Inner Loop Header: Depth=2
	v_cndmask_b32_e64 v0, 0, 1, s[2:3]
	s_lshl_b32 s2, s25, 3
	v_cmp_ne_u32_e32 vcc, 1, v0
	v_lshl_add_u32 v0, v143, 5, s2
	ds_read_b128 v[12:15], v0
	ds_read_b128 v[8:11], v0 offset:1024
	ds_read_b128 v[4:7], v0 offset:2048
	;; [unrolled: 1-line block ×3, first 2 shown]
	v_lshl_add_u32 v16, v144, 5, s2
	ds_read_b128 v[158:161], v16 offset:8192
	ds_read_b128 v[162:165], v16 offset:8448
	;; [unrolled: 1-line block ×16, first 2 shown]
	s_waitcnt lgkmcnt(14)
	v_add_f64 v[170:171], v[14:15], v[160:161]
	v_add_f64 v[172:173], v[12:13], v[158:159]
	v_cvt_f32_f64_e32 v76, v[172:173]
	v_cvt_f32_f64_e32 v157, v[170:171]
	v_add_f64 v[170:171], v[10:11], v[160:161]
	v_add_f64 v[172:173], v[8:9], v[158:159]
	v_min3_f32 v151, v76, v157, v151
	v_cvt_f32_f64_e32 v76, v[172:173]
	v_cvt_f32_f64_e32 v157, v[170:171]
	v_add_f64 v[170:171], v[6:7], v[160:161]
	v_add_f64 v[172:173], v[4:5], v[158:159]
	v_min3_f32 v150, v76, v157, v150
	v_cvt_f32_f64_e32 v76, v[172:173]
	v_cvt_f32_f64_e32 v157, v[170:171]
	v_add_f64 v[160:161], v[2:3], v[160:161]
	v_add_f64 v[158:159], v[0:1], v[158:159]
	v_min3_f32 v149, v76, v157, v149
	v_cvt_f32_f64_e32 v76, v[158:159]
	v_cvt_f32_f64_e32 v157, v[160:161]
	v_add_f64 v[158:159], v[14:15], v[164:165]
	v_add_f64 v[160:161], v[12:13], v[162:163]
	v_min3_f32 v148, v76, v157, v148
	v_cvt_f32_f64_e32 v76, v[160:161]
	v_cvt_f32_f64_e32 v157, v[158:159]
	v_add_f64 v[158:159], v[10:11], v[164:165]
	v_add_f64 v[160:161], v[8:9], v[162:163]
	v_min3_f32 v147, v76, v157, v147
	v_cvt_f32_f64_e32 v76, v[160:161]
	v_cvt_f32_f64_e32 v157, v[158:159]
	v_add_f64 v[158:159], v[6:7], v[164:165]
	v_add_f64 v[160:161], v[4:5], v[162:163]
	v_min3_f32 v146, v76, v157, v146
	v_cvt_f32_f64_e32 v76, v[160:161]
	v_cvt_f32_f64_e32 v157, v[158:159]
	v_add_f64 v[158:159], v[2:3], v[164:165]
	v_add_f64 v[160:161], v[0:1], v[162:163]
	v_min3_f32 v145, v76, v157, v145
	v_cvt_f32_f64_e32 v76, v[160:161]
	v_cvt_f32_f64_e32 v157, v[158:159]
	s_waitcnt lgkmcnt(13)
	v_add_f64 v[158:159], v[14:15], v[168:169]
	v_add_f64 v[160:161], v[12:13], v[166:167]
	v_min3_f32 v142, v76, v157, v142
	v_cvt_f32_f64_e32 v76, v[160:161]
	v_cvt_f32_f64_e32 v157, v[158:159]
	v_add_f64 v[158:159], v[10:11], v[168:169]
	v_add_f64 v[160:161], v[8:9], v[166:167]
	v_min3_f32 v141, v76, v157, v141
	v_cvt_f32_f64_e32 v76, v[160:161]
	v_cvt_f32_f64_e32 v157, v[158:159]
	;; [unrolled: 5-line block ×4, first 2 shown]
	s_waitcnt lgkmcnt(12)
	v_add_f64 v[158:159], v[14:15], v[66:67]
	v_add_f64 v[160:161], v[12:13], v[64:65]
	v_min3_f32 v138, v76, v157, v138
	v_cvt_f32_f64_e32 v76, v[160:161]
	v_cvt_f32_f64_e32 v157, v[158:159]
	v_add_f64 v[158:159], v[10:11], v[66:67]
	v_add_f64 v[160:161], v[8:9], v[64:65]
	v_min3_f32 v137, v76, v157, v137
	v_cvt_f32_f64_e32 v76, v[160:161]
	v_cvt_f32_f64_e32 v157, v[158:159]
	v_add_f64 v[158:159], v[6:7], v[66:67]
	v_add_f64 v[160:161], v[4:5], v[64:65]
	v_add_f64 v[66:67], v[2:3], v[66:67]
	v_add_f64 v[64:65], v[0:1], v[64:65]
	v_cvt_f32_f64_e32 v64, v[64:65]
	v_cvt_f32_f64_e32 v65, v[66:67]
	v_min3_f32 v134, v64, v65, v134
	s_waitcnt lgkmcnt(11)
	v_add_f64 v[64:65], v[14:15], v[62:63]
	v_add_f64 v[66:67], v[12:13], v[60:61]
	v_cvt_f32_f64_e32 v66, v[66:67]
	v_cvt_f32_f64_e32 v64, v[64:65]
	v_min3_f32 v133, v66, v64, v133
	v_add_f64 v[64:65], v[10:11], v[62:63]
	v_add_f64 v[66:67], v[8:9], v[60:61]
	v_cvt_f32_f64_e32 v66, v[66:67]
	v_cvt_f32_f64_e32 v64, v[64:65]
	v_min3_f32 v132, v66, v64, v132
	v_add_f64 v[64:65], v[6:7], v[62:63]
	v_add_f64 v[66:67], v[4:5], v[60:61]
	v_add_f64 v[62:63], v[2:3], v[62:63]
	v_add_f64 v[60:61], v[0:1], v[60:61]
	v_cvt_f32_f64_e32 v60, v[60:61]
	v_cvt_f32_f64_e32 v61, v[62:63]
	v_min3_f32 v130, v60, v61, v130
	s_waitcnt lgkmcnt(10)
	v_add_f64 v[60:61], v[14:15], v[58:59]
	v_add_f64 v[62:63], v[12:13], v[56:57]
	v_cvt_f32_f64_e32 v62, v[62:63]
	v_cvt_f32_f64_e32 v60, v[60:61]
	v_min3_f32 v129, v62, v60, v129
	v_add_f64 v[60:61], v[10:11], v[58:59]
	v_add_f64 v[62:63], v[8:9], v[56:57]
	v_cvt_f32_f64_e32 v62, v[62:63]
	v_cvt_f32_f64_e32 v60, v[60:61]
	v_min3_f32 v128, v62, v60, v128
	;; [unrolled: 18-line block ×11, first 2 shown]
	v_add_f64 v[24:25], v[6:7], v[22:23]
	v_add_f64 v[26:27], v[4:5], v[20:21]
	;; [unrolled: 1-line block ×4, first 2 shown]
	s_waitcnt lgkmcnt(0)
	v_add_f64 v[14:15], v[14:15], v[18:19]
	v_add_f64 v[12:13], v[12:13], v[16:17]
	v_add_f64 v[10:11], v[10:11], v[18:19]
	v_add_f64 v[8:9], v[8:9], v[16:17]
	v_add_f64 v[6:7], v[6:7], v[18:19]
	v_add_f64 v[4:5], v[4:5], v[16:17]
	v_add_f64 v[2:3], v[2:3], v[18:19]
	v_add_f64 v[0:1], v[0:1], v[16:17]
	v_min3_f32 v136, v76, v157, v136
	v_cvt_f32_f64_e32 v76, v[160:161]
	v_cvt_f32_f64_e32 v157, v[158:159]
	;; [unrolled: 1-line block ×34, first 2 shown]
	v_min3_f32 v135, v76, v157, v135
	v_min3_f32 v131, v66, v64, v131
	;; [unrolled: 1-line block ×17, first 2 shown]
	s_mov_b32 s25, 2
	s_mov_b64 s[2:3], 0
	s_cbranch_vccz .LBB113_35
; %bb.36:                               ;   in Loop: Header=BB113_22 Depth=1
	s_add_i32 s18, s18, 8
	s_add_i32 s24, s24, 8
	s_cmp_ge_i32 s24, s19
	ds_write2st64_b64 v155, v[78:79], v[80:81] offset1:4
	ds_write2st64_b64 v156, v[82:83], v[84:85] offset1:4
	s_waitcnt lgkmcnt(0)
	s_barrier
	s_cbranch_scc0 .LBB113_22
.LBB113_37:
	s_mov_b32 s4, 0
	s_mov_b64 s[2:3], -1
.LBB113_38:                             ; =>This Inner Loop Header: Depth=1
	v_cndmask_b32_e64 v0, 0, 1, s[2:3]
	s_lshl_b32 s2, s4, 3
	v_cmp_ne_u32_e32 vcc, 1, v0
	v_lshl_add_u32 v0, v143, 5, s2
	ds_read_b128 v[12:15], v0 offset:4096
	ds_read_b128 v[8:11], v0 offset:5120
	;; [unrolled: 1-line block ×4, first 2 shown]
	v_lshl_add_u32 v16, v144, 5, s2
	ds_read_b128 v[68:71], v16 offset:12288
	ds_read_b128 v[72:75], v16 offset:12544
	;; [unrolled: 1-line block ×16, first 2 shown]
	s_waitcnt lgkmcnt(14)
	v_add_f64 v[80:81], v[14:15], v[70:71]
	v_add_f64 v[82:83], v[12:13], v[68:69]
	v_cvt_f32_f64_e32 v82, v[82:83]
	v_cvt_f32_f64_e32 v80, v[80:81]
	v_min3_f32 v151, v82, v80, v151
	v_add_f64 v[80:81], v[10:11], v[70:71]
	v_add_f64 v[82:83], v[8:9], v[68:69]
	v_cvt_f32_f64_e32 v82, v[82:83]
	v_cvt_f32_f64_e32 v80, v[80:81]
	v_min3_f32 v150, v82, v80, v150
	v_add_f64 v[80:81], v[6:7], v[70:71]
	v_add_f64 v[82:83], v[4:5], v[68:69]
	;; [unrolled: 1-line block ×4, first 2 shown]
	v_cvt_f32_f64_e32 v68, v[68:69]
	v_cvt_f32_f64_e32 v69, v[70:71]
	v_min3_f32 v148, v68, v69, v148
	v_add_f64 v[68:69], v[14:15], v[74:75]
	v_add_f64 v[70:71], v[12:13], v[72:73]
	v_cvt_f32_f64_e32 v70, v[70:71]
	v_cvt_f32_f64_e32 v68, v[68:69]
	v_min3_f32 v147, v70, v68, v147
	v_add_f64 v[68:69], v[10:11], v[74:75]
	v_add_f64 v[70:71], v[8:9], v[72:73]
	;; [unrolled: 5-line block ×4, first 2 shown]
	v_cvt_f32_f64_e32 v70, v[70:71]
	v_cvt_f32_f64_e32 v68, v[68:69]
	v_min3_f32 v142, v70, v68, v142
	s_waitcnt lgkmcnt(13)
	v_add_f64 v[68:69], v[14:15], v[78:79]
	v_add_f64 v[70:71], v[12:13], v[76:77]
	v_cvt_f32_f64_e32 v70, v[70:71]
	v_cvt_f32_f64_e32 v68, v[68:69]
	v_min3_f32 v141, v70, v68, v141
	v_add_f64 v[68:69], v[10:11], v[78:79]
	v_add_f64 v[70:71], v[8:9], v[76:77]
	v_cvt_f32_f64_e32 v70, v[70:71]
	v_cvt_f32_f64_e32 v68, v[68:69]
	v_min3_f32 v140, v70, v68, v140
	;; [unrolled: 5-line block ×4, first 2 shown]
	s_waitcnt lgkmcnt(12)
	v_add_f64 v[68:69], v[14:15], v[66:67]
	v_add_f64 v[70:71], v[12:13], v[64:65]
	v_cvt_f32_f64_e32 v70, v[70:71]
	v_cvt_f32_f64_e32 v68, v[68:69]
	v_min3_f32 v137, v70, v68, v137
	v_add_f64 v[68:69], v[10:11], v[66:67]
	v_add_f64 v[70:71], v[8:9], v[64:65]
	v_cvt_f32_f64_e32 v70, v[70:71]
	v_cvt_f32_f64_e32 v68, v[68:69]
	v_min3_f32 v136, v70, v68, v136
	v_add_f64 v[68:69], v[6:7], v[66:67]
	v_add_f64 v[70:71], v[4:5], v[64:65]
	v_add_f64 v[66:67], v[2:3], v[66:67]
	v_add_f64 v[64:65], v[0:1], v[64:65]
	v_cvt_f32_f64_e32 v64, v[64:65]
	v_cvt_f32_f64_e32 v65, v[66:67]
	v_min3_f32 v134, v64, v65, v134
	s_waitcnt lgkmcnt(11)
	v_add_f64 v[64:65], v[14:15], v[62:63]
	v_add_f64 v[66:67], v[12:13], v[60:61]
	v_cvt_f32_f64_e32 v66, v[66:67]
	v_cvt_f32_f64_e32 v64, v[64:65]
	v_min3_f32 v133, v66, v64, v133
	v_add_f64 v[64:65], v[10:11], v[62:63]
	v_add_f64 v[66:67], v[8:9], v[60:61]
	v_cvt_f32_f64_e32 v66, v[66:67]
	v_cvt_f32_f64_e32 v64, v[64:65]
	v_min3_f32 v132, v66, v64, v132
	v_add_f64 v[64:65], v[6:7], v[62:63]
	v_add_f64 v[66:67], v[4:5], v[60:61]
	v_add_f64 v[62:63], v[2:3], v[62:63]
	v_add_f64 v[60:61], v[0:1], v[60:61]
	v_cvt_f32_f64_e32 v60, v[60:61]
	v_cvt_f32_f64_e32 v61, v[62:63]
	v_min3_f32 v130, v60, v61, v130
	;; [unrolled: 18-line block ×11, first 2 shown]
	s_waitcnt lgkmcnt(1)
	v_add_f64 v[24:25], v[14:15], v[22:23]
	v_add_f64 v[26:27], v[12:13], v[20:21]
	v_cvt_f32_f64_e32 v26, v[26:27]
	v_cvt_f32_f64_e32 v24, v[24:25]
	v_min3_f32 v93, v26, v24, v93
	v_add_f64 v[24:25], v[10:11], v[22:23]
	v_add_f64 v[26:27], v[8:9], v[20:21]
	v_cvt_f32_f64_e32 v26, v[26:27]
	v_cvt_f32_f64_e32 v24, v[24:25]
	v_min3_f32 v92, v26, v24, v92
	v_add_f64 v[24:25], v[6:7], v[22:23]
	v_add_f64 v[26:27], v[4:5], v[20:21]
	;; [unrolled: 1-line block ×4, first 2 shown]
	s_waitcnt lgkmcnt(0)
	v_add_f64 v[14:15], v[14:15], v[18:19]
	v_add_f64 v[12:13], v[12:13], v[16:17]
	;; [unrolled: 1-line block ×8, first 2 shown]
	v_cvt_f32_f64_e32 v82, v[82:83]
	v_cvt_f32_f64_e32 v80, v[80:81]
	;; [unrolled: 1-line block ×36, first 2 shown]
	v_min3_f32 v149, v82, v80, v149
	v_min3_f32 v135, v70, v68, v135
	;; [unrolled: 1-line block ×18, first 2 shown]
	s_mov_b32 s4, 2
	s_mov_b64 s[2:3], 0
	s_cbranch_vccz .LBB113_38
; %bb.39:
	s_load_dwordx2 s[2:3], s[0:1], 0x78
	s_load_dword s12, s[0:1], 0x58
	s_load_dword s13, s[0:1], 0x70
	v_add_u32_e32 v4, s16, v143
	v_add_u32_e32 v18, s17, v144
	s_waitcnt lgkmcnt(0)
	s_lshl_b64 s[0:1], s[2:3], 3
	s_add_u32 s0, s14, s0
	s_addc_u32 s1, s15, s1
	v_add_u32_e32 v0, 32, v4
	v_mad_i64_i32 v[2:3], s[2:3], v18, s13, 0
	v_ashrrev_i32_e32 v5, 31, v4
	v_ashrrev_i32_e32 v1, 31, v0
	v_lshl_add_u64 v[12:13], v[2:3], 3, s[0:1]
	v_mad_i64_i32 v[2:3], s[2:3], v18, s12, 0
	v_max_f32_e32 v6, v151, v151
	s_mov_b64 vcc, s[6:7]
	s_cbranch_vccz .LBB113_42
; %bb.40:
	v_min_f32_e32 v7, 0, v6
	v_cvt_f64_f32_e32 v[8:9], v7
	v_lshl_add_u64 v[10:11], v[4:5], 3, v[12:13]
	global_store_dwordx2 v[10:11], v[8:9], off
	s_mov_b64 s[2:3], 0
	v_lshl_add_u64 v[14:15], v[2:3], 3, s[8:9]
	v_lshlrev_b64 v[8:9], 3, v[4:5]
	s_cbranch_execz .LBB113_43
; %bb.41:
	v_mov_b64_e32 v[10:11], s[2:3]
	s_branch .LBB113_44
.LBB113_42:
                                        ; implicit-def: $sgpr2_sgpr3
	v_lshl_add_u64 v[14:15], v[2:3], 3, s[8:9]
	v_lshlrev_b64 v[8:9], 3, v[4:5]
.LBB113_43:
	v_lshl_add_u64 v[2:3], v[14:15], 0, v[8:9]
	flat_load_dwordx2 v[2:3], v[2:3]
	v_lshl_add_u64 v[10:11], v[12:13], 0, v[8:9]
	s_waitcnt vmcnt(0) lgkmcnt(0)
	v_mul_f64 v[2:3], v[2:3], s[10:11]
	v_cvt_f32_f64_e32 v2, v[2:3]
	v_min_f32_e32 v2, v2, v6
	v_cvt_f64_f32_e32 v[2:3], v2
	global_store_dwordx2 v[10:11], v[2:3], off
	v_lshl_add_u64 v[2:3], v[0:1], 3, v[14:15]
	flat_load_dwordx2 v[2:3], v[2:3]
	s_waitcnt vmcnt(0) lgkmcnt(0)
	v_mul_f64 v[10:11], v[2:3], s[10:11]
.LBB113_44:
	v_cvt_f32_f64_e32 v10, v[10:11]
	v_max_f32_e32 v11, v150, v150
	v_min_f32_e32 v10, v10, v11
	v_add_u32_e32 v6, 64, v4
	v_add_u32_e32 v2, 0x60, v4
	v_cvt_f64_f32_e32 v[10:11], v10
	v_lshl_add_u64 v[16:17], v[0:1], 3, v[12:13]
	v_ashrrev_i32_e32 v7, 31, v6
	v_ashrrev_i32_e32 v3, 31, v2
	global_store_dwordx2 v[16:17], v[10:11], off
	v_max_f32_e32 v16, v149, v149
	s_mov_b64 vcc, s[6:7]
	s_cbranch_vccz .LBB113_47
; %bb.45:
	v_min_f32_e32 v10, 0, v16
	v_cvt_f64_f32_e32 v[10:11], v10
	v_lshl_add_u64 v[20:21], v[6:7], 3, v[12:13]
	global_store_dwordx2 v[20:21], v[10:11], off
	s_mov_b64 s[2:3], 0
	v_lshlrev_b64 v[10:11], 3, v[6:7]
	s_cbranch_execz .LBB113_48
; %bb.46:
	v_mov_b64_e32 v[14:15], s[2:3]
	s_branch .LBB113_49
.LBB113_47:
                                        ; implicit-def: $sgpr2_sgpr3
	v_lshlrev_b64 v[10:11], 3, v[6:7]
.LBB113_48:
	v_lshl_add_u64 v[20:21], v[14:15], 0, v[10:11]
	flat_load_dwordx2 v[20:21], v[20:21]
	v_lshl_add_u64 v[22:23], v[12:13], 0, v[10:11]
	v_lshl_add_u64 v[14:15], v[2:3], 3, v[14:15]
	s_waitcnt vmcnt(0) lgkmcnt(0)
	v_mul_f64 v[20:21], v[20:21], s[10:11]
	v_cvt_f32_f64_e32 v17, v[20:21]
	v_min_f32_e32 v16, v17, v16
	v_cvt_f64_f32_e32 v[16:17], v16
	global_store_dwordx2 v[22:23], v[16:17], off
	flat_load_dwordx2 v[14:15], v[14:15]
	s_waitcnt vmcnt(0) lgkmcnt(0)
	v_mul_f64 v[14:15], v[14:15], s[10:11]
.LBB113_49:
	v_cvt_f32_f64_e32 v14, v[14:15]
	v_max_f32_e32 v15, v148, v148
	v_min_f32_e32 v14, v14, v15
	v_cvt_f64_f32_e32 v[14:15], v14
	v_lshl_add_u64 v[12:13], v[2:3], 3, v[12:13]
	global_store_dwordx2 v[12:13], v[14:15], off
	v_add_u32_e32 v14, 8, v18
	v_mad_i64_i32 v[12:13], s[2:3], v14, s13, 0
	v_lshl_add_u64 v[12:13], v[12:13], 3, s[0:1]
	v_mad_i64_i32 v[14:15], s[2:3], v14, s12, 0
	v_max_f32_e32 v16, v147, v147
	s_mov_b64 vcc, s[6:7]
	s_cbranch_vccz .LBB113_52
; %bb.50:
	v_min_f32_e32 v17, 0, v16
	v_cvt_f64_f32_e32 v[20:21], v17
	v_lshl_add_u64 v[22:23], v[4:5], 3, v[12:13]
	global_store_dwordx2 v[22:23], v[20:21], off
	s_mov_b64 s[2:3], 0
	v_lshl_add_u64 v[14:15], v[14:15], 3, s[8:9]
	s_cbranch_execz .LBB113_53
; %bb.51:
	v_mov_b64_e32 v[16:17], s[2:3]
	s_branch .LBB113_54
.LBB113_52:
                                        ; implicit-def: $sgpr2_sgpr3
	v_lshl_add_u64 v[14:15], v[14:15], 3, s[8:9]
.LBB113_53:
	v_lshl_add_u64 v[20:21], v[14:15], 0, v[8:9]
	flat_load_dwordx2 v[20:21], v[20:21]
	v_lshl_add_u64 v[22:23], v[12:13], 0, v[8:9]
	s_waitcnt vmcnt(0) lgkmcnt(0)
	v_mul_f64 v[20:21], v[20:21], s[10:11]
	v_cvt_f32_f64_e32 v17, v[20:21]
	v_min_f32_e32 v16, v17, v16
	v_cvt_f64_f32_e32 v[16:17], v16
	global_store_dwordx2 v[22:23], v[16:17], off
	v_lshl_add_u64 v[16:17], v[0:1], 3, v[14:15]
	flat_load_dwordx2 v[16:17], v[16:17]
	s_waitcnt vmcnt(0) lgkmcnt(0)
	v_mul_f64 v[16:17], v[16:17], s[10:11]
.LBB113_54:
	v_cvt_f32_f64_e32 v16, v[16:17]
	v_max_f32_e32 v17, v146, v146
	v_min_f32_e32 v16, v16, v17
	v_cvt_f64_f32_e32 v[16:17], v16
	v_lshl_add_u64 v[20:21], v[0:1], 3, v[12:13]
	global_store_dwordx2 v[20:21], v[16:17], off
	v_max_f32_e32 v16, v145, v145
	s_mov_b64 vcc, s[6:7]
	s_cbranch_vccz .LBB113_57
; %bb.55:
	v_min_f32_e32 v17, 0, v16
	v_cvt_f64_f32_e32 v[20:21], v17
	v_lshl_add_u64 v[22:23], v[6:7], 3, v[12:13]
	global_store_dwordx2 v[22:23], v[20:21], off
	s_mov_b64 s[2:3], 0
	s_cbranch_execz .LBB113_58
; %bb.56:
	v_mov_b64_e32 v[14:15], s[2:3]
	s_branch .LBB113_59
.LBB113_57:
                                        ; implicit-def: $sgpr2_sgpr3
.LBB113_58:
	v_lshl_add_u64 v[20:21], v[14:15], 0, v[10:11]
	flat_load_dwordx2 v[20:21], v[20:21]
	v_lshl_add_u64 v[22:23], v[12:13], 0, v[10:11]
	v_lshl_add_u64 v[14:15], v[2:3], 3, v[14:15]
	s_waitcnt vmcnt(0) lgkmcnt(0)
	v_mul_f64 v[20:21], v[20:21], s[10:11]
	v_cvt_f32_f64_e32 v17, v[20:21]
	v_min_f32_e32 v16, v17, v16
	v_cvt_f64_f32_e32 v[16:17], v16
	global_store_dwordx2 v[22:23], v[16:17], off
	flat_load_dwordx2 v[14:15], v[14:15]
	s_waitcnt vmcnt(0) lgkmcnt(0)
	v_mul_f64 v[14:15], v[14:15], s[10:11]
.LBB113_59:
	v_cvt_f32_f64_e32 v14, v[14:15]
	v_max_f32_e32 v15, v142, v142
	v_min_f32_e32 v14, v14, v15
	v_cvt_f64_f32_e32 v[14:15], v14
	v_lshl_add_u64 v[12:13], v[2:3], 3, v[12:13]
	global_store_dwordx2 v[12:13], v[14:15], off
	v_add_u32_e32 v14, 16, v18
	v_mad_i64_i32 v[12:13], s[2:3], v14, s13, 0
	v_lshl_add_u64 v[12:13], v[12:13], 3, s[0:1]
	v_mad_i64_i32 v[14:15], s[2:3], v14, s12, 0
	v_max_f32_e32 v16, v141, v141
	s_mov_b64 vcc, s[6:7]
	s_cbranch_vccz .LBB113_62
; %bb.60:
	v_min_f32_e32 v17, 0, v16
	v_cvt_f64_f32_e32 v[20:21], v17
	v_lshl_add_u64 v[22:23], v[4:5], 3, v[12:13]
	global_store_dwordx2 v[22:23], v[20:21], off
	s_mov_b64 s[2:3], 0
	v_lshl_add_u64 v[14:15], v[14:15], 3, s[8:9]
	s_cbranch_execz .LBB113_63
; %bb.61:
	v_mov_b64_e32 v[16:17], s[2:3]
	s_branch .LBB113_64
.LBB113_62:
                                        ; implicit-def: $sgpr2_sgpr3
	v_lshl_add_u64 v[14:15], v[14:15], 3, s[8:9]
.LBB113_63:
	v_lshl_add_u64 v[20:21], v[14:15], 0, v[8:9]
	flat_load_dwordx2 v[20:21], v[20:21]
	v_lshl_add_u64 v[22:23], v[12:13], 0, v[8:9]
	s_waitcnt vmcnt(0) lgkmcnt(0)
	v_mul_f64 v[20:21], v[20:21], s[10:11]
	v_cvt_f32_f64_e32 v17, v[20:21]
	v_min_f32_e32 v16, v17, v16
	v_cvt_f64_f32_e32 v[16:17], v16
	global_store_dwordx2 v[22:23], v[16:17], off
	v_lshl_add_u64 v[16:17], v[0:1], 3, v[14:15]
	flat_load_dwordx2 v[16:17], v[16:17]
	s_waitcnt vmcnt(0) lgkmcnt(0)
	v_mul_f64 v[16:17], v[16:17], s[10:11]
.LBB113_64:
	v_cvt_f32_f64_e32 v16, v[16:17]
	v_max_f32_e32 v17, v140, v140
	v_min_f32_e32 v16, v16, v17
	v_cvt_f64_f32_e32 v[16:17], v16
	v_lshl_add_u64 v[20:21], v[0:1], 3, v[12:13]
	global_store_dwordx2 v[20:21], v[16:17], off
	v_max_f32_e32 v16, v139, v139
	s_mov_b64 vcc, s[6:7]
	s_cbranch_vccz .LBB113_67
; %bb.65:
	v_min_f32_e32 v17, 0, v16
	v_cvt_f64_f32_e32 v[20:21], v17
	v_lshl_add_u64 v[22:23], v[6:7], 3, v[12:13]
	global_store_dwordx2 v[22:23], v[20:21], off
	s_mov_b64 s[2:3], 0
	s_cbranch_execz .LBB113_68
; %bb.66:
	v_mov_b64_e32 v[14:15], s[2:3]
	s_branch .LBB113_69
.LBB113_67:
                                        ; implicit-def: $sgpr2_sgpr3
.LBB113_68:
	v_lshl_add_u64 v[20:21], v[14:15], 0, v[10:11]
	flat_load_dwordx2 v[20:21], v[20:21]
	v_lshl_add_u64 v[22:23], v[12:13], 0, v[10:11]
	v_lshl_add_u64 v[14:15], v[2:3], 3, v[14:15]
	s_waitcnt vmcnt(0) lgkmcnt(0)
	v_mul_f64 v[20:21], v[20:21], s[10:11]
	v_cvt_f32_f64_e32 v17, v[20:21]
	v_min_f32_e32 v16, v17, v16
	v_cvt_f64_f32_e32 v[16:17], v16
	global_store_dwordx2 v[22:23], v[16:17], off
	flat_load_dwordx2 v[14:15], v[14:15]
	s_waitcnt vmcnt(0) lgkmcnt(0)
	v_mul_f64 v[14:15], v[14:15], s[10:11]
.LBB113_69:
	v_cvt_f32_f64_e32 v14, v[14:15]
	v_max_f32_e32 v15, v138, v138
	v_min_f32_e32 v14, v14, v15
	v_cvt_f64_f32_e32 v[14:15], v14
	v_lshl_add_u64 v[12:13], v[2:3], 3, v[12:13]
	global_store_dwordx2 v[12:13], v[14:15], off
	v_add_u32_e32 v14, 24, v18
	v_mad_i64_i32 v[12:13], s[2:3], v14, s13, 0
	v_lshl_add_u64 v[12:13], v[12:13], 3, s[0:1]
	v_mad_i64_i32 v[14:15], s[2:3], v14, s12, 0
	v_max_f32_e32 v16, v137, v137
	s_mov_b64 vcc, s[6:7]
	s_cbranch_vccz .LBB113_72
; %bb.70:
	v_min_f32_e32 v17, 0, v16
	v_cvt_f64_f32_e32 v[20:21], v17
	v_lshl_add_u64 v[22:23], v[4:5], 3, v[12:13]
	global_store_dwordx2 v[22:23], v[20:21], off
	s_mov_b64 s[2:3], 0
	v_lshl_add_u64 v[14:15], v[14:15], 3, s[8:9]
	s_cbranch_execz .LBB113_73
; %bb.71:
	v_mov_b64_e32 v[16:17], s[2:3]
	s_branch .LBB113_74
.LBB113_72:
                                        ; implicit-def: $sgpr2_sgpr3
	v_lshl_add_u64 v[14:15], v[14:15], 3, s[8:9]
.LBB113_73:
	v_lshl_add_u64 v[20:21], v[14:15], 0, v[8:9]
	flat_load_dwordx2 v[20:21], v[20:21]
	v_lshl_add_u64 v[22:23], v[12:13], 0, v[8:9]
	s_waitcnt vmcnt(0) lgkmcnt(0)
	v_mul_f64 v[20:21], v[20:21], s[10:11]
	v_cvt_f32_f64_e32 v17, v[20:21]
	v_min_f32_e32 v16, v17, v16
	v_cvt_f64_f32_e32 v[16:17], v16
	global_store_dwordx2 v[22:23], v[16:17], off
	v_lshl_add_u64 v[16:17], v[0:1], 3, v[14:15]
	flat_load_dwordx2 v[16:17], v[16:17]
	s_waitcnt vmcnt(0) lgkmcnt(0)
	v_mul_f64 v[16:17], v[16:17], s[10:11]
.LBB113_74:
	v_cvt_f32_f64_e32 v16, v[16:17]
	v_max_f32_e32 v17, v136, v136
	v_min_f32_e32 v16, v16, v17
	v_cvt_f64_f32_e32 v[16:17], v16
	v_lshl_add_u64 v[20:21], v[0:1], 3, v[12:13]
	global_store_dwordx2 v[20:21], v[16:17], off
	v_max_f32_e32 v16, v135, v135
	s_mov_b64 vcc, s[6:7]
	s_cbranch_vccz .LBB113_77
; %bb.75:
	v_min_f32_e32 v17, 0, v16
	v_cvt_f64_f32_e32 v[20:21], v17
	v_lshl_add_u64 v[22:23], v[6:7], 3, v[12:13]
	global_store_dwordx2 v[22:23], v[20:21], off
	s_mov_b64 s[2:3], 0
	s_cbranch_execz .LBB113_78
; %bb.76:
	v_mov_b64_e32 v[14:15], s[2:3]
	s_branch .LBB113_79
.LBB113_77:
                                        ; implicit-def: $sgpr2_sgpr3
.LBB113_78:
	v_lshl_add_u64 v[20:21], v[14:15], 0, v[10:11]
	flat_load_dwordx2 v[20:21], v[20:21]
	v_lshl_add_u64 v[22:23], v[12:13], 0, v[10:11]
	v_lshl_add_u64 v[14:15], v[2:3], 3, v[14:15]
	s_waitcnt vmcnt(0) lgkmcnt(0)
	v_mul_f64 v[20:21], v[20:21], s[10:11]
	v_cvt_f32_f64_e32 v17, v[20:21]
	v_min_f32_e32 v16, v17, v16
	v_cvt_f64_f32_e32 v[16:17], v16
	global_store_dwordx2 v[22:23], v[16:17], off
	flat_load_dwordx2 v[14:15], v[14:15]
	s_waitcnt vmcnt(0) lgkmcnt(0)
	v_mul_f64 v[14:15], v[14:15], s[10:11]
.LBB113_79:
	v_cvt_f32_f64_e32 v14, v[14:15]
	v_max_f32_e32 v15, v134, v134
	v_min_f32_e32 v14, v14, v15
	v_cvt_f64_f32_e32 v[14:15], v14
	v_lshl_add_u64 v[12:13], v[2:3], 3, v[12:13]
	global_store_dwordx2 v[12:13], v[14:15], off
	v_add_u32_e32 v14, 32, v18
	v_mad_i64_i32 v[12:13], s[2:3], v14, s13, 0
	v_lshl_add_u64 v[12:13], v[12:13], 3, s[0:1]
	v_mad_i64_i32 v[14:15], s[2:3], v14, s12, 0
	v_max_f32_e32 v16, v133, v133
	s_mov_b64 vcc, s[6:7]
	s_cbranch_vccz .LBB113_82
; %bb.80:
	v_min_f32_e32 v17, 0, v16
	v_cvt_f64_f32_e32 v[20:21], v17
	v_lshl_add_u64 v[22:23], v[4:5], 3, v[12:13]
	global_store_dwordx2 v[22:23], v[20:21], off
	s_mov_b64 s[2:3], 0
	v_lshl_add_u64 v[14:15], v[14:15], 3, s[8:9]
	s_cbranch_execz .LBB113_83
; %bb.81:
	v_mov_b64_e32 v[16:17], s[2:3]
	s_branch .LBB113_84
.LBB113_82:
                                        ; implicit-def: $sgpr2_sgpr3
	v_lshl_add_u64 v[14:15], v[14:15], 3, s[8:9]
.LBB113_83:
	v_lshl_add_u64 v[20:21], v[14:15], 0, v[8:9]
	flat_load_dwordx2 v[20:21], v[20:21]
	v_lshl_add_u64 v[22:23], v[12:13], 0, v[8:9]
	s_waitcnt vmcnt(0) lgkmcnt(0)
	v_mul_f64 v[20:21], v[20:21], s[10:11]
	v_cvt_f32_f64_e32 v17, v[20:21]
	v_min_f32_e32 v16, v17, v16
	v_cvt_f64_f32_e32 v[16:17], v16
	global_store_dwordx2 v[22:23], v[16:17], off
	v_lshl_add_u64 v[16:17], v[0:1], 3, v[14:15]
	flat_load_dwordx2 v[16:17], v[16:17]
	s_waitcnt vmcnt(0) lgkmcnt(0)
	v_mul_f64 v[16:17], v[16:17], s[10:11]
.LBB113_84:
	v_cvt_f32_f64_e32 v16, v[16:17]
	v_max_f32_e32 v17, v132, v132
	v_min_f32_e32 v16, v16, v17
	v_cvt_f64_f32_e32 v[16:17], v16
	v_lshl_add_u64 v[20:21], v[0:1], 3, v[12:13]
	global_store_dwordx2 v[20:21], v[16:17], off
	v_max_f32_e32 v16, v131, v131
	s_mov_b64 vcc, s[6:7]
	s_cbranch_vccz .LBB113_87
; %bb.85:
	v_min_f32_e32 v17, 0, v16
	v_cvt_f64_f32_e32 v[20:21], v17
	v_lshl_add_u64 v[22:23], v[6:7], 3, v[12:13]
	global_store_dwordx2 v[22:23], v[20:21], off
	s_mov_b64 s[2:3], 0
	s_cbranch_execz .LBB113_88
; %bb.86:
	v_mov_b64_e32 v[14:15], s[2:3]
	s_branch .LBB113_89
.LBB113_87:
                                        ; implicit-def: $sgpr2_sgpr3
.LBB113_88:
	v_lshl_add_u64 v[20:21], v[14:15], 0, v[10:11]
	flat_load_dwordx2 v[20:21], v[20:21]
	v_lshl_add_u64 v[22:23], v[12:13], 0, v[10:11]
	v_lshl_add_u64 v[14:15], v[2:3], 3, v[14:15]
	s_waitcnt vmcnt(0) lgkmcnt(0)
	v_mul_f64 v[20:21], v[20:21], s[10:11]
	v_cvt_f32_f64_e32 v17, v[20:21]
	v_min_f32_e32 v16, v17, v16
	v_cvt_f64_f32_e32 v[16:17], v16
	global_store_dwordx2 v[22:23], v[16:17], off
	flat_load_dwordx2 v[14:15], v[14:15]
	s_waitcnt vmcnt(0) lgkmcnt(0)
	v_mul_f64 v[14:15], v[14:15], s[10:11]
.LBB113_89:
	v_cvt_f32_f64_e32 v14, v[14:15]
	v_max_f32_e32 v15, v130, v130
	v_min_f32_e32 v14, v14, v15
	v_cvt_f64_f32_e32 v[14:15], v14
	v_lshl_add_u64 v[12:13], v[2:3], 3, v[12:13]
	global_store_dwordx2 v[12:13], v[14:15], off
	v_add_u32_e32 v14, 40, v18
	v_mad_i64_i32 v[12:13], s[2:3], v14, s13, 0
	v_lshl_add_u64 v[12:13], v[12:13], 3, s[0:1]
	v_mad_i64_i32 v[14:15], s[2:3], v14, s12, 0
	v_max_f32_e32 v16, v129, v129
	s_mov_b64 vcc, s[6:7]
	s_cbranch_vccz .LBB113_92
; %bb.90:
	v_min_f32_e32 v17, 0, v16
	v_cvt_f64_f32_e32 v[20:21], v17
	v_lshl_add_u64 v[22:23], v[4:5], 3, v[12:13]
	global_store_dwordx2 v[22:23], v[20:21], off
	s_mov_b64 s[2:3], 0
	v_lshl_add_u64 v[14:15], v[14:15], 3, s[8:9]
	s_cbranch_execz .LBB113_93
; %bb.91:
	v_mov_b64_e32 v[16:17], s[2:3]
	s_branch .LBB113_94
.LBB113_92:
                                        ; implicit-def: $sgpr2_sgpr3
	v_lshl_add_u64 v[14:15], v[14:15], 3, s[8:9]
.LBB113_93:
	v_lshl_add_u64 v[20:21], v[14:15], 0, v[8:9]
	flat_load_dwordx2 v[20:21], v[20:21]
	v_lshl_add_u64 v[22:23], v[12:13], 0, v[8:9]
	s_waitcnt vmcnt(0) lgkmcnt(0)
	v_mul_f64 v[20:21], v[20:21], s[10:11]
	v_cvt_f32_f64_e32 v17, v[20:21]
	v_min_f32_e32 v16, v17, v16
	v_cvt_f64_f32_e32 v[16:17], v16
	global_store_dwordx2 v[22:23], v[16:17], off
	v_lshl_add_u64 v[16:17], v[0:1], 3, v[14:15]
	flat_load_dwordx2 v[16:17], v[16:17]
	s_waitcnt vmcnt(0) lgkmcnt(0)
	v_mul_f64 v[16:17], v[16:17], s[10:11]
.LBB113_94:
	v_cvt_f32_f64_e32 v16, v[16:17]
	v_max_f32_e32 v17, v128, v128
	v_min_f32_e32 v16, v16, v17
	v_cvt_f64_f32_e32 v[16:17], v16
	v_lshl_add_u64 v[20:21], v[0:1], 3, v[12:13]
	global_store_dwordx2 v[20:21], v[16:17], off
	v_max_f32_e32 v16, v127, v127
	s_mov_b64 vcc, s[6:7]
	s_cbranch_vccz .LBB113_97
; %bb.95:
	v_min_f32_e32 v17, 0, v16
	v_cvt_f64_f32_e32 v[20:21], v17
	v_lshl_add_u64 v[22:23], v[6:7], 3, v[12:13]
	global_store_dwordx2 v[22:23], v[20:21], off
	s_mov_b64 s[2:3], 0
	s_cbranch_execz .LBB113_98
; %bb.96:
	v_mov_b64_e32 v[14:15], s[2:3]
	s_branch .LBB113_99
.LBB113_97:
                                        ; implicit-def: $sgpr2_sgpr3
.LBB113_98:
	v_lshl_add_u64 v[20:21], v[14:15], 0, v[10:11]
	flat_load_dwordx2 v[20:21], v[20:21]
	v_lshl_add_u64 v[22:23], v[12:13], 0, v[10:11]
	v_lshl_add_u64 v[14:15], v[2:3], 3, v[14:15]
	s_waitcnt vmcnt(0) lgkmcnt(0)
	v_mul_f64 v[20:21], v[20:21], s[10:11]
	v_cvt_f32_f64_e32 v17, v[20:21]
	v_min_f32_e32 v16, v17, v16
	v_cvt_f64_f32_e32 v[16:17], v16
	global_store_dwordx2 v[22:23], v[16:17], off
	flat_load_dwordx2 v[14:15], v[14:15]
	s_waitcnt vmcnt(0) lgkmcnt(0)
	v_mul_f64 v[14:15], v[14:15], s[10:11]
.LBB113_99:
	v_cvt_f32_f64_e32 v14, v[14:15]
	v_max_f32_e32 v15, v126, v126
	v_min_f32_e32 v14, v14, v15
	v_cvt_f64_f32_e32 v[14:15], v14
	v_lshl_add_u64 v[12:13], v[2:3], 3, v[12:13]
	global_store_dwordx2 v[12:13], v[14:15], off
	v_add_u32_e32 v14, 48, v18
	v_mad_i64_i32 v[12:13], s[2:3], v14, s13, 0
	v_lshl_add_u64 v[12:13], v[12:13], 3, s[0:1]
	v_mad_i64_i32 v[14:15], s[2:3], v14, s12, 0
	v_max_f32_e32 v16, v125, v125
	s_mov_b64 vcc, s[6:7]
	s_cbranch_vccz .LBB113_102
; %bb.100:
	v_min_f32_e32 v17, 0, v16
	v_cvt_f64_f32_e32 v[20:21], v17
	v_lshl_add_u64 v[22:23], v[4:5], 3, v[12:13]
	global_store_dwordx2 v[22:23], v[20:21], off
	s_mov_b64 s[2:3], 0
	v_lshl_add_u64 v[14:15], v[14:15], 3, s[8:9]
	s_cbranch_execz .LBB113_103
; %bb.101:
	v_mov_b64_e32 v[16:17], s[2:3]
	s_branch .LBB113_104
.LBB113_102:
                                        ; implicit-def: $sgpr2_sgpr3
	v_lshl_add_u64 v[14:15], v[14:15], 3, s[8:9]
.LBB113_103:
	v_lshl_add_u64 v[20:21], v[14:15], 0, v[8:9]
	flat_load_dwordx2 v[20:21], v[20:21]
	v_lshl_add_u64 v[22:23], v[12:13], 0, v[8:9]
	s_waitcnt vmcnt(0) lgkmcnt(0)
	v_mul_f64 v[20:21], v[20:21], s[10:11]
	v_cvt_f32_f64_e32 v17, v[20:21]
	v_min_f32_e32 v16, v17, v16
	v_cvt_f64_f32_e32 v[16:17], v16
	global_store_dwordx2 v[22:23], v[16:17], off
	v_lshl_add_u64 v[16:17], v[0:1], 3, v[14:15]
	flat_load_dwordx2 v[16:17], v[16:17]
	s_waitcnt vmcnt(0) lgkmcnt(0)
	v_mul_f64 v[16:17], v[16:17], s[10:11]
.LBB113_104:
	v_cvt_f32_f64_e32 v16, v[16:17]
	v_max_f32_e32 v17, v124, v124
	v_min_f32_e32 v16, v16, v17
	v_cvt_f64_f32_e32 v[16:17], v16
	v_lshl_add_u64 v[20:21], v[0:1], 3, v[12:13]
	global_store_dwordx2 v[20:21], v[16:17], off
	v_max_f32_e32 v16, v123, v123
	s_mov_b64 vcc, s[6:7]
	s_cbranch_vccz .LBB113_107
; %bb.105:
	v_min_f32_e32 v17, 0, v16
	v_cvt_f64_f32_e32 v[20:21], v17
	v_lshl_add_u64 v[22:23], v[6:7], 3, v[12:13]
	global_store_dwordx2 v[22:23], v[20:21], off
	s_mov_b64 s[2:3], 0
	s_cbranch_execz .LBB113_108
; %bb.106:
	v_mov_b64_e32 v[14:15], s[2:3]
	s_branch .LBB113_109
.LBB113_107:
                                        ; implicit-def: $sgpr2_sgpr3
.LBB113_108:
	v_lshl_add_u64 v[20:21], v[14:15], 0, v[10:11]
	flat_load_dwordx2 v[20:21], v[20:21]
	v_lshl_add_u64 v[22:23], v[12:13], 0, v[10:11]
	v_lshl_add_u64 v[14:15], v[2:3], 3, v[14:15]
	s_waitcnt vmcnt(0) lgkmcnt(0)
	v_mul_f64 v[20:21], v[20:21], s[10:11]
	v_cvt_f32_f64_e32 v17, v[20:21]
	v_min_f32_e32 v16, v17, v16
	v_cvt_f64_f32_e32 v[16:17], v16
	global_store_dwordx2 v[22:23], v[16:17], off
	flat_load_dwordx2 v[14:15], v[14:15]
	s_waitcnt vmcnt(0) lgkmcnt(0)
	v_mul_f64 v[14:15], v[14:15], s[10:11]
.LBB113_109:
	v_cvt_f32_f64_e32 v14, v[14:15]
	v_max_f32_e32 v15, v122, v122
	v_min_f32_e32 v14, v14, v15
	v_cvt_f64_f32_e32 v[14:15], v14
	v_lshl_add_u64 v[12:13], v[2:3], 3, v[12:13]
	global_store_dwordx2 v[12:13], v[14:15], off
	v_add_u32_e32 v14, 56, v18
	v_mad_i64_i32 v[12:13], s[2:3], v14, s13, 0
	v_lshl_add_u64 v[12:13], v[12:13], 3, s[0:1]
	v_mad_i64_i32 v[14:15], s[2:3], v14, s12, 0
	v_max_f32_e32 v16, v121, v121
	s_mov_b64 vcc, s[6:7]
	s_cbranch_vccz .LBB113_112
; %bb.110:
	v_min_f32_e32 v17, 0, v16
	v_cvt_f64_f32_e32 v[20:21], v17
	v_lshl_add_u64 v[22:23], v[4:5], 3, v[12:13]
	global_store_dwordx2 v[22:23], v[20:21], off
	s_mov_b64 s[2:3], 0
	v_lshl_add_u64 v[14:15], v[14:15], 3, s[8:9]
	s_cbranch_execz .LBB113_113
; %bb.111:
	v_mov_b64_e32 v[16:17], s[2:3]
	s_branch .LBB113_114
.LBB113_112:
                                        ; implicit-def: $sgpr2_sgpr3
	v_lshl_add_u64 v[14:15], v[14:15], 3, s[8:9]
.LBB113_113:
	v_lshl_add_u64 v[20:21], v[14:15], 0, v[8:9]
	flat_load_dwordx2 v[20:21], v[20:21]
	v_lshl_add_u64 v[22:23], v[12:13], 0, v[8:9]
	s_waitcnt vmcnt(0) lgkmcnt(0)
	v_mul_f64 v[20:21], v[20:21], s[10:11]
	v_cvt_f32_f64_e32 v17, v[20:21]
	v_min_f32_e32 v16, v17, v16
	v_cvt_f64_f32_e32 v[16:17], v16
	global_store_dwordx2 v[22:23], v[16:17], off
	v_lshl_add_u64 v[16:17], v[0:1], 3, v[14:15]
	flat_load_dwordx2 v[16:17], v[16:17]
	s_waitcnt vmcnt(0) lgkmcnt(0)
	v_mul_f64 v[16:17], v[16:17], s[10:11]
.LBB113_114:
	v_cvt_f32_f64_e32 v16, v[16:17]
	v_max_f32_e32 v17, v120, v120
	v_min_f32_e32 v16, v16, v17
	v_cvt_f64_f32_e32 v[16:17], v16
	v_lshl_add_u64 v[20:21], v[0:1], 3, v[12:13]
	global_store_dwordx2 v[20:21], v[16:17], off
	v_max_f32_e32 v16, v119, v119
	s_mov_b64 vcc, s[6:7]
	s_cbranch_vccz .LBB113_117
; %bb.115:
	v_min_f32_e32 v17, 0, v16
	v_cvt_f64_f32_e32 v[20:21], v17
	v_lshl_add_u64 v[22:23], v[6:7], 3, v[12:13]
	global_store_dwordx2 v[22:23], v[20:21], off
	s_mov_b64 s[2:3], 0
	s_cbranch_execz .LBB113_118
; %bb.116:
	v_mov_b64_e32 v[14:15], s[2:3]
	s_branch .LBB113_119
.LBB113_117:
                                        ; implicit-def: $sgpr2_sgpr3
.LBB113_118:
	v_lshl_add_u64 v[20:21], v[14:15], 0, v[10:11]
	flat_load_dwordx2 v[20:21], v[20:21]
	v_lshl_add_u64 v[22:23], v[12:13], 0, v[10:11]
	v_lshl_add_u64 v[14:15], v[2:3], 3, v[14:15]
	s_waitcnt vmcnt(0) lgkmcnt(0)
	v_mul_f64 v[20:21], v[20:21], s[10:11]
	v_cvt_f32_f64_e32 v17, v[20:21]
	v_min_f32_e32 v16, v17, v16
	v_cvt_f64_f32_e32 v[16:17], v16
	global_store_dwordx2 v[22:23], v[16:17], off
	flat_load_dwordx2 v[14:15], v[14:15]
	s_waitcnt vmcnt(0) lgkmcnt(0)
	v_mul_f64 v[14:15], v[14:15], s[10:11]
.LBB113_119:
	v_cvt_f32_f64_e32 v14, v[14:15]
	v_max_f32_e32 v15, v118, v118
	v_min_f32_e32 v14, v14, v15
	v_cvt_f64_f32_e32 v[14:15], v14
	v_lshl_add_u64 v[12:13], v[2:3], 3, v[12:13]
	global_store_dwordx2 v[12:13], v[14:15], off
	v_add_u32_e32 v14, 64, v18
	v_mad_i64_i32 v[12:13], s[2:3], v14, s13, 0
	v_lshl_add_u64 v[12:13], v[12:13], 3, s[0:1]
	v_mad_i64_i32 v[14:15], s[2:3], v14, s12, 0
	v_max_f32_e32 v16, v117, v117
	s_mov_b64 vcc, s[6:7]
	s_cbranch_vccz .LBB113_122
; %bb.120:
	v_min_f32_e32 v17, 0, v16
	v_cvt_f64_f32_e32 v[20:21], v17
	v_lshl_add_u64 v[22:23], v[4:5], 3, v[12:13]
	global_store_dwordx2 v[22:23], v[20:21], off
	s_mov_b64 s[2:3], 0
	v_lshl_add_u64 v[14:15], v[14:15], 3, s[8:9]
	s_cbranch_execz .LBB113_123
; %bb.121:
	v_mov_b64_e32 v[16:17], s[2:3]
	s_branch .LBB113_124
.LBB113_122:
                                        ; implicit-def: $sgpr2_sgpr3
	v_lshl_add_u64 v[14:15], v[14:15], 3, s[8:9]
.LBB113_123:
	v_lshl_add_u64 v[20:21], v[14:15], 0, v[8:9]
	flat_load_dwordx2 v[20:21], v[20:21]
	v_lshl_add_u64 v[22:23], v[12:13], 0, v[8:9]
	s_waitcnt vmcnt(0) lgkmcnt(0)
	v_mul_f64 v[20:21], v[20:21], s[10:11]
	v_cvt_f32_f64_e32 v17, v[20:21]
	v_min_f32_e32 v16, v17, v16
	v_cvt_f64_f32_e32 v[16:17], v16
	global_store_dwordx2 v[22:23], v[16:17], off
	v_lshl_add_u64 v[16:17], v[0:1], 3, v[14:15]
	flat_load_dwordx2 v[16:17], v[16:17]
	s_waitcnt vmcnt(0) lgkmcnt(0)
	v_mul_f64 v[16:17], v[16:17], s[10:11]
.LBB113_124:
	v_cvt_f32_f64_e32 v16, v[16:17]
	v_max_f32_e32 v17, v116, v116
	v_min_f32_e32 v16, v16, v17
	v_cvt_f64_f32_e32 v[16:17], v16
	v_lshl_add_u64 v[20:21], v[0:1], 3, v[12:13]
	global_store_dwordx2 v[20:21], v[16:17], off
	v_max_f32_e32 v16, v115, v115
	s_mov_b64 vcc, s[6:7]
	s_cbranch_vccz .LBB113_127
; %bb.125:
	v_min_f32_e32 v17, 0, v16
	v_cvt_f64_f32_e32 v[20:21], v17
	v_lshl_add_u64 v[22:23], v[6:7], 3, v[12:13]
	global_store_dwordx2 v[22:23], v[20:21], off
	s_mov_b64 s[2:3], 0
	s_cbranch_execz .LBB113_128
; %bb.126:
	v_mov_b64_e32 v[14:15], s[2:3]
	s_branch .LBB113_129
.LBB113_127:
                                        ; implicit-def: $sgpr2_sgpr3
.LBB113_128:
	v_lshl_add_u64 v[20:21], v[14:15], 0, v[10:11]
	flat_load_dwordx2 v[20:21], v[20:21]
	v_lshl_add_u64 v[22:23], v[12:13], 0, v[10:11]
	v_lshl_add_u64 v[14:15], v[2:3], 3, v[14:15]
	s_waitcnt vmcnt(0) lgkmcnt(0)
	v_mul_f64 v[20:21], v[20:21], s[10:11]
	v_cvt_f32_f64_e32 v17, v[20:21]
	v_min_f32_e32 v16, v17, v16
	v_cvt_f64_f32_e32 v[16:17], v16
	global_store_dwordx2 v[22:23], v[16:17], off
	flat_load_dwordx2 v[14:15], v[14:15]
	s_waitcnt vmcnt(0) lgkmcnt(0)
	v_mul_f64 v[14:15], v[14:15], s[10:11]
.LBB113_129:
	v_cvt_f32_f64_e32 v14, v[14:15]
	v_max_f32_e32 v15, v114, v114
	v_min_f32_e32 v14, v14, v15
	v_cvt_f64_f32_e32 v[14:15], v14
	v_lshl_add_u64 v[12:13], v[2:3], 3, v[12:13]
	global_store_dwordx2 v[12:13], v[14:15], off
	v_add_u32_e32 v14, 0x48, v18
	v_mad_i64_i32 v[12:13], s[2:3], v14, s13, 0
	v_lshl_add_u64 v[12:13], v[12:13], 3, s[0:1]
	v_mad_i64_i32 v[14:15], s[2:3], v14, s12, 0
	v_max_f32_e32 v16, v113, v113
	s_mov_b64 vcc, s[6:7]
	s_cbranch_vccz .LBB113_132
; %bb.130:
	v_min_f32_e32 v17, 0, v16
	v_cvt_f64_f32_e32 v[20:21], v17
	v_lshl_add_u64 v[22:23], v[4:5], 3, v[12:13]
	global_store_dwordx2 v[22:23], v[20:21], off
	s_mov_b64 s[2:3], 0
	v_lshl_add_u64 v[14:15], v[14:15], 3, s[8:9]
	s_cbranch_execz .LBB113_133
; %bb.131:
	v_mov_b64_e32 v[16:17], s[2:3]
	s_branch .LBB113_134
.LBB113_132:
                                        ; implicit-def: $sgpr2_sgpr3
	v_lshl_add_u64 v[14:15], v[14:15], 3, s[8:9]
.LBB113_133:
	v_lshl_add_u64 v[20:21], v[14:15], 0, v[8:9]
	flat_load_dwordx2 v[20:21], v[20:21]
	v_lshl_add_u64 v[22:23], v[12:13], 0, v[8:9]
	s_waitcnt vmcnt(0) lgkmcnt(0)
	v_mul_f64 v[20:21], v[20:21], s[10:11]
	v_cvt_f32_f64_e32 v17, v[20:21]
	v_min_f32_e32 v16, v17, v16
	v_cvt_f64_f32_e32 v[16:17], v16
	global_store_dwordx2 v[22:23], v[16:17], off
	v_lshl_add_u64 v[16:17], v[0:1], 3, v[14:15]
	flat_load_dwordx2 v[16:17], v[16:17]
	s_waitcnt vmcnt(0) lgkmcnt(0)
	v_mul_f64 v[16:17], v[16:17], s[10:11]
.LBB113_134:
	v_cvt_f32_f64_e32 v16, v[16:17]
	v_max_f32_e32 v17, v112, v112
	v_min_f32_e32 v16, v16, v17
	v_cvt_f64_f32_e32 v[16:17], v16
	v_lshl_add_u64 v[20:21], v[0:1], 3, v[12:13]
	global_store_dwordx2 v[20:21], v[16:17], off
	v_max_f32_e32 v16, v111, v111
	s_mov_b64 vcc, s[6:7]
	s_cbranch_vccz .LBB113_137
; %bb.135:
	v_min_f32_e32 v17, 0, v16
	v_cvt_f64_f32_e32 v[20:21], v17
	v_lshl_add_u64 v[22:23], v[6:7], 3, v[12:13]
	global_store_dwordx2 v[22:23], v[20:21], off
	s_mov_b64 s[2:3], 0
	s_cbranch_execz .LBB113_138
; %bb.136:
	v_mov_b64_e32 v[14:15], s[2:3]
	s_branch .LBB113_139
.LBB113_137:
                                        ; implicit-def: $sgpr2_sgpr3
.LBB113_138:
	v_lshl_add_u64 v[20:21], v[14:15], 0, v[10:11]
	flat_load_dwordx2 v[20:21], v[20:21]
	v_lshl_add_u64 v[22:23], v[12:13], 0, v[10:11]
	v_lshl_add_u64 v[14:15], v[2:3], 3, v[14:15]
	s_waitcnt vmcnt(0) lgkmcnt(0)
	v_mul_f64 v[20:21], v[20:21], s[10:11]
	v_cvt_f32_f64_e32 v17, v[20:21]
	v_min_f32_e32 v16, v17, v16
	v_cvt_f64_f32_e32 v[16:17], v16
	global_store_dwordx2 v[22:23], v[16:17], off
	flat_load_dwordx2 v[14:15], v[14:15]
	s_waitcnt vmcnt(0) lgkmcnt(0)
	v_mul_f64 v[14:15], v[14:15], s[10:11]
.LBB113_139:
	v_cvt_f32_f64_e32 v14, v[14:15]
	v_max_f32_e32 v15, v110, v110
	v_min_f32_e32 v14, v14, v15
	v_cvt_f64_f32_e32 v[14:15], v14
	v_lshl_add_u64 v[12:13], v[2:3], 3, v[12:13]
	global_store_dwordx2 v[12:13], v[14:15], off
	v_add_u32_e32 v14, 0x50, v18
	v_mad_i64_i32 v[12:13], s[2:3], v14, s13, 0
	v_lshl_add_u64 v[12:13], v[12:13], 3, s[0:1]
	v_mad_i64_i32 v[14:15], s[2:3], v14, s12, 0
	v_max_f32_e32 v16, v109, v109
	s_mov_b64 vcc, s[6:7]
	s_cbranch_vccz .LBB113_142
; %bb.140:
	v_min_f32_e32 v17, 0, v16
	v_cvt_f64_f32_e32 v[20:21], v17
	v_lshl_add_u64 v[22:23], v[4:5], 3, v[12:13]
	global_store_dwordx2 v[22:23], v[20:21], off
	s_mov_b64 s[2:3], 0
	v_lshl_add_u64 v[14:15], v[14:15], 3, s[8:9]
	s_cbranch_execz .LBB113_143
; %bb.141:
	v_mov_b64_e32 v[16:17], s[2:3]
	s_branch .LBB113_144
.LBB113_142:
                                        ; implicit-def: $sgpr2_sgpr3
	v_lshl_add_u64 v[14:15], v[14:15], 3, s[8:9]
.LBB113_143:
	v_lshl_add_u64 v[20:21], v[14:15], 0, v[8:9]
	flat_load_dwordx2 v[20:21], v[20:21]
	v_lshl_add_u64 v[22:23], v[12:13], 0, v[8:9]
	s_waitcnt vmcnt(0) lgkmcnt(0)
	v_mul_f64 v[20:21], v[20:21], s[10:11]
	v_cvt_f32_f64_e32 v17, v[20:21]
	v_min_f32_e32 v16, v17, v16
	v_cvt_f64_f32_e32 v[16:17], v16
	global_store_dwordx2 v[22:23], v[16:17], off
	v_lshl_add_u64 v[16:17], v[0:1], 3, v[14:15]
	flat_load_dwordx2 v[16:17], v[16:17]
	s_waitcnt vmcnt(0) lgkmcnt(0)
	v_mul_f64 v[16:17], v[16:17], s[10:11]
.LBB113_144:
	v_cvt_f32_f64_e32 v16, v[16:17]
	v_max_f32_e32 v17, v108, v108
	v_min_f32_e32 v16, v16, v17
	v_cvt_f64_f32_e32 v[16:17], v16
	v_lshl_add_u64 v[20:21], v[0:1], 3, v[12:13]
	global_store_dwordx2 v[20:21], v[16:17], off
	v_max_f32_e32 v16, v107, v107
	s_mov_b64 vcc, s[6:7]
	s_cbranch_vccz .LBB113_147
; %bb.145:
	v_min_f32_e32 v17, 0, v16
	v_cvt_f64_f32_e32 v[20:21], v17
	v_lshl_add_u64 v[22:23], v[6:7], 3, v[12:13]
	s_mov_b32 s4, 0
	global_store_dwordx2 v[22:23], v[20:21], off
	s_cbranch_execz .LBB113_148
; %bb.146:
	v_mov_b32_e32 v14, s4
	s_branch .LBB113_149
.LBB113_147:
                                        ; implicit-def: $sgpr4
.LBB113_148:
	v_lshl_add_u64 v[20:21], v[14:15], 0, v[10:11]
	flat_load_dwordx2 v[20:21], v[20:21]
	v_lshl_add_u64 v[22:23], v[12:13], 0, v[10:11]
	v_lshl_add_u64 v[14:15], v[2:3], 3, v[14:15]
	s_waitcnt vmcnt(0) lgkmcnt(0)
	v_mul_f64 v[20:21], v[20:21], s[10:11]
	v_cvt_f32_f64_e32 v17, v[20:21]
	v_min_f32_e32 v16, v17, v16
	v_cvt_f64_f32_e32 v[16:17], v16
	global_store_dwordx2 v[22:23], v[16:17], off
	flat_load_dwordx2 v[14:15], v[14:15]
	s_waitcnt vmcnt(0) lgkmcnt(0)
	v_mul_f64 v[14:15], v[14:15], s[10:11]
	v_cvt_f32_f64_e32 v14, v[14:15]
.LBB113_149:
	v_max_f32_e32 v15, v106, v106
	v_max_f32_e32 v14, v14, v14
	v_min_f32_e32 v14, v14, v15
	v_cvt_f64_f32_e32 v[14:15], v14
	v_lshl_add_u64 v[12:13], v[2:3], 3, v[12:13]
	global_store_dwordx2 v[12:13], v[14:15], off
	v_add_u32_e32 v14, 0x58, v18
	v_mad_i64_i32 v[12:13], s[2:3], v14, s13, 0
	v_lshl_add_u64 v[12:13], v[12:13], 3, s[0:1]
	v_mad_i64_i32 v[14:15], s[2:3], v14, s12, 0
	v_max_f32_e32 v16, v105, v105
	s_mov_b64 vcc, s[6:7]
	s_cbranch_vccz .LBB113_152
; %bb.150:
	v_min_f32_e32 v17, 0, v16
	v_cvt_f64_f32_e32 v[20:21], v17
	v_lshl_add_u64 v[22:23], v[4:5], 3, v[12:13]
	s_mov_b32 s4, 0
	global_store_dwordx2 v[22:23], v[20:21], off
	v_lshl_add_u64 v[14:15], v[14:15], 3, s[8:9]
	s_cbranch_execz .LBB113_153
; %bb.151:
	v_mov_b32_e32 v16, s4
	s_branch .LBB113_154
.LBB113_152:
                                        ; implicit-def: $sgpr4
	v_lshl_add_u64 v[14:15], v[14:15], 3, s[8:9]
.LBB113_153:
	v_lshl_add_u64 v[20:21], v[14:15], 0, v[8:9]
	flat_load_dwordx2 v[20:21], v[20:21]
	v_lshl_add_u64 v[22:23], v[12:13], 0, v[8:9]
	s_waitcnt vmcnt(0) lgkmcnt(0)
	v_mul_f64 v[20:21], v[20:21], s[10:11]
	v_cvt_f32_f64_e32 v17, v[20:21]
	v_min_f32_e32 v16, v17, v16
	v_cvt_f64_f32_e32 v[16:17], v16
	global_store_dwordx2 v[22:23], v[16:17], off
	v_lshl_add_u64 v[16:17], v[0:1], 3, v[14:15]
	flat_load_dwordx2 v[16:17], v[16:17]
	s_waitcnt vmcnt(0) lgkmcnt(0)
	v_mul_f64 v[16:17], v[16:17], s[10:11]
	v_cvt_f32_f64_e32 v16, v[16:17]
.LBB113_154:
	v_max_f32_e32 v17, v104, v104
	v_max_f32_e32 v16, v16, v16
	v_min_f32_e32 v16, v16, v17
	v_cvt_f64_f32_e32 v[16:17], v16
	v_lshl_add_u64 v[20:21], v[0:1], 3, v[12:13]
	global_store_dwordx2 v[20:21], v[16:17], off
	v_max_f32_e32 v16, v103, v103
	s_mov_b64 vcc, s[6:7]
	s_cbranch_vccz .LBB113_157
; %bb.155:
	v_min_f32_e32 v17, 0, v16
	v_cvt_f64_f32_e32 v[20:21], v17
	v_lshl_add_u64 v[22:23], v[6:7], 3, v[12:13]
	s_mov_b32 s4, 0
	global_store_dwordx2 v[22:23], v[20:21], off
	s_cbranch_execz .LBB113_158
; %bb.156:
	v_mov_b32_e32 v14, s4
	s_branch .LBB113_159
.LBB113_157:
                                        ; implicit-def: $sgpr4
.LBB113_158:
	v_lshl_add_u64 v[20:21], v[14:15], 0, v[10:11]
	flat_load_dwordx2 v[20:21], v[20:21]
	v_lshl_add_u64 v[22:23], v[12:13], 0, v[10:11]
	v_lshl_add_u64 v[14:15], v[2:3], 3, v[14:15]
	s_waitcnt vmcnt(0) lgkmcnt(0)
	v_mul_f64 v[20:21], v[20:21], s[10:11]
	v_cvt_f32_f64_e32 v17, v[20:21]
	v_min_f32_e32 v16, v17, v16
	v_cvt_f64_f32_e32 v[16:17], v16
	global_store_dwordx2 v[22:23], v[16:17], off
	flat_load_dwordx2 v[14:15], v[14:15]
	s_waitcnt vmcnt(0) lgkmcnt(0)
	v_mul_f64 v[14:15], v[14:15], s[10:11]
	v_cvt_f32_f64_e32 v14, v[14:15]
.LBB113_159:
	v_max_f32_e32 v15, v102, v102
	v_max_f32_e32 v14, v14, v14
	v_min_f32_e32 v14, v14, v15
	v_cvt_f64_f32_e32 v[14:15], v14
	v_lshl_add_u64 v[12:13], v[2:3], 3, v[12:13]
	global_store_dwordx2 v[12:13], v[14:15], off
	v_add_u32_e32 v14, 0x60, v18
	v_mad_i64_i32 v[12:13], s[2:3], v14, s13, 0
	v_lshl_add_u64 v[12:13], v[12:13], 3, s[0:1]
	v_mad_i64_i32 v[14:15], s[2:3], v14, s12, 0
	v_max_f32_e32 v16, v101, v101
	s_mov_b64 vcc, s[6:7]
	s_cbranch_vccz .LBB113_162
; %bb.160:
	v_min_f32_e32 v17, 0, v16
	v_cvt_f64_f32_e32 v[20:21], v17
	v_lshl_add_u64 v[22:23], v[4:5], 3, v[12:13]
	s_mov_b32 s4, 0
	global_store_dwordx2 v[22:23], v[20:21], off
	v_lshl_add_u64 v[14:15], v[14:15], 3, s[8:9]
	s_cbranch_execz .LBB113_163
; %bb.161:
	v_mov_b32_e32 v16, s4
	s_branch .LBB113_164
.LBB113_162:
                                        ; implicit-def: $sgpr4
	v_lshl_add_u64 v[14:15], v[14:15], 3, s[8:9]
.LBB113_163:
	v_lshl_add_u64 v[20:21], v[14:15], 0, v[8:9]
	flat_load_dwordx2 v[20:21], v[20:21]
	v_lshl_add_u64 v[22:23], v[12:13], 0, v[8:9]
	s_waitcnt vmcnt(0) lgkmcnt(0)
	v_mul_f64 v[20:21], v[20:21], s[10:11]
	v_cvt_f32_f64_e32 v17, v[20:21]
	v_min_f32_e32 v16, v17, v16
	v_cvt_f64_f32_e32 v[16:17], v16
	global_store_dwordx2 v[22:23], v[16:17], off
	v_lshl_add_u64 v[16:17], v[0:1], 3, v[14:15]
	flat_load_dwordx2 v[16:17], v[16:17]
	s_waitcnt vmcnt(0) lgkmcnt(0)
	v_mul_f64 v[16:17], v[16:17], s[10:11]
	v_cvt_f32_f64_e32 v16, v[16:17]
.LBB113_164:
	v_max_f32_e32 v17, v100, v100
	v_max_f32_e32 v16, v16, v16
	v_min_f32_e32 v16, v16, v17
	v_cvt_f64_f32_e32 v[16:17], v16
	v_lshl_add_u64 v[20:21], v[0:1], 3, v[12:13]
	global_store_dwordx2 v[20:21], v[16:17], off
	v_max_f32_e32 v16, v99, v99
	s_mov_b64 vcc, s[6:7]
	s_cbranch_vccz .LBB113_167
; %bb.165:
	v_min_f32_e32 v17, 0, v16
	v_cvt_f64_f32_e32 v[20:21], v17
	v_lshl_add_u64 v[22:23], v[6:7], 3, v[12:13]
	s_mov_b32 s4, 0
	global_store_dwordx2 v[22:23], v[20:21], off
	s_cbranch_execz .LBB113_168
; %bb.166:
	v_mov_b32_e32 v14, s4
	s_branch .LBB113_169
.LBB113_167:
                                        ; implicit-def: $sgpr4
.LBB113_168:
	v_lshl_add_u64 v[20:21], v[14:15], 0, v[10:11]
	flat_load_dwordx2 v[20:21], v[20:21]
	v_lshl_add_u64 v[22:23], v[12:13], 0, v[10:11]
	v_lshl_add_u64 v[14:15], v[2:3], 3, v[14:15]
	s_waitcnt vmcnt(0) lgkmcnt(0)
	v_mul_f64 v[20:21], v[20:21], s[10:11]
	v_cvt_f32_f64_e32 v17, v[20:21]
	v_min_f32_e32 v16, v17, v16
	v_cvt_f64_f32_e32 v[16:17], v16
	global_store_dwordx2 v[22:23], v[16:17], off
	flat_load_dwordx2 v[14:15], v[14:15]
	s_waitcnt vmcnt(0) lgkmcnt(0)
	v_mul_f64 v[14:15], v[14:15], s[10:11]
	v_cvt_f32_f64_e32 v14, v[14:15]
.LBB113_169:
	v_max_f32_e32 v15, v98, v98
	v_max_f32_e32 v14, v14, v14
	v_min_f32_e32 v14, v14, v15
	v_cvt_f64_f32_e32 v[14:15], v14
	v_lshl_add_u64 v[12:13], v[2:3], 3, v[12:13]
	global_store_dwordx2 v[12:13], v[14:15], off
	v_add_u32_e32 v14, 0x68, v18
	v_mad_i64_i32 v[12:13], s[2:3], v14, s13, 0
	v_lshl_add_u64 v[12:13], v[12:13], 3, s[0:1]
	v_mad_i64_i32 v[14:15], s[2:3], v14, s12, 0
	v_max_f32_e32 v16, v97, v97
	s_mov_b64 vcc, s[6:7]
	s_cbranch_vccz .LBB113_172
; %bb.170:
	v_min_f32_e32 v17, 0, v16
	v_cvt_f64_f32_e32 v[20:21], v17
	v_lshl_add_u64 v[22:23], v[4:5], 3, v[12:13]
	s_mov_b32 s4, 0
	global_store_dwordx2 v[22:23], v[20:21], off
	v_lshl_add_u64 v[14:15], v[14:15], 3, s[8:9]
	s_cbranch_execz .LBB113_173
; %bb.171:
	v_mov_b32_e32 v16, s4
	s_branch .LBB113_174
.LBB113_172:
                                        ; implicit-def: $sgpr4
	v_lshl_add_u64 v[14:15], v[14:15], 3, s[8:9]
.LBB113_173:
	v_lshl_add_u64 v[20:21], v[14:15], 0, v[8:9]
	flat_load_dwordx2 v[20:21], v[20:21]
	v_lshl_add_u64 v[22:23], v[12:13], 0, v[8:9]
	s_waitcnt vmcnt(0) lgkmcnt(0)
	v_mul_f64 v[20:21], v[20:21], s[10:11]
	v_cvt_f32_f64_e32 v17, v[20:21]
	v_min_f32_e32 v16, v17, v16
	v_cvt_f64_f32_e32 v[16:17], v16
	global_store_dwordx2 v[22:23], v[16:17], off
	v_lshl_add_u64 v[16:17], v[0:1], 3, v[14:15]
	flat_load_dwordx2 v[16:17], v[16:17]
	s_waitcnt vmcnt(0) lgkmcnt(0)
	v_mul_f64 v[16:17], v[16:17], s[10:11]
	v_cvt_f32_f64_e32 v16, v[16:17]
.LBB113_174:
	v_max_f32_e32 v17, v96, v96
	v_max_f32_e32 v16, v16, v16
	v_min_f32_e32 v16, v16, v17
	v_cvt_f64_f32_e32 v[16:17], v16
	v_lshl_add_u64 v[20:21], v[0:1], 3, v[12:13]
	global_store_dwordx2 v[20:21], v[16:17], off
	v_max_f32_e32 v16, v95, v95
	s_mov_b64 vcc, s[6:7]
	s_cbranch_vccz .LBB113_177
; %bb.175:
	v_min_f32_e32 v17, 0, v16
	v_cvt_f64_f32_e32 v[20:21], v17
	v_lshl_add_u64 v[22:23], v[6:7], 3, v[12:13]
	s_mov_b32 s4, 0
	global_store_dwordx2 v[22:23], v[20:21], off
	s_cbranch_execz .LBB113_178
; %bb.176:
	v_mov_b32_e32 v14, s4
	s_branch .LBB113_179
.LBB113_177:
                                        ; implicit-def: $sgpr4
.LBB113_178:
	v_lshl_add_u64 v[20:21], v[14:15], 0, v[10:11]
	flat_load_dwordx2 v[20:21], v[20:21]
	v_lshl_add_u64 v[22:23], v[12:13], 0, v[10:11]
	v_lshl_add_u64 v[14:15], v[2:3], 3, v[14:15]
	s_waitcnt vmcnt(0) lgkmcnt(0)
	v_mul_f64 v[20:21], v[20:21], s[10:11]
	v_cvt_f32_f64_e32 v17, v[20:21]
	v_min_f32_e32 v16, v17, v16
	v_cvt_f64_f32_e32 v[16:17], v16
	global_store_dwordx2 v[22:23], v[16:17], off
	flat_load_dwordx2 v[14:15], v[14:15]
	s_waitcnt vmcnt(0) lgkmcnt(0)
	v_mul_f64 v[14:15], v[14:15], s[10:11]
	v_cvt_f32_f64_e32 v14, v[14:15]
.LBB113_179:
	v_max_f32_e32 v15, v94, v94
	v_max_f32_e32 v14, v14, v14
	v_min_f32_e32 v14, v14, v15
	v_cvt_f64_f32_e32 v[14:15], v14
	v_lshl_add_u64 v[12:13], v[2:3], 3, v[12:13]
	global_store_dwordx2 v[12:13], v[14:15], off
	v_add_u32_e32 v14, 0x70, v18
	v_mad_i64_i32 v[12:13], s[2:3], v14, s13, 0
	v_lshl_add_u64 v[12:13], v[12:13], 3, s[0:1]
	v_mad_i64_i32 v[14:15], s[2:3], v14, s12, 0
	v_max_f32_e32 v16, v93, v93
	s_mov_b64 vcc, s[6:7]
	s_cbranch_vccz .LBB113_182
; %bb.180:
	v_min_f32_e32 v17, 0, v16
	v_cvt_f64_f32_e32 v[20:21], v17
	v_lshl_add_u64 v[22:23], v[4:5], 3, v[12:13]
	s_mov_b32 s4, 0
	global_store_dwordx2 v[22:23], v[20:21], off
	v_lshl_add_u64 v[14:15], v[14:15], 3, s[8:9]
	s_cbranch_execz .LBB113_183
; %bb.181:
	v_mov_b32_e32 v16, s4
	s_branch .LBB113_184
.LBB113_182:
                                        ; implicit-def: $sgpr4
	v_lshl_add_u64 v[14:15], v[14:15], 3, s[8:9]
.LBB113_183:
	v_lshl_add_u64 v[20:21], v[14:15], 0, v[8:9]
	flat_load_dwordx2 v[20:21], v[20:21]
	v_lshl_add_u64 v[22:23], v[12:13], 0, v[8:9]
	s_waitcnt vmcnt(0) lgkmcnt(0)
	v_mul_f64 v[20:21], v[20:21], s[10:11]
	v_cvt_f32_f64_e32 v17, v[20:21]
	v_min_f32_e32 v16, v17, v16
	v_cvt_f64_f32_e32 v[16:17], v16
	global_store_dwordx2 v[22:23], v[16:17], off
	v_lshl_add_u64 v[16:17], v[0:1], 3, v[14:15]
	flat_load_dwordx2 v[16:17], v[16:17]
	s_waitcnt vmcnt(0) lgkmcnt(0)
	v_mul_f64 v[16:17], v[16:17], s[10:11]
	v_cvt_f32_f64_e32 v16, v[16:17]
.LBB113_184:
	v_max_f32_e32 v17, v92, v92
	v_max_f32_e32 v16, v16, v16
	v_min_f32_e32 v16, v16, v17
	v_cvt_f64_f32_e32 v[16:17], v16
	v_lshl_add_u64 v[20:21], v[0:1], 3, v[12:13]
	global_store_dwordx2 v[20:21], v[16:17], off
	v_max_f32_e32 v16, v91, v91
	s_mov_b64 vcc, s[6:7]
	s_cbranch_vccz .LBB113_187
; %bb.185:
	v_min_f32_e32 v17, 0, v16
	v_cvt_f64_f32_e32 v[20:21], v17
	v_lshl_add_u64 v[22:23], v[6:7], 3, v[12:13]
	s_mov_b32 s4, 0
	global_store_dwordx2 v[22:23], v[20:21], off
	s_cbranch_execz .LBB113_188
; %bb.186:
	v_mov_b32_e32 v14, s4
	s_branch .LBB113_189
.LBB113_187:
                                        ; implicit-def: $sgpr4
.LBB113_188:
	v_lshl_add_u64 v[20:21], v[14:15], 0, v[10:11]
	flat_load_dwordx2 v[20:21], v[20:21]
	v_lshl_add_u64 v[22:23], v[12:13], 0, v[10:11]
	v_lshl_add_u64 v[14:15], v[2:3], 3, v[14:15]
	s_waitcnt vmcnt(0) lgkmcnt(0)
	v_mul_f64 v[20:21], v[20:21], s[10:11]
	v_cvt_f32_f64_e32 v17, v[20:21]
	v_min_f32_e32 v16, v17, v16
	v_cvt_f64_f32_e32 v[16:17], v16
	global_store_dwordx2 v[22:23], v[16:17], off
	flat_load_dwordx2 v[14:15], v[14:15]
	s_waitcnt vmcnt(0) lgkmcnt(0)
	v_mul_f64 v[14:15], v[14:15], s[10:11]
	v_cvt_f32_f64_e32 v14, v[14:15]
.LBB113_189:
	v_max_f32_e32 v15, v90, v90
	v_max_f32_e32 v14, v14, v14
	v_min_f32_e32 v14, v14, v15
	v_cvt_f64_f32_e32 v[14:15], v14
	v_lshl_add_u64 v[12:13], v[2:3], 3, v[12:13]
	global_store_dwordx2 v[12:13], v[14:15], off
	v_add_u32_e32 v14, 0x78, v18
	v_mad_i64_i32 v[12:13], s[2:3], v14, s13, 0
	v_lshl_add_u64 v[12:13], v[12:13], 3, s[0:1]
	v_mad_i64_i32 v[14:15], s[0:1], v14, s12, 0
	v_max_f32_e32 v16, v89, v89
	s_mov_b64 vcc, s[6:7]
	s_cbranch_vccz .LBB113_192
; %bb.190:
	v_min_f32_e32 v17, 0, v16
	v_cvt_f64_f32_e32 v[18:19], v17
	v_lshl_add_u64 v[4:5], v[4:5], 3, v[12:13]
	s_mov_b32 s2, 0
	global_store_dwordx2 v[4:5], v[18:19], off
	v_lshl_add_u64 v[4:5], v[14:15], 3, s[8:9]
	s_cbranch_execz .LBB113_193
; %bb.191:
	v_mov_b32_e32 v8, s2
	s_branch .LBB113_194
.LBB113_192:
                                        ; implicit-def: $sgpr2
	v_lshl_add_u64 v[4:5], v[14:15], 3, s[8:9]
.LBB113_193:
	v_lshl_add_u64 v[14:15], v[4:5], 0, v[8:9]
	flat_load_dwordx2 v[14:15], v[14:15]
	v_lshl_add_u64 v[8:9], v[12:13], 0, v[8:9]
	s_waitcnt vmcnt(0) lgkmcnt(0)
	v_mul_f64 v[14:15], v[14:15], s[10:11]
	v_cvt_f32_f64_e32 v14, v[14:15]
	v_min_f32_e32 v14, v14, v16
	v_cvt_f64_f32_e32 v[14:15], v14
	global_store_dwordx2 v[8:9], v[14:15], off
	v_lshl_add_u64 v[8:9], v[0:1], 3, v[4:5]
	flat_load_dwordx2 v[8:9], v[8:9]
	s_waitcnt vmcnt(0) lgkmcnt(0)
	v_mul_f64 v[8:9], v[8:9], s[10:11]
	v_cvt_f32_f64_e32 v8, v[8:9]
.LBB113_194:
	v_max_f32_e32 v9, v88, v88
	v_max_f32_e32 v8, v8, v8
	v_min_f32_e32 v8, v8, v9
	v_cvt_f64_f32_e32 v[8:9], v8
	v_lshl_add_u64 v[0:1], v[0:1], 3, v[12:13]
	global_store_dwordx2 v[0:1], v[8:9], off
	v_max_f32_e32 v0, v87, v87
	s_mov_b64 vcc, s[6:7]
	s_cbranch_vccz .LBB113_197
; %bb.195:
	v_min_f32_e32 v1, 0, v0
	v_cvt_f64_f32_e32 v[8:9], v1
	v_lshl_add_u64 v[6:7], v[6:7], 3, v[12:13]
	s_mov_b32 s2, 0
	global_store_dwordx2 v[6:7], v[8:9], off
	s_cbranch_execz .LBB113_198
; %bb.196:
	v_mov_b32_e32 v0, s2
	s_branch .LBB113_199
.LBB113_197:
                                        ; implicit-def: $sgpr2
.LBB113_198:
	v_lshl_add_u64 v[6:7], v[4:5], 0, v[10:11]
	flat_load_dwordx2 v[6:7], v[6:7]
	v_lshl_add_u64 v[8:9], v[12:13], 0, v[10:11]
	s_waitcnt vmcnt(0) lgkmcnt(0)
	v_mul_f64 v[6:7], v[6:7], s[10:11]
	v_cvt_f32_f64_e32 v1, v[6:7]
	v_min_f32_e32 v0, v1, v0
	v_cvt_f64_f32_e32 v[0:1], v0
	global_store_dwordx2 v[8:9], v[0:1], off
	v_lshl_add_u64 v[0:1], v[2:3], 3, v[4:5]
	flat_load_dwordx2 v[0:1], v[0:1]
	s_waitcnt vmcnt(0) lgkmcnt(0)
	v_mul_f64 v[0:1], v[0:1], s[10:11]
	v_cvt_f32_f64_e32 v0, v[0:1]
.LBB113_199:
	v_max_f32_e32 v1, v86, v86
	v_max_f32_e32 v0, v0, v0
	v_min_f32_e32 v0, v0, v1
	v_cvt_f64_f32_e32 v[0:1], v0
	v_lshl_add_u64 v[2:3], v[2:3], 3, v[12:13]
	global_store_dwordx2 v[2:3], v[0:1], off
	s_endpgm
	.section	.rodata,"a",@progbits
	.p2align	6, 0x0
	.amdhsa_kernel _ZN12_GLOBAL__N_120geam_min_plus_kernelId15HIP_vector_typeIdLj2EEdLi32ELi8ELi128ELi128ELi4ELi4ELi64ELi4ELi64ELc84ELc78ELb0ELb0ELb1EdKPKdKPdEEviiiT16_PT17_ilSA_ilS8_SA_ilPT18_ili26rocblas_geam_ex_operation_
		.amdhsa_group_segment_fixed_size 16384
		.amdhsa_private_segment_fixed_size 0
		.amdhsa_kernarg_size 136
		.amdhsa_user_sgpr_count 2
		.amdhsa_user_sgpr_dispatch_ptr 0
		.amdhsa_user_sgpr_queue_ptr 0
		.amdhsa_user_sgpr_kernarg_segment_ptr 1
		.amdhsa_user_sgpr_dispatch_id 0
		.amdhsa_user_sgpr_kernarg_preload_length 0
		.amdhsa_user_sgpr_kernarg_preload_offset 0
		.amdhsa_user_sgpr_private_segment_size 0
		.amdhsa_uses_dynamic_stack 0
		.amdhsa_enable_private_segment 0
		.amdhsa_system_sgpr_workgroup_id_x 1
		.amdhsa_system_sgpr_workgroup_id_y 0
		.amdhsa_system_sgpr_workgroup_id_z 1
		.amdhsa_system_sgpr_workgroup_info 0
		.amdhsa_system_vgpr_workitem_id 1
		.amdhsa_next_free_vgpr 174
		.amdhsa_next_free_sgpr 29
		.amdhsa_accum_offset 176
		.amdhsa_reserve_vcc 1
		.amdhsa_float_round_mode_32 0
		.amdhsa_float_round_mode_16_64 0
		.amdhsa_float_denorm_mode_32 3
		.amdhsa_float_denorm_mode_16_64 3
		.amdhsa_dx10_clamp 1
		.amdhsa_ieee_mode 1
		.amdhsa_fp16_overflow 0
		.amdhsa_tg_split 0
		.amdhsa_exception_fp_ieee_invalid_op 0
		.amdhsa_exception_fp_denorm_src 0
		.amdhsa_exception_fp_ieee_div_zero 0
		.amdhsa_exception_fp_ieee_overflow 0
		.amdhsa_exception_fp_ieee_underflow 0
		.amdhsa_exception_fp_ieee_inexact 0
		.amdhsa_exception_int_div_zero 0
	.end_amdhsa_kernel
	.section	.text._ZN12_GLOBAL__N_120geam_min_plus_kernelId15HIP_vector_typeIdLj2EEdLi32ELi8ELi128ELi128ELi4ELi4ELi64ELi4ELi64ELc84ELc78ELb0ELb0ELb1EdKPKdKPdEEviiiT16_PT17_ilSA_ilS8_SA_ilPT18_ili26rocblas_geam_ex_operation_,"axG",@progbits,_ZN12_GLOBAL__N_120geam_min_plus_kernelId15HIP_vector_typeIdLj2EEdLi32ELi8ELi128ELi128ELi4ELi4ELi64ELi4ELi64ELc84ELc78ELb0ELb0ELb1EdKPKdKPdEEviiiT16_PT17_ilSA_ilS8_SA_ilPT18_ili26rocblas_geam_ex_operation_,comdat
.Lfunc_end113:
	.size	_ZN12_GLOBAL__N_120geam_min_plus_kernelId15HIP_vector_typeIdLj2EEdLi32ELi8ELi128ELi128ELi4ELi4ELi64ELi4ELi64ELc84ELc78ELb0ELb0ELb1EdKPKdKPdEEviiiT16_PT17_ilSA_ilS8_SA_ilPT18_ili26rocblas_geam_ex_operation_, .Lfunc_end113-_ZN12_GLOBAL__N_120geam_min_plus_kernelId15HIP_vector_typeIdLj2EEdLi32ELi8ELi128ELi128ELi4ELi4ELi64ELi4ELi64ELc84ELc78ELb0ELb0ELb1EdKPKdKPdEEviiiT16_PT17_ilSA_ilS8_SA_ilPT18_ili26rocblas_geam_ex_operation_
                                        ; -- End function
	.section	.AMDGPU.csdata,"",@progbits
; Kernel info:
; codeLenInByte = 17496
; NumSgprs: 35
; NumVgprs: 174
; NumAgprs: 0
; TotalNumVgprs: 174
; ScratchSize: 0
; MemoryBound: 0
; FloatMode: 240
; IeeeMode: 1
; LDSByteSize: 16384 bytes/workgroup (compile time only)
; SGPRBlocks: 4
; VGPRBlocks: 21
; NumSGPRsForWavesPerEU: 35
; NumVGPRsForWavesPerEU: 174
; AccumOffset: 176
; Occupancy: 2
; WaveLimiterHint : 1
; COMPUTE_PGM_RSRC2:SCRATCH_EN: 0
; COMPUTE_PGM_RSRC2:USER_SGPR: 2
; COMPUTE_PGM_RSRC2:TRAP_HANDLER: 0
; COMPUTE_PGM_RSRC2:TGID_X_EN: 1
; COMPUTE_PGM_RSRC2:TGID_Y_EN: 0
; COMPUTE_PGM_RSRC2:TGID_Z_EN: 1
; COMPUTE_PGM_RSRC2:TIDIG_COMP_CNT: 1
; COMPUTE_PGM_RSRC3_GFX90A:ACCUM_OFFSET: 43
; COMPUTE_PGM_RSRC3_GFX90A:TG_SPLIT: 0
	.section	.text._ZN12_GLOBAL__N_120geam_min_plus_kernelId15HIP_vector_typeIdLj2EEdLi32ELi8ELi128ELi128ELi4ELi4ELi64ELi4ELi64ELc84ELc78ELb0ELb1ELb1EPKdKS4_KPdEEviiiT16_PT17_ilSA_ilS8_SA_ilPT18_ili26rocblas_geam_ex_operation_,"axG",@progbits,_ZN12_GLOBAL__N_120geam_min_plus_kernelId15HIP_vector_typeIdLj2EEdLi32ELi8ELi128ELi128ELi4ELi4ELi64ELi4ELi64ELc84ELc78ELb0ELb1ELb1EPKdKS4_KPdEEviiiT16_PT17_ilSA_ilS8_SA_ilPT18_ili26rocblas_geam_ex_operation_,comdat
	.globl	_ZN12_GLOBAL__N_120geam_min_plus_kernelId15HIP_vector_typeIdLj2EEdLi32ELi8ELi128ELi128ELi4ELi4ELi64ELi4ELi64ELc84ELc78ELb0ELb1ELb1EPKdKS4_KPdEEviiiT16_PT17_ilSA_ilS8_SA_ilPT18_ili26rocblas_geam_ex_operation_ ; -- Begin function _ZN12_GLOBAL__N_120geam_min_plus_kernelId15HIP_vector_typeIdLj2EEdLi32ELi8ELi128ELi128ELi4ELi4ELi64ELi4ELi64ELc84ELc78ELb0ELb1ELb1EPKdKS4_KPdEEviiiT16_PT17_ilSA_ilS8_SA_ilPT18_ili26rocblas_geam_ex_operation_
	.p2align	8
	.type	_ZN12_GLOBAL__N_120geam_min_plus_kernelId15HIP_vector_typeIdLj2EEdLi32ELi8ELi128ELi128ELi4ELi4ELi64ELi4ELi64ELc84ELc78ELb0ELb1ELb1EPKdKS4_KPdEEviiiT16_PT17_ilSA_ilS8_SA_ilPT18_ili26rocblas_geam_ex_operation_,@function
_ZN12_GLOBAL__N_120geam_min_plus_kernelId15HIP_vector_typeIdLj2EEdLi32ELi8ELi128ELi128ELi4ELi4ELi64ELi4ELi64ELc84ELc78ELb0ELb1ELb1EPKdKS4_KPdEEviiiT16_PT17_ilSA_ilS8_SA_ilPT18_ili26rocblas_geam_ex_operation_: ; @_ZN12_GLOBAL__N_120geam_min_plus_kernelId15HIP_vector_typeIdLj2EEdLi32ELi8ELi128ELi128ELi4ELi4ELi64ELi4ELi64ELc84ELc78ELb0ELb1ELb1EPKdKS4_KPdEEviiiT16_PT17_ilSA_ilS8_SA_ilPT18_ili26rocblas_geam_ex_operation_
; %bb.0:
	s_load_dwordx4 s[12:15], s[0:1], 0x10
	s_load_dwordx4 s[4:7], s[0:1], 0x28
	s_mov_b32 s8, s3
	s_mov_b32 s9, 0
	s_lshl_b64 s[22:23], s[8:9], 3
	s_waitcnt lgkmcnt(0)
	s_add_u32 s16, s12, s22
	s_load_dwordx4 s[8:11], s[0:1], 0x40
	s_addc_u32 s17, s13, s23
	s_load_dwordx2 s[24:25], s[16:17], 0x0
	s_load_dwordx2 s[12:13], s[0:1], 0x50
	s_mov_b64 s[26:27], 0
	s_mov_b64 s[28:29], 0
	s_waitcnt lgkmcnt(0)
	s_add_u32 s10, s10, s22
	v_cmp_eq_f64_e64 s[16:17], s[24:25], 0
	s_addc_u32 s11, s11, s23
	v_cmp_neq_f64_e64 s[18:19], s[24:25], 0
	s_and_b64 vcc, exec, s[16:17]
	s_cbranch_vccnz .LBB114_2
; %bb.1:
	s_add_u32 s14, s14, s22
	s_addc_u32 s15, s15, s23
	s_load_dwordx2 s[14:15], s[14:15], 0x0
	s_lshl_b64 s[4:5], s[4:5], 3
	s_waitcnt lgkmcnt(0)
	s_add_u32 s28, s14, s4
	s_addc_u32 s29, s15, s5
.LBB114_2:
	s_load_dwordx2 s[16:17], s[10:11], 0x0
	s_andn2_b64 vcc, exec, s[18:19]
	s_cbranch_vccnz .LBB114_4
; %bb.3:
	s_add_u32 s4, s6, s22
	s_addc_u32 s5, s7, s23
	s_load_dwordx2 s[4:5], s[4:5], 0x0
	s_lshl_b64 s[6:7], s[8:9], 3
	s_waitcnt lgkmcnt(0)
	s_add_u32 s26, s4, s6
	s_addc_u32 s27, s5, s7
.LBB114_4:
	s_load_dwordx4 s[4:7], s[0:1], 0x60
	s_waitcnt lgkmcnt(0)
	v_cmp_eq_f64_e64 s[8:9], s[16:17], 0
	s_mov_b64 s[18:19], 0
	v_cmp_neq_f64_e64 s[20:21], s[16:17], 0
	s_and_b64 vcc, exec, s[8:9]
	s_cbranch_vccnz .LBB114_6
; %bb.5:
	s_add_u32 s8, s12, s22
	s_addc_u32 s9, s13, s23
	s_load_dwordx2 s[8:9], s[8:9], 0x0
	s_lshl_b64 s[4:5], s[4:5], 3
	s_waitcnt lgkmcnt(0)
	s_add_u32 s18, s8, s4
	s_addc_u32 s19, s9, s5
.LBB114_6:
	s_load_dwordx4 s[12:15], s[0:1], 0x0
	s_load_dword s37, s[0:1], 0x20
	s_add_u32 s4, s6, s22
	s_addc_u32 s5, s7, s23
	v_and_b32_e32 v139, 0x3ff, v0
	s_waitcnt lgkmcnt(0)
	s_add_i32 s3, s12, -1
	s_ashr_i32 s6, s3, 31
	s_lshr_b32 s6, s6, 25
	s_add_i32 s3, s3, s6
	s_ashr_i32 s3, s3, 7
	s_add_i32 s6, s3, 1
	v_cvt_f32_u32_e32 v1, s6
	v_bfe_u32 v140, v0, 10, 10
	s_load_dwordx2 s[22:23], s[4:5], 0x0
	s_not_b32 s3, s3
	v_rcp_iflag_f32_e32 v0, v1
	v_lshl_add_u32 v1, v140, 5, v139
	v_lshrrev_b32_e32 v12, 2, v1
	v_and_b32_e32 v150, 3, v139
	v_mul_f32_e32 v0, 0x4f7ffffe, v0
	v_cvt_u32_f32_e32 v0, v0
	v_cmp_le_i32_e32 vcc, s14, v150
	v_cmp_eq_f64_e64 s[30:31], s[24:25], 0
	v_mov_b32_e32 v2, 0x7fefffff
	v_readfirstlane_b32 s4, v0
	s_mul_i32 s3, s3, s4
	s_mul_hi_u32 s3, s4, s3
	s_add_i32 s4, s4, s3
	s_mul_hi_u32 s3, s2, s4
	s_mul_i32 s4, s3, s6
	s_sub_i32 s4, s2, s4
	s_add_i32 s5, s3, 1
	s_sub_i32 s7, s4, s6
	s_cmp_ge_u32 s4, s6
	s_cselect_b32 s3, s5, s3
	s_cselect_b32 s4, s7, s4
	s_add_i32 s5, s3, 1
	s_cmp_ge_u32 s4, s6
	s_cselect_b32 s8, s5, s3
	s_mul_i32 s3, s8, s6
	s_sub_i32 s2, s2, s3
	s_lshl_b32 s15, s2, 7
	v_add_u32_e32 v80, s15, v12
	s_add_i32 s34, s14, -1
	v_cmp_le_i32_e64 s[2:3], s12, v80
	v_min_i32_e32 v4, s34, v150
	s_or_b64 s[4:5], vcc, s[2:3]
	v_ashrrev_i32_e32 v5, 31, v4
	s_or_b64 s[6:7], s[30:31], s[4:5]
	v_lshl_add_u64 v[6:7], v[4:5], 3, s[28:29]
	v_cndmask_b32_e64 v1, 0, v2, s[4:5]
	s_xor_b64 s[6:7], s[6:7], -1
	v_cndmask_b32_e64 v0, 0, -1, s[4:5]
	s_and_saveexec_b64 s[4:5], s[6:7]
	s_cbranch_execz .LBB114_8
; %bb.7:
	v_mad_i64_i32 v[0:1], s[6:7], v80, s37, 0
	v_lshl_add_u64 v[0:1], v[0:1], 3, v[6:7]
	flat_load_dwordx2 v[0:1], v[0:1]
	s_waitcnt vmcnt(0) lgkmcnt(0)
	v_mul_f64 v[0:1], s[24:25], v[0:1]
.LBB114_8:
	s_or_b64 exec, exec, s[4:5]
	v_add_u32_e32 v81, 64, v80
	v_cmp_le_i32_e64 s[4:5], s12, v81
	s_or_b64 s[6:7], vcc, s[4:5]
	s_or_b64 s[10:11], s[30:31], s[6:7]
	v_cndmask_b32_e64 v3, 0, v2, s[6:7]
	s_xor_b64 s[10:11], s[10:11], -1
	v_cndmask_b32_e64 v2, 0, -1, s[6:7]
	s_and_saveexec_b64 s[6:7], s[10:11]
	s_cbranch_execz .LBB114_10
; %bb.9:
	v_mad_i64_i32 v[2:3], s[10:11], v81, s37, 0
	v_lshl_add_u64 v[2:3], v[2:3], 3, v[6:7]
	flat_load_dwordx2 v[2:3], v[2:3]
	s_waitcnt vmcnt(0) lgkmcnt(0)
	v_mul_f64 v[2:3], s[24:25], v[2:3]
.LBB114_10:
	s_or_b64 exec, exec, s[6:7]
	s_lshl_b32 s33, s8, 7
	s_load_dword s38, s[0:1], 0x38
	v_add_u32_e32 v82, s33, v12
	v_cmp_le_i32_e64 s[6:7], s13, v82
	s_or_b64 s[8:9], vcc, s[6:7]
	v_mov_b32_e32 v6, 0x7fefffff
	s_or_b64 s[10:11], s[30:31], s[8:9]
	v_lshl_add_u64 v[8:9], v[4:5], 3, s[26:27]
	v_cndmask_b32_e64 v5, 0, v6, s[8:9]
	s_xor_b64 s[10:11], s[10:11], -1
	v_cndmask_b32_e64 v4, 0, -1, s[8:9]
	s_and_saveexec_b64 s[8:9], s[10:11]
	s_cbranch_execz .LBB114_12
; %bb.11:
	s_waitcnt lgkmcnt(0)
	v_mad_i64_i32 v[4:5], s[10:11], v82, s38, 0
	v_lshl_add_u64 v[4:5], v[4:5], 3, v[8:9]
	flat_load_dwordx2 v[4:5], v[4:5]
	s_waitcnt vmcnt(0) lgkmcnt(0)
	v_mul_f64 v[4:5], s[24:25], v[4:5]
.LBB114_12:
	s_or_b64 exec, exec, s[8:9]
	v_add_u32_e32 v83, 64, v82
	v_cmp_le_i32_e64 s[8:9], s13, v83
	s_or_b64 vcc, vcc, s[8:9]
	s_or_b64 s[10:11], s[30:31], vcc
	v_cndmask_b32_e32 v7, 0, v6, vcc
	s_xor_b64 s[40:41], s[10:11], -1
	v_cndmask_b32_e64 v6, 0, -1, vcc
	s_and_saveexec_b64 s[10:11], s[40:41]
	s_cbranch_execz .LBB114_14
; %bb.13:
	s_waitcnt lgkmcnt(0)
	v_mad_i64_i32 v[6:7], s[40:41], v83, s38, 0
	v_lshl_add_u64 v[6:7], v[6:7], 3, v[8:9]
	flat_load_dwordx2 v[6:7], v[6:7]
	s_waitcnt vmcnt(0) lgkmcnt(0)
	v_mul_f64 v[6:7], s[24:25], v[6:7]
.LBB114_14:
	s_or_b64 exec, exec, s[10:11]
	v_or_b32_e32 v8, 4, v150
	v_cmp_le_i32_e32 vcc, s14, v8
	v_min_i32_e32 v8, s34, v8
	s_or_b64 s[10:11], vcc, s[2:3]
	v_ashrrev_i32_e32 v9, 31, v8
	v_mov_b32_e32 v13, 0x7fefffff
	s_or_b64 s[40:41], s[30:31], s[10:11]
	v_lshl_add_u64 v[10:11], v[8:9], 3, s[28:29]
	v_cndmask_b32_e64 v73, 0, v13, s[10:11]
	s_xor_b64 s[40:41], s[40:41], -1
	v_cndmask_b32_e64 v72, 0, -1, s[10:11]
	s_and_saveexec_b64 s[10:11], s[40:41]
	s_cbranch_execz .LBB114_16
; %bb.15:
	v_mad_i64_i32 v[14:15], s[40:41], v80, s37, 0
	v_lshl_add_u64 v[14:15], v[14:15], 3, v[10:11]
	flat_load_dwordx2 v[14:15], v[14:15]
	s_waitcnt vmcnt(0) lgkmcnt(0)
	v_mul_f64 v[72:73], s[24:25], v[14:15]
.LBB114_16:
	s_or_b64 exec, exec, s[10:11]
	s_or_b64 s[10:11], vcc, s[4:5]
	s_or_b64 s[40:41], s[30:31], s[10:11]
	v_cndmask_b32_e64 v75, 0, v13, s[10:11]
	s_xor_b64 s[40:41], s[40:41], -1
	v_cndmask_b32_e64 v74, 0, -1, s[10:11]
	s_and_saveexec_b64 s[10:11], s[40:41]
	s_cbranch_execz .LBB114_18
; %bb.17:
	v_mad_i64_i32 v[14:15], s[40:41], v81, s37, 0
	v_lshl_add_u64 v[10:11], v[14:15], 3, v[10:11]
	flat_load_dwordx2 v[10:11], v[10:11]
	s_waitcnt vmcnt(0) lgkmcnt(0)
	v_mul_f64 v[74:75], s[24:25], v[10:11]
.LBB114_18:
	s_or_b64 exec, exec, s[10:11]
	s_or_b64 s[10:11], vcc, s[6:7]
	v_mov_b32_e32 v10, 0x7fefffff
	s_or_b64 s[40:41], s[30:31], s[10:11]
	v_lshl_add_u64 v[8:9], v[8:9], 3, s[26:27]
	v_cndmask_b32_e64 v77, 0, v10, s[10:11]
	s_xor_b64 s[40:41], s[40:41], -1
	v_cndmask_b32_e64 v76, 0, -1, s[10:11]
	s_and_saveexec_b64 s[10:11], s[40:41]
	s_cbranch_execz .LBB114_20
; %bb.19:
	s_waitcnt lgkmcnt(0)
	v_mad_i64_i32 v[14:15], s[40:41], v82, s38, 0
	v_lshl_add_u64 v[14:15], v[14:15], 3, v[8:9]
	flat_load_dwordx2 v[14:15], v[14:15]
	s_waitcnt vmcnt(0) lgkmcnt(0)
	v_mul_f64 v[76:77], s[24:25], v[14:15]
.LBB114_20:
	s_or_b64 exec, exec, s[10:11]
	s_or_b64 vcc, vcc, s[8:9]
	s_or_b64 s[10:11], s[30:31], vcc
	v_cndmask_b32_e32 v79, 0, v10, vcc
	s_xor_b64 s[40:41], s[10:11], -1
	s_mov_b32 s35, 0
	v_cndmask_b32_e64 v78, 0, -1, vcc
	s_and_saveexec_b64 s[10:11], s[40:41]
	s_cbranch_execz .LBB114_22
; %bb.21:
	s_waitcnt lgkmcnt(0)
	v_mad_i64_i32 v[10:11], s[40:41], v83, s38, 0
	v_lshl_add_u64 v[8:9], v[10:11], 3, v[8:9]
	flat_load_dwordx2 v[8:9], v[8:9]
	s_waitcnt vmcnt(0) lgkmcnt(0)
	v_mul_f64 v[78:79], s[24:25], v[8:9]
.LBB114_22:
	s_or_b64 exec, exec, s[10:11]
	v_lshlrev_b32_e32 v8, 3, v150
	v_lshl_or_b32 v151, v12, 5, v8
	v_add_u32_e32 v152, 0x2000, v151
	s_mov_b64 s[10:11], -1
	v_mov_b32_e32 v84, 0x7f800000
	v_mov_b32_e32 v85, 0x7f800000
	;; [unrolled: 1-line block ×64, first 2 shown]
	ds_write2st64_b64 v151, v[0:1], v[2:3] offset1:4
	ds_write2st64_b64 v151, v[4:5], v[6:7] offset0:16 offset1:20
	s_waitcnt lgkmcnt(0)
	s_barrier
.LBB114_23:                             ; =>This Inner Loop Header: Depth=1
	v_cndmask_b32_e64 v0, 0, 1, s[10:11]
	s_lshl_b32 s10, s35, 3
	v_cmp_ne_u32_e32 vcc, 1, v0
	v_lshl_add_u32 v0, v139, 5, s10
	ds_read_b128 v[12:15], v0
	ds_read_b128 v[8:11], v0 offset:1024
	ds_read_b128 v[4:7], v0 offset:2048
	ds_read_b128 v[0:3], v0 offset:3072
	v_lshl_add_u32 v16, v140, 5, s10
	ds_read_b128 v[154:157], v16 offset:8192
	ds_read_b128 v[158:161], v16 offset:8448
	;; [unrolled: 1-line block ×16, first 2 shown]
	s_waitcnt lgkmcnt(14)
	v_add_f64 v[162:163], v[14:15], v[156:157]
	v_add_f64 v[164:165], v[12:13], v[154:155]
	v_cvt_f32_f64_e32 v153, v[164:165]
	v_cvt_f32_f64_e32 v162, v[162:163]
	v_min3_f32 v149, v153, v162, v149
	v_add_f64 v[162:163], v[10:11], v[156:157]
	v_add_f64 v[164:165], v[8:9], v[154:155]
	v_cvt_f32_f64_e32 v153, v[164:165]
	v_cvt_f32_f64_e32 v162, v[162:163]
	v_min3_f32 v148, v153, v162, v148
	v_add_f64 v[162:163], v[6:7], v[156:157]
	v_add_f64 v[164:165], v[4:5], v[154:155]
	v_cvt_f32_f64_e32 v153, v[164:165]
	v_cvt_f32_f64_e32 v162, v[162:163]
	v_add_f64 v[156:157], v[2:3], v[156:157]
	v_add_f64 v[154:155], v[0:1], v[154:155]
	v_min3_f32 v147, v153, v162, v147
	v_cvt_f32_f64_e32 v153, v[154:155]
	v_cvt_f32_f64_e32 v154, v[156:157]
	v_min3_f32 v146, v153, v154, v146
	v_add_f64 v[154:155], v[14:15], v[160:161]
	v_add_f64 v[156:157], v[12:13], v[158:159]
	v_cvt_f32_f64_e32 v153, v[156:157]
	v_cvt_f32_f64_e32 v154, v[154:155]
	v_min3_f32 v145, v153, v154, v145
	v_add_f64 v[154:155], v[10:11], v[160:161]
	v_add_f64 v[156:157], v[8:9], v[158:159]
	;; [unrolled: 5-line block ×4, first 2 shown]
	v_cvt_f32_f64_e32 v153, v[156:157]
	v_cvt_f32_f64_e32 v154, v[154:155]
	v_min3_f32 v142, v153, v154, v142
	s_waitcnt lgkmcnt(13)
	v_add_f64 v[154:155], v[14:15], v[70:71]
	v_add_f64 v[156:157], v[12:13], v[68:69]
	v_cvt_f32_f64_e32 v153, v[156:157]
	v_cvt_f32_f64_e32 v154, v[154:155]
	v_min3_f32 v141, v153, v154, v141
	v_add_f64 v[154:155], v[10:11], v[70:71]
	v_add_f64 v[156:157], v[8:9], v[68:69]
	v_cvt_f32_f64_e32 v153, v[156:157]
	v_cvt_f32_f64_e32 v154, v[154:155]
	v_min3_f32 v138, v153, v154, v138
	v_add_f64 v[154:155], v[6:7], v[70:71]
	v_add_f64 v[156:157], v[4:5], v[68:69]
	v_add_f64 v[70:71], v[2:3], v[70:71]
	v_add_f64 v[68:69], v[0:1], v[68:69]
	v_cvt_f32_f64_e32 v68, v[68:69]
	v_cvt_f32_f64_e32 v69, v[70:71]
	v_min3_f32 v136, v68, v69, v136
	s_waitcnt lgkmcnt(12)
	v_add_f64 v[68:69], v[14:15], v[66:67]
	v_add_f64 v[70:71], v[12:13], v[64:65]
	v_cvt_f32_f64_e32 v70, v[70:71]
	v_cvt_f32_f64_e32 v68, v[68:69]
	v_min3_f32 v135, v70, v68, v135
	v_add_f64 v[68:69], v[10:11], v[66:67]
	v_add_f64 v[70:71], v[8:9], v[64:65]
	v_cvt_f32_f64_e32 v70, v[70:71]
	v_cvt_f32_f64_e32 v68, v[68:69]
	v_min3_f32 v134, v70, v68, v134
	v_add_f64 v[68:69], v[6:7], v[66:67]
	v_add_f64 v[70:71], v[4:5], v[64:65]
	v_add_f64 v[66:67], v[2:3], v[66:67]
	v_add_f64 v[64:65], v[0:1], v[64:65]
	;; [unrolled: 18-line block ×13, first 2 shown]
	s_waitcnt lgkmcnt(0)
	v_add_f64 v[14:15], v[14:15], v[18:19]
	v_add_f64 v[12:13], v[12:13], v[16:17]
	;; [unrolled: 1-line block ×8, first 2 shown]
	v_cvt_f32_f64_e32 v153, v[156:157]
	v_cvt_f32_f64_e32 v154, v[154:155]
	v_cvt_f32_f64_e32 v70, v[70:71]
	v_cvt_f32_f64_e32 v68, v[68:69]
	v_cvt_f32_f64_e32 v66, v[66:67]
	v_cvt_f32_f64_e32 v64, v[64:65]
	v_cvt_f32_f64_e32 v62, v[62:63]
	v_cvt_f32_f64_e32 v60, v[60:61]
	v_cvt_f32_f64_e32 v58, v[58:59]
	v_cvt_f32_f64_e32 v56, v[56:57]
	v_cvt_f32_f64_e32 v54, v[54:55]
	v_cvt_f32_f64_e32 v52, v[52:53]
	v_cvt_f32_f64_e32 v50, v[50:51]
	v_cvt_f32_f64_e32 v48, v[48:49]
	v_cvt_f32_f64_e32 v46, v[46:47]
	v_cvt_f32_f64_e32 v44, v[44:45]
	v_cvt_f32_f64_e32 v42, v[42:43]
	v_cvt_f32_f64_e32 v40, v[40:41]
	v_cvt_f32_f64_e32 v38, v[38:39]
	v_cvt_f32_f64_e32 v36, v[36:37]
	v_cvt_f32_f64_e32 v34, v[34:35]
	v_cvt_f32_f64_e32 v32, v[32:33]
	v_cvt_f32_f64_e32 v30, v[30:31]
	v_cvt_f32_f64_e32 v28, v[28:29]
	v_cvt_f32_f64_e32 v26, v[26:27]
	v_cvt_f32_f64_e32 v24, v[24:25]
	v_cvt_f32_f64_e32 v20, v[20:21]
	v_cvt_f32_f64_e32 v21, v[22:23]
	v_cvt_f32_f64_e32 v12, v[12:13]
	v_cvt_f32_f64_e32 v13, v[14:15]
	v_cvt_f32_f64_e32 v8, v[8:9]
	v_cvt_f32_f64_e32 v9, v[10:11]
	v_cvt_f32_f64_e32 v4, v[4:5]
	v_cvt_f32_f64_e32 v5, v[6:7]
	v_cvt_f32_f64_e32 v0, v[0:1]
	v_cvt_f32_f64_e32 v1, v[2:3]
	v_min3_f32 v137, v153, v154, v137
	v_min3_f32 v133, v70, v68, v133
	;; [unrolled: 1-line block ×18, first 2 shown]
	s_mov_b32 s35, 2
	s_mov_b64 s[10:11], 0
	s_cbranch_vccz .LBB114_23
; %bb.24:
	s_cmp_gt_i32 s14, 8
	s_mov_b32 s35, 8
	ds_write2st64_b64 v151, v[72:73], v[74:75] offset0:8 offset1:12
	ds_write2st64_b64 v151, v[76:77], v[78:79] offset0:24 offset1:28
	s_waitcnt lgkmcnt(0)
	s_barrier
	s_cbranch_scc0 .LBB114_47
; %bb.25:
	v_add_u32_e32 v153, 0x1000, v151
	v_add_u32_e32 v154, 0x3000, v151
	s_add_i32 s36, s14, -8
	v_mad_i64_i32 v[68:69], s[10:11], v80, s37, 0
	v_mad_i64_i32 v[70:71], s[10:11], v81, s37, 0
	;; [unrolled: 1-line block ×4, first 2 shown]
	s_mov_b32 s37, 0
	v_mov_b32_e32 v155, 0x7fefffff
.LBB114_26:                             ; =>This Loop Header: Depth=1
                                        ;     Child Loop BB114_35 Depth 2
                                        ;     Child Loop BB114_45 Depth 2
	v_or_b32_e32 v156, s35, v150
	v_cmp_le_i32_e32 vcc, s14, v156
	v_min_i32_e32 v0, s34, v156
	s_or_b64 s[10:11], s[2:3], vcc
	v_ashrrev_i32_e32 v1, 31, v0
	s_or_b64 s[38:39], s[30:31], s[10:11]
	v_lshl_add_u64 v[2:3], v[0:1], 3, s[28:29]
	v_cndmask_b32_e64 v77, 0, v155, s[10:11]
	s_xor_b64 s[38:39], s[38:39], -1
	v_cndmask_b32_e64 v76, 0, -1, s[10:11]
	s_and_saveexec_b64 s[10:11], s[38:39]
	s_cbranch_execz .LBB114_28
; %bb.27:                               ;   in Loop: Header=BB114_26 Depth=1
	v_lshl_add_u64 v[4:5], v[68:69], 3, v[2:3]
	flat_load_dwordx2 v[4:5], v[4:5]
	s_waitcnt vmcnt(0) lgkmcnt(0)
	v_mul_f64 v[76:77], s[24:25], v[4:5]
.LBB114_28:                             ;   in Loop: Header=BB114_26 Depth=1
	s_or_b64 exec, exec, s[10:11]
	s_or_b64 s[10:11], s[4:5], vcc
	s_or_b64 s[38:39], s[30:31], s[10:11]
	v_cndmask_b32_e64 v79, 0, v155, s[10:11]
	s_xor_b64 s[38:39], s[38:39], -1
	v_cndmask_b32_e64 v78, 0, -1, s[10:11]
	s_and_saveexec_b64 s[10:11], s[38:39]
	s_cbranch_execz .LBB114_30
; %bb.29:                               ;   in Loop: Header=BB114_26 Depth=1
	v_lshl_add_u64 v[2:3], v[70:71], 3, v[2:3]
	flat_load_dwordx2 v[2:3], v[2:3]
	s_waitcnt vmcnt(0) lgkmcnt(0)
	v_mul_f64 v[78:79], s[24:25], v[2:3]
.LBB114_30:                             ;   in Loop: Header=BB114_26 Depth=1
	s_or_b64 exec, exec, s[10:11]
	s_or_b64 s[10:11], s[6:7], vcc
	s_or_b64 s[38:39], s[30:31], s[10:11]
	v_lshl_add_u64 v[0:1], v[0:1], 3, s[26:27]
	v_cndmask_b32_e64 v81, 0, v155, s[10:11]
	s_xor_b64 s[38:39], s[38:39], -1
	v_cndmask_b32_e64 v80, 0, -1, s[10:11]
	s_and_saveexec_b64 s[10:11], s[38:39]
	s_cbranch_execz .LBB114_32
; %bb.31:                               ;   in Loop: Header=BB114_26 Depth=1
	v_lshl_add_u64 v[2:3], v[72:73], 3, v[0:1]
	flat_load_dwordx2 v[2:3], v[2:3]
	s_waitcnt vmcnt(0) lgkmcnt(0)
	v_mul_f64 v[80:81], s[24:25], v[2:3]
.LBB114_32:                             ;   in Loop: Header=BB114_26 Depth=1
	s_or_b64 exec, exec, s[10:11]
	s_or_b64 vcc, s[8:9], vcc
	s_or_b64 s[10:11], s[30:31], vcc
	v_cndmask_b32_e32 v83, 0, v155, vcc
	s_xor_b64 s[38:39], s[10:11], -1
	v_cndmask_b32_e64 v82, 0, -1, vcc
	s_and_saveexec_b64 s[10:11], s[38:39]
	s_cbranch_execz .LBB114_34
; %bb.33:                               ;   in Loop: Header=BB114_26 Depth=1
	v_lshl_add_u64 v[0:1], v[74:75], 3, v[0:1]
	flat_load_dwordx2 v[0:1], v[0:1]
	s_waitcnt vmcnt(0) lgkmcnt(0)
	v_mul_f64 v[82:83], s[24:25], v[0:1]
.LBB114_34:                             ;   in Loop: Header=BB114_26 Depth=1
	s_or_b64 exec, exec, s[10:11]
	s_mov_b32 s38, 0
	s_mov_b64 s[10:11], -1
.LBB114_35:                             ;   Parent Loop BB114_26 Depth=1
                                        ; =>  This Inner Loop Header: Depth=2
	v_cndmask_b32_e64 v0, 0, 1, s[10:11]
	s_lshl_b32 s10, s38, 3
	v_cmp_ne_u32_e32 vcc, 1, v0
	v_lshl_add_u32 v0, v139, 5, s10
	ds_read_b128 v[12:15], v0 offset:4096
	ds_read_b128 v[8:11], v0 offset:5120
	;; [unrolled: 1-line block ×4, first 2 shown]
	v_lshl_add_u32 v16, v140, 5, s10
	ds_read_b128 v[158:161], v16 offset:12288
	ds_read_b128 v[162:165], v16 offset:12544
	;; [unrolled: 1-line block ×16, first 2 shown]
	s_waitcnt lgkmcnt(14)
	v_add_f64 v[170:171], v[14:15], v[160:161]
	v_add_f64 v[172:173], v[12:13], v[158:159]
	v_cvt_f32_f64_e32 v157, v[172:173]
	v_cvt_f32_f64_e32 v170, v[170:171]
	v_min3_f32 v149, v157, v170, v149
	v_add_f64 v[170:171], v[10:11], v[160:161]
	v_add_f64 v[172:173], v[8:9], v[158:159]
	v_cvt_f32_f64_e32 v157, v[172:173]
	v_cvt_f32_f64_e32 v170, v[170:171]
	v_min3_f32 v148, v157, v170, v148
	v_add_f64 v[170:171], v[6:7], v[160:161]
	v_add_f64 v[172:173], v[4:5], v[158:159]
	v_cvt_f32_f64_e32 v157, v[172:173]
	v_cvt_f32_f64_e32 v170, v[170:171]
	v_add_f64 v[160:161], v[2:3], v[160:161]
	v_add_f64 v[158:159], v[0:1], v[158:159]
	v_min3_f32 v147, v157, v170, v147
	v_cvt_f32_f64_e32 v157, v[158:159]
	v_cvt_f32_f64_e32 v158, v[160:161]
	v_min3_f32 v146, v157, v158, v146
	v_add_f64 v[158:159], v[14:15], v[164:165]
	v_add_f64 v[160:161], v[12:13], v[162:163]
	v_cvt_f32_f64_e32 v157, v[160:161]
	v_cvt_f32_f64_e32 v158, v[158:159]
	v_min3_f32 v145, v157, v158, v145
	v_add_f64 v[158:159], v[10:11], v[164:165]
	v_add_f64 v[160:161], v[8:9], v[162:163]
	;; [unrolled: 5-line block ×4, first 2 shown]
	v_cvt_f32_f64_e32 v157, v[160:161]
	v_cvt_f32_f64_e32 v158, v[158:159]
	v_min3_f32 v142, v157, v158, v142
	s_waitcnt lgkmcnt(13)
	v_add_f64 v[158:159], v[14:15], v[168:169]
	v_add_f64 v[160:161], v[12:13], v[166:167]
	v_cvt_f32_f64_e32 v157, v[160:161]
	v_cvt_f32_f64_e32 v158, v[158:159]
	v_min3_f32 v141, v157, v158, v141
	v_add_f64 v[158:159], v[10:11], v[168:169]
	v_add_f64 v[160:161], v[8:9], v[166:167]
	v_cvt_f32_f64_e32 v157, v[160:161]
	v_cvt_f32_f64_e32 v158, v[158:159]
	v_min3_f32 v138, v157, v158, v138
	;; [unrolled: 5-line block ×4, first 2 shown]
	s_waitcnt lgkmcnt(12)
	v_add_f64 v[158:159], v[14:15], v[66:67]
	v_add_f64 v[160:161], v[12:13], v[64:65]
	v_cvt_f32_f64_e32 v157, v[160:161]
	v_cvt_f32_f64_e32 v158, v[158:159]
	v_min3_f32 v135, v157, v158, v135
	v_add_f64 v[158:159], v[10:11], v[66:67]
	v_add_f64 v[160:161], v[8:9], v[64:65]
	v_cvt_f32_f64_e32 v157, v[160:161]
	v_cvt_f32_f64_e32 v158, v[158:159]
	v_min3_f32 v134, v157, v158, v134
	v_add_f64 v[158:159], v[6:7], v[66:67]
	v_add_f64 v[160:161], v[4:5], v[64:65]
	v_add_f64 v[66:67], v[2:3], v[66:67]
	v_add_f64 v[64:65], v[0:1], v[64:65]
	v_cvt_f32_f64_e32 v64, v[64:65]
	v_cvt_f32_f64_e32 v65, v[66:67]
	v_min3_f32 v132, v64, v65, v132
	s_waitcnt lgkmcnt(11)
	v_add_f64 v[64:65], v[14:15], v[62:63]
	v_add_f64 v[66:67], v[12:13], v[60:61]
	v_cvt_f32_f64_e32 v66, v[66:67]
	v_cvt_f32_f64_e32 v64, v[64:65]
	v_min3_f32 v131, v66, v64, v131
	v_add_f64 v[64:65], v[10:11], v[62:63]
	v_add_f64 v[66:67], v[8:9], v[60:61]
	v_cvt_f32_f64_e32 v66, v[66:67]
	v_cvt_f32_f64_e32 v64, v[64:65]
	v_min3_f32 v130, v66, v64, v130
	v_add_f64 v[64:65], v[6:7], v[62:63]
	v_add_f64 v[66:67], v[4:5], v[60:61]
	v_add_f64 v[62:63], v[2:3], v[62:63]
	v_add_f64 v[60:61], v[0:1], v[60:61]
	v_cvt_f32_f64_e32 v60, v[60:61]
	v_cvt_f32_f64_e32 v61, v[62:63]
	v_min3_f32 v128, v60, v61, v128
	;; [unrolled: 18-line block ×11, first 2 shown]
	s_waitcnt lgkmcnt(1)
	v_add_f64 v[24:25], v[14:15], v[22:23]
	v_add_f64 v[26:27], v[12:13], v[20:21]
	v_cvt_f32_f64_e32 v26, v[26:27]
	v_cvt_f32_f64_e32 v24, v[24:25]
	v_min3_f32 v91, v26, v24, v91
	v_add_f64 v[24:25], v[10:11], v[22:23]
	v_add_f64 v[26:27], v[8:9], v[20:21]
	v_cvt_f32_f64_e32 v26, v[26:27]
	v_cvt_f32_f64_e32 v24, v[24:25]
	v_min3_f32 v90, v26, v24, v90
	v_add_f64 v[24:25], v[6:7], v[22:23]
	v_add_f64 v[26:27], v[4:5], v[20:21]
	;; [unrolled: 1-line block ×4, first 2 shown]
	s_waitcnt lgkmcnt(0)
	v_add_f64 v[14:15], v[14:15], v[18:19]
	v_add_f64 v[12:13], v[12:13], v[16:17]
	;; [unrolled: 1-line block ×8, first 2 shown]
	v_cvt_f32_f64_e32 v157, v[160:161]
	v_cvt_f32_f64_e32 v158, v[158:159]
	;; [unrolled: 1-line block ×34, first 2 shown]
	v_min3_f32 v133, v157, v158, v133
	v_min3_f32 v129, v66, v64, v129
	;; [unrolled: 1-line block ×17, first 2 shown]
	s_mov_b32 s38, 2
	s_mov_b64 s[10:11], 0
	s_cbranch_vccz .LBB114_35
; %bb.36:                               ;   in Loop: Header=BB114_26 Depth=1
	v_or_b32_e32 v0, 4, v156
	v_cmp_le_i32_e32 vcc, s14, v0
	v_min_i32_e32 v0, s34, v0
	s_or_b64 s[10:11], s[2:3], vcc
	v_ashrrev_i32_e32 v1, 31, v0
	s_or_b64 s[38:39], s[30:31], s[10:11]
	ds_write2st64_b64 v151, v[76:77], v[78:79] offset1:4
	ds_write2st64_b64 v152, v[80:81], v[82:83] offset1:4
	v_lshl_add_u64 v[2:3], v[0:1], 3, s[28:29]
	v_cndmask_b32_e64 v77, 0, v155, s[10:11]
	s_xor_b64 s[38:39], s[38:39], -1
	v_cndmask_b32_e64 v76, 0, -1, s[10:11]
	s_waitcnt lgkmcnt(0)
	s_barrier
	s_and_saveexec_b64 s[10:11], s[38:39]
	s_cbranch_execz .LBB114_38
; %bb.37:                               ;   in Loop: Header=BB114_26 Depth=1
	v_lshl_add_u64 v[4:5], v[68:69], 3, v[2:3]
	flat_load_dwordx2 v[4:5], v[4:5]
	s_waitcnt vmcnt(0) lgkmcnt(0)
	v_mul_f64 v[76:77], s[24:25], v[4:5]
.LBB114_38:                             ;   in Loop: Header=BB114_26 Depth=1
	s_or_b64 exec, exec, s[10:11]
	s_or_b64 s[10:11], s[4:5], vcc
	s_or_b64 s[38:39], s[30:31], s[10:11]
	v_cndmask_b32_e64 v79, 0, v155, s[10:11]
	s_xor_b64 s[38:39], s[38:39], -1
	v_cndmask_b32_e64 v78, 0, -1, s[10:11]
	s_and_saveexec_b64 s[10:11], s[38:39]
	s_cbranch_execz .LBB114_40
; %bb.39:                               ;   in Loop: Header=BB114_26 Depth=1
	v_lshl_add_u64 v[2:3], v[70:71], 3, v[2:3]
	flat_load_dwordx2 v[2:3], v[2:3]
	s_waitcnt vmcnt(0) lgkmcnt(0)
	v_mul_f64 v[78:79], s[24:25], v[2:3]
.LBB114_40:                             ;   in Loop: Header=BB114_26 Depth=1
	s_or_b64 exec, exec, s[10:11]
	s_or_b64 s[10:11], s[6:7], vcc
	s_or_b64 s[38:39], s[30:31], s[10:11]
	v_lshl_add_u64 v[0:1], v[0:1], 3, s[26:27]
	v_cndmask_b32_e64 v81, 0, v155, s[10:11]
	s_xor_b64 s[38:39], s[38:39], -1
	v_cndmask_b32_e64 v80, 0, -1, s[10:11]
	s_and_saveexec_b64 s[10:11], s[38:39]
	s_cbranch_execz .LBB114_42
; %bb.41:                               ;   in Loop: Header=BB114_26 Depth=1
	v_lshl_add_u64 v[2:3], v[72:73], 3, v[0:1]
	flat_load_dwordx2 v[2:3], v[2:3]
	s_waitcnt vmcnt(0) lgkmcnt(0)
	v_mul_f64 v[80:81], s[24:25], v[2:3]
.LBB114_42:                             ;   in Loop: Header=BB114_26 Depth=1
	s_or_b64 exec, exec, s[10:11]
	s_or_b64 vcc, s[8:9], vcc
	s_or_b64 s[10:11], s[30:31], vcc
	v_cndmask_b32_e32 v83, 0, v155, vcc
	s_xor_b64 s[38:39], s[10:11], -1
	v_cndmask_b32_e64 v82, 0, -1, vcc
	s_and_saveexec_b64 s[10:11], s[38:39]
	s_cbranch_execz .LBB114_44
; %bb.43:                               ;   in Loop: Header=BB114_26 Depth=1
	v_lshl_add_u64 v[0:1], v[74:75], 3, v[0:1]
	flat_load_dwordx2 v[0:1], v[0:1]
	s_waitcnt vmcnt(0) lgkmcnt(0)
	v_mul_f64 v[82:83], s[24:25], v[0:1]
.LBB114_44:                             ;   in Loop: Header=BB114_26 Depth=1
	s_or_b64 exec, exec, s[10:11]
	s_mov_b32 s38, 0
	s_mov_b64 s[10:11], -1
.LBB114_45:                             ;   Parent Loop BB114_26 Depth=1
                                        ; =>  This Inner Loop Header: Depth=2
	v_cndmask_b32_e64 v0, 0, 1, s[10:11]
	s_lshl_b32 s10, s38, 3
	v_cmp_ne_u32_e32 vcc, 1, v0
	v_lshl_add_u32 v0, v139, 5, s10
	ds_read_b128 v[12:15], v0
	ds_read_b128 v[8:11], v0 offset:1024
	ds_read_b128 v[4:7], v0 offset:2048
	;; [unrolled: 1-line block ×3, first 2 shown]
	v_lshl_add_u32 v16, v140, 5, s10
	ds_read_b128 v[156:159], v16 offset:8192
	ds_read_b128 v[160:163], v16 offset:8448
	;; [unrolled: 1-line block ×16, first 2 shown]
	s_waitcnt lgkmcnt(14)
	v_add_f64 v[168:169], v[14:15], v[158:159]
	v_add_f64 v[170:171], v[12:13], v[156:157]
	v_cvt_f32_f64_e32 v170, v[170:171]
	v_cvt_f32_f64_e32 v168, v[168:169]
	v_min3_f32 v149, v170, v168, v149
	v_add_f64 v[168:169], v[10:11], v[158:159]
	v_add_f64 v[170:171], v[8:9], v[156:157]
	v_cvt_f32_f64_e32 v170, v[170:171]
	v_cvt_f32_f64_e32 v168, v[168:169]
	v_min3_f32 v148, v170, v168, v148
	v_add_f64 v[168:169], v[6:7], v[158:159]
	v_add_f64 v[170:171], v[4:5], v[156:157]
	;; [unrolled: 1-line block ×4, first 2 shown]
	v_cvt_f32_f64_e32 v156, v[156:157]
	v_cvt_f32_f64_e32 v157, v[158:159]
	v_min3_f32 v146, v156, v157, v146
	v_add_f64 v[156:157], v[14:15], v[162:163]
	v_add_f64 v[158:159], v[12:13], v[160:161]
	v_cvt_f32_f64_e32 v158, v[158:159]
	v_cvt_f32_f64_e32 v156, v[156:157]
	v_min3_f32 v145, v158, v156, v145
	v_add_f64 v[156:157], v[10:11], v[162:163]
	v_add_f64 v[158:159], v[8:9], v[160:161]
	;; [unrolled: 5-line block ×4, first 2 shown]
	v_cvt_f32_f64_e32 v158, v[158:159]
	v_cvt_f32_f64_e32 v156, v[156:157]
	v_min3_f32 v142, v158, v156, v142
	s_waitcnt lgkmcnt(13)
	v_add_f64 v[156:157], v[14:15], v[166:167]
	v_add_f64 v[158:159], v[12:13], v[164:165]
	v_cvt_f32_f64_e32 v158, v[158:159]
	v_cvt_f32_f64_e32 v156, v[156:157]
	v_min3_f32 v141, v158, v156, v141
	v_add_f64 v[156:157], v[10:11], v[166:167]
	v_add_f64 v[158:159], v[8:9], v[164:165]
	v_cvt_f32_f64_e32 v158, v[158:159]
	v_cvt_f32_f64_e32 v156, v[156:157]
	v_min3_f32 v138, v158, v156, v138
	;; [unrolled: 5-line block ×4, first 2 shown]
	s_waitcnt lgkmcnt(12)
	v_add_f64 v[156:157], v[14:15], v[66:67]
	v_add_f64 v[158:159], v[12:13], v[64:65]
	v_cvt_f32_f64_e32 v158, v[158:159]
	v_cvt_f32_f64_e32 v156, v[156:157]
	v_min3_f32 v135, v158, v156, v135
	v_add_f64 v[156:157], v[10:11], v[66:67]
	v_add_f64 v[158:159], v[8:9], v[64:65]
	v_cvt_f32_f64_e32 v158, v[158:159]
	v_cvt_f32_f64_e32 v156, v[156:157]
	v_min3_f32 v134, v158, v156, v134
	v_add_f64 v[156:157], v[6:7], v[66:67]
	v_add_f64 v[158:159], v[4:5], v[64:65]
	v_add_f64 v[66:67], v[2:3], v[66:67]
	v_add_f64 v[64:65], v[0:1], v[64:65]
	v_cvt_f32_f64_e32 v64, v[64:65]
	v_cvt_f32_f64_e32 v65, v[66:67]
	v_min3_f32 v132, v64, v65, v132
	s_waitcnt lgkmcnt(11)
	v_add_f64 v[64:65], v[14:15], v[62:63]
	v_add_f64 v[66:67], v[12:13], v[60:61]
	v_cvt_f32_f64_e32 v66, v[66:67]
	v_cvt_f32_f64_e32 v64, v[64:65]
	v_min3_f32 v131, v66, v64, v131
	v_add_f64 v[64:65], v[10:11], v[62:63]
	v_add_f64 v[66:67], v[8:9], v[60:61]
	v_cvt_f32_f64_e32 v66, v[66:67]
	v_cvt_f32_f64_e32 v64, v[64:65]
	v_min3_f32 v130, v66, v64, v130
	v_add_f64 v[64:65], v[6:7], v[62:63]
	v_add_f64 v[66:67], v[4:5], v[60:61]
	v_add_f64 v[62:63], v[2:3], v[62:63]
	v_add_f64 v[60:61], v[0:1], v[60:61]
	v_cvt_f32_f64_e32 v60, v[60:61]
	v_cvt_f32_f64_e32 v61, v[62:63]
	v_min3_f32 v128, v60, v61, v128
	;; [unrolled: 18-line block ×11, first 2 shown]
	s_waitcnt lgkmcnt(1)
	v_add_f64 v[24:25], v[14:15], v[22:23]
	v_add_f64 v[26:27], v[12:13], v[20:21]
	v_cvt_f32_f64_e32 v26, v[26:27]
	v_cvt_f32_f64_e32 v24, v[24:25]
	v_min3_f32 v91, v26, v24, v91
	v_add_f64 v[24:25], v[10:11], v[22:23]
	v_add_f64 v[26:27], v[8:9], v[20:21]
	v_cvt_f32_f64_e32 v26, v[26:27]
	v_cvt_f32_f64_e32 v24, v[24:25]
	v_min3_f32 v90, v26, v24, v90
	v_add_f64 v[24:25], v[6:7], v[22:23]
	v_add_f64 v[26:27], v[4:5], v[20:21]
	;; [unrolled: 1-line block ×4, first 2 shown]
	s_waitcnt lgkmcnt(0)
	v_add_f64 v[14:15], v[14:15], v[18:19]
	v_add_f64 v[12:13], v[12:13], v[16:17]
	;; [unrolled: 1-line block ×8, first 2 shown]
	v_cvt_f32_f64_e32 v170, v[170:171]
	v_cvt_f32_f64_e32 v168, v[168:169]
	;; [unrolled: 1-line block ×36, first 2 shown]
	v_min3_f32 v147, v170, v168, v147
	v_min3_f32 v133, v158, v156, v133
	;; [unrolled: 1-line block ×18, first 2 shown]
	s_mov_b32 s38, 2
	s_mov_b64 s[10:11], 0
	s_cbranch_vccz .LBB114_45
; %bb.46:                               ;   in Loop: Header=BB114_26 Depth=1
	s_add_i32 s35, s35, 8
	s_add_i32 s37, s37, 8
	s_cmp_ge_i32 s37, s36
	ds_write2st64_b64 v153, v[76:77], v[78:79] offset1:4
	ds_write2st64_b64 v154, v[80:81], v[82:83] offset1:4
	s_waitcnt lgkmcnt(0)
	s_barrier
	s_cbranch_scc0 .LBB114_26
.LBB114_47:
	s_mov_b32 s4, 0
	s_mov_b64 s[2:3], -1
.LBB114_48:                             ; =>This Inner Loop Header: Depth=1
	v_cndmask_b32_e64 v0, 0, 1, s[2:3]
	s_lshl_b32 s2, s4, 3
	v_cmp_ne_u32_e32 vcc, 1, v0
	v_lshl_add_u32 v0, v139, 5, s2
	ds_read_b128 v[12:15], v0 offset:4096
	ds_read_b128 v[8:11], v0 offset:5120
	;; [unrolled: 1-line block ×4, first 2 shown]
	v_lshl_add_u32 v16, v140, 5, s2
	ds_read_b128 v[68:71], v16 offset:12288
	ds_read_b128 v[72:75], v16 offset:12544
	;; [unrolled: 1-line block ×16, first 2 shown]
	s_waitcnt lgkmcnt(14)
	v_add_f64 v[80:81], v[14:15], v[70:71]
	v_add_f64 v[82:83], v[12:13], v[68:69]
	v_cvt_f32_f64_e32 v82, v[82:83]
	v_cvt_f32_f64_e32 v80, v[80:81]
	v_min3_f32 v149, v82, v80, v149
	v_add_f64 v[80:81], v[10:11], v[70:71]
	v_add_f64 v[82:83], v[8:9], v[68:69]
	v_cvt_f32_f64_e32 v82, v[82:83]
	v_cvt_f32_f64_e32 v80, v[80:81]
	v_min3_f32 v148, v82, v80, v148
	v_add_f64 v[80:81], v[6:7], v[70:71]
	v_add_f64 v[82:83], v[4:5], v[68:69]
	;; [unrolled: 1-line block ×4, first 2 shown]
	v_cvt_f32_f64_e32 v68, v[68:69]
	v_cvt_f32_f64_e32 v69, v[70:71]
	v_min3_f32 v146, v68, v69, v146
	v_add_f64 v[68:69], v[14:15], v[74:75]
	v_add_f64 v[70:71], v[12:13], v[72:73]
	v_cvt_f32_f64_e32 v70, v[70:71]
	v_cvt_f32_f64_e32 v68, v[68:69]
	v_min3_f32 v145, v70, v68, v145
	v_add_f64 v[68:69], v[10:11], v[74:75]
	v_add_f64 v[70:71], v[8:9], v[72:73]
	;; [unrolled: 5-line block ×4, first 2 shown]
	v_cvt_f32_f64_e32 v70, v[70:71]
	v_cvt_f32_f64_e32 v68, v[68:69]
	v_min3_f32 v142, v70, v68, v142
	s_waitcnt lgkmcnt(13)
	v_add_f64 v[68:69], v[14:15], v[78:79]
	v_add_f64 v[70:71], v[12:13], v[76:77]
	v_cvt_f32_f64_e32 v70, v[70:71]
	v_cvt_f32_f64_e32 v68, v[68:69]
	v_min3_f32 v141, v70, v68, v141
	v_add_f64 v[68:69], v[10:11], v[78:79]
	v_add_f64 v[70:71], v[8:9], v[76:77]
	v_cvt_f32_f64_e32 v70, v[70:71]
	v_cvt_f32_f64_e32 v68, v[68:69]
	v_min3_f32 v138, v70, v68, v138
	;; [unrolled: 5-line block ×4, first 2 shown]
	s_waitcnt lgkmcnt(12)
	v_add_f64 v[68:69], v[14:15], v[66:67]
	v_add_f64 v[70:71], v[12:13], v[64:65]
	v_cvt_f32_f64_e32 v70, v[70:71]
	v_cvt_f32_f64_e32 v68, v[68:69]
	v_min3_f32 v135, v70, v68, v135
	v_add_f64 v[68:69], v[10:11], v[66:67]
	v_add_f64 v[70:71], v[8:9], v[64:65]
	v_cvt_f32_f64_e32 v70, v[70:71]
	v_cvt_f32_f64_e32 v68, v[68:69]
	v_min3_f32 v134, v70, v68, v134
	v_add_f64 v[68:69], v[6:7], v[66:67]
	v_add_f64 v[70:71], v[4:5], v[64:65]
	v_add_f64 v[66:67], v[2:3], v[66:67]
	v_add_f64 v[64:65], v[0:1], v[64:65]
	v_cvt_f32_f64_e32 v64, v[64:65]
	v_cvt_f32_f64_e32 v65, v[66:67]
	v_min3_f32 v132, v64, v65, v132
	s_waitcnt lgkmcnt(11)
	v_add_f64 v[64:65], v[14:15], v[62:63]
	v_add_f64 v[66:67], v[12:13], v[60:61]
	v_cvt_f32_f64_e32 v66, v[66:67]
	v_cvt_f32_f64_e32 v64, v[64:65]
	v_min3_f32 v131, v66, v64, v131
	v_add_f64 v[64:65], v[10:11], v[62:63]
	v_add_f64 v[66:67], v[8:9], v[60:61]
	v_cvt_f32_f64_e32 v66, v[66:67]
	v_cvt_f32_f64_e32 v64, v[64:65]
	v_min3_f32 v130, v66, v64, v130
	v_add_f64 v[64:65], v[6:7], v[62:63]
	v_add_f64 v[66:67], v[4:5], v[60:61]
	v_add_f64 v[62:63], v[2:3], v[62:63]
	v_add_f64 v[60:61], v[0:1], v[60:61]
	v_cvt_f32_f64_e32 v60, v[60:61]
	v_cvt_f32_f64_e32 v61, v[62:63]
	v_min3_f32 v128, v60, v61, v128
	;; [unrolled: 18-line block ×11, first 2 shown]
	s_waitcnt lgkmcnt(1)
	v_add_f64 v[24:25], v[14:15], v[22:23]
	v_add_f64 v[26:27], v[12:13], v[20:21]
	v_cvt_f32_f64_e32 v26, v[26:27]
	v_cvt_f32_f64_e32 v24, v[24:25]
	v_min3_f32 v91, v26, v24, v91
	v_add_f64 v[24:25], v[10:11], v[22:23]
	v_add_f64 v[26:27], v[8:9], v[20:21]
	v_cvt_f32_f64_e32 v26, v[26:27]
	v_cvt_f32_f64_e32 v24, v[24:25]
	v_min3_f32 v90, v26, v24, v90
	v_add_f64 v[24:25], v[6:7], v[22:23]
	v_add_f64 v[26:27], v[4:5], v[20:21]
	;; [unrolled: 1-line block ×4, first 2 shown]
	s_waitcnt lgkmcnt(0)
	v_add_f64 v[14:15], v[14:15], v[18:19]
	v_add_f64 v[12:13], v[12:13], v[16:17]
	;; [unrolled: 1-line block ×8, first 2 shown]
	v_cvt_f32_f64_e32 v82, v[82:83]
	v_cvt_f32_f64_e32 v80, v[80:81]
	;; [unrolled: 1-line block ×36, first 2 shown]
	v_min3_f32 v147, v82, v80, v147
	v_min3_f32 v133, v70, v68, v133
	;; [unrolled: 1-line block ×18, first 2 shown]
	s_mov_b32 s4, 2
	s_mov_b64 s[2:3], 0
	s_cbranch_vccz .LBB114_48
; %bb.49:
	s_load_dwordx2 s[2:3], s[0:1], 0x78
	s_load_dword s25, s[0:1], 0x58
	s_load_dword s24, s[0:1], 0x70
	v_add_u32_e32 v14, s33, v140
	v_add_u32_e32 v0, s15, v139
	s_waitcnt lgkmcnt(0)
	s_lshl_b64 s[0:1], s[2:3], 3
	s_add_u32 s14, s22, s0
	s_addc_u32 s15, s23, s1
	v_mad_i64_i32 v[2:3], s[0:1], v14, s25, 0
	v_lshl_add_u64 v[10:11], v[2:3], 3, s[18:19]
	v_mad_i64_i32 v[2:3], s[0:1], v14, s24, 0
	v_cmp_gt_i32_e64 s[2:3], s12, v0
	v_cmp_gt_i32_e64 s[10:11], s13, v14
	v_lshl_add_u64 v[8:9], v[2:3], 3, s[14:15]
	v_cndmask_b32_e64 v2, 0, 1, s[20:21]
	v_ashrrev_i32_e32 v1, 31, v0
	s_and_b64 s[6:7], s[2:3], s[10:11]
	v_cmp_ne_u32_e64 s[0:1], 1, v2
	s_and_saveexec_b64 s[4:5], s[6:7]
	s_cbranch_execz .LBB114_54
; %bb.50:
	s_and_b64 vcc, exec, s[0:1]
	s_cbranch_vccnz .LBB114_52
; %bb.51:
	v_lshl_add_u64 v[2:3], v[0:1], 3, v[10:11]
	flat_load_dwordx2 v[2:3], v[2:3]
	s_waitcnt vmcnt(0) lgkmcnt(0)
	v_mul_f64 v[2:3], s[16:17], v[2:3]
	s_branch .LBB114_53
.LBB114_52:
	v_mov_b64_e32 v[2:3], 0
.LBB114_53:
	v_cvt_f32_f64_e32 v2, v[2:3]
	v_max_f32_e32 v3, v149, v149
	v_min_f32_e32 v2, v2, v3
	v_cvt_f64_f32_e32 v[2:3], v2
	v_lshl_add_u64 v[4:5], v[0:1], 3, v[8:9]
	global_store_dwordx2 v[4:5], v[2:3], off
.LBB114_54:
	s_or_b64 exec, exec, s[4:5]
	v_add_u32_e32 v2, 32, v0
	v_cmp_gt_i32_e64 s[4:5], s12, v2
	v_ashrrev_i32_e32 v3, 31, v2
	s_and_b64 s[8:9], s[4:5], s[10:11]
	s_and_saveexec_b64 s[6:7], s[8:9]
	s_cbranch_execz .LBB114_59
; %bb.55:
	s_and_b64 vcc, exec, s[0:1]
	s_cbranch_vccnz .LBB114_57
; %bb.56:
	v_lshl_add_u64 v[4:5], v[2:3], 3, v[10:11]
	flat_load_dwordx2 v[4:5], v[4:5]
	s_waitcnt vmcnt(0) lgkmcnt(0)
	v_mul_f64 v[4:5], s[16:17], v[4:5]
	s_branch .LBB114_58
.LBB114_57:
	v_mov_b64_e32 v[4:5], 0
.LBB114_58:
	v_cvt_f32_f64_e32 v4, v[4:5]
	v_max_f32_e32 v5, v148, v148
	v_min_f32_e32 v4, v4, v5
	v_cvt_f64_f32_e32 v[4:5], v4
	v_lshl_add_u64 v[6:7], v[2:3], 3, v[8:9]
	global_store_dwordx2 v[6:7], v[4:5], off
.LBB114_59:
	s_or_b64 exec, exec, s[6:7]
	v_add_u32_e32 v4, 64, v0
	v_cmp_gt_i32_e64 s[6:7], s12, v4
	v_ashrrev_i32_e32 v5, 31, v4
	s_and_b64 s[20:21], s[6:7], s[10:11]
	;; [unrolled: 26-line block ×3, first 2 shown]
	s_and_saveexec_b64 s[10:11], s[20:21]
	s_cbranch_execz .LBB114_69
; %bb.65:
	s_and_b64 vcc, exec, s[0:1]
	s_cbranch_vccnz .LBB114_67
; %bb.66:
	v_lshl_add_u64 v[10:11], v[6:7], 3, v[10:11]
	flat_load_dwordx2 v[10:11], v[10:11]
	s_waitcnt vmcnt(0) lgkmcnt(0)
	v_mul_f64 v[10:11], s[16:17], v[10:11]
	s_branch .LBB114_68
.LBB114_67:
	v_mov_b64_e32 v[10:11], 0
.LBB114_68:
	v_cvt_f32_f64_e32 v10, v[10:11]
	v_max_f32_e32 v11, v146, v146
	v_min_f32_e32 v10, v10, v11
	v_cvt_f64_f32_e32 v[10:11], v10
	v_lshl_add_u64 v[8:9], v[6:7], 3, v[8:9]
	global_store_dwordx2 v[8:9], v[10:11], off
.LBB114_69:
	s_or_b64 exec, exec, s[10:11]
	v_add_u32_e32 v12, 8, v14
	v_mad_i64_i32 v[8:9], s[20:21], v12, s25, 0
	v_cmp_gt_i32_e64 s[10:11], s13, v12
	v_lshl_add_u64 v[10:11], v[8:9], 3, s[18:19]
	v_mad_i64_i32 v[8:9], s[20:21], v12, s24, 0
	v_lshl_add_u64 v[8:9], v[8:9], 3, s[14:15]
	s_and_b64 s[22:23], s[2:3], s[10:11]
	s_and_saveexec_b64 s[20:21], s[22:23]
	s_cbranch_execnz .LBB114_73
; %bb.70:
	s_or_b64 exec, exec, s[20:21]
	s_and_b64 s[22:23], s[4:5], s[10:11]
	s_and_saveexec_b64 s[20:21], s[22:23]
	s_cbranch_execnz .LBB114_77
.LBB114_71:
	s_or_b64 exec, exec, s[20:21]
	s_and_b64 s[22:23], s[6:7], s[10:11]
	s_and_saveexec_b64 s[20:21], s[22:23]
	s_cbranch_execnz .LBB114_81
.LBB114_72:
	s_or_b64 exec, exec, s[20:21]
	s_and_b64 s[20:21], s[8:9], s[10:11]
	s_and_saveexec_b64 s[10:11], s[20:21]
	s_cbranch_execnz .LBB114_85
	s_branch .LBB114_89
.LBB114_73:
	s_and_b64 vcc, exec, s[0:1]
	s_cbranch_vccnz .LBB114_75
; %bb.74:
	v_lshl_add_u64 v[12:13], v[0:1], 3, v[10:11]
	flat_load_dwordx2 v[12:13], v[12:13]
	s_waitcnt vmcnt(0) lgkmcnt(0)
	v_mul_f64 v[12:13], s[16:17], v[12:13]
	s_branch .LBB114_76
.LBB114_75:
	v_mov_b64_e32 v[12:13], 0
.LBB114_76:
	v_cvt_f32_f64_e32 v12, v[12:13]
	v_max_f32_e32 v13, v145, v145
	v_min_f32_e32 v12, v12, v13
	v_cvt_f64_f32_e32 v[12:13], v12
	v_lshl_add_u64 v[16:17], v[0:1], 3, v[8:9]
	global_store_dwordx2 v[16:17], v[12:13], off
	s_or_b64 exec, exec, s[20:21]
	s_and_b64 s[22:23], s[4:5], s[10:11]
	s_and_saveexec_b64 s[20:21], s[22:23]
	s_cbranch_execz .LBB114_71
.LBB114_77:
	s_and_b64 vcc, exec, s[0:1]
	s_cbranch_vccnz .LBB114_79
; %bb.78:
	v_lshl_add_u64 v[12:13], v[2:3], 3, v[10:11]
	flat_load_dwordx2 v[12:13], v[12:13]
	s_waitcnt vmcnt(0) lgkmcnt(0)
	v_mul_f64 v[12:13], s[16:17], v[12:13]
	s_branch .LBB114_80
.LBB114_79:
	v_mov_b64_e32 v[12:13], 0
.LBB114_80:
	v_cvt_f32_f64_e32 v12, v[12:13]
	v_max_f32_e32 v13, v144, v144
	v_min_f32_e32 v12, v12, v13
	v_cvt_f64_f32_e32 v[12:13], v12
	v_lshl_add_u64 v[16:17], v[2:3], 3, v[8:9]
	global_store_dwordx2 v[16:17], v[12:13], off
	s_or_b64 exec, exec, s[20:21]
	s_and_b64 s[22:23], s[6:7], s[10:11]
	s_and_saveexec_b64 s[20:21], s[22:23]
	s_cbranch_execz .LBB114_72
.LBB114_81:
	s_and_b64 vcc, exec, s[0:1]
	s_cbranch_vccnz .LBB114_83
; %bb.82:
	v_lshl_add_u64 v[12:13], v[4:5], 3, v[10:11]
	flat_load_dwordx2 v[12:13], v[12:13]
	s_waitcnt vmcnt(0) lgkmcnt(0)
	v_mul_f64 v[12:13], s[16:17], v[12:13]
	s_branch .LBB114_84
.LBB114_83:
	v_mov_b64_e32 v[12:13], 0
.LBB114_84:
	v_cvt_f32_f64_e32 v12, v[12:13]
	v_max_f32_e32 v13, v143, v143
	v_min_f32_e32 v12, v12, v13
	v_cvt_f64_f32_e32 v[12:13], v12
	v_lshl_add_u64 v[16:17], v[4:5], 3, v[8:9]
	global_store_dwordx2 v[16:17], v[12:13], off
	s_or_b64 exec, exec, s[20:21]
	s_and_b64 s[20:21], s[8:9], s[10:11]
	s_and_saveexec_b64 s[10:11], s[20:21]
	s_cbranch_execz .LBB114_89
.LBB114_85:
	s_and_b64 vcc, exec, s[0:1]
	s_cbranch_vccnz .LBB114_87
; %bb.86:
	v_lshl_add_u64 v[10:11], v[6:7], 3, v[10:11]
	flat_load_dwordx2 v[10:11], v[10:11]
	s_waitcnt vmcnt(0) lgkmcnt(0)
	v_mul_f64 v[10:11], s[16:17], v[10:11]
	s_branch .LBB114_88
.LBB114_87:
	v_mov_b64_e32 v[10:11], 0
.LBB114_88:
	v_cvt_f32_f64_e32 v10, v[10:11]
	v_max_f32_e32 v11, v142, v142
	v_min_f32_e32 v10, v10, v11
	v_cvt_f64_f32_e32 v[10:11], v10
	v_lshl_add_u64 v[8:9], v[6:7], 3, v[8:9]
	global_store_dwordx2 v[8:9], v[10:11], off
.LBB114_89:
	s_or_b64 exec, exec, s[10:11]
	v_add_u32_e32 v12, 16, v14
	v_mad_i64_i32 v[8:9], s[20:21], v12, s25, 0
	v_cmp_gt_i32_e64 s[10:11], s13, v12
	v_lshl_add_u64 v[10:11], v[8:9], 3, s[18:19]
	v_mad_i64_i32 v[8:9], s[20:21], v12, s24, 0
	v_lshl_add_u64 v[8:9], v[8:9], 3, s[14:15]
	s_and_b64 s[22:23], s[2:3], s[10:11]
	s_and_saveexec_b64 s[20:21], s[22:23]
	s_cbranch_execnz .LBB114_93
; %bb.90:
	s_or_b64 exec, exec, s[20:21]
	s_and_b64 s[22:23], s[4:5], s[10:11]
	s_and_saveexec_b64 s[20:21], s[22:23]
	s_cbranch_execnz .LBB114_97
.LBB114_91:
	s_or_b64 exec, exec, s[20:21]
	s_and_b64 s[22:23], s[6:7], s[10:11]
	s_and_saveexec_b64 s[20:21], s[22:23]
	s_cbranch_execnz .LBB114_101
.LBB114_92:
	s_or_b64 exec, exec, s[20:21]
	s_and_b64 s[20:21], s[8:9], s[10:11]
	s_and_saveexec_b64 s[10:11], s[20:21]
	s_cbranch_execnz .LBB114_105
	s_branch .LBB114_109
.LBB114_93:
	s_and_b64 vcc, exec, s[0:1]
	s_cbranch_vccnz .LBB114_95
; %bb.94:
	v_lshl_add_u64 v[12:13], v[0:1], 3, v[10:11]
	flat_load_dwordx2 v[12:13], v[12:13]
	s_waitcnt vmcnt(0) lgkmcnt(0)
	v_mul_f64 v[12:13], s[16:17], v[12:13]
	s_branch .LBB114_96
.LBB114_95:
	v_mov_b64_e32 v[12:13], 0
.LBB114_96:
	v_cvt_f32_f64_e32 v12, v[12:13]
	v_max_f32_e32 v13, v141, v141
	v_min_f32_e32 v12, v12, v13
	v_cvt_f64_f32_e32 v[12:13], v12
	v_lshl_add_u64 v[16:17], v[0:1], 3, v[8:9]
	global_store_dwordx2 v[16:17], v[12:13], off
	s_or_b64 exec, exec, s[20:21]
	s_and_b64 s[22:23], s[4:5], s[10:11]
	s_and_saveexec_b64 s[20:21], s[22:23]
	s_cbranch_execz .LBB114_91
.LBB114_97:
	s_and_b64 vcc, exec, s[0:1]
	s_cbranch_vccnz .LBB114_99
; %bb.98:
	v_lshl_add_u64 v[12:13], v[2:3], 3, v[10:11]
	flat_load_dwordx2 v[12:13], v[12:13]
	s_waitcnt vmcnt(0) lgkmcnt(0)
	v_mul_f64 v[12:13], s[16:17], v[12:13]
	s_branch .LBB114_100
.LBB114_99:
	v_mov_b64_e32 v[12:13], 0
.LBB114_100:
	v_cvt_f32_f64_e32 v12, v[12:13]
	v_max_f32_e32 v13, v138, v138
	v_min_f32_e32 v12, v12, v13
	v_cvt_f64_f32_e32 v[12:13], v12
	v_lshl_add_u64 v[16:17], v[2:3], 3, v[8:9]
	global_store_dwordx2 v[16:17], v[12:13], off
	s_or_b64 exec, exec, s[20:21]
	s_and_b64 s[22:23], s[6:7], s[10:11]
	s_and_saveexec_b64 s[20:21], s[22:23]
	s_cbranch_execz .LBB114_92
.LBB114_101:
	s_and_b64 vcc, exec, s[0:1]
	s_cbranch_vccnz .LBB114_103
; %bb.102:
	v_lshl_add_u64 v[12:13], v[4:5], 3, v[10:11]
	flat_load_dwordx2 v[12:13], v[12:13]
	s_waitcnt vmcnt(0) lgkmcnt(0)
	v_mul_f64 v[12:13], s[16:17], v[12:13]
	s_branch .LBB114_104
.LBB114_103:
	v_mov_b64_e32 v[12:13], 0
.LBB114_104:
	v_cvt_f32_f64_e32 v12, v[12:13]
	v_max_f32_e32 v13, v137, v137
	v_min_f32_e32 v12, v12, v13
	v_cvt_f64_f32_e32 v[12:13], v12
	v_lshl_add_u64 v[16:17], v[4:5], 3, v[8:9]
	global_store_dwordx2 v[16:17], v[12:13], off
	s_or_b64 exec, exec, s[20:21]
	s_and_b64 s[20:21], s[8:9], s[10:11]
	s_and_saveexec_b64 s[10:11], s[20:21]
	s_cbranch_execz .LBB114_109
.LBB114_105:
	s_and_b64 vcc, exec, s[0:1]
	s_cbranch_vccnz .LBB114_107
; %bb.106:
	v_lshl_add_u64 v[10:11], v[6:7], 3, v[10:11]
	flat_load_dwordx2 v[10:11], v[10:11]
	s_waitcnt vmcnt(0) lgkmcnt(0)
	v_mul_f64 v[10:11], s[16:17], v[10:11]
	s_branch .LBB114_108
.LBB114_107:
	v_mov_b64_e32 v[10:11], 0
.LBB114_108:
	v_cvt_f32_f64_e32 v10, v[10:11]
	v_max_f32_e32 v11, v136, v136
	v_min_f32_e32 v10, v10, v11
	v_cvt_f64_f32_e32 v[10:11], v10
	v_lshl_add_u64 v[8:9], v[6:7], 3, v[8:9]
	global_store_dwordx2 v[8:9], v[10:11], off
.LBB114_109:
	s_or_b64 exec, exec, s[10:11]
	v_add_u32_e32 v12, 24, v14
	v_mad_i64_i32 v[8:9], s[20:21], v12, s25, 0
	v_cmp_gt_i32_e64 s[10:11], s13, v12
	v_lshl_add_u64 v[10:11], v[8:9], 3, s[18:19]
	v_mad_i64_i32 v[8:9], s[20:21], v12, s24, 0
	v_lshl_add_u64 v[8:9], v[8:9], 3, s[14:15]
	s_and_b64 s[22:23], s[2:3], s[10:11]
	s_and_saveexec_b64 s[20:21], s[22:23]
	s_cbranch_execnz .LBB114_113
; %bb.110:
	s_or_b64 exec, exec, s[20:21]
	s_and_b64 s[22:23], s[4:5], s[10:11]
	s_and_saveexec_b64 s[20:21], s[22:23]
	s_cbranch_execnz .LBB114_117
.LBB114_111:
	s_or_b64 exec, exec, s[20:21]
	s_and_b64 s[22:23], s[6:7], s[10:11]
	s_and_saveexec_b64 s[20:21], s[22:23]
	s_cbranch_execnz .LBB114_121
.LBB114_112:
	s_or_b64 exec, exec, s[20:21]
	s_and_b64 s[20:21], s[8:9], s[10:11]
	s_and_saveexec_b64 s[10:11], s[20:21]
	s_cbranch_execnz .LBB114_125
	s_branch .LBB114_129
.LBB114_113:
	s_and_b64 vcc, exec, s[0:1]
	s_cbranch_vccnz .LBB114_115
; %bb.114:
	v_lshl_add_u64 v[12:13], v[0:1], 3, v[10:11]
	flat_load_dwordx2 v[12:13], v[12:13]
	s_waitcnt vmcnt(0) lgkmcnt(0)
	v_mul_f64 v[12:13], s[16:17], v[12:13]
	s_branch .LBB114_116
.LBB114_115:
	v_mov_b64_e32 v[12:13], 0
.LBB114_116:
	v_cvt_f32_f64_e32 v12, v[12:13]
	v_max_f32_e32 v13, v135, v135
	v_min_f32_e32 v12, v12, v13
	v_cvt_f64_f32_e32 v[12:13], v12
	v_lshl_add_u64 v[16:17], v[0:1], 3, v[8:9]
	global_store_dwordx2 v[16:17], v[12:13], off
	s_or_b64 exec, exec, s[20:21]
	s_and_b64 s[22:23], s[4:5], s[10:11]
	s_and_saveexec_b64 s[20:21], s[22:23]
	s_cbranch_execz .LBB114_111
.LBB114_117:
	s_and_b64 vcc, exec, s[0:1]
	s_cbranch_vccnz .LBB114_119
; %bb.118:
	v_lshl_add_u64 v[12:13], v[2:3], 3, v[10:11]
	flat_load_dwordx2 v[12:13], v[12:13]
	s_waitcnt vmcnt(0) lgkmcnt(0)
	v_mul_f64 v[12:13], s[16:17], v[12:13]
	s_branch .LBB114_120
.LBB114_119:
	v_mov_b64_e32 v[12:13], 0
.LBB114_120:
	v_cvt_f32_f64_e32 v12, v[12:13]
	v_max_f32_e32 v13, v134, v134
	v_min_f32_e32 v12, v12, v13
	v_cvt_f64_f32_e32 v[12:13], v12
	v_lshl_add_u64 v[16:17], v[2:3], 3, v[8:9]
	global_store_dwordx2 v[16:17], v[12:13], off
	s_or_b64 exec, exec, s[20:21]
	s_and_b64 s[22:23], s[6:7], s[10:11]
	s_and_saveexec_b64 s[20:21], s[22:23]
	s_cbranch_execz .LBB114_112
.LBB114_121:
	s_and_b64 vcc, exec, s[0:1]
	s_cbranch_vccnz .LBB114_123
; %bb.122:
	v_lshl_add_u64 v[12:13], v[4:5], 3, v[10:11]
	flat_load_dwordx2 v[12:13], v[12:13]
	s_waitcnt vmcnt(0) lgkmcnt(0)
	v_mul_f64 v[12:13], s[16:17], v[12:13]
	s_branch .LBB114_124
.LBB114_123:
	v_mov_b64_e32 v[12:13], 0
.LBB114_124:
	v_cvt_f32_f64_e32 v12, v[12:13]
	v_max_f32_e32 v13, v133, v133
	v_min_f32_e32 v12, v12, v13
	v_cvt_f64_f32_e32 v[12:13], v12
	v_lshl_add_u64 v[16:17], v[4:5], 3, v[8:9]
	global_store_dwordx2 v[16:17], v[12:13], off
	s_or_b64 exec, exec, s[20:21]
	s_and_b64 s[20:21], s[8:9], s[10:11]
	s_and_saveexec_b64 s[10:11], s[20:21]
	s_cbranch_execz .LBB114_129
.LBB114_125:
	s_and_b64 vcc, exec, s[0:1]
	s_cbranch_vccnz .LBB114_127
; %bb.126:
	v_lshl_add_u64 v[10:11], v[6:7], 3, v[10:11]
	flat_load_dwordx2 v[10:11], v[10:11]
	s_waitcnt vmcnt(0) lgkmcnt(0)
	v_mul_f64 v[10:11], s[16:17], v[10:11]
	s_branch .LBB114_128
.LBB114_127:
	v_mov_b64_e32 v[10:11], 0
.LBB114_128:
	v_cvt_f32_f64_e32 v10, v[10:11]
	v_max_f32_e32 v11, v132, v132
	v_min_f32_e32 v10, v10, v11
	v_cvt_f64_f32_e32 v[10:11], v10
	v_lshl_add_u64 v[8:9], v[6:7], 3, v[8:9]
	global_store_dwordx2 v[8:9], v[10:11], off
.LBB114_129:
	s_or_b64 exec, exec, s[10:11]
	v_add_u32_e32 v12, 32, v14
	v_mad_i64_i32 v[8:9], s[20:21], v12, s25, 0
	v_cmp_gt_i32_e64 s[10:11], s13, v12
	v_lshl_add_u64 v[10:11], v[8:9], 3, s[18:19]
	v_mad_i64_i32 v[8:9], s[20:21], v12, s24, 0
	v_lshl_add_u64 v[8:9], v[8:9], 3, s[14:15]
	s_and_b64 s[22:23], s[2:3], s[10:11]
	s_and_saveexec_b64 s[20:21], s[22:23]
	s_cbranch_execnz .LBB114_133
; %bb.130:
	s_or_b64 exec, exec, s[20:21]
	s_and_b64 s[22:23], s[4:5], s[10:11]
	s_and_saveexec_b64 s[20:21], s[22:23]
	s_cbranch_execnz .LBB114_137
.LBB114_131:
	s_or_b64 exec, exec, s[20:21]
	s_and_b64 s[22:23], s[6:7], s[10:11]
	s_and_saveexec_b64 s[20:21], s[22:23]
	s_cbranch_execnz .LBB114_141
.LBB114_132:
	s_or_b64 exec, exec, s[20:21]
	s_and_b64 s[20:21], s[8:9], s[10:11]
	s_and_saveexec_b64 s[10:11], s[20:21]
	s_cbranch_execnz .LBB114_145
	s_branch .LBB114_149
.LBB114_133:
	s_and_b64 vcc, exec, s[0:1]
	s_cbranch_vccnz .LBB114_135
; %bb.134:
	v_lshl_add_u64 v[12:13], v[0:1], 3, v[10:11]
	flat_load_dwordx2 v[12:13], v[12:13]
	s_waitcnt vmcnt(0) lgkmcnt(0)
	v_mul_f64 v[12:13], s[16:17], v[12:13]
	s_branch .LBB114_136
.LBB114_135:
	v_mov_b64_e32 v[12:13], 0
.LBB114_136:
	v_cvt_f32_f64_e32 v12, v[12:13]
	v_max_f32_e32 v13, v131, v131
	v_min_f32_e32 v12, v12, v13
	v_cvt_f64_f32_e32 v[12:13], v12
	v_lshl_add_u64 v[16:17], v[0:1], 3, v[8:9]
	global_store_dwordx2 v[16:17], v[12:13], off
	s_or_b64 exec, exec, s[20:21]
	s_and_b64 s[22:23], s[4:5], s[10:11]
	s_and_saveexec_b64 s[20:21], s[22:23]
	s_cbranch_execz .LBB114_131
.LBB114_137:
	s_and_b64 vcc, exec, s[0:1]
	s_cbranch_vccnz .LBB114_139
; %bb.138:
	v_lshl_add_u64 v[12:13], v[2:3], 3, v[10:11]
	flat_load_dwordx2 v[12:13], v[12:13]
	s_waitcnt vmcnt(0) lgkmcnt(0)
	v_mul_f64 v[12:13], s[16:17], v[12:13]
	s_branch .LBB114_140
.LBB114_139:
	v_mov_b64_e32 v[12:13], 0
.LBB114_140:
	v_cvt_f32_f64_e32 v12, v[12:13]
	v_max_f32_e32 v13, v130, v130
	v_min_f32_e32 v12, v12, v13
	v_cvt_f64_f32_e32 v[12:13], v12
	v_lshl_add_u64 v[16:17], v[2:3], 3, v[8:9]
	global_store_dwordx2 v[16:17], v[12:13], off
	s_or_b64 exec, exec, s[20:21]
	s_and_b64 s[22:23], s[6:7], s[10:11]
	s_and_saveexec_b64 s[20:21], s[22:23]
	s_cbranch_execz .LBB114_132
.LBB114_141:
	s_and_b64 vcc, exec, s[0:1]
	s_cbranch_vccnz .LBB114_143
; %bb.142:
	v_lshl_add_u64 v[12:13], v[4:5], 3, v[10:11]
	flat_load_dwordx2 v[12:13], v[12:13]
	s_waitcnt vmcnt(0) lgkmcnt(0)
	v_mul_f64 v[12:13], s[16:17], v[12:13]
	s_branch .LBB114_144
.LBB114_143:
	v_mov_b64_e32 v[12:13], 0
.LBB114_144:
	v_cvt_f32_f64_e32 v12, v[12:13]
	v_max_f32_e32 v13, v129, v129
	v_min_f32_e32 v12, v12, v13
	v_cvt_f64_f32_e32 v[12:13], v12
	v_lshl_add_u64 v[16:17], v[4:5], 3, v[8:9]
	global_store_dwordx2 v[16:17], v[12:13], off
	s_or_b64 exec, exec, s[20:21]
	s_and_b64 s[20:21], s[8:9], s[10:11]
	s_and_saveexec_b64 s[10:11], s[20:21]
	s_cbranch_execz .LBB114_149
.LBB114_145:
	s_and_b64 vcc, exec, s[0:1]
	s_cbranch_vccnz .LBB114_147
; %bb.146:
	v_lshl_add_u64 v[10:11], v[6:7], 3, v[10:11]
	flat_load_dwordx2 v[10:11], v[10:11]
	s_waitcnt vmcnt(0) lgkmcnt(0)
	v_mul_f64 v[10:11], s[16:17], v[10:11]
	s_branch .LBB114_148
.LBB114_147:
	v_mov_b64_e32 v[10:11], 0
.LBB114_148:
	v_cvt_f32_f64_e32 v10, v[10:11]
	v_max_f32_e32 v11, v128, v128
	v_min_f32_e32 v10, v10, v11
	v_cvt_f64_f32_e32 v[10:11], v10
	v_lshl_add_u64 v[8:9], v[6:7], 3, v[8:9]
	global_store_dwordx2 v[8:9], v[10:11], off
.LBB114_149:
	s_or_b64 exec, exec, s[10:11]
	v_add_u32_e32 v12, 40, v14
	v_mad_i64_i32 v[8:9], s[20:21], v12, s25, 0
	v_cmp_gt_i32_e64 s[10:11], s13, v12
	v_lshl_add_u64 v[10:11], v[8:9], 3, s[18:19]
	v_mad_i64_i32 v[8:9], s[20:21], v12, s24, 0
	v_lshl_add_u64 v[8:9], v[8:9], 3, s[14:15]
	s_and_b64 s[22:23], s[2:3], s[10:11]
	s_and_saveexec_b64 s[20:21], s[22:23]
	s_cbranch_execnz .LBB114_153
; %bb.150:
	s_or_b64 exec, exec, s[20:21]
	s_and_b64 s[22:23], s[4:5], s[10:11]
	s_and_saveexec_b64 s[20:21], s[22:23]
	s_cbranch_execnz .LBB114_157
.LBB114_151:
	s_or_b64 exec, exec, s[20:21]
	s_and_b64 s[22:23], s[6:7], s[10:11]
	s_and_saveexec_b64 s[20:21], s[22:23]
	s_cbranch_execnz .LBB114_161
.LBB114_152:
	s_or_b64 exec, exec, s[20:21]
	s_and_b64 s[20:21], s[8:9], s[10:11]
	s_and_saveexec_b64 s[10:11], s[20:21]
	s_cbranch_execnz .LBB114_165
	s_branch .LBB114_169
.LBB114_153:
	s_and_b64 vcc, exec, s[0:1]
	s_cbranch_vccnz .LBB114_155
; %bb.154:
	v_lshl_add_u64 v[12:13], v[0:1], 3, v[10:11]
	flat_load_dwordx2 v[12:13], v[12:13]
	s_waitcnt vmcnt(0) lgkmcnt(0)
	v_mul_f64 v[12:13], s[16:17], v[12:13]
	s_branch .LBB114_156
.LBB114_155:
	v_mov_b64_e32 v[12:13], 0
.LBB114_156:
	v_cvt_f32_f64_e32 v12, v[12:13]
	v_max_f32_e32 v13, v127, v127
	v_min_f32_e32 v12, v12, v13
	v_cvt_f64_f32_e32 v[12:13], v12
	v_lshl_add_u64 v[16:17], v[0:1], 3, v[8:9]
	global_store_dwordx2 v[16:17], v[12:13], off
	s_or_b64 exec, exec, s[20:21]
	s_and_b64 s[22:23], s[4:5], s[10:11]
	s_and_saveexec_b64 s[20:21], s[22:23]
	s_cbranch_execz .LBB114_151
.LBB114_157:
	s_and_b64 vcc, exec, s[0:1]
	s_cbranch_vccnz .LBB114_159
; %bb.158:
	v_lshl_add_u64 v[12:13], v[2:3], 3, v[10:11]
	flat_load_dwordx2 v[12:13], v[12:13]
	s_waitcnt vmcnt(0) lgkmcnt(0)
	v_mul_f64 v[12:13], s[16:17], v[12:13]
	s_branch .LBB114_160
.LBB114_159:
	v_mov_b64_e32 v[12:13], 0
.LBB114_160:
	v_cvt_f32_f64_e32 v12, v[12:13]
	v_max_f32_e32 v13, v126, v126
	v_min_f32_e32 v12, v12, v13
	v_cvt_f64_f32_e32 v[12:13], v12
	v_lshl_add_u64 v[16:17], v[2:3], 3, v[8:9]
	global_store_dwordx2 v[16:17], v[12:13], off
	s_or_b64 exec, exec, s[20:21]
	s_and_b64 s[22:23], s[6:7], s[10:11]
	s_and_saveexec_b64 s[20:21], s[22:23]
	s_cbranch_execz .LBB114_152
.LBB114_161:
	s_and_b64 vcc, exec, s[0:1]
	s_cbranch_vccnz .LBB114_163
; %bb.162:
	v_lshl_add_u64 v[12:13], v[4:5], 3, v[10:11]
	flat_load_dwordx2 v[12:13], v[12:13]
	s_waitcnt vmcnt(0) lgkmcnt(0)
	v_mul_f64 v[12:13], s[16:17], v[12:13]
	s_branch .LBB114_164
.LBB114_163:
	v_mov_b64_e32 v[12:13], 0
.LBB114_164:
	v_cvt_f32_f64_e32 v12, v[12:13]
	v_max_f32_e32 v13, v125, v125
	v_min_f32_e32 v12, v12, v13
	v_cvt_f64_f32_e32 v[12:13], v12
	v_lshl_add_u64 v[16:17], v[4:5], 3, v[8:9]
	global_store_dwordx2 v[16:17], v[12:13], off
	s_or_b64 exec, exec, s[20:21]
	s_and_b64 s[20:21], s[8:9], s[10:11]
	s_and_saveexec_b64 s[10:11], s[20:21]
	s_cbranch_execz .LBB114_169
.LBB114_165:
	s_and_b64 vcc, exec, s[0:1]
	s_cbranch_vccnz .LBB114_167
; %bb.166:
	v_lshl_add_u64 v[10:11], v[6:7], 3, v[10:11]
	flat_load_dwordx2 v[10:11], v[10:11]
	s_waitcnt vmcnt(0) lgkmcnt(0)
	v_mul_f64 v[10:11], s[16:17], v[10:11]
	s_branch .LBB114_168
.LBB114_167:
	v_mov_b64_e32 v[10:11], 0
.LBB114_168:
	v_cvt_f32_f64_e32 v10, v[10:11]
	v_max_f32_e32 v11, v124, v124
	v_min_f32_e32 v10, v10, v11
	v_cvt_f64_f32_e32 v[10:11], v10
	v_lshl_add_u64 v[8:9], v[6:7], 3, v[8:9]
	global_store_dwordx2 v[8:9], v[10:11], off
.LBB114_169:
	s_or_b64 exec, exec, s[10:11]
	v_add_u32_e32 v12, 48, v14
	v_mad_i64_i32 v[8:9], s[20:21], v12, s25, 0
	v_cmp_gt_i32_e64 s[10:11], s13, v12
	v_lshl_add_u64 v[10:11], v[8:9], 3, s[18:19]
	v_mad_i64_i32 v[8:9], s[20:21], v12, s24, 0
	v_lshl_add_u64 v[8:9], v[8:9], 3, s[14:15]
	s_and_b64 s[22:23], s[2:3], s[10:11]
	s_and_saveexec_b64 s[20:21], s[22:23]
	s_cbranch_execnz .LBB114_173
; %bb.170:
	s_or_b64 exec, exec, s[20:21]
	s_and_b64 s[22:23], s[4:5], s[10:11]
	s_and_saveexec_b64 s[20:21], s[22:23]
	s_cbranch_execnz .LBB114_177
.LBB114_171:
	s_or_b64 exec, exec, s[20:21]
	s_and_b64 s[22:23], s[6:7], s[10:11]
	s_and_saveexec_b64 s[20:21], s[22:23]
	s_cbranch_execnz .LBB114_181
.LBB114_172:
	s_or_b64 exec, exec, s[20:21]
	s_and_b64 s[20:21], s[8:9], s[10:11]
	s_and_saveexec_b64 s[10:11], s[20:21]
	s_cbranch_execnz .LBB114_185
	s_branch .LBB114_189
.LBB114_173:
	s_and_b64 vcc, exec, s[0:1]
	s_cbranch_vccnz .LBB114_175
; %bb.174:
	v_lshl_add_u64 v[12:13], v[0:1], 3, v[10:11]
	flat_load_dwordx2 v[12:13], v[12:13]
	s_waitcnt vmcnt(0) lgkmcnt(0)
	v_mul_f64 v[12:13], s[16:17], v[12:13]
	s_branch .LBB114_176
.LBB114_175:
	v_mov_b64_e32 v[12:13], 0
.LBB114_176:
	v_cvt_f32_f64_e32 v12, v[12:13]
	v_max_f32_e32 v13, v123, v123
	v_min_f32_e32 v12, v12, v13
	v_cvt_f64_f32_e32 v[12:13], v12
	v_lshl_add_u64 v[16:17], v[0:1], 3, v[8:9]
	global_store_dwordx2 v[16:17], v[12:13], off
	s_or_b64 exec, exec, s[20:21]
	s_and_b64 s[22:23], s[4:5], s[10:11]
	s_and_saveexec_b64 s[20:21], s[22:23]
	s_cbranch_execz .LBB114_171
.LBB114_177:
	s_and_b64 vcc, exec, s[0:1]
	s_cbranch_vccnz .LBB114_179
; %bb.178:
	v_lshl_add_u64 v[12:13], v[2:3], 3, v[10:11]
	flat_load_dwordx2 v[12:13], v[12:13]
	s_waitcnt vmcnt(0) lgkmcnt(0)
	v_mul_f64 v[12:13], s[16:17], v[12:13]
	s_branch .LBB114_180
.LBB114_179:
	v_mov_b64_e32 v[12:13], 0
.LBB114_180:
	v_cvt_f32_f64_e32 v12, v[12:13]
	v_max_f32_e32 v13, v122, v122
	v_min_f32_e32 v12, v12, v13
	v_cvt_f64_f32_e32 v[12:13], v12
	v_lshl_add_u64 v[16:17], v[2:3], 3, v[8:9]
	global_store_dwordx2 v[16:17], v[12:13], off
	s_or_b64 exec, exec, s[20:21]
	s_and_b64 s[22:23], s[6:7], s[10:11]
	s_and_saveexec_b64 s[20:21], s[22:23]
	s_cbranch_execz .LBB114_172
.LBB114_181:
	s_and_b64 vcc, exec, s[0:1]
	s_cbranch_vccnz .LBB114_183
; %bb.182:
	v_lshl_add_u64 v[12:13], v[4:5], 3, v[10:11]
	flat_load_dwordx2 v[12:13], v[12:13]
	s_waitcnt vmcnt(0) lgkmcnt(0)
	v_mul_f64 v[12:13], s[16:17], v[12:13]
	s_branch .LBB114_184
.LBB114_183:
	v_mov_b64_e32 v[12:13], 0
.LBB114_184:
	v_cvt_f32_f64_e32 v12, v[12:13]
	v_max_f32_e32 v13, v121, v121
	v_min_f32_e32 v12, v12, v13
	v_cvt_f64_f32_e32 v[12:13], v12
	v_lshl_add_u64 v[16:17], v[4:5], 3, v[8:9]
	global_store_dwordx2 v[16:17], v[12:13], off
	s_or_b64 exec, exec, s[20:21]
	s_and_b64 s[20:21], s[8:9], s[10:11]
	s_and_saveexec_b64 s[10:11], s[20:21]
	s_cbranch_execz .LBB114_189
.LBB114_185:
	s_and_b64 vcc, exec, s[0:1]
	s_cbranch_vccnz .LBB114_187
; %bb.186:
	v_lshl_add_u64 v[10:11], v[6:7], 3, v[10:11]
	flat_load_dwordx2 v[10:11], v[10:11]
	s_waitcnt vmcnt(0) lgkmcnt(0)
	v_mul_f64 v[10:11], s[16:17], v[10:11]
	s_branch .LBB114_188
.LBB114_187:
	v_mov_b64_e32 v[10:11], 0
.LBB114_188:
	v_cvt_f32_f64_e32 v10, v[10:11]
	v_max_f32_e32 v11, v120, v120
	v_min_f32_e32 v10, v10, v11
	v_cvt_f64_f32_e32 v[10:11], v10
	v_lshl_add_u64 v[8:9], v[6:7], 3, v[8:9]
	global_store_dwordx2 v[8:9], v[10:11], off
.LBB114_189:
	s_or_b64 exec, exec, s[10:11]
	v_add_u32_e32 v12, 56, v14
	v_mad_i64_i32 v[8:9], s[20:21], v12, s25, 0
	v_cmp_gt_i32_e64 s[10:11], s13, v12
	v_lshl_add_u64 v[10:11], v[8:9], 3, s[18:19]
	v_mad_i64_i32 v[8:9], s[20:21], v12, s24, 0
	v_lshl_add_u64 v[8:9], v[8:9], 3, s[14:15]
	s_and_b64 s[22:23], s[2:3], s[10:11]
	s_and_saveexec_b64 s[20:21], s[22:23]
	s_cbranch_execnz .LBB114_193
; %bb.190:
	s_or_b64 exec, exec, s[20:21]
	s_and_b64 s[22:23], s[4:5], s[10:11]
	s_and_saveexec_b64 s[20:21], s[22:23]
	s_cbranch_execnz .LBB114_197
.LBB114_191:
	s_or_b64 exec, exec, s[20:21]
	s_and_b64 s[22:23], s[6:7], s[10:11]
	s_and_saveexec_b64 s[20:21], s[22:23]
	s_cbranch_execnz .LBB114_201
.LBB114_192:
	s_or_b64 exec, exec, s[20:21]
	s_and_b64 s[20:21], s[8:9], s[10:11]
	s_and_saveexec_b64 s[10:11], s[20:21]
	s_cbranch_execnz .LBB114_205
	s_branch .LBB114_209
.LBB114_193:
	s_and_b64 vcc, exec, s[0:1]
	s_cbranch_vccnz .LBB114_195
; %bb.194:
	v_lshl_add_u64 v[12:13], v[0:1], 3, v[10:11]
	flat_load_dwordx2 v[12:13], v[12:13]
	s_waitcnt vmcnt(0) lgkmcnt(0)
	v_mul_f64 v[12:13], s[16:17], v[12:13]
	s_branch .LBB114_196
.LBB114_195:
	v_mov_b64_e32 v[12:13], 0
.LBB114_196:
	v_cvt_f32_f64_e32 v12, v[12:13]
	v_max_f32_e32 v13, v119, v119
	v_min_f32_e32 v12, v12, v13
	v_cvt_f64_f32_e32 v[12:13], v12
	v_lshl_add_u64 v[16:17], v[0:1], 3, v[8:9]
	global_store_dwordx2 v[16:17], v[12:13], off
	s_or_b64 exec, exec, s[20:21]
	s_and_b64 s[22:23], s[4:5], s[10:11]
	s_and_saveexec_b64 s[20:21], s[22:23]
	s_cbranch_execz .LBB114_191
.LBB114_197:
	s_and_b64 vcc, exec, s[0:1]
	s_cbranch_vccnz .LBB114_199
; %bb.198:
	v_lshl_add_u64 v[12:13], v[2:3], 3, v[10:11]
	flat_load_dwordx2 v[12:13], v[12:13]
	s_waitcnt vmcnt(0) lgkmcnt(0)
	v_mul_f64 v[12:13], s[16:17], v[12:13]
	s_branch .LBB114_200
.LBB114_199:
	v_mov_b64_e32 v[12:13], 0
.LBB114_200:
	v_cvt_f32_f64_e32 v12, v[12:13]
	v_max_f32_e32 v13, v118, v118
	v_min_f32_e32 v12, v12, v13
	v_cvt_f64_f32_e32 v[12:13], v12
	v_lshl_add_u64 v[16:17], v[2:3], 3, v[8:9]
	global_store_dwordx2 v[16:17], v[12:13], off
	s_or_b64 exec, exec, s[20:21]
	s_and_b64 s[22:23], s[6:7], s[10:11]
	s_and_saveexec_b64 s[20:21], s[22:23]
	s_cbranch_execz .LBB114_192
.LBB114_201:
	s_and_b64 vcc, exec, s[0:1]
	s_cbranch_vccnz .LBB114_203
; %bb.202:
	v_lshl_add_u64 v[12:13], v[4:5], 3, v[10:11]
	flat_load_dwordx2 v[12:13], v[12:13]
	s_waitcnt vmcnt(0) lgkmcnt(0)
	v_mul_f64 v[12:13], s[16:17], v[12:13]
	s_branch .LBB114_204
.LBB114_203:
	v_mov_b64_e32 v[12:13], 0
.LBB114_204:
	v_cvt_f32_f64_e32 v12, v[12:13]
	v_max_f32_e32 v13, v117, v117
	v_min_f32_e32 v12, v12, v13
	v_cvt_f64_f32_e32 v[12:13], v12
	v_lshl_add_u64 v[16:17], v[4:5], 3, v[8:9]
	global_store_dwordx2 v[16:17], v[12:13], off
	s_or_b64 exec, exec, s[20:21]
	s_and_b64 s[20:21], s[8:9], s[10:11]
	s_and_saveexec_b64 s[10:11], s[20:21]
	s_cbranch_execz .LBB114_209
.LBB114_205:
	s_and_b64 vcc, exec, s[0:1]
	s_cbranch_vccnz .LBB114_207
; %bb.206:
	v_lshl_add_u64 v[10:11], v[6:7], 3, v[10:11]
	flat_load_dwordx2 v[10:11], v[10:11]
	s_waitcnt vmcnt(0) lgkmcnt(0)
	v_mul_f64 v[10:11], s[16:17], v[10:11]
	s_branch .LBB114_208
.LBB114_207:
	v_mov_b64_e32 v[10:11], 0
.LBB114_208:
	v_cvt_f32_f64_e32 v10, v[10:11]
	v_max_f32_e32 v11, v116, v116
	v_min_f32_e32 v10, v10, v11
	v_cvt_f64_f32_e32 v[10:11], v10
	v_lshl_add_u64 v[8:9], v[6:7], 3, v[8:9]
	global_store_dwordx2 v[8:9], v[10:11], off
.LBB114_209:
	s_or_b64 exec, exec, s[10:11]
	v_add_u32_e32 v12, 64, v14
	v_mad_i64_i32 v[8:9], s[20:21], v12, s25, 0
	v_cmp_gt_i32_e64 s[10:11], s13, v12
	v_lshl_add_u64 v[10:11], v[8:9], 3, s[18:19]
	v_mad_i64_i32 v[8:9], s[20:21], v12, s24, 0
	v_lshl_add_u64 v[8:9], v[8:9], 3, s[14:15]
	s_and_b64 s[22:23], s[2:3], s[10:11]
	s_and_saveexec_b64 s[20:21], s[22:23]
	s_cbranch_execnz .LBB114_213
; %bb.210:
	s_or_b64 exec, exec, s[20:21]
	s_and_b64 s[22:23], s[4:5], s[10:11]
	s_and_saveexec_b64 s[20:21], s[22:23]
	s_cbranch_execnz .LBB114_217
.LBB114_211:
	s_or_b64 exec, exec, s[20:21]
	s_and_b64 s[22:23], s[6:7], s[10:11]
	s_and_saveexec_b64 s[20:21], s[22:23]
	s_cbranch_execnz .LBB114_221
.LBB114_212:
	s_or_b64 exec, exec, s[20:21]
	s_and_b64 s[20:21], s[8:9], s[10:11]
	s_and_saveexec_b64 s[10:11], s[20:21]
	s_cbranch_execnz .LBB114_225
	s_branch .LBB114_229
.LBB114_213:
	s_and_b64 vcc, exec, s[0:1]
	s_cbranch_vccnz .LBB114_215
; %bb.214:
	v_lshl_add_u64 v[12:13], v[0:1], 3, v[10:11]
	flat_load_dwordx2 v[12:13], v[12:13]
	s_waitcnt vmcnt(0) lgkmcnt(0)
	v_mul_f64 v[12:13], s[16:17], v[12:13]
	s_branch .LBB114_216
.LBB114_215:
	v_mov_b64_e32 v[12:13], 0
.LBB114_216:
	v_cvt_f32_f64_e32 v12, v[12:13]
	v_max_f32_e32 v13, v115, v115
	v_min_f32_e32 v12, v12, v13
	v_cvt_f64_f32_e32 v[12:13], v12
	v_lshl_add_u64 v[16:17], v[0:1], 3, v[8:9]
	global_store_dwordx2 v[16:17], v[12:13], off
	s_or_b64 exec, exec, s[20:21]
	s_and_b64 s[22:23], s[4:5], s[10:11]
	s_and_saveexec_b64 s[20:21], s[22:23]
	s_cbranch_execz .LBB114_211
.LBB114_217:
	s_and_b64 vcc, exec, s[0:1]
	s_cbranch_vccnz .LBB114_219
; %bb.218:
	v_lshl_add_u64 v[12:13], v[2:3], 3, v[10:11]
	flat_load_dwordx2 v[12:13], v[12:13]
	s_waitcnt vmcnt(0) lgkmcnt(0)
	v_mul_f64 v[12:13], s[16:17], v[12:13]
	s_branch .LBB114_220
.LBB114_219:
	v_mov_b64_e32 v[12:13], 0
.LBB114_220:
	v_cvt_f32_f64_e32 v12, v[12:13]
	v_max_f32_e32 v13, v114, v114
	v_min_f32_e32 v12, v12, v13
	v_cvt_f64_f32_e32 v[12:13], v12
	v_lshl_add_u64 v[16:17], v[2:3], 3, v[8:9]
	global_store_dwordx2 v[16:17], v[12:13], off
	s_or_b64 exec, exec, s[20:21]
	s_and_b64 s[22:23], s[6:7], s[10:11]
	s_and_saveexec_b64 s[20:21], s[22:23]
	s_cbranch_execz .LBB114_212
.LBB114_221:
	s_and_b64 vcc, exec, s[0:1]
	s_cbranch_vccnz .LBB114_223
; %bb.222:
	v_lshl_add_u64 v[12:13], v[4:5], 3, v[10:11]
	flat_load_dwordx2 v[12:13], v[12:13]
	s_waitcnt vmcnt(0) lgkmcnt(0)
	v_mul_f64 v[12:13], s[16:17], v[12:13]
	s_branch .LBB114_224
.LBB114_223:
	v_mov_b64_e32 v[12:13], 0
.LBB114_224:
	v_cvt_f32_f64_e32 v12, v[12:13]
	v_max_f32_e32 v13, v113, v113
	v_min_f32_e32 v12, v12, v13
	v_cvt_f64_f32_e32 v[12:13], v12
	v_lshl_add_u64 v[16:17], v[4:5], 3, v[8:9]
	global_store_dwordx2 v[16:17], v[12:13], off
	s_or_b64 exec, exec, s[20:21]
	s_and_b64 s[20:21], s[8:9], s[10:11]
	s_and_saveexec_b64 s[10:11], s[20:21]
	s_cbranch_execz .LBB114_229
.LBB114_225:
	s_and_b64 vcc, exec, s[0:1]
	s_cbranch_vccnz .LBB114_227
; %bb.226:
	v_lshl_add_u64 v[10:11], v[6:7], 3, v[10:11]
	flat_load_dwordx2 v[10:11], v[10:11]
	s_waitcnt vmcnt(0) lgkmcnt(0)
	v_mul_f64 v[10:11], s[16:17], v[10:11]
	s_branch .LBB114_228
.LBB114_227:
	v_mov_b64_e32 v[10:11], 0
.LBB114_228:
	v_cvt_f32_f64_e32 v10, v[10:11]
	v_max_f32_e32 v11, v112, v112
	v_min_f32_e32 v10, v10, v11
	v_cvt_f64_f32_e32 v[10:11], v10
	v_lshl_add_u64 v[8:9], v[6:7], 3, v[8:9]
	global_store_dwordx2 v[8:9], v[10:11], off
.LBB114_229:
	s_or_b64 exec, exec, s[10:11]
	v_add_u32_e32 v12, 0x48, v14
	v_mad_i64_i32 v[8:9], s[20:21], v12, s25, 0
	v_cmp_gt_i32_e64 s[10:11], s13, v12
	v_lshl_add_u64 v[10:11], v[8:9], 3, s[18:19]
	v_mad_i64_i32 v[8:9], s[20:21], v12, s24, 0
	v_lshl_add_u64 v[8:9], v[8:9], 3, s[14:15]
	s_and_b64 s[22:23], s[2:3], s[10:11]
	s_and_saveexec_b64 s[20:21], s[22:23]
	s_cbranch_execnz .LBB114_233
; %bb.230:
	s_or_b64 exec, exec, s[20:21]
	s_and_b64 s[22:23], s[4:5], s[10:11]
	s_and_saveexec_b64 s[20:21], s[22:23]
	s_cbranch_execnz .LBB114_237
.LBB114_231:
	s_or_b64 exec, exec, s[20:21]
	s_and_b64 s[22:23], s[6:7], s[10:11]
	s_and_saveexec_b64 s[20:21], s[22:23]
	s_cbranch_execnz .LBB114_241
.LBB114_232:
	s_or_b64 exec, exec, s[20:21]
	s_and_b64 s[20:21], s[8:9], s[10:11]
	s_and_saveexec_b64 s[10:11], s[20:21]
	s_cbranch_execnz .LBB114_245
	s_branch .LBB114_249
.LBB114_233:
	s_and_b64 vcc, exec, s[0:1]
	s_cbranch_vccnz .LBB114_235
; %bb.234:
	v_lshl_add_u64 v[12:13], v[0:1], 3, v[10:11]
	flat_load_dwordx2 v[12:13], v[12:13]
	s_waitcnt vmcnt(0) lgkmcnt(0)
	v_mul_f64 v[12:13], s[16:17], v[12:13]
	s_branch .LBB114_236
.LBB114_235:
	v_mov_b64_e32 v[12:13], 0
.LBB114_236:
	v_cvt_f32_f64_e32 v12, v[12:13]
	v_max_f32_e32 v13, v111, v111
	v_min_f32_e32 v12, v12, v13
	v_cvt_f64_f32_e32 v[12:13], v12
	v_lshl_add_u64 v[16:17], v[0:1], 3, v[8:9]
	global_store_dwordx2 v[16:17], v[12:13], off
	s_or_b64 exec, exec, s[20:21]
	s_and_b64 s[22:23], s[4:5], s[10:11]
	s_and_saveexec_b64 s[20:21], s[22:23]
	s_cbranch_execz .LBB114_231
.LBB114_237:
	s_and_b64 vcc, exec, s[0:1]
	s_cbranch_vccnz .LBB114_239
; %bb.238:
	v_lshl_add_u64 v[12:13], v[2:3], 3, v[10:11]
	flat_load_dwordx2 v[12:13], v[12:13]
	s_waitcnt vmcnt(0) lgkmcnt(0)
	v_mul_f64 v[12:13], s[16:17], v[12:13]
	s_branch .LBB114_240
.LBB114_239:
	v_mov_b64_e32 v[12:13], 0
.LBB114_240:
	v_cvt_f32_f64_e32 v12, v[12:13]
	v_max_f32_e32 v13, v110, v110
	v_min_f32_e32 v12, v12, v13
	v_cvt_f64_f32_e32 v[12:13], v12
	v_lshl_add_u64 v[16:17], v[2:3], 3, v[8:9]
	global_store_dwordx2 v[16:17], v[12:13], off
	s_or_b64 exec, exec, s[20:21]
	s_and_b64 s[22:23], s[6:7], s[10:11]
	s_and_saveexec_b64 s[20:21], s[22:23]
	s_cbranch_execz .LBB114_232
.LBB114_241:
	s_and_b64 vcc, exec, s[0:1]
	s_cbranch_vccnz .LBB114_243
; %bb.242:
	v_lshl_add_u64 v[12:13], v[4:5], 3, v[10:11]
	flat_load_dwordx2 v[12:13], v[12:13]
	s_waitcnt vmcnt(0) lgkmcnt(0)
	v_mul_f64 v[12:13], s[16:17], v[12:13]
	s_branch .LBB114_244
.LBB114_243:
	v_mov_b64_e32 v[12:13], 0
.LBB114_244:
	v_cvt_f32_f64_e32 v12, v[12:13]
	v_max_f32_e32 v13, v109, v109
	v_min_f32_e32 v12, v12, v13
	v_cvt_f64_f32_e32 v[12:13], v12
	v_lshl_add_u64 v[16:17], v[4:5], 3, v[8:9]
	global_store_dwordx2 v[16:17], v[12:13], off
	s_or_b64 exec, exec, s[20:21]
	s_and_b64 s[20:21], s[8:9], s[10:11]
	s_and_saveexec_b64 s[10:11], s[20:21]
	s_cbranch_execz .LBB114_249
.LBB114_245:
	s_and_b64 vcc, exec, s[0:1]
	s_cbranch_vccnz .LBB114_247
; %bb.246:
	v_lshl_add_u64 v[10:11], v[6:7], 3, v[10:11]
	flat_load_dwordx2 v[10:11], v[10:11]
	s_waitcnt vmcnt(0) lgkmcnt(0)
	v_mul_f64 v[10:11], s[16:17], v[10:11]
	s_branch .LBB114_248
.LBB114_247:
	v_mov_b64_e32 v[10:11], 0
.LBB114_248:
	v_cvt_f32_f64_e32 v10, v[10:11]
	v_max_f32_e32 v11, v108, v108
	v_min_f32_e32 v10, v10, v11
	v_cvt_f64_f32_e32 v[10:11], v10
	v_lshl_add_u64 v[8:9], v[6:7], 3, v[8:9]
	global_store_dwordx2 v[8:9], v[10:11], off
.LBB114_249:
	s_or_b64 exec, exec, s[10:11]
	v_add_u32_e32 v12, 0x50, v14
	v_mad_i64_i32 v[8:9], s[20:21], v12, s25, 0
	v_cmp_gt_i32_e64 s[10:11], s13, v12
	v_lshl_add_u64 v[10:11], v[8:9], 3, s[18:19]
	v_mad_i64_i32 v[8:9], s[20:21], v12, s24, 0
	v_lshl_add_u64 v[8:9], v[8:9], 3, s[14:15]
	s_and_b64 s[22:23], s[2:3], s[10:11]
	s_and_saveexec_b64 s[20:21], s[22:23]
	s_cbranch_execnz .LBB114_253
; %bb.250:
	s_or_b64 exec, exec, s[20:21]
	s_and_b64 s[22:23], s[4:5], s[10:11]
	s_and_saveexec_b64 s[20:21], s[22:23]
	s_cbranch_execnz .LBB114_257
.LBB114_251:
	s_or_b64 exec, exec, s[20:21]
	s_and_b64 s[22:23], s[6:7], s[10:11]
	s_and_saveexec_b64 s[20:21], s[22:23]
	s_cbranch_execnz .LBB114_261
.LBB114_252:
	s_or_b64 exec, exec, s[20:21]
	s_and_b64 s[20:21], s[8:9], s[10:11]
	s_and_saveexec_b64 s[10:11], s[20:21]
	s_cbranch_execnz .LBB114_265
	s_branch .LBB114_269
.LBB114_253:
	s_and_b64 vcc, exec, s[0:1]
	s_cbranch_vccnz .LBB114_255
; %bb.254:
	v_lshl_add_u64 v[12:13], v[0:1], 3, v[10:11]
	flat_load_dwordx2 v[12:13], v[12:13]
	s_waitcnt vmcnt(0) lgkmcnt(0)
	v_mul_f64 v[12:13], s[16:17], v[12:13]
	s_branch .LBB114_256
.LBB114_255:
	v_mov_b64_e32 v[12:13], 0
.LBB114_256:
	v_cvt_f32_f64_e32 v12, v[12:13]
	v_max_f32_e32 v13, v107, v107
	v_min_f32_e32 v12, v12, v13
	v_cvt_f64_f32_e32 v[12:13], v12
	v_lshl_add_u64 v[16:17], v[0:1], 3, v[8:9]
	global_store_dwordx2 v[16:17], v[12:13], off
	s_or_b64 exec, exec, s[20:21]
	s_and_b64 s[22:23], s[4:5], s[10:11]
	s_and_saveexec_b64 s[20:21], s[22:23]
	s_cbranch_execz .LBB114_251
.LBB114_257:
	s_and_b64 vcc, exec, s[0:1]
	s_cbranch_vccnz .LBB114_259
; %bb.258:
	v_lshl_add_u64 v[12:13], v[2:3], 3, v[10:11]
	flat_load_dwordx2 v[12:13], v[12:13]
	s_waitcnt vmcnt(0) lgkmcnt(0)
	v_mul_f64 v[12:13], s[16:17], v[12:13]
	s_branch .LBB114_260
.LBB114_259:
	v_mov_b64_e32 v[12:13], 0
.LBB114_260:
	v_cvt_f32_f64_e32 v12, v[12:13]
	v_max_f32_e32 v13, v106, v106
	v_min_f32_e32 v12, v12, v13
	v_cvt_f64_f32_e32 v[12:13], v12
	v_lshl_add_u64 v[16:17], v[2:3], 3, v[8:9]
	global_store_dwordx2 v[16:17], v[12:13], off
	s_or_b64 exec, exec, s[20:21]
	s_and_b64 s[22:23], s[6:7], s[10:11]
	s_and_saveexec_b64 s[20:21], s[22:23]
	s_cbranch_execz .LBB114_252
.LBB114_261:
	s_and_b64 vcc, exec, s[0:1]
	s_cbranch_vccnz .LBB114_263
; %bb.262:
	v_lshl_add_u64 v[12:13], v[4:5], 3, v[10:11]
	flat_load_dwordx2 v[12:13], v[12:13]
	s_waitcnt vmcnt(0) lgkmcnt(0)
	v_mul_f64 v[12:13], s[16:17], v[12:13]
	s_branch .LBB114_264
.LBB114_263:
	v_mov_b64_e32 v[12:13], 0
.LBB114_264:
	v_cvt_f32_f64_e32 v12, v[12:13]
	v_max_f32_e32 v13, v105, v105
	v_min_f32_e32 v12, v12, v13
	v_cvt_f64_f32_e32 v[12:13], v12
	v_lshl_add_u64 v[16:17], v[4:5], 3, v[8:9]
	global_store_dwordx2 v[16:17], v[12:13], off
	s_or_b64 exec, exec, s[20:21]
	s_and_b64 s[20:21], s[8:9], s[10:11]
	s_and_saveexec_b64 s[10:11], s[20:21]
	s_cbranch_execz .LBB114_269
.LBB114_265:
	s_and_b64 vcc, exec, s[0:1]
	s_cbranch_vccnz .LBB114_267
; %bb.266:
	v_lshl_add_u64 v[10:11], v[6:7], 3, v[10:11]
	flat_load_dwordx2 v[10:11], v[10:11]
	s_waitcnt vmcnt(0) lgkmcnt(0)
	v_mul_f64 v[10:11], s[16:17], v[10:11]
	s_branch .LBB114_268
.LBB114_267:
	v_mov_b64_e32 v[10:11], 0
.LBB114_268:
	v_cvt_f32_f64_e32 v10, v[10:11]
	v_max_f32_e32 v11, v104, v104
	v_min_f32_e32 v10, v10, v11
	v_cvt_f64_f32_e32 v[10:11], v10
	v_lshl_add_u64 v[8:9], v[6:7], 3, v[8:9]
	global_store_dwordx2 v[8:9], v[10:11], off
.LBB114_269:
	s_or_b64 exec, exec, s[10:11]
	v_add_u32_e32 v12, 0x58, v14
	v_mad_i64_i32 v[8:9], s[20:21], v12, s25, 0
	v_cmp_gt_i32_e64 s[10:11], s13, v12
	v_lshl_add_u64 v[10:11], v[8:9], 3, s[18:19]
	v_mad_i64_i32 v[8:9], s[20:21], v12, s24, 0
	v_lshl_add_u64 v[8:9], v[8:9], 3, s[14:15]
	s_and_b64 s[22:23], s[2:3], s[10:11]
	s_and_saveexec_b64 s[20:21], s[22:23]
	s_cbranch_execnz .LBB114_273
; %bb.270:
	s_or_b64 exec, exec, s[20:21]
	s_and_b64 s[22:23], s[4:5], s[10:11]
	s_and_saveexec_b64 s[20:21], s[22:23]
	s_cbranch_execnz .LBB114_277
.LBB114_271:
	s_or_b64 exec, exec, s[20:21]
	s_and_b64 s[22:23], s[6:7], s[10:11]
	s_and_saveexec_b64 s[20:21], s[22:23]
	s_cbranch_execnz .LBB114_281
.LBB114_272:
	s_or_b64 exec, exec, s[20:21]
	s_and_b64 s[20:21], s[8:9], s[10:11]
	s_and_saveexec_b64 s[10:11], s[20:21]
	s_cbranch_execnz .LBB114_285
	s_branch .LBB114_289
.LBB114_273:
	s_and_b64 vcc, exec, s[0:1]
	s_cbranch_vccnz .LBB114_275
; %bb.274:
	v_lshl_add_u64 v[12:13], v[0:1], 3, v[10:11]
	flat_load_dwordx2 v[12:13], v[12:13]
	s_waitcnt vmcnt(0) lgkmcnt(0)
	v_mul_f64 v[12:13], s[16:17], v[12:13]
	s_branch .LBB114_276
.LBB114_275:
	v_mov_b64_e32 v[12:13], 0
.LBB114_276:
	v_cvt_f32_f64_e32 v12, v[12:13]
	v_max_f32_e32 v13, v103, v103
	v_min_f32_e32 v12, v12, v13
	v_cvt_f64_f32_e32 v[12:13], v12
	v_lshl_add_u64 v[16:17], v[0:1], 3, v[8:9]
	global_store_dwordx2 v[16:17], v[12:13], off
	s_or_b64 exec, exec, s[20:21]
	s_and_b64 s[22:23], s[4:5], s[10:11]
	s_and_saveexec_b64 s[20:21], s[22:23]
	s_cbranch_execz .LBB114_271
.LBB114_277:
	s_and_b64 vcc, exec, s[0:1]
	s_cbranch_vccnz .LBB114_279
; %bb.278:
	v_lshl_add_u64 v[12:13], v[2:3], 3, v[10:11]
	flat_load_dwordx2 v[12:13], v[12:13]
	s_waitcnt vmcnt(0) lgkmcnt(0)
	v_mul_f64 v[12:13], s[16:17], v[12:13]
	s_branch .LBB114_280
.LBB114_279:
	v_mov_b64_e32 v[12:13], 0
.LBB114_280:
	v_cvt_f32_f64_e32 v12, v[12:13]
	v_max_f32_e32 v13, v102, v102
	v_min_f32_e32 v12, v12, v13
	v_cvt_f64_f32_e32 v[12:13], v12
	v_lshl_add_u64 v[16:17], v[2:3], 3, v[8:9]
	global_store_dwordx2 v[16:17], v[12:13], off
	s_or_b64 exec, exec, s[20:21]
	s_and_b64 s[22:23], s[6:7], s[10:11]
	s_and_saveexec_b64 s[20:21], s[22:23]
	s_cbranch_execz .LBB114_272
.LBB114_281:
	s_and_b64 vcc, exec, s[0:1]
	s_cbranch_vccnz .LBB114_283
; %bb.282:
	v_lshl_add_u64 v[12:13], v[4:5], 3, v[10:11]
	flat_load_dwordx2 v[12:13], v[12:13]
	s_waitcnt vmcnt(0) lgkmcnt(0)
	v_mul_f64 v[12:13], s[16:17], v[12:13]
	s_branch .LBB114_284
.LBB114_283:
	v_mov_b64_e32 v[12:13], 0
.LBB114_284:
	v_cvt_f32_f64_e32 v12, v[12:13]
	v_max_f32_e32 v13, v101, v101
	v_min_f32_e32 v12, v12, v13
	v_cvt_f64_f32_e32 v[12:13], v12
	v_lshl_add_u64 v[16:17], v[4:5], 3, v[8:9]
	global_store_dwordx2 v[16:17], v[12:13], off
	s_or_b64 exec, exec, s[20:21]
	s_and_b64 s[20:21], s[8:9], s[10:11]
	s_and_saveexec_b64 s[10:11], s[20:21]
	s_cbranch_execz .LBB114_289
.LBB114_285:
	s_and_b64 vcc, exec, s[0:1]
	s_cbranch_vccnz .LBB114_287
; %bb.286:
	v_lshl_add_u64 v[10:11], v[6:7], 3, v[10:11]
	flat_load_dwordx2 v[10:11], v[10:11]
	s_waitcnt vmcnt(0) lgkmcnt(0)
	v_mul_f64 v[10:11], s[16:17], v[10:11]
	s_branch .LBB114_288
.LBB114_287:
	v_mov_b64_e32 v[10:11], 0
.LBB114_288:
	v_cvt_f32_f64_e32 v10, v[10:11]
	v_max_f32_e32 v11, v100, v100
	v_min_f32_e32 v10, v10, v11
	v_cvt_f64_f32_e32 v[10:11], v10
	v_lshl_add_u64 v[8:9], v[6:7], 3, v[8:9]
	global_store_dwordx2 v[8:9], v[10:11], off
.LBB114_289:
	s_or_b64 exec, exec, s[10:11]
	v_add_u32_e32 v12, 0x60, v14
	v_mad_i64_i32 v[8:9], s[20:21], v12, s25, 0
	v_cmp_gt_i32_e64 s[10:11], s13, v12
	v_lshl_add_u64 v[10:11], v[8:9], 3, s[18:19]
	v_mad_i64_i32 v[8:9], s[20:21], v12, s24, 0
	v_lshl_add_u64 v[8:9], v[8:9], 3, s[14:15]
	s_and_b64 s[22:23], s[2:3], s[10:11]
	s_and_saveexec_b64 s[20:21], s[22:23]
	s_cbranch_execnz .LBB114_293
; %bb.290:
	s_or_b64 exec, exec, s[20:21]
	s_and_b64 s[22:23], s[4:5], s[10:11]
	s_and_saveexec_b64 s[20:21], s[22:23]
	s_cbranch_execnz .LBB114_297
.LBB114_291:
	s_or_b64 exec, exec, s[20:21]
	s_and_b64 s[22:23], s[6:7], s[10:11]
	s_and_saveexec_b64 s[20:21], s[22:23]
	s_cbranch_execnz .LBB114_301
.LBB114_292:
	s_or_b64 exec, exec, s[20:21]
	s_and_b64 s[20:21], s[8:9], s[10:11]
	s_and_saveexec_b64 s[10:11], s[20:21]
	s_cbranch_execnz .LBB114_305
	s_branch .LBB114_309
.LBB114_293:
	s_and_b64 vcc, exec, s[0:1]
	s_cbranch_vccnz .LBB114_295
; %bb.294:
	v_lshl_add_u64 v[12:13], v[0:1], 3, v[10:11]
	flat_load_dwordx2 v[12:13], v[12:13]
	s_waitcnt vmcnt(0) lgkmcnt(0)
	v_mul_f64 v[12:13], s[16:17], v[12:13]
	s_branch .LBB114_296
.LBB114_295:
	v_mov_b64_e32 v[12:13], 0
.LBB114_296:
	v_cvt_f32_f64_e32 v12, v[12:13]
	v_max_f32_e32 v13, v99, v99
	v_min_f32_e32 v12, v12, v13
	v_cvt_f64_f32_e32 v[12:13], v12
	v_lshl_add_u64 v[16:17], v[0:1], 3, v[8:9]
	global_store_dwordx2 v[16:17], v[12:13], off
	s_or_b64 exec, exec, s[20:21]
	s_and_b64 s[22:23], s[4:5], s[10:11]
	s_and_saveexec_b64 s[20:21], s[22:23]
	s_cbranch_execz .LBB114_291
.LBB114_297:
	s_and_b64 vcc, exec, s[0:1]
	s_cbranch_vccnz .LBB114_299
; %bb.298:
	v_lshl_add_u64 v[12:13], v[2:3], 3, v[10:11]
	flat_load_dwordx2 v[12:13], v[12:13]
	s_waitcnt vmcnt(0) lgkmcnt(0)
	v_mul_f64 v[12:13], s[16:17], v[12:13]
	s_branch .LBB114_300
.LBB114_299:
	v_mov_b64_e32 v[12:13], 0
.LBB114_300:
	v_cvt_f32_f64_e32 v12, v[12:13]
	v_max_f32_e32 v13, v98, v98
	v_min_f32_e32 v12, v12, v13
	v_cvt_f64_f32_e32 v[12:13], v12
	v_lshl_add_u64 v[16:17], v[2:3], 3, v[8:9]
	global_store_dwordx2 v[16:17], v[12:13], off
	s_or_b64 exec, exec, s[20:21]
	s_and_b64 s[22:23], s[6:7], s[10:11]
	s_and_saveexec_b64 s[20:21], s[22:23]
	s_cbranch_execz .LBB114_292
.LBB114_301:
	s_and_b64 vcc, exec, s[0:1]
	s_cbranch_vccnz .LBB114_303
; %bb.302:
	v_lshl_add_u64 v[12:13], v[4:5], 3, v[10:11]
	flat_load_dwordx2 v[12:13], v[12:13]
	s_waitcnt vmcnt(0) lgkmcnt(0)
	v_mul_f64 v[12:13], s[16:17], v[12:13]
	s_branch .LBB114_304
.LBB114_303:
	v_mov_b64_e32 v[12:13], 0
.LBB114_304:
	v_cvt_f32_f64_e32 v12, v[12:13]
	v_max_f32_e32 v13, v97, v97
	v_min_f32_e32 v12, v12, v13
	v_cvt_f64_f32_e32 v[12:13], v12
	v_lshl_add_u64 v[16:17], v[4:5], 3, v[8:9]
	global_store_dwordx2 v[16:17], v[12:13], off
	s_or_b64 exec, exec, s[20:21]
	s_and_b64 s[20:21], s[8:9], s[10:11]
	s_and_saveexec_b64 s[10:11], s[20:21]
	s_cbranch_execz .LBB114_309
.LBB114_305:
	s_and_b64 vcc, exec, s[0:1]
	s_cbranch_vccnz .LBB114_307
; %bb.306:
	v_lshl_add_u64 v[10:11], v[6:7], 3, v[10:11]
	flat_load_dwordx2 v[10:11], v[10:11]
	s_waitcnt vmcnt(0) lgkmcnt(0)
	v_mul_f64 v[10:11], s[16:17], v[10:11]
	s_branch .LBB114_308
.LBB114_307:
	v_mov_b64_e32 v[10:11], 0
.LBB114_308:
	v_cvt_f32_f64_e32 v10, v[10:11]
	v_max_f32_e32 v11, v96, v96
	v_min_f32_e32 v10, v10, v11
	v_cvt_f64_f32_e32 v[10:11], v10
	v_lshl_add_u64 v[8:9], v[6:7], 3, v[8:9]
	global_store_dwordx2 v[8:9], v[10:11], off
.LBB114_309:
	s_or_b64 exec, exec, s[10:11]
	v_add_u32_e32 v12, 0x68, v14
	v_mad_i64_i32 v[8:9], s[20:21], v12, s25, 0
	v_cmp_gt_i32_e64 s[10:11], s13, v12
	v_lshl_add_u64 v[10:11], v[8:9], 3, s[18:19]
	v_mad_i64_i32 v[8:9], s[20:21], v12, s24, 0
	v_lshl_add_u64 v[8:9], v[8:9], 3, s[14:15]
	s_and_b64 s[22:23], s[2:3], s[10:11]
	s_and_saveexec_b64 s[20:21], s[22:23]
	s_cbranch_execnz .LBB114_313
; %bb.310:
	s_or_b64 exec, exec, s[20:21]
	s_and_b64 s[22:23], s[4:5], s[10:11]
	s_and_saveexec_b64 s[20:21], s[22:23]
	s_cbranch_execnz .LBB114_317
.LBB114_311:
	s_or_b64 exec, exec, s[20:21]
	s_and_b64 s[22:23], s[6:7], s[10:11]
	s_and_saveexec_b64 s[20:21], s[22:23]
	s_cbranch_execnz .LBB114_321
.LBB114_312:
	s_or_b64 exec, exec, s[20:21]
	s_and_b64 s[20:21], s[8:9], s[10:11]
	s_and_saveexec_b64 s[10:11], s[20:21]
	s_cbranch_execnz .LBB114_325
	s_branch .LBB114_329
.LBB114_313:
	s_and_b64 vcc, exec, s[0:1]
	s_cbranch_vccnz .LBB114_315
; %bb.314:
	v_lshl_add_u64 v[12:13], v[0:1], 3, v[10:11]
	flat_load_dwordx2 v[12:13], v[12:13]
	s_waitcnt vmcnt(0) lgkmcnt(0)
	v_mul_f64 v[12:13], s[16:17], v[12:13]
	s_branch .LBB114_316
.LBB114_315:
	v_mov_b64_e32 v[12:13], 0
.LBB114_316:
	v_cvt_f32_f64_e32 v12, v[12:13]
	v_max_f32_e32 v13, v95, v95
	v_min_f32_e32 v12, v12, v13
	v_cvt_f64_f32_e32 v[12:13], v12
	v_lshl_add_u64 v[16:17], v[0:1], 3, v[8:9]
	global_store_dwordx2 v[16:17], v[12:13], off
	s_or_b64 exec, exec, s[20:21]
	s_and_b64 s[22:23], s[4:5], s[10:11]
	s_and_saveexec_b64 s[20:21], s[22:23]
	s_cbranch_execz .LBB114_311
.LBB114_317:
	s_and_b64 vcc, exec, s[0:1]
	s_cbranch_vccnz .LBB114_319
; %bb.318:
	v_lshl_add_u64 v[12:13], v[2:3], 3, v[10:11]
	flat_load_dwordx2 v[12:13], v[12:13]
	s_waitcnt vmcnt(0) lgkmcnt(0)
	v_mul_f64 v[12:13], s[16:17], v[12:13]
	s_branch .LBB114_320
.LBB114_319:
	v_mov_b64_e32 v[12:13], 0
.LBB114_320:
	v_cvt_f32_f64_e32 v12, v[12:13]
	v_max_f32_e32 v13, v94, v94
	v_min_f32_e32 v12, v12, v13
	v_cvt_f64_f32_e32 v[12:13], v12
	v_lshl_add_u64 v[16:17], v[2:3], 3, v[8:9]
	global_store_dwordx2 v[16:17], v[12:13], off
	s_or_b64 exec, exec, s[20:21]
	s_and_b64 s[22:23], s[6:7], s[10:11]
	s_and_saveexec_b64 s[20:21], s[22:23]
	s_cbranch_execz .LBB114_312
.LBB114_321:
	s_and_b64 vcc, exec, s[0:1]
	s_cbranch_vccnz .LBB114_323
; %bb.322:
	v_lshl_add_u64 v[12:13], v[4:5], 3, v[10:11]
	flat_load_dwordx2 v[12:13], v[12:13]
	s_waitcnt vmcnt(0) lgkmcnt(0)
	v_mul_f64 v[12:13], s[16:17], v[12:13]
	s_branch .LBB114_324
.LBB114_323:
	v_mov_b64_e32 v[12:13], 0
.LBB114_324:
	v_cvt_f32_f64_e32 v12, v[12:13]
	v_max_f32_e32 v13, v93, v93
	v_min_f32_e32 v12, v12, v13
	v_cvt_f64_f32_e32 v[12:13], v12
	v_lshl_add_u64 v[16:17], v[4:5], 3, v[8:9]
	global_store_dwordx2 v[16:17], v[12:13], off
	s_or_b64 exec, exec, s[20:21]
	s_and_b64 s[20:21], s[8:9], s[10:11]
	s_and_saveexec_b64 s[10:11], s[20:21]
	s_cbranch_execz .LBB114_329
.LBB114_325:
	s_and_b64 vcc, exec, s[0:1]
	s_cbranch_vccnz .LBB114_327
; %bb.326:
	v_lshl_add_u64 v[10:11], v[6:7], 3, v[10:11]
	flat_load_dwordx2 v[10:11], v[10:11]
	s_waitcnt vmcnt(0) lgkmcnt(0)
	v_mul_f64 v[10:11], s[16:17], v[10:11]
	s_branch .LBB114_328
.LBB114_327:
	v_mov_b64_e32 v[10:11], 0
.LBB114_328:
	v_cvt_f32_f64_e32 v10, v[10:11]
	v_max_f32_e32 v11, v92, v92
	v_min_f32_e32 v10, v10, v11
	v_cvt_f64_f32_e32 v[10:11], v10
	v_lshl_add_u64 v[8:9], v[6:7], 3, v[8:9]
	global_store_dwordx2 v[8:9], v[10:11], off
.LBB114_329:
	s_or_b64 exec, exec, s[10:11]
	v_add_u32_e32 v12, 0x70, v14
	v_mad_i64_i32 v[8:9], s[20:21], v12, s25, 0
	v_cmp_gt_i32_e64 s[10:11], s13, v12
	v_lshl_add_u64 v[10:11], v[8:9], 3, s[18:19]
	v_mad_i64_i32 v[8:9], s[20:21], v12, s24, 0
	v_lshl_add_u64 v[8:9], v[8:9], 3, s[14:15]
	s_and_b64 s[22:23], s[2:3], s[10:11]
	s_and_saveexec_b64 s[20:21], s[22:23]
	s_cbranch_execnz .LBB114_333
; %bb.330:
	s_or_b64 exec, exec, s[20:21]
	s_and_b64 s[22:23], s[4:5], s[10:11]
	s_and_saveexec_b64 s[20:21], s[22:23]
	s_cbranch_execnz .LBB114_337
.LBB114_331:
	s_or_b64 exec, exec, s[20:21]
	s_and_b64 s[22:23], s[6:7], s[10:11]
	s_and_saveexec_b64 s[20:21], s[22:23]
	s_cbranch_execnz .LBB114_341
.LBB114_332:
	s_or_b64 exec, exec, s[20:21]
	s_and_b64 s[20:21], s[8:9], s[10:11]
	s_and_saveexec_b64 s[10:11], s[20:21]
	s_cbranch_execnz .LBB114_345
	s_branch .LBB114_349
.LBB114_333:
	s_and_b64 vcc, exec, s[0:1]
	s_cbranch_vccnz .LBB114_335
; %bb.334:
	v_lshl_add_u64 v[12:13], v[0:1], 3, v[10:11]
	flat_load_dwordx2 v[12:13], v[12:13]
	s_waitcnt vmcnt(0) lgkmcnt(0)
	v_mul_f64 v[12:13], s[16:17], v[12:13]
	v_cvt_f32_f64_e32 v12, v[12:13]
	s_branch .LBB114_336
.LBB114_335:
	v_mov_b32_e32 v12, 0
.LBB114_336:
	v_max_f32_e32 v13, v91, v91
	v_max_f32_e32 v12, v12, v12
	v_min_f32_e32 v12, v12, v13
	v_cvt_f64_f32_e32 v[12:13], v12
	v_lshl_add_u64 v[16:17], v[0:1], 3, v[8:9]
	global_store_dwordx2 v[16:17], v[12:13], off
	s_or_b64 exec, exec, s[20:21]
	s_and_b64 s[22:23], s[4:5], s[10:11]
	s_and_saveexec_b64 s[20:21], s[22:23]
	s_cbranch_execz .LBB114_331
.LBB114_337:
	s_and_b64 vcc, exec, s[0:1]
	s_cbranch_vccnz .LBB114_339
; %bb.338:
	v_lshl_add_u64 v[12:13], v[2:3], 3, v[10:11]
	flat_load_dwordx2 v[12:13], v[12:13]
	s_waitcnt vmcnt(0) lgkmcnt(0)
	v_mul_f64 v[12:13], s[16:17], v[12:13]
	v_cvt_f32_f64_e32 v12, v[12:13]
	s_branch .LBB114_340
.LBB114_339:
	v_mov_b32_e32 v12, 0
.LBB114_340:
	v_max_f32_e32 v13, v90, v90
	v_max_f32_e32 v12, v12, v12
	v_min_f32_e32 v12, v12, v13
	v_cvt_f64_f32_e32 v[12:13], v12
	v_lshl_add_u64 v[16:17], v[2:3], 3, v[8:9]
	global_store_dwordx2 v[16:17], v[12:13], off
	s_or_b64 exec, exec, s[20:21]
	s_and_b64 s[22:23], s[6:7], s[10:11]
	s_and_saveexec_b64 s[20:21], s[22:23]
	s_cbranch_execz .LBB114_332
.LBB114_341:
	s_and_b64 vcc, exec, s[0:1]
	s_cbranch_vccnz .LBB114_343
; %bb.342:
	v_lshl_add_u64 v[12:13], v[4:5], 3, v[10:11]
	flat_load_dwordx2 v[12:13], v[12:13]
	s_waitcnt vmcnt(0) lgkmcnt(0)
	v_mul_f64 v[12:13], s[16:17], v[12:13]
	v_cvt_f32_f64_e32 v12, v[12:13]
	s_branch .LBB114_344
.LBB114_343:
	v_mov_b32_e32 v12, 0
.LBB114_344:
	v_max_f32_e32 v13, v89, v89
	v_max_f32_e32 v12, v12, v12
	v_min_f32_e32 v12, v12, v13
	v_cvt_f64_f32_e32 v[12:13], v12
	v_lshl_add_u64 v[16:17], v[4:5], 3, v[8:9]
	global_store_dwordx2 v[16:17], v[12:13], off
	s_or_b64 exec, exec, s[20:21]
	s_and_b64 s[20:21], s[8:9], s[10:11]
	s_and_saveexec_b64 s[10:11], s[20:21]
	s_cbranch_execz .LBB114_349
.LBB114_345:
	s_and_b64 vcc, exec, s[0:1]
	s_cbranch_vccnz .LBB114_347
; %bb.346:
	v_lshl_add_u64 v[10:11], v[6:7], 3, v[10:11]
	flat_load_dwordx2 v[10:11], v[10:11]
	s_waitcnt vmcnt(0) lgkmcnt(0)
	v_mul_f64 v[10:11], s[16:17], v[10:11]
	v_cvt_f32_f64_e32 v10, v[10:11]
	s_branch .LBB114_348
.LBB114_347:
	v_mov_b32_e32 v10, 0
.LBB114_348:
	v_max_f32_e32 v11, v88, v88
	v_max_f32_e32 v10, v10, v10
	v_min_f32_e32 v10, v10, v11
	v_cvt_f64_f32_e32 v[10:11], v10
	v_lshl_add_u64 v[8:9], v[6:7], 3, v[8:9]
	global_store_dwordx2 v[8:9], v[10:11], off
.LBB114_349:
	s_or_b64 exec, exec, s[10:11]
	v_add_u32_e32 v12, 0x78, v14
	v_cmp_gt_i32_e64 s[10:11], s13, v12
	v_mad_i64_i32 v[8:9], s[12:13], v12, s25, 0
	v_lshl_add_u64 v[10:11], v[8:9], 3, s[18:19]
	v_mad_i64_i32 v[8:9], s[12:13], v12, s24, 0
	v_lshl_add_u64 v[8:9], v[8:9], 3, s[14:15]
	s_and_b64 s[12:13], s[2:3], s[10:11]
	s_and_saveexec_b64 s[2:3], s[12:13]
	s_cbranch_execnz .LBB114_354
; %bb.350:
	s_or_b64 exec, exec, s[2:3]
	s_and_b64 s[4:5], s[4:5], s[10:11]
	s_and_saveexec_b64 s[2:3], s[4:5]
	s_cbranch_execnz .LBB114_358
.LBB114_351:
	s_or_b64 exec, exec, s[2:3]
	s_and_b64 s[4:5], s[6:7], s[10:11]
	s_and_saveexec_b64 s[2:3], s[4:5]
	s_cbranch_execnz .LBB114_362
.LBB114_352:
	s_or_b64 exec, exec, s[2:3]
	s_and_b64 s[2:3], s[8:9], s[10:11]
	s_and_saveexec_b64 s[4:5], s[2:3]
	s_cbranch_execnz .LBB114_366
.LBB114_353:
	s_endpgm
.LBB114_354:
	s_and_b64 vcc, exec, s[0:1]
	s_cbranch_vccnz .LBB114_356
; %bb.355:
	v_lshl_add_u64 v[12:13], v[0:1], 3, v[10:11]
	flat_load_dwordx2 v[12:13], v[12:13]
	s_waitcnt vmcnt(0) lgkmcnt(0)
	v_mul_f64 v[12:13], s[16:17], v[12:13]
	v_cvt_f32_f64_e32 v12, v[12:13]
	s_branch .LBB114_357
.LBB114_356:
	v_mov_b32_e32 v12, 0
.LBB114_357:
	v_max_f32_e32 v13, v87, v87
	v_max_f32_e32 v12, v12, v12
	v_min_f32_e32 v12, v12, v13
	v_cvt_f64_f32_e32 v[12:13], v12
	v_lshl_add_u64 v[0:1], v[0:1], 3, v[8:9]
	global_store_dwordx2 v[0:1], v[12:13], off
	s_or_b64 exec, exec, s[2:3]
	s_and_b64 s[4:5], s[4:5], s[10:11]
	s_and_saveexec_b64 s[2:3], s[4:5]
	s_cbranch_execz .LBB114_351
.LBB114_358:
	s_and_b64 vcc, exec, s[0:1]
	s_cbranch_vccnz .LBB114_360
; %bb.359:
	v_lshl_add_u64 v[0:1], v[2:3], 3, v[10:11]
	flat_load_dwordx2 v[0:1], v[0:1]
	s_waitcnt vmcnt(0) lgkmcnt(0)
	v_mul_f64 v[0:1], s[16:17], v[0:1]
	v_cvt_f32_f64_e32 v0, v[0:1]
	s_branch .LBB114_361
.LBB114_360:
	v_mov_b32_e32 v0, 0
.LBB114_361:
	v_max_f32_e32 v1, v86, v86
	v_max_f32_e32 v0, v0, v0
	v_min_f32_e32 v0, v0, v1
	v_cvt_f64_f32_e32 v[0:1], v0
	v_lshl_add_u64 v[2:3], v[2:3], 3, v[8:9]
	global_store_dwordx2 v[2:3], v[0:1], off
	s_or_b64 exec, exec, s[2:3]
	s_and_b64 s[4:5], s[6:7], s[10:11]
	s_and_saveexec_b64 s[2:3], s[4:5]
	s_cbranch_execz .LBB114_352
.LBB114_362:
	s_and_b64 vcc, exec, s[0:1]
	s_cbranch_vccnz .LBB114_364
; %bb.363:
	v_lshl_add_u64 v[0:1], v[4:5], 3, v[10:11]
	flat_load_dwordx2 v[0:1], v[0:1]
	s_waitcnt vmcnt(0) lgkmcnt(0)
	v_mul_f64 v[0:1], s[16:17], v[0:1]
	v_cvt_f32_f64_e32 v0, v[0:1]
	s_branch .LBB114_365
.LBB114_364:
	v_mov_b32_e32 v0, 0
.LBB114_365:
	v_max_f32_e32 v1, v85, v85
	v_max_f32_e32 v0, v0, v0
	v_min_f32_e32 v0, v0, v1
	v_cvt_f64_f32_e32 v[0:1], v0
	v_lshl_add_u64 v[2:3], v[4:5], 3, v[8:9]
	global_store_dwordx2 v[2:3], v[0:1], off
	s_or_b64 exec, exec, s[2:3]
	s_and_b64 s[2:3], s[8:9], s[10:11]
	s_and_saveexec_b64 s[4:5], s[2:3]
	s_cbranch_execz .LBB114_353
.LBB114_366:
	s_and_b64 vcc, exec, s[0:1]
	s_cbranch_vccnz .LBB114_368
; %bb.367:
	v_lshl_add_u64 v[0:1], v[6:7], 3, v[10:11]
	flat_load_dwordx2 v[0:1], v[0:1]
	s_waitcnt vmcnt(0) lgkmcnt(0)
	v_mul_f64 v[0:1], s[16:17], v[0:1]
	v_cvt_f32_f64_e32 v0, v[0:1]
	s_branch .LBB114_369
.LBB114_368:
	v_mov_b32_e32 v0, 0
.LBB114_369:
	v_max_f32_e32 v1, v84, v84
	v_max_f32_e32 v0, v0, v0
	v_min_f32_e32 v0, v0, v1
	v_cvt_f64_f32_e32 v[0:1], v0
	v_lshl_add_u64 v[2:3], v[6:7], 3, v[8:9]
	global_store_dwordx2 v[2:3], v[0:1], off
	s_endpgm
	.section	.rodata,"a",@progbits
	.p2align	6, 0x0
	.amdhsa_kernel _ZN12_GLOBAL__N_120geam_min_plus_kernelId15HIP_vector_typeIdLj2EEdLi32ELi8ELi128ELi128ELi4ELi4ELi64ELi4ELi64ELc84ELc78ELb0ELb1ELb1EPKdKS4_KPdEEviiiT16_PT17_ilSA_ilS8_SA_ilPT18_ili26rocblas_geam_ex_operation_
		.amdhsa_group_segment_fixed_size 16384
		.amdhsa_private_segment_fixed_size 0
		.amdhsa_kernarg_size 136
		.amdhsa_user_sgpr_count 2
		.amdhsa_user_sgpr_dispatch_ptr 0
		.amdhsa_user_sgpr_queue_ptr 0
		.amdhsa_user_sgpr_kernarg_segment_ptr 1
		.amdhsa_user_sgpr_dispatch_id 0
		.amdhsa_user_sgpr_kernarg_preload_length 0
		.amdhsa_user_sgpr_kernarg_preload_offset 0
		.amdhsa_user_sgpr_private_segment_size 0
		.amdhsa_uses_dynamic_stack 0
		.amdhsa_enable_private_segment 0
		.amdhsa_system_sgpr_workgroup_id_x 1
		.amdhsa_system_sgpr_workgroup_id_y 0
		.amdhsa_system_sgpr_workgroup_id_z 1
		.amdhsa_system_sgpr_workgroup_info 0
		.amdhsa_system_vgpr_workitem_id 1
		.amdhsa_next_free_vgpr 174
		.amdhsa_next_free_sgpr 42
		.amdhsa_accum_offset 176
		.amdhsa_reserve_vcc 1
		.amdhsa_float_round_mode_32 0
		.amdhsa_float_round_mode_16_64 0
		.amdhsa_float_denorm_mode_32 3
		.amdhsa_float_denorm_mode_16_64 3
		.amdhsa_dx10_clamp 1
		.amdhsa_ieee_mode 1
		.amdhsa_fp16_overflow 0
		.amdhsa_tg_split 0
		.amdhsa_exception_fp_ieee_invalid_op 0
		.amdhsa_exception_fp_denorm_src 0
		.amdhsa_exception_fp_ieee_div_zero 0
		.amdhsa_exception_fp_ieee_overflow 0
		.amdhsa_exception_fp_ieee_underflow 0
		.amdhsa_exception_fp_ieee_inexact 0
		.amdhsa_exception_int_div_zero 0
	.end_amdhsa_kernel
	.section	.text._ZN12_GLOBAL__N_120geam_min_plus_kernelId15HIP_vector_typeIdLj2EEdLi32ELi8ELi128ELi128ELi4ELi4ELi64ELi4ELi64ELc84ELc78ELb0ELb1ELb1EPKdKS4_KPdEEviiiT16_PT17_ilSA_ilS8_SA_ilPT18_ili26rocblas_geam_ex_operation_,"axG",@progbits,_ZN12_GLOBAL__N_120geam_min_plus_kernelId15HIP_vector_typeIdLj2EEdLi32ELi8ELi128ELi128ELi4ELi4ELi64ELi4ELi64ELc84ELc78ELb0ELb1ELb1EPKdKS4_KPdEEviiiT16_PT17_ilSA_ilS8_SA_ilPT18_ili26rocblas_geam_ex_operation_,comdat
.Lfunc_end114:
	.size	_ZN12_GLOBAL__N_120geam_min_plus_kernelId15HIP_vector_typeIdLj2EEdLi32ELi8ELi128ELi128ELi4ELi4ELi64ELi4ELi64ELc84ELc78ELb0ELb1ELb1EPKdKS4_KPdEEviiiT16_PT17_ilSA_ilS8_SA_ilPT18_ili26rocblas_geam_ex_operation_, .Lfunc_end114-_ZN12_GLOBAL__N_120geam_min_plus_kernelId15HIP_vector_typeIdLj2EEdLi32ELi8ELi128ELi128ELi4ELi4ELi64ELi4ELi64ELc84ELc78ELb0ELb1ELb1EPKdKS4_KPdEEviiiT16_PT17_ilSA_ilS8_SA_ilPT18_ili26rocblas_geam_ex_operation_
                                        ; -- End function
	.section	.AMDGPU.csdata,"",@progbits
; Kernel info:
; codeLenInByte = 19384
; NumSgprs: 48
; NumVgprs: 174
; NumAgprs: 0
; TotalNumVgprs: 174
; ScratchSize: 0
; MemoryBound: 0
; FloatMode: 240
; IeeeMode: 1
; LDSByteSize: 16384 bytes/workgroup (compile time only)
; SGPRBlocks: 5
; VGPRBlocks: 21
; NumSGPRsForWavesPerEU: 48
; NumVGPRsForWavesPerEU: 174
; AccumOffset: 176
; Occupancy: 2
; WaveLimiterHint : 1
; COMPUTE_PGM_RSRC2:SCRATCH_EN: 0
; COMPUTE_PGM_RSRC2:USER_SGPR: 2
; COMPUTE_PGM_RSRC2:TRAP_HANDLER: 0
; COMPUTE_PGM_RSRC2:TGID_X_EN: 1
; COMPUTE_PGM_RSRC2:TGID_Y_EN: 0
; COMPUTE_PGM_RSRC2:TGID_Z_EN: 1
; COMPUTE_PGM_RSRC2:TIDIG_COMP_CNT: 1
; COMPUTE_PGM_RSRC3_GFX90A:ACCUM_OFFSET: 43
; COMPUTE_PGM_RSRC3_GFX90A:TG_SPLIT: 0
	.section	.text._ZN12_GLOBAL__N_120geam_min_plus_kernelId15HIP_vector_typeIdLj2EEdLi32ELi8ELi128ELi128ELi4ELi4ELi64ELi4ELi64ELc84ELc78ELb1ELb1ELb1EdKPKdKPdEEviiiT16_PT17_ilSA_ilS8_SA_ilPT18_ili26rocblas_geam_ex_operation_,"axG",@progbits,_ZN12_GLOBAL__N_120geam_min_plus_kernelId15HIP_vector_typeIdLj2EEdLi32ELi8ELi128ELi128ELi4ELi4ELi64ELi4ELi64ELc84ELc78ELb1ELb1ELb1EdKPKdKPdEEviiiT16_PT17_ilSA_ilS8_SA_ilPT18_ili26rocblas_geam_ex_operation_,comdat
	.globl	_ZN12_GLOBAL__N_120geam_min_plus_kernelId15HIP_vector_typeIdLj2EEdLi32ELi8ELi128ELi128ELi4ELi4ELi64ELi4ELi64ELc84ELc78ELb1ELb1ELb1EdKPKdKPdEEviiiT16_PT17_ilSA_ilS8_SA_ilPT18_ili26rocblas_geam_ex_operation_ ; -- Begin function _ZN12_GLOBAL__N_120geam_min_plus_kernelId15HIP_vector_typeIdLj2EEdLi32ELi8ELi128ELi128ELi4ELi4ELi64ELi4ELi64ELc84ELc78ELb1ELb1ELb1EdKPKdKPdEEviiiT16_PT17_ilSA_ilS8_SA_ilPT18_ili26rocblas_geam_ex_operation_
	.p2align	8
	.type	_ZN12_GLOBAL__N_120geam_min_plus_kernelId15HIP_vector_typeIdLj2EEdLi32ELi8ELi128ELi128ELi4ELi4ELi64ELi4ELi64ELc84ELc78ELb1ELb1ELb1EdKPKdKPdEEviiiT16_PT17_ilSA_ilS8_SA_ilPT18_ili26rocblas_geam_ex_operation_,@function
_ZN12_GLOBAL__N_120geam_min_plus_kernelId15HIP_vector_typeIdLj2EEdLi32ELi8ELi128ELi128ELi4ELi4ELi64ELi4ELi64ELc84ELc78ELb1ELb1ELb1EdKPKdKPdEEviiiT16_PT17_ilSA_ilS8_SA_ilPT18_ili26rocblas_geam_ex_operation_: ; @_ZN12_GLOBAL__N_120geam_min_plus_kernelId15HIP_vector_typeIdLj2EEdLi32ELi8ELi128ELi128ELi4ELi4ELi64ELi4ELi64ELc84ELc78ELb1ELb1ELb1EdKPKdKPdEEviiiT16_PT17_ilSA_ilS8_SA_ilPT18_ili26rocblas_geam_ex_operation_
; %bb.0:
	s_load_dwordx4 s[8:11], s[0:1], 0x10
	s_load_dwordx4 s[4:7], s[0:1], 0x28
	s_mov_b32 s26, s3
	s_mov_b64 s[22:23], 0
	s_waitcnt lgkmcnt(0)
	v_cmp_eq_f64_e64 s[16:17], s[8:9], 0
	s_and_b64 vcc, exec, s[16:17]
	s_cbranch_vccnz .LBB115_2
; %bb.1:
	s_mov_b32 s27, 0
	s_lshl_b64 s[8:9], s[26:27], 3
	s_add_u32 s8, s10, s8
	s_addc_u32 s9, s11, s9
	s_load_dwordx2 s[8:9], s[8:9], 0x0
	s_lshl_b64 s[4:5], s[4:5], 3
	s_waitcnt lgkmcnt(0)
	s_add_u32 s22, s8, s4
	s_addc_u32 s23, s9, s5
.LBB115_2:
	s_load_dwordx4 s[12:15], s[0:1], 0x40
	s_load_dwordx2 s[8:9], s[0:1], 0x50
	s_andn2_b64 vcc, exec, s[16:17]
	s_cbranch_vccnz .LBB115_4
; %bb.3:
	s_mov_b32 s27, 0
	s_mov_b64 s[24:25], 0
	s_cbranch_execz .LBB115_5
	s_branch .LBB115_6
.LBB115_4:
                                        ; implicit-def: $sgpr24_sgpr25
.LBB115_5:
	s_mov_b32 s27, 0
	s_lshl_b64 s[4:5], s[26:27], 3
	s_add_u32 s4, s6, s4
	s_addc_u32 s5, s7, s5
	s_load_dwordx2 s[4:5], s[4:5], 0x0
	s_waitcnt lgkmcnt(0)
	s_lshl_b64 s[6:7], s[12:13], 3
	s_add_u32 s24, s4, s6
	s_addc_u32 s25, s5, s7
.LBB115_6:
	s_load_dwordx4 s[4:7], s[0:1], 0x60
	s_waitcnt lgkmcnt(0)
	v_cmp_eq_f64_e64 s[10:11], s[14:15], 0
	s_mov_b64 s[12:13], 0
	v_cmp_neq_f64_e64 s[20:21], s[14:15], 0
	s_and_b64 vcc, exec, s[10:11]
	s_cbranch_vccnz .LBB115_8
; %bb.7:
	s_lshl_b64 s[10:11], s[26:27], 3
	s_add_u32 s8, s8, s10
	s_addc_u32 s9, s9, s11
	s_load_dwordx2 s[8:9], s[8:9], 0x0
	s_lshl_b64 s[4:5], s[4:5], 3
	s_waitcnt lgkmcnt(0)
	s_add_u32 s12, s8, s4
	s_addc_u32 s13, s9, s5
.LBB115_8:
	s_load_dwordx4 s[16:19], s[0:1], 0x0
	s_load_dword s34, s[0:1], 0x20
	s_lshl_b64 s[4:5], s[26:27], 3
	s_add_u32 s4, s6, s4
	s_addc_u32 s5, s7, s5
	s_waitcnt lgkmcnt(0)
	s_add_i32 s3, s16, -1
	s_ashr_i32 s6, s3, 31
	s_lshr_b32 s6, s6, 25
	s_add_i32 s3, s3, s6
	s_ashr_i32 s3, s3, 7
	s_add_i32 s9, s3, 1
	v_cvt_f32_u32_e32 v1, s9
	v_and_b32_e32 v151, 0x3ff, v0
	v_bfe_u32 v152, v0, 10, 10
	s_load_dwordx2 s[10:11], s[4:5], 0x0
	v_rcp_iflag_f32_e32 v1, v1
	s_not_b32 s3, s3
	v_and_b32_e32 v160, 3, v151
	s_mov_b32 s6, -1
	v_mul_f32_e32 v0, 0x4f7ffffe, v1
	v_cvt_u32_f32_e32 v0, v0
	v_lshl_add_u32 v1, v152, 5, v151
	v_lshrrev_b32_e32 v14, 2, v1
	v_cmp_le_i32_e32 vcc, s18, v160
	v_readfirstlane_b32 s4, v0
	s_mul_i32 s3, s3, s4
	s_mul_hi_u32 s3, s4, s3
	s_add_i32 s4, s4, s3
	s_mul_hi_u32 s3, s2, s4
	s_mul_i32 s4, s3, s9
	s_sub_i32 s4, s2, s4
	s_add_i32 s5, s3, 1
	s_sub_i32 s8, s4, s9
	s_cmp_ge_u32 s4, s9
	s_cselect_b32 s3, s5, s3
	s_cselect_b32 s4, s8, s4
	s_add_i32 s5, s3, 1
	s_cmp_ge_u32 s4, s9
	s_cselect_b32 s8, s5, s3
	s_mul_i32 s3, s8, s9
	s_sub_i32 s2, s2, s3
	s_lshl_b32 s19, s2, 7
	v_add_u32_e32 v80, s19, v14
	v_cmp_le_i32_e64 s[2:3], s16, v80
	s_mov_b32 s7, 0x7fefffff
	v_mov_b32_e32 v1, 0
	v_lshlrev_b32_e32 v0, 3, v160
	s_or_b64 s[4:5], vcc, s[2:3]
	v_lshl_add_u64 v[6:7], s[22:23], 0, v[0:1]
	s_xor_b64 s[26:27], s[4:5], -1
	v_mov_b64_e32 v[2:3], s[6:7]
	s_and_saveexec_b64 s[4:5], s[26:27]
	s_cbranch_execz .LBB115_10
; %bb.9:
	v_mad_i64_i32 v[2:3], s[26:27], v80, s34, 0
	v_lshl_add_u64 v[2:3], v[2:3], 3, v[6:7]
	flat_load_dwordx2 v[2:3], v[2:3]
.LBB115_10:
	s_or_b64 exec, exec, s[4:5]
	v_add_u32_e32 v81, 64, v80
	v_cmp_le_i32_e64 s[4:5], s16, v81
	s_or_b64 s[26:27], vcc, s[4:5]
	s_xor_b64 s[26:27], s[26:27], -1
	v_mov_b64_e32 v[4:5], s[6:7]
	s_and_saveexec_b64 s[6:7], s[26:27]
	s_cbranch_execz .LBB115_12
; %bb.11:
	v_mad_i64_i32 v[4:5], s[26:27], v81, s34, 0
	v_lshl_add_u64 v[4:5], v[4:5], 3, v[6:7]
	flat_load_dwordx2 v[4:5], v[4:5]
.LBB115_12:
	s_or_b64 exec, exec, s[6:7]
	s_load_dword s35, s[0:1], 0x38
	s_lshl_b32 s30, s8, 7
	v_add_u32_e32 v82, s30, v14
	v_cmp_le_i32_e64 s[6:7], s17, v82
	s_mov_b32 s26, -1
	v_mov_b32_e32 v1, 0
	s_or_b64 s[8:9], vcc, s[6:7]
	s_mov_b32 s27, 0x7fefffff
	v_lshl_add_u64 v[8:9], s[24:25], 0, v[0:1]
	s_xor_b64 s[28:29], s[8:9], -1
	v_mov_b64_e32 v[10:11], s[26:27]
	s_and_saveexec_b64 s[8:9], s[28:29]
	s_cbranch_execz .LBB115_14
; %bb.13:
	s_waitcnt lgkmcnt(0)
	v_mad_i64_i32 v[10:11], s[28:29], v82, s35, 0
	v_lshl_add_u64 v[10:11], v[10:11], 3, v[8:9]
	flat_load_dwordx2 v[10:11], v[10:11]
.LBB115_14:
	s_or_b64 exec, exec, s[8:9]
	v_add_u32_e32 v83, 64, v82
	v_cmp_le_i32_e64 s[8:9], s17, v83
	s_or_b64 s[28:29], vcc, s[8:9]
	s_xor_b64 s[28:29], s[28:29], -1
	v_mov_b64_e32 v[12:13], s[26:27]
	s_and_saveexec_b64 s[26:27], s[28:29]
	s_cbranch_execz .LBB115_16
; %bb.15:
	s_waitcnt lgkmcnt(0)
	v_mad_i64_i32 v[12:13], s[28:29], v83, s35, 0
	v_lshl_add_u64 v[12:13], v[12:13], 3, v[8:9]
	flat_load_dwordx2 v[12:13], v[12:13]
.LBB115_16:
	s_or_b64 exec, exec, s[26:27]
	v_or_b32_e32 v1, 4, v160
	v_cmp_le_i32_e32 vcc, s18, v1
	s_or_b64 s[26:27], vcc, s[2:3]
	s_xor_b64 s[36:37], s[26:27], -1
	s_mov_b32 s26, -1
	s_mov_b32 s27, 0x7fefffff
	v_mov_b64_e32 v[72:73], s[26:27]
	s_and_saveexec_b64 s[28:29], s[36:37]
	s_cbranch_execz .LBB115_18
; %bb.17:
	v_mad_i64_i32 v[16:17], s[36:37], v80, s34, 0
	v_lshl_add_u64 v[16:17], v[16:17], 3, v[6:7]
	flat_load_dwordx2 v[72:73], v[16:17] offset:32
.LBB115_18:
	s_or_b64 exec, exec, s[28:29]
	s_or_b64 s[28:29], vcc, s[4:5]
	s_xor_b64 s[28:29], s[28:29], -1
	v_mov_b64_e32 v[74:75], s[26:27]
	s_and_saveexec_b64 s[26:27], s[28:29]
	s_cbranch_execz .LBB115_20
; %bb.19:
	v_mad_i64_i32 v[16:17], s[28:29], v81, s34, 0
	v_lshl_add_u64 v[6:7], v[16:17], 3, v[6:7]
	flat_load_dwordx2 v[74:75], v[6:7] offset:32
.LBB115_20:
	s_or_b64 exec, exec, s[26:27]
	s_or_b64 s[26:27], vcc, s[6:7]
	s_xor_b64 s[36:37], s[26:27], -1
	s_mov_b32 s26, -1
	s_mov_b32 s27, 0x7fefffff
	v_mov_b64_e32 v[76:77], s[26:27]
	s_and_saveexec_b64 s[28:29], s[36:37]
	s_cbranch_execz .LBB115_22
; %bb.21:
	s_waitcnt lgkmcnt(0)
	v_mad_i64_i32 v[6:7], s[36:37], v82, s35, 0
	v_lshl_add_u64 v[6:7], v[6:7], 3, v[8:9]
	flat_load_dwordx2 v[76:77], v[6:7] offset:32
.LBB115_22:
	s_or_b64 exec, exec, s[28:29]
	s_or_b64 s[28:29], vcc, s[8:9]
	s_xor_b64 s[28:29], s[28:29], -1
	v_mov_b64_e32 v[78:79], s[26:27]
	s_and_saveexec_b64 s[26:27], s[28:29]
	s_cbranch_execz .LBB115_24
; %bb.23:
	s_waitcnt lgkmcnt(0)
	v_mad_i64_i32 v[6:7], s[28:29], v83, s35, 0
	v_lshl_add_u64 v[6:7], v[6:7], 3, v[8:9]
	flat_load_dwordx2 v[78:79], v[6:7] offset:32
.LBB115_24:
	s_or_b64 exec, exec, s[26:27]
	v_lshl_or_b32 v161, v14, 5, v0
	v_add_u32_e32 v162, 0x2000, v161
	s_mov_b32 s28, 0
	s_mov_b64 s[26:27], -1
	v_mov_b32_e32 v94, 0x7f800000
	v_mov_b32_e32 v95, 0x7f800000
	;; [unrolled: 1-line block ×64, first 2 shown]
	s_waitcnt vmcnt(0) lgkmcnt(0)
	ds_write2st64_b64 v161, v[2:3], v[4:5] offset1:4
	ds_write2st64_b64 v161, v[10:11], v[12:13] offset0:16 offset1:20
	s_waitcnt lgkmcnt(0)
	s_barrier
.LBB115_25:                             ; =>This Inner Loop Header: Depth=1
	v_cndmask_b32_e64 v0, 0, 1, s[26:27]
	s_lshl_b32 s26, s28, 3
	v_cmp_ne_u32_e32 vcc, 1, v0
	v_lshl_add_u32 v0, v151, 5, s26
	ds_read_b128 v[12:15], v0
	ds_read_b128 v[8:11], v0 offset:1024
	ds_read_b128 v[4:7], v0 offset:2048
	;; [unrolled: 1-line block ×3, first 2 shown]
	v_lshl_add_u32 v16, v152, 5, s26
	ds_read_b128 v[84:87], v16 offset:8192
	ds_read_b128 v[88:91], v16 offset:8448
	;; [unrolled: 1-line block ×16, first 2 shown]
	s_waitcnt lgkmcnt(14)
	v_add_f64 v[92:93], v[14:15], v[86:87]
	v_add_f64 v[164:165], v[12:13], v[84:85]
	v_cvt_f32_f64_e32 v163, v[164:165]
	v_cvt_f32_f64_e32 v92, v[92:93]
	v_min3_f32 v159, v163, v92, v159
	v_add_f64 v[92:93], v[10:11], v[86:87]
	v_add_f64 v[164:165], v[8:9], v[84:85]
	v_cvt_f32_f64_e32 v163, v[164:165]
	v_cvt_f32_f64_e32 v92, v[92:93]
	v_min3_f32 v158, v163, v92, v158
	v_add_f64 v[92:93], v[6:7], v[86:87]
	v_add_f64 v[164:165], v[4:5], v[84:85]
	;; [unrolled: 1-line block ×4, first 2 shown]
	v_cvt_f32_f64_e32 v84, v[84:85]
	v_cvt_f32_f64_e32 v85, v[86:87]
	v_min3_f32 v156, v84, v85, v156
	v_add_f64 v[84:85], v[14:15], v[90:91]
	v_add_f64 v[86:87], v[12:13], v[88:89]
	v_cvt_f32_f64_e32 v86, v[86:87]
	v_cvt_f32_f64_e32 v84, v[84:85]
	v_min3_f32 v155, v86, v84, v155
	v_add_f64 v[84:85], v[10:11], v[90:91]
	v_add_f64 v[86:87], v[8:9], v[88:89]
	;; [unrolled: 5-line block ×4, first 2 shown]
	v_cvt_f32_f64_e32 v86, v[86:87]
	v_cvt_f32_f64_e32 v84, v[84:85]
	v_min3_f32 v150, v86, v84, v150
	s_waitcnt lgkmcnt(13)
	v_add_f64 v[84:85], v[14:15], v[70:71]
	v_add_f64 v[86:87], v[12:13], v[68:69]
	v_cvt_f32_f64_e32 v86, v[86:87]
	v_cvt_f32_f64_e32 v84, v[84:85]
	v_min3_f32 v149, v86, v84, v149
	v_add_f64 v[84:85], v[10:11], v[70:71]
	v_add_f64 v[86:87], v[8:9], v[68:69]
	v_cvt_f32_f64_e32 v86, v[86:87]
	v_cvt_f32_f64_e32 v84, v[84:85]
	v_min3_f32 v148, v86, v84, v148
	v_add_f64 v[84:85], v[6:7], v[70:71]
	v_add_f64 v[86:87], v[4:5], v[68:69]
	v_add_f64 v[70:71], v[2:3], v[70:71]
	v_add_f64 v[68:69], v[0:1], v[68:69]
	v_cvt_f32_f64_e32 v68, v[68:69]
	v_cvt_f32_f64_e32 v69, v[70:71]
	v_min3_f32 v146, v68, v69, v146
	s_waitcnt lgkmcnt(12)
	v_add_f64 v[68:69], v[14:15], v[66:67]
	v_add_f64 v[70:71], v[12:13], v[64:65]
	v_cvt_f32_f64_e32 v70, v[70:71]
	v_cvt_f32_f64_e32 v68, v[68:69]
	v_min3_f32 v145, v70, v68, v145
	v_add_f64 v[68:69], v[10:11], v[66:67]
	v_add_f64 v[70:71], v[8:9], v[64:65]
	v_cvt_f32_f64_e32 v70, v[70:71]
	v_cvt_f32_f64_e32 v68, v[68:69]
	v_min3_f32 v144, v70, v68, v144
	v_add_f64 v[68:69], v[6:7], v[66:67]
	v_add_f64 v[70:71], v[4:5], v[64:65]
	v_add_f64 v[66:67], v[2:3], v[66:67]
	v_add_f64 v[64:65], v[0:1], v[64:65]
	;; [unrolled: 18-line block ×13, first 2 shown]
	s_waitcnt lgkmcnt(0)
	v_add_f64 v[14:15], v[14:15], v[18:19]
	v_add_f64 v[12:13], v[12:13], v[16:17]
	;; [unrolled: 1-line block ×8, first 2 shown]
	v_cvt_f32_f64_e32 v163, v[164:165]
	v_cvt_f32_f64_e32 v92, v[92:93]
	;; [unrolled: 1-line block ×38, first 2 shown]
	v_min3_f32 v157, v163, v92, v157
	v_min3_f32 v147, v86, v84, v147
	;; [unrolled: 1-line block ×19, first 2 shown]
	s_mov_b32 s28, 2
	s_mov_b64 s[26:27], 0
	s_cbranch_vccz .LBB115_25
; %bb.26:
	s_cmp_gt_i32 s18, 8
	s_mov_b32 s31, 8
	ds_write2st64_b64 v161, v[72:73], v[74:75] offset0:8 offset1:12
	ds_write2st64_b64 v161, v[76:77], v[78:79] offset0:24 offset1:28
	s_waitcnt lgkmcnt(0)
	s_barrier
	s_cbranch_scc0 .LBB115_49
; %bb.27:
	v_mad_i64_i32 v[68:69], s[26:27], v80, s34, 0
	v_mad_i64_i32 v[70:71], s[26:27], v81, s34, 0
	;; [unrolled: 1-line block ×4, first 2 shown]
	s_mov_b32 s26, -1
	v_add_u32_e32 v163, 0x1000, v161
	v_add_u32_e32 v164, 0x3000, v161
	s_add_i32 s33, s18, -8
	s_mov_b32 s34, 0
	v_mov_b32_e32 v77, 0
	s_mov_b32 s27, 0x7fefffff
.LBB115_28:                             ; =>This Loop Header: Depth=1
                                        ;     Child Loop BB115_37 Depth 2
                                        ;     Child Loop BB115_47 Depth 2
	v_or_b32_e32 v76, s31, v160
	v_cmp_le_i32_e32 vcc, s18, v76
	v_lshl_add_u64 v[0:1], v[76:77], 3, s[22:23]
	s_or_b64 s[28:29], s[2:3], vcc
	s_xor_b64 s[36:37], s[28:29], -1
	v_mov_b64_e32 v[86:87], s[26:27]
	v_lshl_add_u64 v[78:79], v[68:69], 3, v[0:1]
	s_and_saveexec_b64 s[28:29], s[36:37]
	s_cbranch_execz .LBB115_30
; %bb.29:                               ;   in Loop: Header=BB115_28 Depth=1
	flat_load_dwordx2 v[86:87], v[78:79]
.LBB115_30:                             ;   in Loop: Header=BB115_28 Depth=1
	s_or_b64 exec, exec, s[28:29]
	s_or_b64 s[28:29], s[4:5], vcc
	s_xor_b64 s[36:37], s[28:29], -1
	v_mov_b64_e32 v[88:89], s[26:27]
	v_lshl_add_u64 v[80:81], v[70:71], 3, v[0:1]
	s_and_saveexec_b64 s[28:29], s[36:37]
	s_cbranch_execz .LBB115_32
; %bb.31:                               ;   in Loop: Header=BB115_28 Depth=1
	flat_load_dwordx2 v[88:89], v[80:81]
.LBB115_32:                             ;   in Loop: Header=BB115_28 Depth=1
	s_or_b64 exec, exec, s[28:29]
	v_lshl_add_u64 v[0:1], v[76:77], 3, s[24:25]
	s_or_b64 s[28:29], s[6:7], vcc
	s_xor_b64 s[36:37], s[28:29], -1
	v_mov_b64_e32 v[90:91], s[26:27]
	v_lshl_add_u64 v[82:83], v[72:73], 3, v[0:1]
	s_and_saveexec_b64 s[28:29], s[36:37]
	s_cbranch_execz .LBB115_34
; %bb.33:                               ;   in Loop: Header=BB115_28 Depth=1
	flat_load_dwordx2 v[90:91], v[82:83]
.LBB115_34:                             ;   in Loop: Header=BB115_28 Depth=1
	s_or_b64 exec, exec, s[28:29]
	s_or_b64 s[28:29], s[8:9], vcc
	s_xor_b64 s[36:37], s[28:29], -1
	v_mov_b64_e32 v[92:93], s[26:27]
	v_lshl_add_u64 v[84:85], v[74:75], 3, v[0:1]
	s_and_saveexec_b64 s[28:29], s[36:37]
	s_cbranch_execz .LBB115_36
; %bb.35:                               ;   in Loop: Header=BB115_28 Depth=1
	flat_load_dwordx2 v[92:93], v[84:85]
.LBB115_36:                             ;   in Loop: Header=BB115_28 Depth=1
	s_or_b64 exec, exec, s[28:29]
	s_mov_b32 s35, 0
	s_mov_b64 s[28:29], -1
.LBB115_37:                             ;   Parent Loop BB115_28 Depth=1
                                        ; =>  This Inner Loop Header: Depth=2
	v_cndmask_b32_e64 v0, 0, 1, s[28:29]
	s_lshl_b32 s28, s35, 3
	v_cmp_ne_u32_e32 vcc, 1, v0
	v_lshl_add_u32 v0, v151, 5, s28
	ds_read_b128 v[12:15], v0 offset:4096
	ds_read_b128 v[8:11], v0 offset:5120
	;; [unrolled: 1-line block ×4, first 2 shown]
	v_lshl_add_u32 v16, v152, 5, s28
	ds_read_b128 v[166:169], v16 offset:12288
	ds_read_b128 v[170:173], v16 offset:12544
	;; [unrolled: 1-line block ×16, first 2 shown]
	s_waitcnt lgkmcnt(0)
	v_add_f64 v[178:179], v[14:15], v[168:169]
	v_add_f64 v[180:181], v[12:13], v[166:167]
	v_cvt_f32_f64_e32 v165, v[180:181]
	v_cvt_f32_f64_e32 v178, v[178:179]
	v_min3_f32 v159, v165, v178, v159
	v_add_f64 v[178:179], v[10:11], v[168:169]
	v_add_f64 v[180:181], v[8:9], v[166:167]
	v_cvt_f32_f64_e32 v165, v[180:181]
	v_cvt_f32_f64_e32 v178, v[178:179]
	v_min3_f32 v158, v165, v178, v158
	v_add_f64 v[178:179], v[6:7], v[168:169]
	v_add_f64 v[180:181], v[4:5], v[166:167]
	v_cvt_f32_f64_e32 v165, v[180:181]
	v_cvt_f32_f64_e32 v178, v[178:179]
	v_add_f64 v[168:169], v[2:3], v[168:169]
	v_add_f64 v[166:167], v[0:1], v[166:167]
	v_min3_f32 v157, v165, v178, v157
	v_cvt_f32_f64_e32 v165, v[166:167]
	v_cvt_f32_f64_e32 v166, v[168:169]
	v_min3_f32 v156, v165, v166, v156
	v_add_f64 v[166:167], v[14:15], v[172:173]
	v_add_f64 v[168:169], v[12:13], v[170:171]
	v_cvt_f32_f64_e32 v165, v[168:169]
	v_cvt_f32_f64_e32 v166, v[166:167]
	v_min3_f32 v155, v165, v166, v155
	v_add_f64 v[166:167], v[10:11], v[172:173]
	v_add_f64 v[168:169], v[8:9], v[170:171]
	;; [unrolled: 5-line block ×11, first 2 shown]
	v_add_f64 v[66:67], v[2:3], v[66:67]
	v_add_f64 v[64:65], v[0:1], v[64:65]
	v_cvt_f32_f64_e32 v64, v[64:65]
	v_cvt_f32_f64_e32 v65, v[66:67]
	v_min3_f32 v142, v64, v65, v142
	v_add_f64 v[64:65], v[14:15], v[62:63]
	v_add_f64 v[66:67], v[12:13], v[60:61]
	v_cvt_f32_f64_e32 v66, v[66:67]
	v_cvt_f32_f64_e32 v64, v[64:65]
	v_min3_f32 v141, v66, v64, v141
	v_add_f64 v[64:65], v[10:11], v[62:63]
	v_add_f64 v[66:67], v[8:9], v[60:61]
	v_cvt_f32_f64_e32 v66, v[66:67]
	v_cvt_f32_f64_e32 v64, v[64:65]
	v_min3_f32 v140, v66, v64, v140
	v_add_f64 v[64:65], v[6:7], v[62:63]
	v_add_f64 v[66:67], v[4:5], v[60:61]
	v_add_f64 v[62:63], v[2:3], v[62:63]
	v_add_f64 v[60:61], v[0:1], v[60:61]
	v_cvt_f32_f64_e32 v60, v[60:61]
	v_cvt_f32_f64_e32 v61, v[62:63]
	v_min3_f32 v138, v60, v61, v138
	v_add_f64 v[60:61], v[14:15], v[58:59]
	v_add_f64 v[62:63], v[12:13], v[56:57]
	v_cvt_f32_f64_e32 v62, v[62:63]
	v_cvt_f32_f64_e32 v60, v[60:61]
	v_min3_f32 v137, v62, v60, v137
	v_add_f64 v[60:61], v[10:11], v[58:59]
	v_add_f64 v[62:63], v[8:9], v[56:57]
	v_cvt_f32_f64_e32 v62, v[62:63]
	v_cvt_f32_f64_e32 v60, v[60:61]
	v_min3_f32 v136, v62, v60, v136
	v_add_f64 v[60:61], v[6:7], v[58:59]
	v_add_f64 v[62:63], v[4:5], v[56:57]
	;; [unrolled: 17-line block ×11, first 2 shown]
	v_add_f64 v[22:23], v[2:3], v[22:23]
	v_add_f64 v[20:21], v[0:1], v[20:21]
	;; [unrolled: 1-line block ×10, first 2 shown]
	v_cvt_f32_f64_e32 v165, v[168:169]
	v_cvt_f32_f64_e32 v166, v[166:167]
	;; [unrolled: 1-line block ×34, first 2 shown]
	v_min3_f32 v143, v165, v166, v143
	v_min3_f32 v139, v66, v64, v139
	;; [unrolled: 1-line block ×17, first 2 shown]
	s_mov_b32 s35, 2
	s_mov_b64 s[28:29], 0
	s_cbranch_vccz .LBB115_37
; %bb.38:                               ;   in Loop: Header=BB115_28 Depth=1
	v_or_b32_e32 v0, 4, v76
	v_cmp_le_i32_e32 vcc, s18, v0
	s_or_b64 s[28:29], s[2:3], vcc
	s_waitcnt vmcnt(0)
	ds_write2st64_b64 v161, v[86:87], v[88:89] offset1:4
	ds_write2st64_b64 v162, v[90:91], v[92:93] offset1:4
	s_xor_b64 s[36:37], s[28:29], -1
	v_mov_b64_e32 v[86:87], s[26:27]
	s_waitcnt lgkmcnt(0)
	s_barrier
	s_and_saveexec_b64 s[28:29], s[36:37]
	s_cbranch_execz .LBB115_40
; %bb.39:                               ;   in Loop: Header=BB115_28 Depth=1
	flat_load_dwordx2 v[86:87], v[78:79] offset:32
.LBB115_40:                             ;   in Loop: Header=BB115_28 Depth=1
	s_or_b64 exec, exec, s[28:29]
	s_or_b64 s[28:29], s[4:5], vcc
	s_xor_b64 s[36:37], s[28:29], -1
	v_mov_b64_e32 v[78:79], s[26:27]
	s_and_saveexec_b64 s[28:29], s[36:37]
	s_cbranch_execz .LBB115_42
; %bb.41:                               ;   in Loop: Header=BB115_28 Depth=1
	flat_load_dwordx2 v[78:79], v[80:81] offset:32
.LBB115_42:                             ;   in Loop: Header=BB115_28 Depth=1
	s_or_b64 exec, exec, s[28:29]
	s_or_b64 s[28:29], s[6:7], vcc
	s_xor_b64 s[36:37], s[28:29], -1
	v_mov_b64_e32 v[80:81], s[26:27]
	;; [unrolled: 9-line block ×3, first 2 shown]
	s_and_saveexec_b64 s[28:29], s[36:37]
	s_cbranch_execz .LBB115_46
; %bb.45:                               ;   in Loop: Header=BB115_28 Depth=1
	flat_load_dwordx2 v[82:83], v[84:85] offset:32
.LBB115_46:                             ;   in Loop: Header=BB115_28 Depth=1
	s_or_b64 exec, exec, s[28:29]
	s_mov_b32 s35, 0
	s_mov_b64 s[28:29], -1
.LBB115_47:                             ;   Parent Loop BB115_28 Depth=1
                                        ; =>  This Inner Loop Header: Depth=2
	v_cndmask_b32_e64 v0, 0, 1, s[28:29]
	s_lshl_b32 s28, s35, 3
	v_cmp_ne_u32_e32 vcc, 1, v0
	v_lshl_add_u32 v0, v151, 5, s28
	ds_read_b128 v[12:15], v0
	ds_read_b128 v[8:11], v0 offset:1024
	ds_read_b128 v[4:7], v0 offset:2048
	;; [unrolled: 1-line block ×3, first 2 shown]
	v_lshl_add_u32 v16, v152, 5, s28
	ds_read_b128 v[88:91], v16 offset:8192
	ds_read_b128 v[166:169], v16 offset:8448
	;; [unrolled: 1-line block ×16, first 2 shown]
	s_waitcnt lgkmcnt(0)
	v_add_f64 v[84:85], v[14:15], v[90:91]
	v_add_f64 v[92:93], v[12:13], v[88:89]
	v_cvt_f32_f64_e32 v76, v[92:93]
	v_cvt_f32_f64_e32 v84, v[84:85]
	v_min3_f32 v159, v76, v84, v159
	v_add_f64 v[84:85], v[10:11], v[90:91]
	v_add_f64 v[92:93], v[8:9], v[88:89]
	v_cvt_f32_f64_e32 v76, v[92:93]
	v_cvt_f32_f64_e32 v84, v[84:85]
	v_min3_f32 v158, v76, v84, v158
	v_add_f64 v[84:85], v[6:7], v[90:91]
	v_add_f64 v[92:93], v[4:5], v[88:89]
	v_cvt_f32_f64_e32 v76, v[92:93]
	v_cvt_f32_f64_e32 v84, v[84:85]
	v_min3_f32 v157, v76, v84, v157
	v_add_f64 v[84:85], v[2:3], v[90:91]
	v_add_f64 v[88:89], v[0:1], v[88:89]
	v_cvt_f32_f64_e32 v76, v[88:89]
	v_cvt_f32_f64_e32 v84, v[84:85]
	v_min3_f32 v156, v76, v84, v156
	v_add_f64 v[84:85], v[14:15], v[168:169]
	v_add_f64 v[88:89], v[12:13], v[166:167]
	v_cvt_f32_f64_e32 v76, v[88:89]
	v_cvt_f32_f64_e32 v84, v[84:85]
	v_min3_f32 v155, v76, v84, v155
	v_add_f64 v[84:85], v[10:11], v[168:169]
	v_add_f64 v[88:89], v[8:9], v[166:167]
	v_cvt_f32_f64_e32 v76, v[88:89]
	v_cvt_f32_f64_e32 v84, v[84:85]
	v_min3_f32 v154, v76, v84, v154
	v_add_f64 v[84:85], v[6:7], v[168:169]
	v_add_f64 v[88:89], v[4:5], v[166:167]
	v_cvt_f32_f64_e32 v76, v[88:89]
	v_cvt_f32_f64_e32 v84, v[84:85]
	v_min3_f32 v153, v76, v84, v153
	v_add_f64 v[84:85], v[2:3], v[168:169]
	v_add_f64 v[88:89], v[0:1], v[166:167]
	v_cvt_f32_f64_e32 v76, v[88:89]
	v_cvt_f32_f64_e32 v84, v[84:85]
	v_min3_f32 v150, v76, v84, v150
	v_add_f64 v[84:85], v[14:15], v[172:173]
	v_add_f64 v[88:89], v[12:13], v[170:171]
	v_cvt_f32_f64_e32 v76, v[88:89]
	v_cvt_f32_f64_e32 v84, v[84:85]
	v_min3_f32 v149, v76, v84, v149
	v_add_f64 v[84:85], v[10:11], v[172:173]
	v_add_f64 v[88:89], v[8:9], v[170:171]
	v_cvt_f32_f64_e32 v76, v[88:89]
	v_cvt_f32_f64_e32 v84, v[84:85]
	v_min3_f32 v148, v76, v84, v148
	v_add_f64 v[84:85], v[6:7], v[172:173]
	v_add_f64 v[88:89], v[4:5], v[170:171]
	v_cvt_f32_f64_e32 v76, v[88:89]
	v_cvt_f32_f64_e32 v84, v[84:85]
	v_min3_f32 v147, v76, v84, v147
	v_add_f64 v[84:85], v[2:3], v[172:173]
	v_add_f64 v[88:89], v[0:1], v[170:171]
	v_cvt_f32_f64_e32 v76, v[88:89]
	v_cvt_f32_f64_e32 v84, v[84:85]
	v_min3_f32 v146, v76, v84, v146
	v_add_f64 v[84:85], v[14:15], v[66:67]
	v_add_f64 v[88:89], v[12:13], v[64:65]
	v_cvt_f32_f64_e32 v76, v[88:89]
	v_cvt_f32_f64_e32 v84, v[84:85]
	v_min3_f32 v145, v76, v84, v145
	v_add_f64 v[84:85], v[10:11], v[66:67]
	v_add_f64 v[88:89], v[8:9], v[64:65]
	v_cvt_f32_f64_e32 v76, v[88:89]
	v_cvt_f32_f64_e32 v84, v[84:85]
	v_min3_f32 v144, v76, v84, v144
	v_add_f64 v[84:85], v[6:7], v[66:67]
	v_add_f64 v[88:89], v[4:5], v[64:65]
	v_add_f64 v[66:67], v[2:3], v[66:67]
	v_add_f64 v[64:65], v[0:1], v[64:65]
	v_cvt_f32_f64_e32 v64, v[64:65]
	v_cvt_f32_f64_e32 v65, v[66:67]
	v_min3_f32 v142, v64, v65, v142
	v_add_f64 v[64:65], v[14:15], v[62:63]
	v_add_f64 v[66:67], v[12:13], v[60:61]
	v_cvt_f32_f64_e32 v66, v[66:67]
	v_cvt_f32_f64_e32 v64, v[64:65]
	v_min3_f32 v141, v66, v64, v141
	v_add_f64 v[64:65], v[10:11], v[62:63]
	v_add_f64 v[66:67], v[8:9], v[60:61]
	v_cvt_f32_f64_e32 v66, v[66:67]
	v_cvt_f32_f64_e32 v64, v[64:65]
	v_min3_f32 v140, v66, v64, v140
	v_add_f64 v[64:65], v[6:7], v[62:63]
	v_add_f64 v[66:67], v[4:5], v[60:61]
	v_add_f64 v[62:63], v[2:3], v[62:63]
	v_add_f64 v[60:61], v[0:1], v[60:61]
	v_cvt_f32_f64_e32 v60, v[60:61]
	v_cvt_f32_f64_e32 v61, v[62:63]
	v_min3_f32 v138, v60, v61, v138
	v_add_f64 v[60:61], v[14:15], v[58:59]
	v_add_f64 v[62:63], v[12:13], v[56:57]
	v_cvt_f32_f64_e32 v62, v[62:63]
	v_cvt_f32_f64_e32 v60, v[60:61]
	v_min3_f32 v137, v62, v60, v137
	v_add_f64 v[60:61], v[10:11], v[58:59]
	v_add_f64 v[62:63], v[8:9], v[56:57]
	v_cvt_f32_f64_e32 v62, v[62:63]
	v_cvt_f32_f64_e32 v60, v[60:61]
	v_min3_f32 v136, v62, v60, v136
	;; [unrolled: 17-line block ×11, first 2 shown]
	v_add_f64 v[24:25], v[6:7], v[22:23]
	v_add_f64 v[26:27], v[4:5], v[20:21]
	;; [unrolled: 1-line block ×12, first 2 shown]
	v_cvt_f32_f64_e32 v76, v[88:89]
	v_cvt_f32_f64_e32 v84, v[84:85]
	v_cvt_f32_f64_e32 v66, v[66:67]
	v_cvt_f32_f64_e32 v64, v[64:65]
	v_cvt_f32_f64_e32 v62, v[62:63]
	v_cvt_f32_f64_e32 v60, v[60:61]
	v_cvt_f32_f64_e32 v58, v[58:59]
	v_cvt_f32_f64_e32 v56, v[56:57]
	v_cvt_f32_f64_e32 v54, v[54:55]
	v_cvt_f32_f64_e32 v52, v[52:53]
	v_cvt_f32_f64_e32 v50, v[50:51]
	v_cvt_f32_f64_e32 v48, v[48:49]
	v_cvt_f32_f64_e32 v46, v[46:47]
	v_cvt_f32_f64_e32 v44, v[44:45]
	v_cvt_f32_f64_e32 v42, v[42:43]
	v_cvt_f32_f64_e32 v40, v[40:41]
	v_cvt_f32_f64_e32 v38, v[38:39]
	v_cvt_f32_f64_e32 v36, v[36:37]
	v_cvt_f32_f64_e32 v34, v[34:35]
	v_cvt_f32_f64_e32 v32, v[32:33]
	v_cvt_f32_f64_e32 v30, v[30:31]
	v_cvt_f32_f64_e32 v28, v[28:29]
	v_cvt_f32_f64_e32 v26, v[26:27]
	v_cvt_f32_f64_e32 v24, v[24:25]
	v_cvt_f32_f64_e32 v20, v[20:21]
	v_cvt_f32_f64_e32 v21, v[22:23]
	v_cvt_f32_f64_e32 v12, v[12:13]
	v_cvt_f32_f64_e32 v13, v[14:15]
	v_cvt_f32_f64_e32 v8, v[8:9]
	v_cvt_f32_f64_e32 v9, v[10:11]
	v_cvt_f32_f64_e32 v4, v[4:5]
	v_cvt_f32_f64_e32 v5, v[6:7]
	v_cvt_f32_f64_e32 v0, v[0:1]
	v_cvt_f32_f64_e32 v1, v[2:3]
	v_min3_f32 v143, v76, v84, v143
	v_min3_f32 v139, v66, v64, v139
	v_min3_f32 v135, v62, v60, v135
	v_min3_f32 v131, v58, v56, v131
	v_min3_f32 v127, v54, v52, v127
	v_min3_f32 v123, v50, v48, v123
	v_min3_f32 v119, v46, v44, v119
	v_min3_f32 v115, v42, v40, v115
	v_min3_f32 v111, v38, v36, v111
	v_min3_f32 v107, v34, v32, v107
	v_min3_f32 v103, v30, v28, v103
	v_min3_f32 v99, v26, v24, v99
	v_min3_f32 v98, v20, v21, v98
	v_min3_f32 v97, v12, v13, v97
	v_min3_f32 v96, v8, v9, v96
	v_min3_f32 v95, v4, v5, v95
	v_min3_f32 v94, v0, v1, v94
	s_mov_b32 s35, 2
	s_mov_b64 s[28:29], 0
	s_cbranch_vccz .LBB115_47
; %bb.48:                               ;   in Loop: Header=BB115_28 Depth=1
	s_add_i32 s31, s31, 8
	s_add_i32 s34, s34, 8
	s_cmp_ge_i32 s34, s33
	s_waitcnt vmcnt(0)
	ds_write2st64_b64 v163, v[86:87], v[78:79] offset1:4
	ds_write2st64_b64 v164, v[80:81], v[82:83] offset1:4
	s_waitcnt lgkmcnt(0)
	s_barrier
	s_cbranch_scc0 .LBB115_28
.LBB115_49:
	s_mov_b32 s4, 0
	s_mov_b64 s[2:3], -1
.LBB115_50:                             ; =>This Inner Loop Header: Depth=1
	v_cndmask_b32_e64 v0, 0, 1, s[2:3]
	s_lshl_b32 s2, s4, 3
	v_cmp_ne_u32_e32 vcc, 1, v0
	v_lshl_add_u32 v0, v151, 5, s2
	ds_read_b128 v[12:15], v0 offset:4096
	ds_read_b128 v[8:11], v0 offset:5120
	;; [unrolled: 1-line block ×4, first 2 shown]
	v_lshl_add_u32 v16, v152, 5, s2
	ds_read_b128 v[68:71], v16 offset:12288
	ds_read_b128 v[72:75], v16 offset:12544
	;; [unrolled: 1-line block ×16, first 2 shown]
	s_waitcnt lgkmcnt(14)
	v_add_f64 v[80:81], v[14:15], v[70:71]
	v_add_f64 v[82:83], v[12:13], v[68:69]
	v_cvt_f32_f64_e32 v82, v[82:83]
	v_cvt_f32_f64_e32 v80, v[80:81]
	v_min3_f32 v159, v82, v80, v159
	v_add_f64 v[80:81], v[10:11], v[70:71]
	v_add_f64 v[82:83], v[8:9], v[68:69]
	v_cvt_f32_f64_e32 v82, v[82:83]
	v_cvt_f32_f64_e32 v80, v[80:81]
	v_min3_f32 v158, v82, v80, v158
	v_add_f64 v[80:81], v[6:7], v[70:71]
	v_add_f64 v[82:83], v[4:5], v[68:69]
	;; [unrolled: 1-line block ×4, first 2 shown]
	v_cvt_f32_f64_e32 v68, v[68:69]
	v_cvt_f32_f64_e32 v69, v[70:71]
	v_min3_f32 v156, v68, v69, v156
	v_add_f64 v[68:69], v[14:15], v[74:75]
	v_add_f64 v[70:71], v[12:13], v[72:73]
	v_cvt_f32_f64_e32 v70, v[70:71]
	v_cvt_f32_f64_e32 v68, v[68:69]
	v_min3_f32 v155, v70, v68, v155
	v_add_f64 v[68:69], v[10:11], v[74:75]
	v_add_f64 v[70:71], v[8:9], v[72:73]
	;; [unrolled: 5-line block ×4, first 2 shown]
	v_cvt_f32_f64_e32 v70, v[70:71]
	v_cvt_f32_f64_e32 v68, v[68:69]
	v_min3_f32 v150, v70, v68, v150
	s_waitcnt lgkmcnt(13)
	v_add_f64 v[68:69], v[14:15], v[78:79]
	v_add_f64 v[70:71], v[12:13], v[76:77]
	v_cvt_f32_f64_e32 v70, v[70:71]
	v_cvt_f32_f64_e32 v68, v[68:69]
	v_min3_f32 v149, v70, v68, v149
	v_add_f64 v[68:69], v[10:11], v[78:79]
	v_add_f64 v[70:71], v[8:9], v[76:77]
	v_cvt_f32_f64_e32 v70, v[70:71]
	v_cvt_f32_f64_e32 v68, v[68:69]
	v_min3_f32 v148, v70, v68, v148
	;; [unrolled: 5-line block ×4, first 2 shown]
	s_waitcnt lgkmcnt(12)
	v_add_f64 v[68:69], v[14:15], v[66:67]
	v_add_f64 v[70:71], v[12:13], v[64:65]
	v_cvt_f32_f64_e32 v70, v[70:71]
	v_cvt_f32_f64_e32 v68, v[68:69]
	v_min3_f32 v145, v70, v68, v145
	v_add_f64 v[68:69], v[10:11], v[66:67]
	v_add_f64 v[70:71], v[8:9], v[64:65]
	v_cvt_f32_f64_e32 v70, v[70:71]
	v_cvt_f32_f64_e32 v68, v[68:69]
	v_min3_f32 v144, v70, v68, v144
	v_add_f64 v[68:69], v[6:7], v[66:67]
	v_add_f64 v[70:71], v[4:5], v[64:65]
	v_add_f64 v[66:67], v[2:3], v[66:67]
	v_add_f64 v[64:65], v[0:1], v[64:65]
	v_cvt_f32_f64_e32 v64, v[64:65]
	v_cvt_f32_f64_e32 v65, v[66:67]
	v_min3_f32 v142, v64, v65, v142
	s_waitcnt lgkmcnt(11)
	v_add_f64 v[64:65], v[14:15], v[62:63]
	v_add_f64 v[66:67], v[12:13], v[60:61]
	v_cvt_f32_f64_e32 v66, v[66:67]
	v_cvt_f32_f64_e32 v64, v[64:65]
	v_min3_f32 v141, v66, v64, v141
	v_add_f64 v[64:65], v[10:11], v[62:63]
	v_add_f64 v[66:67], v[8:9], v[60:61]
	v_cvt_f32_f64_e32 v66, v[66:67]
	v_cvt_f32_f64_e32 v64, v[64:65]
	v_min3_f32 v140, v66, v64, v140
	v_add_f64 v[64:65], v[6:7], v[62:63]
	v_add_f64 v[66:67], v[4:5], v[60:61]
	v_add_f64 v[62:63], v[2:3], v[62:63]
	v_add_f64 v[60:61], v[0:1], v[60:61]
	v_cvt_f32_f64_e32 v60, v[60:61]
	v_cvt_f32_f64_e32 v61, v[62:63]
	v_min3_f32 v138, v60, v61, v138
	;; [unrolled: 18-line block ×11, first 2 shown]
	s_waitcnt lgkmcnt(1)
	v_add_f64 v[24:25], v[14:15], v[22:23]
	v_add_f64 v[26:27], v[12:13], v[20:21]
	v_cvt_f32_f64_e32 v26, v[26:27]
	v_cvt_f32_f64_e32 v24, v[24:25]
	v_min3_f32 v101, v26, v24, v101
	v_add_f64 v[24:25], v[10:11], v[22:23]
	v_add_f64 v[26:27], v[8:9], v[20:21]
	v_cvt_f32_f64_e32 v26, v[26:27]
	v_cvt_f32_f64_e32 v24, v[24:25]
	v_min3_f32 v100, v26, v24, v100
	v_add_f64 v[24:25], v[6:7], v[22:23]
	v_add_f64 v[26:27], v[4:5], v[20:21]
	;; [unrolled: 1-line block ×4, first 2 shown]
	s_waitcnt lgkmcnt(0)
	v_add_f64 v[14:15], v[14:15], v[18:19]
	v_add_f64 v[12:13], v[12:13], v[16:17]
	;; [unrolled: 1-line block ×8, first 2 shown]
	v_cvt_f32_f64_e32 v82, v[82:83]
	v_cvt_f32_f64_e32 v80, v[80:81]
	;; [unrolled: 1-line block ×36, first 2 shown]
	v_min3_f32 v157, v82, v80, v157
	v_min3_f32 v143, v70, v68, v143
	v_min3_f32 v139, v66, v64, v139
	v_min3_f32 v135, v62, v60, v135
	v_min3_f32 v131, v58, v56, v131
	v_min3_f32 v127, v54, v52, v127
	v_min3_f32 v123, v50, v48, v123
	v_min3_f32 v119, v46, v44, v119
	v_min3_f32 v115, v42, v40, v115
	v_min3_f32 v111, v38, v36, v111
	v_min3_f32 v107, v34, v32, v107
	v_min3_f32 v103, v30, v28, v103
	v_min3_f32 v99, v26, v24, v99
	v_min3_f32 v98, v20, v21, v98
	v_min3_f32 v97, v12, v13, v97
	v_min3_f32 v96, v8, v9, v96
	v_min3_f32 v95, v4, v5, v95
	v_min3_f32 v94, v0, v1, v94
	s_mov_b32 s4, 2
	s_mov_b64 s[2:3], 0
	s_cbranch_vccz .LBB115_50
; %bb.51:
	s_load_dwordx2 s[2:3], s[0:1], 0x78
	s_load_dword s23, s[0:1], 0x58
	s_load_dword s22, s[0:1], 0x70
	v_add_u32_e32 v14, s30, v152
	v_add_u32_e32 v0, s19, v151
	s_waitcnt lgkmcnt(0)
	s_lshl_b64 s[0:1], s[2:3], 3
	s_add_u32 s18, s10, s0
	s_addc_u32 s19, s11, s1
	v_mad_i64_i32 v[2:3], s[0:1], v14, s23, 0
	v_lshl_add_u64 v[10:11], v[2:3], 3, s[12:13]
	v_mad_i64_i32 v[2:3], s[0:1], v14, s22, 0
	v_cmp_gt_i32_e64 s[2:3], s16, v0
	v_cmp_gt_i32_e64 s[10:11], s17, v14
	v_lshl_add_u64 v[8:9], v[2:3], 3, s[18:19]
	v_cndmask_b32_e64 v2, 0, 1, s[20:21]
	v_ashrrev_i32_e32 v1, 31, v0
	s_and_b64 s[6:7], s[2:3], s[10:11]
	v_cmp_ne_u32_e64 s[0:1], 1, v2
	s_and_saveexec_b64 s[4:5], s[6:7]
	s_cbranch_execz .LBB115_56
; %bb.52:
	s_and_b64 vcc, exec, s[0:1]
	s_cbranch_vccnz .LBB115_54
; %bb.53:
	v_lshl_add_u64 v[2:3], v[0:1], 3, v[10:11]
	flat_load_dwordx2 v[2:3], v[2:3]
	s_waitcnt vmcnt(0) lgkmcnt(0)
	v_mul_f64 v[2:3], v[2:3], s[14:15]
	s_branch .LBB115_55
.LBB115_54:
	v_mov_b64_e32 v[2:3], 0
.LBB115_55:
	v_cvt_f32_f64_e32 v2, v[2:3]
	v_max_f32_e32 v3, v159, v159
	v_min_f32_e32 v2, v2, v3
	v_cvt_f64_f32_e32 v[2:3], v2
	v_lshl_add_u64 v[4:5], v[0:1], 3, v[8:9]
	global_store_dwordx2 v[4:5], v[2:3], off
.LBB115_56:
	s_or_b64 exec, exec, s[4:5]
	v_add_u32_e32 v2, 32, v0
	v_cmp_gt_i32_e64 s[4:5], s16, v2
	v_ashrrev_i32_e32 v3, 31, v2
	s_and_b64 s[8:9], s[4:5], s[10:11]
	s_and_saveexec_b64 s[6:7], s[8:9]
	s_cbranch_execz .LBB115_61
; %bb.57:
	s_and_b64 vcc, exec, s[0:1]
	s_cbranch_vccnz .LBB115_59
; %bb.58:
	v_lshl_add_u64 v[4:5], v[2:3], 3, v[10:11]
	flat_load_dwordx2 v[4:5], v[4:5]
	s_waitcnt vmcnt(0) lgkmcnt(0)
	v_mul_f64 v[4:5], v[4:5], s[14:15]
	s_branch .LBB115_60
.LBB115_59:
	v_mov_b64_e32 v[4:5], 0
.LBB115_60:
	v_cvt_f32_f64_e32 v4, v[4:5]
	v_max_f32_e32 v5, v158, v158
	v_min_f32_e32 v4, v4, v5
	v_cvt_f64_f32_e32 v[4:5], v4
	v_lshl_add_u64 v[6:7], v[2:3], 3, v[8:9]
	global_store_dwordx2 v[6:7], v[4:5], off
.LBB115_61:
	s_or_b64 exec, exec, s[6:7]
	v_add_u32_e32 v4, 64, v0
	v_cmp_gt_i32_e64 s[6:7], s16, v4
	v_ashrrev_i32_e32 v5, 31, v4
	s_and_b64 s[20:21], s[6:7], s[10:11]
	;; [unrolled: 26-line block ×3, first 2 shown]
	s_and_saveexec_b64 s[10:11], s[20:21]
	s_cbranch_execz .LBB115_71
; %bb.67:
	s_and_b64 vcc, exec, s[0:1]
	s_cbranch_vccnz .LBB115_69
; %bb.68:
	v_lshl_add_u64 v[10:11], v[6:7], 3, v[10:11]
	flat_load_dwordx2 v[10:11], v[10:11]
	s_waitcnt vmcnt(0) lgkmcnt(0)
	v_mul_f64 v[10:11], v[10:11], s[14:15]
	s_branch .LBB115_70
.LBB115_69:
	v_mov_b64_e32 v[10:11], 0
.LBB115_70:
	v_cvt_f32_f64_e32 v10, v[10:11]
	v_max_f32_e32 v11, v156, v156
	v_min_f32_e32 v10, v10, v11
	v_cvt_f64_f32_e32 v[10:11], v10
	v_lshl_add_u64 v[8:9], v[6:7], 3, v[8:9]
	global_store_dwordx2 v[8:9], v[10:11], off
.LBB115_71:
	s_or_b64 exec, exec, s[10:11]
	v_add_u32_e32 v12, 8, v14
	v_mad_i64_i32 v[8:9], s[20:21], v12, s23, 0
	v_cmp_gt_i32_e64 s[10:11], s17, v12
	v_lshl_add_u64 v[10:11], v[8:9], 3, s[12:13]
	v_mad_i64_i32 v[8:9], s[20:21], v12, s22, 0
	v_lshl_add_u64 v[8:9], v[8:9], 3, s[18:19]
	s_and_b64 s[24:25], s[2:3], s[10:11]
	s_and_saveexec_b64 s[20:21], s[24:25]
	s_cbranch_execnz .LBB115_75
; %bb.72:
	s_or_b64 exec, exec, s[20:21]
	s_and_b64 s[24:25], s[4:5], s[10:11]
	s_and_saveexec_b64 s[20:21], s[24:25]
	s_cbranch_execnz .LBB115_79
.LBB115_73:
	s_or_b64 exec, exec, s[20:21]
	s_and_b64 s[24:25], s[6:7], s[10:11]
	s_and_saveexec_b64 s[20:21], s[24:25]
	s_cbranch_execnz .LBB115_83
.LBB115_74:
	s_or_b64 exec, exec, s[20:21]
	s_and_b64 s[20:21], s[8:9], s[10:11]
	s_and_saveexec_b64 s[10:11], s[20:21]
	s_cbranch_execnz .LBB115_87
	s_branch .LBB115_91
.LBB115_75:
	s_and_b64 vcc, exec, s[0:1]
	s_cbranch_vccnz .LBB115_77
; %bb.76:
	v_lshl_add_u64 v[12:13], v[0:1], 3, v[10:11]
	flat_load_dwordx2 v[12:13], v[12:13]
	s_waitcnt vmcnt(0) lgkmcnt(0)
	v_mul_f64 v[12:13], v[12:13], s[14:15]
	s_branch .LBB115_78
.LBB115_77:
	v_mov_b64_e32 v[12:13], 0
.LBB115_78:
	v_cvt_f32_f64_e32 v12, v[12:13]
	v_max_f32_e32 v13, v155, v155
	v_min_f32_e32 v12, v12, v13
	v_cvt_f64_f32_e32 v[12:13], v12
	v_lshl_add_u64 v[16:17], v[0:1], 3, v[8:9]
	global_store_dwordx2 v[16:17], v[12:13], off
	s_or_b64 exec, exec, s[20:21]
	s_and_b64 s[24:25], s[4:5], s[10:11]
	s_and_saveexec_b64 s[20:21], s[24:25]
	s_cbranch_execz .LBB115_73
.LBB115_79:
	s_and_b64 vcc, exec, s[0:1]
	s_cbranch_vccnz .LBB115_81
; %bb.80:
	v_lshl_add_u64 v[12:13], v[2:3], 3, v[10:11]
	flat_load_dwordx2 v[12:13], v[12:13]
	s_waitcnt vmcnt(0) lgkmcnt(0)
	v_mul_f64 v[12:13], v[12:13], s[14:15]
	s_branch .LBB115_82
.LBB115_81:
	v_mov_b64_e32 v[12:13], 0
.LBB115_82:
	v_cvt_f32_f64_e32 v12, v[12:13]
	v_max_f32_e32 v13, v154, v154
	v_min_f32_e32 v12, v12, v13
	v_cvt_f64_f32_e32 v[12:13], v12
	v_lshl_add_u64 v[16:17], v[2:3], 3, v[8:9]
	global_store_dwordx2 v[16:17], v[12:13], off
	s_or_b64 exec, exec, s[20:21]
	s_and_b64 s[24:25], s[6:7], s[10:11]
	s_and_saveexec_b64 s[20:21], s[24:25]
	s_cbranch_execz .LBB115_74
.LBB115_83:
	s_and_b64 vcc, exec, s[0:1]
	s_cbranch_vccnz .LBB115_85
; %bb.84:
	v_lshl_add_u64 v[12:13], v[4:5], 3, v[10:11]
	flat_load_dwordx2 v[12:13], v[12:13]
	s_waitcnt vmcnt(0) lgkmcnt(0)
	v_mul_f64 v[12:13], v[12:13], s[14:15]
	s_branch .LBB115_86
.LBB115_85:
	v_mov_b64_e32 v[12:13], 0
.LBB115_86:
	v_cvt_f32_f64_e32 v12, v[12:13]
	v_max_f32_e32 v13, v153, v153
	v_min_f32_e32 v12, v12, v13
	v_cvt_f64_f32_e32 v[12:13], v12
	v_lshl_add_u64 v[16:17], v[4:5], 3, v[8:9]
	global_store_dwordx2 v[16:17], v[12:13], off
	s_or_b64 exec, exec, s[20:21]
	s_and_b64 s[20:21], s[8:9], s[10:11]
	s_and_saveexec_b64 s[10:11], s[20:21]
	s_cbranch_execz .LBB115_91
.LBB115_87:
	s_and_b64 vcc, exec, s[0:1]
	s_cbranch_vccnz .LBB115_89
; %bb.88:
	v_lshl_add_u64 v[10:11], v[6:7], 3, v[10:11]
	flat_load_dwordx2 v[10:11], v[10:11]
	s_waitcnt vmcnt(0) lgkmcnt(0)
	v_mul_f64 v[10:11], v[10:11], s[14:15]
	s_branch .LBB115_90
.LBB115_89:
	v_mov_b64_e32 v[10:11], 0
.LBB115_90:
	v_cvt_f32_f64_e32 v10, v[10:11]
	v_max_f32_e32 v11, v150, v150
	v_min_f32_e32 v10, v10, v11
	v_cvt_f64_f32_e32 v[10:11], v10
	v_lshl_add_u64 v[8:9], v[6:7], 3, v[8:9]
	global_store_dwordx2 v[8:9], v[10:11], off
.LBB115_91:
	s_or_b64 exec, exec, s[10:11]
	v_add_u32_e32 v12, 16, v14
	v_mad_i64_i32 v[8:9], s[20:21], v12, s23, 0
	v_cmp_gt_i32_e64 s[10:11], s17, v12
	v_lshl_add_u64 v[10:11], v[8:9], 3, s[12:13]
	v_mad_i64_i32 v[8:9], s[20:21], v12, s22, 0
	v_lshl_add_u64 v[8:9], v[8:9], 3, s[18:19]
	s_and_b64 s[24:25], s[2:3], s[10:11]
	s_and_saveexec_b64 s[20:21], s[24:25]
	s_cbranch_execnz .LBB115_95
; %bb.92:
	s_or_b64 exec, exec, s[20:21]
	s_and_b64 s[24:25], s[4:5], s[10:11]
	s_and_saveexec_b64 s[20:21], s[24:25]
	s_cbranch_execnz .LBB115_99
.LBB115_93:
	s_or_b64 exec, exec, s[20:21]
	s_and_b64 s[24:25], s[6:7], s[10:11]
	s_and_saveexec_b64 s[20:21], s[24:25]
	s_cbranch_execnz .LBB115_103
.LBB115_94:
	s_or_b64 exec, exec, s[20:21]
	s_and_b64 s[20:21], s[8:9], s[10:11]
	s_and_saveexec_b64 s[10:11], s[20:21]
	s_cbranch_execnz .LBB115_107
	s_branch .LBB115_111
.LBB115_95:
	s_and_b64 vcc, exec, s[0:1]
	s_cbranch_vccnz .LBB115_97
; %bb.96:
	v_lshl_add_u64 v[12:13], v[0:1], 3, v[10:11]
	flat_load_dwordx2 v[12:13], v[12:13]
	s_waitcnt vmcnt(0) lgkmcnt(0)
	v_mul_f64 v[12:13], v[12:13], s[14:15]
	s_branch .LBB115_98
.LBB115_97:
	v_mov_b64_e32 v[12:13], 0
.LBB115_98:
	v_cvt_f32_f64_e32 v12, v[12:13]
	v_max_f32_e32 v13, v149, v149
	v_min_f32_e32 v12, v12, v13
	v_cvt_f64_f32_e32 v[12:13], v12
	v_lshl_add_u64 v[16:17], v[0:1], 3, v[8:9]
	global_store_dwordx2 v[16:17], v[12:13], off
	s_or_b64 exec, exec, s[20:21]
	s_and_b64 s[24:25], s[4:5], s[10:11]
	s_and_saveexec_b64 s[20:21], s[24:25]
	s_cbranch_execz .LBB115_93
.LBB115_99:
	s_and_b64 vcc, exec, s[0:1]
	s_cbranch_vccnz .LBB115_101
; %bb.100:
	v_lshl_add_u64 v[12:13], v[2:3], 3, v[10:11]
	flat_load_dwordx2 v[12:13], v[12:13]
	s_waitcnt vmcnt(0) lgkmcnt(0)
	v_mul_f64 v[12:13], v[12:13], s[14:15]
	s_branch .LBB115_102
.LBB115_101:
	v_mov_b64_e32 v[12:13], 0
.LBB115_102:
	v_cvt_f32_f64_e32 v12, v[12:13]
	v_max_f32_e32 v13, v148, v148
	v_min_f32_e32 v12, v12, v13
	v_cvt_f64_f32_e32 v[12:13], v12
	v_lshl_add_u64 v[16:17], v[2:3], 3, v[8:9]
	global_store_dwordx2 v[16:17], v[12:13], off
	s_or_b64 exec, exec, s[20:21]
	s_and_b64 s[24:25], s[6:7], s[10:11]
	s_and_saveexec_b64 s[20:21], s[24:25]
	s_cbranch_execz .LBB115_94
.LBB115_103:
	s_and_b64 vcc, exec, s[0:1]
	s_cbranch_vccnz .LBB115_105
; %bb.104:
	v_lshl_add_u64 v[12:13], v[4:5], 3, v[10:11]
	flat_load_dwordx2 v[12:13], v[12:13]
	s_waitcnt vmcnt(0) lgkmcnt(0)
	v_mul_f64 v[12:13], v[12:13], s[14:15]
	s_branch .LBB115_106
.LBB115_105:
	v_mov_b64_e32 v[12:13], 0
.LBB115_106:
	v_cvt_f32_f64_e32 v12, v[12:13]
	v_max_f32_e32 v13, v147, v147
	v_min_f32_e32 v12, v12, v13
	v_cvt_f64_f32_e32 v[12:13], v12
	v_lshl_add_u64 v[16:17], v[4:5], 3, v[8:9]
	global_store_dwordx2 v[16:17], v[12:13], off
	s_or_b64 exec, exec, s[20:21]
	s_and_b64 s[20:21], s[8:9], s[10:11]
	s_and_saveexec_b64 s[10:11], s[20:21]
	s_cbranch_execz .LBB115_111
.LBB115_107:
	s_and_b64 vcc, exec, s[0:1]
	s_cbranch_vccnz .LBB115_109
; %bb.108:
	v_lshl_add_u64 v[10:11], v[6:7], 3, v[10:11]
	flat_load_dwordx2 v[10:11], v[10:11]
	s_waitcnt vmcnt(0) lgkmcnt(0)
	v_mul_f64 v[10:11], v[10:11], s[14:15]
	s_branch .LBB115_110
.LBB115_109:
	v_mov_b64_e32 v[10:11], 0
.LBB115_110:
	v_cvt_f32_f64_e32 v10, v[10:11]
	v_max_f32_e32 v11, v146, v146
	v_min_f32_e32 v10, v10, v11
	v_cvt_f64_f32_e32 v[10:11], v10
	v_lshl_add_u64 v[8:9], v[6:7], 3, v[8:9]
	global_store_dwordx2 v[8:9], v[10:11], off
.LBB115_111:
	s_or_b64 exec, exec, s[10:11]
	v_add_u32_e32 v12, 24, v14
	v_mad_i64_i32 v[8:9], s[20:21], v12, s23, 0
	v_cmp_gt_i32_e64 s[10:11], s17, v12
	v_lshl_add_u64 v[10:11], v[8:9], 3, s[12:13]
	v_mad_i64_i32 v[8:9], s[20:21], v12, s22, 0
	v_lshl_add_u64 v[8:9], v[8:9], 3, s[18:19]
	s_and_b64 s[24:25], s[2:3], s[10:11]
	s_and_saveexec_b64 s[20:21], s[24:25]
	s_cbranch_execnz .LBB115_115
; %bb.112:
	s_or_b64 exec, exec, s[20:21]
	s_and_b64 s[24:25], s[4:5], s[10:11]
	s_and_saveexec_b64 s[20:21], s[24:25]
	s_cbranch_execnz .LBB115_119
.LBB115_113:
	s_or_b64 exec, exec, s[20:21]
	s_and_b64 s[24:25], s[6:7], s[10:11]
	s_and_saveexec_b64 s[20:21], s[24:25]
	s_cbranch_execnz .LBB115_123
.LBB115_114:
	s_or_b64 exec, exec, s[20:21]
	s_and_b64 s[20:21], s[8:9], s[10:11]
	s_and_saveexec_b64 s[10:11], s[20:21]
	s_cbranch_execnz .LBB115_127
	s_branch .LBB115_131
.LBB115_115:
	s_and_b64 vcc, exec, s[0:1]
	s_cbranch_vccnz .LBB115_117
; %bb.116:
	v_lshl_add_u64 v[12:13], v[0:1], 3, v[10:11]
	flat_load_dwordx2 v[12:13], v[12:13]
	s_waitcnt vmcnt(0) lgkmcnt(0)
	v_mul_f64 v[12:13], v[12:13], s[14:15]
	s_branch .LBB115_118
.LBB115_117:
	v_mov_b64_e32 v[12:13], 0
.LBB115_118:
	v_cvt_f32_f64_e32 v12, v[12:13]
	v_max_f32_e32 v13, v145, v145
	v_min_f32_e32 v12, v12, v13
	v_cvt_f64_f32_e32 v[12:13], v12
	v_lshl_add_u64 v[16:17], v[0:1], 3, v[8:9]
	global_store_dwordx2 v[16:17], v[12:13], off
	s_or_b64 exec, exec, s[20:21]
	s_and_b64 s[24:25], s[4:5], s[10:11]
	s_and_saveexec_b64 s[20:21], s[24:25]
	s_cbranch_execz .LBB115_113
.LBB115_119:
	s_and_b64 vcc, exec, s[0:1]
	s_cbranch_vccnz .LBB115_121
; %bb.120:
	v_lshl_add_u64 v[12:13], v[2:3], 3, v[10:11]
	flat_load_dwordx2 v[12:13], v[12:13]
	s_waitcnt vmcnt(0) lgkmcnt(0)
	v_mul_f64 v[12:13], v[12:13], s[14:15]
	s_branch .LBB115_122
.LBB115_121:
	v_mov_b64_e32 v[12:13], 0
.LBB115_122:
	v_cvt_f32_f64_e32 v12, v[12:13]
	v_max_f32_e32 v13, v144, v144
	v_min_f32_e32 v12, v12, v13
	v_cvt_f64_f32_e32 v[12:13], v12
	v_lshl_add_u64 v[16:17], v[2:3], 3, v[8:9]
	global_store_dwordx2 v[16:17], v[12:13], off
	s_or_b64 exec, exec, s[20:21]
	s_and_b64 s[24:25], s[6:7], s[10:11]
	s_and_saveexec_b64 s[20:21], s[24:25]
	s_cbranch_execz .LBB115_114
.LBB115_123:
	s_and_b64 vcc, exec, s[0:1]
	s_cbranch_vccnz .LBB115_125
; %bb.124:
	v_lshl_add_u64 v[12:13], v[4:5], 3, v[10:11]
	flat_load_dwordx2 v[12:13], v[12:13]
	s_waitcnt vmcnt(0) lgkmcnt(0)
	v_mul_f64 v[12:13], v[12:13], s[14:15]
	s_branch .LBB115_126
.LBB115_125:
	v_mov_b64_e32 v[12:13], 0
.LBB115_126:
	v_cvt_f32_f64_e32 v12, v[12:13]
	v_max_f32_e32 v13, v143, v143
	v_min_f32_e32 v12, v12, v13
	v_cvt_f64_f32_e32 v[12:13], v12
	v_lshl_add_u64 v[16:17], v[4:5], 3, v[8:9]
	global_store_dwordx2 v[16:17], v[12:13], off
	s_or_b64 exec, exec, s[20:21]
	s_and_b64 s[20:21], s[8:9], s[10:11]
	s_and_saveexec_b64 s[10:11], s[20:21]
	s_cbranch_execz .LBB115_131
.LBB115_127:
	s_and_b64 vcc, exec, s[0:1]
	s_cbranch_vccnz .LBB115_129
; %bb.128:
	v_lshl_add_u64 v[10:11], v[6:7], 3, v[10:11]
	flat_load_dwordx2 v[10:11], v[10:11]
	s_waitcnt vmcnt(0) lgkmcnt(0)
	v_mul_f64 v[10:11], v[10:11], s[14:15]
	s_branch .LBB115_130
.LBB115_129:
	v_mov_b64_e32 v[10:11], 0
.LBB115_130:
	v_cvt_f32_f64_e32 v10, v[10:11]
	v_max_f32_e32 v11, v142, v142
	v_min_f32_e32 v10, v10, v11
	v_cvt_f64_f32_e32 v[10:11], v10
	v_lshl_add_u64 v[8:9], v[6:7], 3, v[8:9]
	global_store_dwordx2 v[8:9], v[10:11], off
.LBB115_131:
	s_or_b64 exec, exec, s[10:11]
	v_add_u32_e32 v12, 32, v14
	v_mad_i64_i32 v[8:9], s[20:21], v12, s23, 0
	v_cmp_gt_i32_e64 s[10:11], s17, v12
	v_lshl_add_u64 v[10:11], v[8:9], 3, s[12:13]
	v_mad_i64_i32 v[8:9], s[20:21], v12, s22, 0
	v_lshl_add_u64 v[8:9], v[8:9], 3, s[18:19]
	s_and_b64 s[24:25], s[2:3], s[10:11]
	s_and_saveexec_b64 s[20:21], s[24:25]
	s_cbranch_execnz .LBB115_135
; %bb.132:
	s_or_b64 exec, exec, s[20:21]
	s_and_b64 s[24:25], s[4:5], s[10:11]
	s_and_saveexec_b64 s[20:21], s[24:25]
	s_cbranch_execnz .LBB115_139
.LBB115_133:
	s_or_b64 exec, exec, s[20:21]
	s_and_b64 s[24:25], s[6:7], s[10:11]
	s_and_saveexec_b64 s[20:21], s[24:25]
	s_cbranch_execnz .LBB115_143
.LBB115_134:
	s_or_b64 exec, exec, s[20:21]
	s_and_b64 s[20:21], s[8:9], s[10:11]
	s_and_saveexec_b64 s[10:11], s[20:21]
	s_cbranch_execnz .LBB115_147
	s_branch .LBB115_151
.LBB115_135:
	s_and_b64 vcc, exec, s[0:1]
	s_cbranch_vccnz .LBB115_137
; %bb.136:
	v_lshl_add_u64 v[12:13], v[0:1], 3, v[10:11]
	flat_load_dwordx2 v[12:13], v[12:13]
	s_waitcnt vmcnt(0) lgkmcnt(0)
	v_mul_f64 v[12:13], v[12:13], s[14:15]
	s_branch .LBB115_138
.LBB115_137:
	v_mov_b64_e32 v[12:13], 0
.LBB115_138:
	v_cvt_f32_f64_e32 v12, v[12:13]
	v_max_f32_e32 v13, v141, v141
	v_min_f32_e32 v12, v12, v13
	v_cvt_f64_f32_e32 v[12:13], v12
	v_lshl_add_u64 v[16:17], v[0:1], 3, v[8:9]
	global_store_dwordx2 v[16:17], v[12:13], off
	s_or_b64 exec, exec, s[20:21]
	s_and_b64 s[24:25], s[4:5], s[10:11]
	s_and_saveexec_b64 s[20:21], s[24:25]
	s_cbranch_execz .LBB115_133
.LBB115_139:
	s_and_b64 vcc, exec, s[0:1]
	s_cbranch_vccnz .LBB115_141
; %bb.140:
	v_lshl_add_u64 v[12:13], v[2:3], 3, v[10:11]
	flat_load_dwordx2 v[12:13], v[12:13]
	s_waitcnt vmcnt(0) lgkmcnt(0)
	v_mul_f64 v[12:13], v[12:13], s[14:15]
	s_branch .LBB115_142
.LBB115_141:
	v_mov_b64_e32 v[12:13], 0
.LBB115_142:
	v_cvt_f32_f64_e32 v12, v[12:13]
	v_max_f32_e32 v13, v140, v140
	v_min_f32_e32 v12, v12, v13
	v_cvt_f64_f32_e32 v[12:13], v12
	v_lshl_add_u64 v[16:17], v[2:3], 3, v[8:9]
	global_store_dwordx2 v[16:17], v[12:13], off
	s_or_b64 exec, exec, s[20:21]
	s_and_b64 s[24:25], s[6:7], s[10:11]
	s_and_saveexec_b64 s[20:21], s[24:25]
	s_cbranch_execz .LBB115_134
.LBB115_143:
	s_and_b64 vcc, exec, s[0:1]
	s_cbranch_vccnz .LBB115_145
; %bb.144:
	v_lshl_add_u64 v[12:13], v[4:5], 3, v[10:11]
	flat_load_dwordx2 v[12:13], v[12:13]
	s_waitcnt vmcnt(0) lgkmcnt(0)
	v_mul_f64 v[12:13], v[12:13], s[14:15]
	s_branch .LBB115_146
.LBB115_145:
	v_mov_b64_e32 v[12:13], 0
.LBB115_146:
	v_cvt_f32_f64_e32 v12, v[12:13]
	v_max_f32_e32 v13, v139, v139
	v_min_f32_e32 v12, v12, v13
	v_cvt_f64_f32_e32 v[12:13], v12
	v_lshl_add_u64 v[16:17], v[4:5], 3, v[8:9]
	global_store_dwordx2 v[16:17], v[12:13], off
	s_or_b64 exec, exec, s[20:21]
	s_and_b64 s[20:21], s[8:9], s[10:11]
	s_and_saveexec_b64 s[10:11], s[20:21]
	s_cbranch_execz .LBB115_151
.LBB115_147:
	s_and_b64 vcc, exec, s[0:1]
	s_cbranch_vccnz .LBB115_149
; %bb.148:
	v_lshl_add_u64 v[10:11], v[6:7], 3, v[10:11]
	flat_load_dwordx2 v[10:11], v[10:11]
	s_waitcnt vmcnt(0) lgkmcnt(0)
	v_mul_f64 v[10:11], v[10:11], s[14:15]
	s_branch .LBB115_150
.LBB115_149:
	v_mov_b64_e32 v[10:11], 0
.LBB115_150:
	v_cvt_f32_f64_e32 v10, v[10:11]
	v_max_f32_e32 v11, v138, v138
	v_min_f32_e32 v10, v10, v11
	v_cvt_f64_f32_e32 v[10:11], v10
	v_lshl_add_u64 v[8:9], v[6:7], 3, v[8:9]
	global_store_dwordx2 v[8:9], v[10:11], off
.LBB115_151:
	s_or_b64 exec, exec, s[10:11]
	v_add_u32_e32 v12, 40, v14
	v_mad_i64_i32 v[8:9], s[20:21], v12, s23, 0
	v_cmp_gt_i32_e64 s[10:11], s17, v12
	v_lshl_add_u64 v[10:11], v[8:9], 3, s[12:13]
	v_mad_i64_i32 v[8:9], s[20:21], v12, s22, 0
	v_lshl_add_u64 v[8:9], v[8:9], 3, s[18:19]
	s_and_b64 s[24:25], s[2:3], s[10:11]
	s_and_saveexec_b64 s[20:21], s[24:25]
	s_cbranch_execnz .LBB115_155
; %bb.152:
	s_or_b64 exec, exec, s[20:21]
	s_and_b64 s[24:25], s[4:5], s[10:11]
	s_and_saveexec_b64 s[20:21], s[24:25]
	s_cbranch_execnz .LBB115_159
.LBB115_153:
	s_or_b64 exec, exec, s[20:21]
	s_and_b64 s[24:25], s[6:7], s[10:11]
	s_and_saveexec_b64 s[20:21], s[24:25]
	s_cbranch_execnz .LBB115_163
.LBB115_154:
	s_or_b64 exec, exec, s[20:21]
	s_and_b64 s[20:21], s[8:9], s[10:11]
	s_and_saveexec_b64 s[10:11], s[20:21]
	s_cbranch_execnz .LBB115_167
	s_branch .LBB115_171
.LBB115_155:
	s_and_b64 vcc, exec, s[0:1]
	s_cbranch_vccnz .LBB115_157
; %bb.156:
	v_lshl_add_u64 v[12:13], v[0:1], 3, v[10:11]
	flat_load_dwordx2 v[12:13], v[12:13]
	s_waitcnt vmcnt(0) lgkmcnt(0)
	v_mul_f64 v[12:13], v[12:13], s[14:15]
	s_branch .LBB115_158
.LBB115_157:
	v_mov_b64_e32 v[12:13], 0
.LBB115_158:
	v_cvt_f32_f64_e32 v12, v[12:13]
	v_max_f32_e32 v13, v137, v137
	v_min_f32_e32 v12, v12, v13
	v_cvt_f64_f32_e32 v[12:13], v12
	v_lshl_add_u64 v[16:17], v[0:1], 3, v[8:9]
	global_store_dwordx2 v[16:17], v[12:13], off
	s_or_b64 exec, exec, s[20:21]
	s_and_b64 s[24:25], s[4:5], s[10:11]
	s_and_saveexec_b64 s[20:21], s[24:25]
	s_cbranch_execz .LBB115_153
.LBB115_159:
	s_and_b64 vcc, exec, s[0:1]
	s_cbranch_vccnz .LBB115_161
; %bb.160:
	v_lshl_add_u64 v[12:13], v[2:3], 3, v[10:11]
	flat_load_dwordx2 v[12:13], v[12:13]
	s_waitcnt vmcnt(0) lgkmcnt(0)
	v_mul_f64 v[12:13], v[12:13], s[14:15]
	s_branch .LBB115_162
.LBB115_161:
	v_mov_b64_e32 v[12:13], 0
.LBB115_162:
	v_cvt_f32_f64_e32 v12, v[12:13]
	v_max_f32_e32 v13, v136, v136
	v_min_f32_e32 v12, v12, v13
	v_cvt_f64_f32_e32 v[12:13], v12
	v_lshl_add_u64 v[16:17], v[2:3], 3, v[8:9]
	global_store_dwordx2 v[16:17], v[12:13], off
	s_or_b64 exec, exec, s[20:21]
	s_and_b64 s[24:25], s[6:7], s[10:11]
	s_and_saveexec_b64 s[20:21], s[24:25]
	s_cbranch_execz .LBB115_154
.LBB115_163:
	s_and_b64 vcc, exec, s[0:1]
	s_cbranch_vccnz .LBB115_165
; %bb.164:
	v_lshl_add_u64 v[12:13], v[4:5], 3, v[10:11]
	flat_load_dwordx2 v[12:13], v[12:13]
	s_waitcnt vmcnt(0) lgkmcnt(0)
	v_mul_f64 v[12:13], v[12:13], s[14:15]
	s_branch .LBB115_166
.LBB115_165:
	v_mov_b64_e32 v[12:13], 0
.LBB115_166:
	v_cvt_f32_f64_e32 v12, v[12:13]
	v_max_f32_e32 v13, v135, v135
	v_min_f32_e32 v12, v12, v13
	v_cvt_f64_f32_e32 v[12:13], v12
	v_lshl_add_u64 v[16:17], v[4:5], 3, v[8:9]
	global_store_dwordx2 v[16:17], v[12:13], off
	s_or_b64 exec, exec, s[20:21]
	s_and_b64 s[20:21], s[8:9], s[10:11]
	s_and_saveexec_b64 s[10:11], s[20:21]
	s_cbranch_execz .LBB115_171
.LBB115_167:
	s_and_b64 vcc, exec, s[0:1]
	s_cbranch_vccnz .LBB115_169
; %bb.168:
	v_lshl_add_u64 v[10:11], v[6:7], 3, v[10:11]
	flat_load_dwordx2 v[10:11], v[10:11]
	s_waitcnt vmcnt(0) lgkmcnt(0)
	v_mul_f64 v[10:11], v[10:11], s[14:15]
	s_branch .LBB115_170
.LBB115_169:
	v_mov_b64_e32 v[10:11], 0
.LBB115_170:
	v_cvt_f32_f64_e32 v10, v[10:11]
	v_max_f32_e32 v11, v134, v134
	v_min_f32_e32 v10, v10, v11
	v_cvt_f64_f32_e32 v[10:11], v10
	v_lshl_add_u64 v[8:9], v[6:7], 3, v[8:9]
	global_store_dwordx2 v[8:9], v[10:11], off
.LBB115_171:
	s_or_b64 exec, exec, s[10:11]
	v_add_u32_e32 v12, 48, v14
	v_mad_i64_i32 v[8:9], s[20:21], v12, s23, 0
	v_cmp_gt_i32_e64 s[10:11], s17, v12
	v_lshl_add_u64 v[10:11], v[8:9], 3, s[12:13]
	v_mad_i64_i32 v[8:9], s[20:21], v12, s22, 0
	v_lshl_add_u64 v[8:9], v[8:9], 3, s[18:19]
	s_and_b64 s[24:25], s[2:3], s[10:11]
	s_and_saveexec_b64 s[20:21], s[24:25]
	s_cbranch_execnz .LBB115_175
; %bb.172:
	s_or_b64 exec, exec, s[20:21]
	s_and_b64 s[24:25], s[4:5], s[10:11]
	s_and_saveexec_b64 s[20:21], s[24:25]
	s_cbranch_execnz .LBB115_179
.LBB115_173:
	s_or_b64 exec, exec, s[20:21]
	s_and_b64 s[24:25], s[6:7], s[10:11]
	s_and_saveexec_b64 s[20:21], s[24:25]
	s_cbranch_execnz .LBB115_183
.LBB115_174:
	s_or_b64 exec, exec, s[20:21]
	s_and_b64 s[20:21], s[8:9], s[10:11]
	s_and_saveexec_b64 s[10:11], s[20:21]
	s_cbranch_execnz .LBB115_187
	s_branch .LBB115_191
.LBB115_175:
	s_and_b64 vcc, exec, s[0:1]
	s_cbranch_vccnz .LBB115_177
; %bb.176:
	v_lshl_add_u64 v[12:13], v[0:1], 3, v[10:11]
	flat_load_dwordx2 v[12:13], v[12:13]
	s_waitcnt vmcnt(0) lgkmcnt(0)
	v_mul_f64 v[12:13], v[12:13], s[14:15]
	s_branch .LBB115_178
.LBB115_177:
	v_mov_b64_e32 v[12:13], 0
.LBB115_178:
	v_cvt_f32_f64_e32 v12, v[12:13]
	v_max_f32_e32 v13, v133, v133
	v_min_f32_e32 v12, v12, v13
	v_cvt_f64_f32_e32 v[12:13], v12
	v_lshl_add_u64 v[16:17], v[0:1], 3, v[8:9]
	global_store_dwordx2 v[16:17], v[12:13], off
	s_or_b64 exec, exec, s[20:21]
	s_and_b64 s[24:25], s[4:5], s[10:11]
	s_and_saveexec_b64 s[20:21], s[24:25]
	s_cbranch_execz .LBB115_173
.LBB115_179:
	s_and_b64 vcc, exec, s[0:1]
	s_cbranch_vccnz .LBB115_181
; %bb.180:
	v_lshl_add_u64 v[12:13], v[2:3], 3, v[10:11]
	flat_load_dwordx2 v[12:13], v[12:13]
	s_waitcnt vmcnt(0) lgkmcnt(0)
	v_mul_f64 v[12:13], v[12:13], s[14:15]
	s_branch .LBB115_182
.LBB115_181:
	v_mov_b64_e32 v[12:13], 0
.LBB115_182:
	v_cvt_f32_f64_e32 v12, v[12:13]
	v_max_f32_e32 v13, v132, v132
	v_min_f32_e32 v12, v12, v13
	v_cvt_f64_f32_e32 v[12:13], v12
	v_lshl_add_u64 v[16:17], v[2:3], 3, v[8:9]
	global_store_dwordx2 v[16:17], v[12:13], off
	s_or_b64 exec, exec, s[20:21]
	s_and_b64 s[24:25], s[6:7], s[10:11]
	s_and_saveexec_b64 s[20:21], s[24:25]
	s_cbranch_execz .LBB115_174
.LBB115_183:
	s_and_b64 vcc, exec, s[0:1]
	s_cbranch_vccnz .LBB115_185
; %bb.184:
	v_lshl_add_u64 v[12:13], v[4:5], 3, v[10:11]
	flat_load_dwordx2 v[12:13], v[12:13]
	s_waitcnt vmcnt(0) lgkmcnt(0)
	v_mul_f64 v[12:13], v[12:13], s[14:15]
	s_branch .LBB115_186
.LBB115_185:
	v_mov_b64_e32 v[12:13], 0
.LBB115_186:
	v_cvt_f32_f64_e32 v12, v[12:13]
	v_max_f32_e32 v13, v131, v131
	v_min_f32_e32 v12, v12, v13
	v_cvt_f64_f32_e32 v[12:13], v12
	v_lshl_add_u64 v[16:17], v[4:5], 3, v[8:9]
	global_store_dwordx2 v[16:17], v[12:13], off
	s_or_b64 exec, exec, s[20:21]
	s_and_b64 s[20:21], s[8:9], s[10:11]
	s_and_saveexec_b64 s[10:11], s[20:21]
	s_cbranch_execz .LBB115_191
.LBB115_187:
	s_and_b64 vcc, exec, s[0:1]
	s_cbranch_vccnz .LBB115_189
; %bb.188:
	v_lshl_add_u64 v[10:11], v[6:7], 3, v[10:11]
	flat_load_dwordx2 v[10:11], v[10:11]
	s_waitcnt vmcnt(0) lgkmcnt(0)
	v_mul_f64 v[10:11], v[10:11], s[14:15]
	s_branch .LBB115_190
.LBB115_189:
	v_mov_b64_e32 v[10:11], 0
.LBB115_190:
	v_cvt_f32_f64_e32 v10, v[10:11]
	v_max_f32_e32 v11, v130, v130
	v_min_f32_e32 v10, v10, v11
	v_cvt_f64_f32_e32 v[10:11], v10
	v_lshl_add_u64 v[8:9], v[6:7], 3, v[8:9]
	global_store_dwordx2 v[8:9], v[10:11], off
.LBB115_191:
	s_or_b64 exec, exec, s[10:11]
	v_add_u32_e32 v12, 56, v14
	v_mad_i64_i32 v[8:9], s[20:21], v12, s23, 0
	v_cmp_gt_i32_e64 s[10:11], s17, v12
	v_lshl_add_u64 v[10:11], v[8:9], 3, s[12:13]
	v_mad_i64_i32 v[8:9], s[20:21], v12, s22, 0
	v_lshl_add_u64 v[8:9], v[8:9], 3, s[18:19]
	s_and_b64 s[24:25], s[2:3], s[10:11]
	s_and_saveexec_b64 s[20:21], s[24:25]
	s_cbranch_execnz .LBB115_195
; %bb.192:
	s_or_b64 exec, exec, s[20:21]
	s_and_b64 s[24:25], s[4:5], s[10:11]
	s_and_saveexec_b64 s[20:21], s[24:25]
	s_cbranch_execnz .LBB115_199
.LBB115_193:
	s_or_b64 exec, exec, s[20:21]
	s_and_b64 s[24:25], s[6:7], s[10:11]
	s_and_saveexec_b64 s[20:21], s[24:25]
	s_cbranch_execnz .LBB115_203
.LBB115_194:
	s_or_b64 exec, exec, s[20:21]
	s_and_b64 s[20:21], s[8:9], s[10:11]
	s_and_saveexec_b64 s[10:11], s[20:21]
	s_cbranch_execnz .LBB115_207
	s_branch .LBB115_211
.LBB115_195:
	s_and_b64 vcc, exec, s[0:1]
	s_cbranch_vccnz .LBB115_197
; %bb.196:
	v_lshl_add_u64 v[12:13], v[0:1], 3, v[10:11]
	flat_load_dwordx2 v[12:13], v[12:13]
	s_waitcnt vmcnt(0) lgkmcnt(0)
	v_mul_f64 v[12:13], v[12:13], s[14:15]
	s_branch .LBB115_198
.LBB115_197:
	v_mov_b64_e32 v[12:13], 0
.LBB115_198:
	v_cvt_f32_f64_e32 v12, v[12:13]
	v_max_f32_e32 v13, v129, v129
	v_min_f32_e32 v12, v12, v13
	v_cvt_f64_f32_e32 v[12:13], v12
	v_lshl_add_u64 v[16:17], v[0:1], 3, v[8:9]
	global_store_dwordx2 v[16:17], v[12:13], off
	s_or_b64 exec, exec, s[20:21]
	s_and_b64 s[24:25], s[4:5], s[10:11]
	s_and_saveexec_b64 s[20:21], s[24:25]
	s_cbranch_execz .LBB115_193
.LBB115_199:
	s_and_b64 vcc, exec, s[0:1]
	s_cbranch_vccnz .LBB115_201
; %bb.200:
	v_lshl_add_u64 v[12:13], v[2:3], 3, v[10:11]
	flat_load_dwordx2 v[12:13], v[12:13]
	s_waitcnt vmcnt(0) lgkmcnt(0)
	v_mul_f64 v[12:13], v[12:13], s[14:15]
	s_branch .LBB115_202
.LBB115_201:
	v_mov_b64_e32 v[12:13], 0
.LBB115_202:
	v_cvt_f32_f64_e32 v12, v[12:13]
	v_max_f32_e32 v13, v128, v128
	v_min_f32_e32 v12, v12, v13
	v_cvt_f64_f32_e32 v[12:13], v12
	v_lshl_add_u64 v[16:17], v[2:3], 3, v[8:9]
	global_store_dwordx2 v[16:17], v[12:13], off
	s_or_b64 exec, exec, s[20:21]
	s_and_b64 s[24:25], s[6:7], s[10:11]
	s_and_saveexec_b64 s[20:21], s[24:25]
	s_cbranch_execz .LBB115_194
.LBB115_203:
	s_and_b64 vcc, exec, s[0:1]
	s_cbranch_vccnz .LBB115_205
; %bb.204:
	v_lshl_add_u64 v[12:13], v[4:5], 3, v[10:11]
	flat_load_dwordx2 v[12:13], v[12:13]
	s_waitcnt vmcnt(0) lgkmcnt(0)
	v_mul_f64 v[12:13], v[12:13], s[14:15]
	s_branch .LBB115_206
.LBB115_205:
	v_mov_b64_e32 v[12:13], 0
.LBB115_206:
	v_cvt_f32_f64_e32 v12, v[12:13]
	v_max_f32_e32 v13, v127, v127
	v_min_f32_e32 v12, v12, v13
	v_cvt_f64_f32_e32 v[12:13], v12
	v_lshl_add_u64 v[16:17], v[4:5], 3, v[8:9]
	global_store_dwordx2 v[16:17], v[12:13], off
	s_or_b64 exec, exec, s[20:21]
	s_and_b64 s[20:21], s[8:9], s[10:11]
	s_and_saveexec_b64 s[10:11], s[20:21]
	s_cbranch_execz .LBB115_211
.LBB115_207:
	s_and_b64 vcc, exec, s[0:1]
	s_cbranch_vccnz .LBB115_209
; %bb.208:
	v_lshl_add_u64 v[10:11], v[6:7], 3, v[10:11]
	flat_load_dwordx2 v[10:11], v[10:11]
	s_waitcnt vmcnt(0) lgkmcnt(0)
	v_mul_f64 v[10:11], v[10:11], s[14:15]
	s_branch .LBB115_210
.LBB115_209:
	v_mov_b64_e32 v[10:11], 0
.LBB115_210:
	v_cvt_f32_f64_e32 v10, v[10:11]
	v_max_f32_e32 v11, v126, v126
	v_min_f32_e32 v10, v10, v11
	v_cvt_f64_f32_e32 v[10:11], v10
	v_lshl_add_u64 v[8:9], v[6:7], 3, v[8:9]
	global_store_dwordx2 v[8:9], v[10:11], off
.LBB115_211:
	s_or_b64 exec, exec, s[10:11]
	v_add_u32_e32 v12, 64, v14
	v_mad_i64_i32 v[8:9], s[20:21], v12, s23, 0
	v_cmp_gt_i32_e64 s[10:11], s17, v12
	v_lshl_add_u64 v[10:11], v[8:9], 3, s[12:13]
	v_mad_i64_i32 v[8:9], s[20:21], v12, s22, 0
	v_lshl_add_u64 v[8:9], v[8:9], 3, s[18:19]
	s_and_b64 s[24:25], s[2:3], s[10:11]
	s_and_saveexec_b64 s[20:21], s[24:25]
	s_cbranch_execnz .LBB115_215
; %bb.212:
	s_or_b64 exec, exec, s[20:21]
	s_and_b64 s[24:25], s[4:5], s[10:11]
	s_and_saveexec_b64 s[20:21], s[24:25]
	s_cbranch_execnz .LBB115_219
.LBB115_213:
	s_or_b64 exec, exec, s[20:21]
	s_and_b64 s[24:25], s[6:7], s[10:11]
	s_and_saveexec_b64 s[20:21], s[24:25]
	s_cbranch_execnz .LBB115_223
.LBB115_214:
	s_or_b64 exec, exec, s[20:21]
	s_and_b64 s[20:21], s[8:9], s[10:11]
	s_and_saveexec_b64 s[10:11], s[20:21]
	s_cbranch_execnz .LBB115_227
	s_branch .LBB115_231
.LBB115_215:
	s_and_b64 vcc, exec, s[0:1]
	s_cbranch_vccnz .LBB115_217
; %bb.216:
	v_lshl_add_u64 v[12:13], v[0:1], 3, v[10:11]
	flat_load_dwordx2 v[12:13], v[12:13]
	s_waitcnt vmcnt(0) lgkmcnt(0)
	v_mul_f64 v[12:13], v[12:13], s[14:15]
	s_branch .LBB115_218
.LBB115_217:
	v_mov_b64_e32 v[12:13], 0
.LBB115_218:
	v_cvt_f32_f64_e32 v12, v[12:13]
	v_max_f32_e32 v13, v125, v125
	v_min_f32_e32 v12, v12, v13
	v_cvt_f64_f32_e32 v[12:13], v12
	v_lshl_add_u64 v[16:17], v[0:1], 3, v[8:9]
	global_store_dwordx2 v[16:17], v[12:13], off
	s_or_b64 exec, exec, s[20:21]
	s_and_b64 s[24:25], s[4:5], s[10:11]
	s_and_saveexec_b64 s[20:21], s[24:25]
	s_cbranch_execz .LBB115_213
.LBB115_219:
	s_and_b64 vcc, exec, s[0:1]
	s_cbranch_vccnz .LBB115_221
; %bb.220:
	v_lshl_add_u64 v[12:13], v[2:3], 3, v[10:11]
	flat_load_dwordx2 v[12:13], v[12:13]
	s_waitcnt vmcnt(0) lgkmcnt(0)
	v_mul_f64 v[12:13], v[12:13], s[14:15]
	s_branch .LBB115_222
.LBB115_221:
	v_mov_b64_e32 v[12:13], 0
.LBB115_222:
	v_cvt_f32_f64_e32 v12, v[12:13]
	v_max_f32_e32 v13, v124, v124
	v_min_f32_e32 v12, v12, v13
	v_cvt_f64_f32_e32 v[12:13], v12
	v_lshl_add_u64 v[16:17], v[2:3], 3, v[8:9]
	global_store_dwordx2 v[16:17], v[12:13], off
	s_or_b64 exec, exec, s[20:21]
	s_and_b64 s[24:25], s[6:7], s[10:11]
	s_and_saveexec_b64 s[20:21], s[24:25]
	s_cbranch_execz .LBB115_214
.LBB115_223:
	s_and_b64 vcc, exec, s[0:1]
	s_cbranch_vccnz .LBB115_225
; %bb.224:
	v_lshl_add_u64 v[12:13], v[4:5], 3, v[10:11]
	flat_load_dwordx2 v[12:13], v[12:13]
	s_waitcnt vmcnt(0) lgkmcnt(0)
	v_mul_f64 v[12:13], v[12:13], s[14:15]
	s_branch .LBB115_226
.LBB115_225:
	v_mov_b64_e32 v[12:13], 0
.LBB115_226:
	v_cvt_f32_f64_e32 v12, v[12:13]
	v_max_f32_e32 v13, v123, v123
	v_min_f32_e32 v12, v12, v13
	v_cvt_f64_f32_e32 v[12:13], v12
	v_lshl_add_u64 v[16:17], v[4:5], 3, v[8:9]
	global_store_dwordx2 v[16:17], v[12:13], off
	s_or_b64 exec, exec, s[20:21]
	s_and_b64 s[20:21], s[8:9], s[10:11]
	s_and_saveexec_b64 s[10:11], s[20:21]
	s_cbranch_execz .LBB115_231
.LBB115_227:
	s_and_b64 vcc, exec, s[0:1]
	s_cbranch_vccnz .LBB115_229
; %bb.228:
	v_lshl_add_u64 v[10:11], v[6:7], 3, v[10:11]
	flat_load_dwordx2 v[10:11], v[10:11]
	s_waitcnt vmcnt(0) lgkmcnt(0)
	v_mul_f64 v[10:11], v[10:11], s[14:15]
	s_branch .LBB115_230
.LBB115_229:
	v_mov_b64_e32 v[10:11], 0
.LBB115_230:
	v_cvt_f32_f64_e32 v10, v[10:11]
	v_max_f32_e32 v11, v122, v122
	v_min_f32_e32 v10, v10, v11
	v_cvt_f64_f32_e32 v[10:11], v10
	v_lshl_add_u64 v[8:9], v[6:7], 3, v[8:9]
	global_store_dwordx2 v[8:9], v[10:11], off
.LBB115_231:
	s_or_b64 exec, exec, s[10:11]
	v_add_u32_e32 v12, 0x48, v14
	v_mad_i64_i32 v[8:9], s[20:21], v12, s23, 0
	v_cmp_gt_i32_e64 s[10:11], s17, v12
	v_lshl_add_u64 v[10:11], v[8:9], 3, s[12:13]
	v_mad_i64_i32 v[8:9], s[20:21], v12, s22, 0
	v_lshl_add_u64 v[8:9], v[8:9], 3, s[18:19]
	s_and_b64 s[24:25], s[2:3], s[10:11]
	s_and_saveexec_b64 s[20:21], s[24:25]
	s_cbranch_execnz .LBB115_235
; %bb.232:
	s_or_b64 exec, exec, s[20:21]
	s_and_b64 s[24:25], s[4:5], s[10:11]
	s_and_saveexec_b64 s[20:21], s[24:25]
	s_cbranch_execnz .LBB115_239
.LBB115_233:
	s_or_b64 exec, exec, s[20:21]
	s_and_b64 s[24:25], s[6:7], s[10:11]
	s_and_saveexec_b64 s[20:21], s[24:25]
	s_cbranch_execnz .LBB115_243
.LBB115_234:
	s_or_b64 exec, exec, s[20:21]
	s_and_b64 s[20:21], s[8:9], s[10:11]
	s_and_saveexec_b64 s[10:11], s[20:21]
	s_cbranch_execnz .LBB115_247
	s_branch .LBB115_251
.LBB115_235:
	s_and_b64 vcc, exec, s[0:1]
	s_cbranch_vccnz .LBB115_237
; %bb.236:
	v_lshl_add_u64 v[12:13], v[0:1], 3, v[10:11]
	flat_load_dwordx2 v[12:13], v[12:13]
	s_waitcnt vmcnt(0) lgkmcnt(0)
	v_mul_f64 v[12:13], v[12:13], s[14:15]
	s_branch .LBB115_238
.LBB115_237:
	v_mov_b64_e32 v[12:13], 0
.LBB115_238:
	v_cvt_f32_f64_e32 v12, v[12:13]
	v_max_f32_e32 v13, v121, v121
	v_min_f32_e32 v12, v12, v13
	v_cvt_f64_f32_e32 v[12:13], v12
	v_lshl_add_u64 v[16:17], v[0:1], 3, v[8:9]
	global_store_dwordx2 v[16:17], v[12:13], off
	s_or_b64 exec, exec, s[20:21]
	s_and_b64 s[24:25], s[4:5], s[10:11]
	s_and_saveexec_b64 s[20:21], s[24:25]
	s_cbranch_execz .LBB115_233
.LBB115_239:
	s_and_b64 vcc, exec, s[0:1]
	s_cbranch_vccnz .LBB115_241
; %bb.240:
	v_lshl_add_u64 v[12:13], v[2:3], 3, v[10:11]
	flat_load_dwordx2 v[12:13], v[12:13]
	s_waitcnt vmcnt(0) lgkmcnt(0)
	v_mul_f64 v[12:13], v[12:13], s[14:15]
	s_branch .LBB115_242
.LBB115_241:
	v_mov_b64_e32 v[12:13], 0
.LBB115_242:
	v_cvt_f32_f64_e32 v12, v[12:13]
	v_max_f32_e32 v13, v120, v120
	v_min_f32_e32 v12, v12, v13
	v_cvt_f64_f32_e32 v[12:13], v12
	v_lshl_add_u64 v[16:17], v[2:3], 3, v[8:9]
	global_store_dwordx2 v[16:17], v[12:13], off
	s_or_b64 exec, exec, s[20:21]
	s_and_b64 s[24:25], s[6:7], s[10:11]
	s_and_saveexec_b64 s[20:21], s[24:25]
	s_cbranch_execz .LBB115_234
.LBB115_243:
	s_and_b64 vcc, exec, s[0:1]
	s_cbranch_vccnz .LBB115_245
; %bb.244:
	v_lshl_add_u64 v[12:13], v[4:5], 3, v[10:11]
	flat_load_dwordx2 v[12:13], v[12:13]
	s_waitcnt vmcnt(0) lgkmcnt(0)
	v_mul_f64 v[12:13], v[12:13], s[14:15]
	s_branch .LBB115_246
.LBB115_245:
	v_mov_b64_e32 v[12:13], 0
.LBB115_246:
	v_cvt_f32_f64_e32 v12, v[12:13]
	v_max_f32_e32 v13, v119, v119
	v_min_f32_e32 v12, v12, v13
	v_cvt_f64_f32_e32 v[12:13], v12
	v_lshl_add_u64 v[16:17], v[4:5], 3, v[8:9]
	global_store_dwordx2 v[16:17], v[12:13], off
	s_or_b64 exec, exec, s[20:21]
	s_and_b64 s[20:21], s[8:9], s[10:11]
	s_and_saveexec_b64 s[10:11], s[20:21]
	s_cbranch_execz .LBB115_251
.LBB115_247:
	s_and_b64 vcc, exec, s[0:1]
	s_cbranch_vccnz .LBB115_249
; %bb.248:
	v_lshl_add_u64 v[10:11], v[6:7], 3, v[10:11]
	flat_load_dwordx2 v[10:11], v[10:11]
	s_waitcnt vmcnt(0) lgkmcnt(0)
	v_mul_f64 v[10:11], v[10:11], s[14:15]
	s_branch .LBB115_250
.LBB115_249:
	v_mov_b64_e32 v[10:11], 0
.LBB115_250:
	v_cvt_f32_f64_e32 v10, v[10:11]
	v_max_f32_e32 v11, v118, v118
	v_min_f32_e32 v10, v10, v11
	v_cvt_f64_f32_e32 v[10:11], v10
	v_lshl_add_u64 v[8:9], v[6:7], 3, v[8:9]
	global_store_dwordx2 v[8:9], v[10:11], off
.LBB115_251:
	s_or_b64 exec, exec, s[10:11]
	v_add_u32_e32 v12, 0x50, v14
	v_mad_i64_i32 v[8:9], s[20:21], v12, s23, 0
	v_cmp_gt_i32_e64 s[10:11], s17, v12
	v_lshl_add_u64 v[10:11], v[8:9], 3, s[12:13]
	v_mad_i64_i32 v[8:9], s[20:21], v12, s22, 0
	v_lshl_add_u64 v[8:9], v[8:9], 3, s[18:19]
	s_and_b64 s[24:25], s[2:3], s[10:11]
	s_and_saveexec_b64 s[20:21], s[24:25]
	s_cbranch_execnz .LBB115_255
; %bb.252:
	s_or_b64 exec, exec, s[20:21]
	s_and_b64 s[24:25], s[4:5], s[10:11]
	s_and_saveexec_b64 s[20:21], s[24:25]
	s_cbranch_execnz .LBB115_259
.LBB115_253:
	s_or_b64 exec, exec, s[20:21]
	s_and_b64 s[24:25], s[6:7], s[10:11]
	s_and_saveexec_b64 s[20:21], s[24:25]
	s_cbranch_execnz .LBB115_263
.LBB115_254:
	s_or_b64 exec, exec, s[20:21]
	s_and_b64 s[20:21], s[8:9], s[10:11]
	s_and_saveexec_b64 s[10:11], s[20:21]
	s_cbranch_execnz .LBB115_267
	s_branch .LBB115_271
.LBB115_255:
	s_and_b64 vcc, exec, s[0:1]
	s_cbranch_vccnz .LBB115_257
; %bb.256:
	v_lshl_add_u64 v[12:13], v[0:1], 3, v[10:11]
	flat_load_dwordx2 v[12:13], v[12:13]
	s_waitcnt vmcnt(0) lgkmcnt(0)
	v_mul_f64 v[12:13], v[12:13], s[14:15]
	s_branch .LBB115_258
.LBB115_257:
	v_mov_b64_e32 v[12:13], 0
.LBB115_258:
	v_cvt_f32_f64_e32 v12, v[12:13]
	v_max_f32_e32 v13, v117, v117
	v_min_f32_e32 v12, v12, v13
	v_cvt_f64_f32_e32 v[12:13], v12
	v_lshl_add_u64 v[16:17], v[0:1], 3, v[8:9]
	global_store_dwordx2 v[16:17], v[12:13], off
	s_or_b64 exec, exec, s[20:21]
	s_and_b64 s[24:25], s[4:5], s[10:11]
	s_and_saveexec_b64 s[20:21], s[24:25]
	s_cbranch_execz .LBB115_253
.LBB115_259:
	s_and_b64 vcc, exec, s[0:1]
	s_cbranch_vccnz .LBB115_261
; %bb.260:
	v_lshl_add_u64 v[12:13], v[2:3], 3, v[10:11]
	flat_load_dwordx2 v[12:13], v[12:13]
	s_waitcnt vmcnt(0) lgkmcnt(0)
	v_mul_f64 v[12:13], v[12:13], s[14:15]
	s_branch .LBB115_262
.LBB115_261:
	v_mov_b64_e32 v[12:13], 0
.LBB115_262:
	v_cvt_f32_f64_e32 v12, v[12:13]
	v_max_f32_e32 v13, v116, v116
	v_min_f32_e32 v12, v12, v13
	v_cvt_f64_f32_e32 v[12:13], v12
	v_lshl_add_u64 v[16:17], v[2:3], 3, v[8:9]
	global_store_dwordx2 v[16:17], v[12:13], off
	s_or_b64 exec, exec, s[20:21]
	s_and_b64 s[24:25], s[6:7], s[10:11]
	s_and_saveexec_b64 s[20:21], s[24:25]
	s_cbranch_execz .LBB115_254
.LBB115_263:
	s_and_b64 vcc, exec, s[0:1]
	s_cbranch_vccnz .LBB115_265
; %bb.264:
	v_lshl_add_u64 v[12:13], v[4:5], 3, v[10:11]
	flat_load_dwordx2 v[12:13], v[12:13]
	s_waitcnt vmcnt(0) lgkmcnt(0)
	v_mul_f64 v[12:13], v[12:13], s[14:15]
	s_branch .LBB115_266
.LBB115_265:
	v_mov_b64_e32 v[12:13], 0
.LBB115_266:
	v_cvt_f32_f64_e32 v12, v[12:13]
	v_max_f32_e32 v13, v115, v115
	v_min_f32_e32 v12, v12, v13
	v_cvt_f64_f32_e32 v[12:13], v12
	v_lshl_add_u64 v[16:17], v[4:5], 3, v[8:9]
	global_store_dwordx2 v[16:17], v[12:13], off
	s_or_b64 exec, exec, s[20:21]
	s_and_b64 s[20:21], s[8:9], s[10:11]
	s_and_saveexec_b64 s[10:11], s[20:21]
	s_cbranch_execz .LBB115_271
.LBB115_267:
	s_and_b64 vcc, exec, s[0:1]
	s_cbranch_vccnz .LBB115_269
; %bb.268:
	v_lshl_add_u64 v[10:11], v[6:7], 3, v[10:11]
	flat_load_dwordx2 v[10:11], v[10:11]
	s_waitcnt vmcnt(0) lgkmcnt(0)
	v_mul_f64 v[10:11], v[10:11], s[14:15]
	s_branch .LBB115_270
.LBB115_269:
	v_mov_b64_e32 v[10:11], 0
.LBB115_270:
	v_cvt_f32_f64_e32 v10, v[10:11]
	v_max_f32_e32 v11, v114, v114
	v_min_f32_e32 v10, v10, v11
	v_cvt_f64_f32_e32 v[10:11], v10
	v_lshl_add_u64 v[8:9], v[6:7], 3, v[8:9]
	global_store_dwordx2 v[8:9], v[10:11], off
.LBB115_271:
	s_or_b64 exec, exec, s[10:11]
	v_add_u32_e32 v12, 0x58, v14
	v_mad_i64_i32 v[8:9], s[20:21], v12, s23, 0
	v_cmp_gt_i32_e64 s[10:11], s17, v12
	v_lshl_add_u64 v[10:11], v[8:9], 3, s[12:13]
	v_mad_i64_i32 v[8:9], s[20:21], v12, s22, 0
	v_lshl_add_u64 v[8:9], v[8:9], 3, s[18:19]
	s_and_b64 s[24:25], s[2:3], s[10:11]
	s_and_saveexec_b64 s[20:21], s[24:25]
	s_cbranch_execnz .LBB115_275
; %bb.272:
	s_or_b64 exec, exec, s[20:21]
	s_and_b64 s[24:25], s[4:5], s[10:11]
	s_and_saveexec_b64 s[20:21], s[24:25]
	s_cbranch_execnz .LBB115_279
.LBB115_273:
	s_or_b64 exec, exec, s[20:21]
	s_and_b64 s[24:25], s[6:7], s[10:11]
	s_and_saveexec_b64 s[20:21], s[24:25]
	s_cbranch_execnz .LBB115_283
.LBB115_274:
	s_or_b64 exec, exec, s[20:21]
	s_and_b64 s[20:21], s[8:9], s[10:11]
	s_and_saveexec_b64 s[10:11], s[20:21]
	s_cbranch_execnz .LBB115_287
	s_branch .LBB115_291
.LBB115_275:
	s_and_b64 vcc, exec, s[0:1]
	s_cbranch_vccnz .LBB115_277
; %bb.276:
	v_lshl_add_u64 v[12:13], v[0:1], 3, v[10:11]
	flat_load_dwordx2 v[12:13], v[12:13]
	s_waitcnt vmcnt(0) lgkmcnt(0)
	v_mul_f64 v[12:13], v[12:13], s[14:15]
	s_branch .LBB115_278
.LBB115_277:
	v_mov_b64_e32 v[12:13], 0
.LBB115_278:
	v_cvt_f32_f64_e32 v12, v[12:13]
	v_max_f32_e32 v13, v113, v113
	v_min_f32_e32 v12, v12, v13
	v_cvt_f64_f32_e32 v[12:13], v12
	v_lshl_add_u64 v[16:17], v[0:1], 3, v[8:9]
	global_store_dwordx2 v[16:17], v[12:13], off
	s_or_b64 exec, exec, s[20:21]
	s_and_b64 s[24:25], s[4:5], s[10:11]
	s_and_saveexec_b64 s[20:21], s[24:25]
	s_cbranch_execz .LBB115_273
.LBB115_279:
	s_and_b64 vcc, exec, s[0:1]
	s_cbranch_vccnz .LBB115_281
; %bb.280:
	v_lshl_add_u64 v[12:13], v[2:3], 3, v[10:11]
	flat_load_dwordx2 v[12:13], v[12:13]
	s_waitcnt vmcnt(0) lgkmcnt(0)
	v_mul_f64 v[12:13], v[12:13], s[14:15]
	s_branch .LBB115_282
.LBB115_281:
	v_mov_b64_e32 v[12:13], 0
.LBB115_282:
	v_cvt_f32_f64_e32 v12, v[12:13]
	v_max_f32_e32 v13, v112, v112
	v_min_f32_e32 v12, v12, v13
	v_cvt_f64_f32_e32 v[12:13], v12
	v_lshl_add_u64 v[16:17], v[2:3], 3, v[8:9]
	global_store_dwordx2 v[16:17], v[12:13], off
	s_or_b64 exec, exec, s[20:21]
	s_and_b64 s[24:25], s[6:7], s[10:11]
	s_and_saveexec_b64 s[20:21], s[24:25]
	s_cbranch_execz .LBB115_274
.LBB115_283:
	s_and_b64 vcc, exec, s[0:1]
	s_cbranch_vccnz .LBB115_285
; %bb.284:
	v_lshl_add_u64 v[12:13], v[4:5], 3, v[10:11]
	flat_load_dwordx2 v[12:13], v[12:13]
	s_waitcnt vmcnt(0) lgkmcnt(0)
	v_mul_f64 v[12:13], v[12:13], s[14:15]
	s_branch .LBB115_286
.LBB115_285:
	v_mov_b64_e32 v[12:13], 0
.LBB115_286:
	v_cvt_f32_f64_e32 v12, v[12:13]
	v_max_f32_e32 v13, v111, v111
	v_min_f32_e32 v12, v12, v13
	v_cvt_f64_f32_e32 v[12:13], v12
	v_lshl_add_u64 v[16:17], v[4:5], 3, v[8:9]
	global_store_dwordx2 v[16:17], v[12:13], off
	s_or_b64 exec, exec, s[20:21]
	s_and_b64 s[20:21], s[8:9], s[10:11]
	s_and_saveexec_b64 s[10:11], s[20:21]
	s_cbranch_execz .LBB115_291
.LBB115_287:
	s_and_b64 vcc, exec, s[0:1]
	s_cbranch_vccnz .LBB115_289
; %bb.288:
	v_lshl_add_u64 v[10:11], v[6:7], 3, v[10:11]
	flat_load_dwordx2 v[10:11], v[10:11]
	s_waitcnt vmcnt(0) lgkmcnt(0)
	v_mul_f64 v[10:11], v[10:11], s[14:15]
	s_branch .LBB115_290
.LBB115_289:
	v_mov_b64_e32 v[10:11], 0
.LBB115_290:
	v_cvt_f32_f64_e32 v10, v[10:11]
	v_max_f32_e32 v11, v110, v110
	v_min_f32_e32 v10, v10, v11
	v_cvt_f64_f32_e32 v[10:11], v10
	v_lshl_add_u64 v[8:9], v[6:7], 3, v[8:9]
	global_store_dwordx2 v[8:9], v[10:11], off
.LBB115_291:
	s_or_b64 exec, exec, s[10:11]
	v_add_u32_e32 v12, 0x60, v14
	v_mad_i64_i32 v[8:9], s[20:21], v12, s23, 0
	v_cmp_gt_i32_e64 s[10:11], s17, v12
	v_lshl_add_u64 v[10:11], v[8:9], 3, s[12:13]
	v_mad_i64_i32 v[8:9], s[20:21], v12, s22, 0
	v_lshl_add_u64 v[8:9], v[8:9], 3, s[18:19]
	s_and_b64 s[24:25], s[2:3], s[10:11]
	s_and_saveexec_b64 s[20:21], s[24:25]
	s_cbranch_execnz .LBB115_295
; %bb.292:
	s_or_b64 exec, exec, s[20:21]
	s_and_b64 s[24:25], s[4:5], s[10:11]
	s_and_saveexec_b64 s[20:21], s[24:25]
	s_cbranch_execnz .LBB115_299
.LBB115_293:
	s_or_b64 exec, exec, s[20:21]
	s_and_b64 s[24:25], s[6:7], s[10:11]
	s_and_saveexec_b64 s[20:21], s[24:25]
	s_cbranch_execnz .LBB115_303
.LBB115_294:
	s_or_b64 exec, exec, s[20:21]
	s_and_b64 s[20:21], s[8:9], s[10:11]
	s_and_saveexec_b64 s[10:11], s[20:21]
	s_cbranch_execnz .LBB115_307
	s_branch .LBB115_311
.LBB115_295:
	s_and_b64 vcc, exec, s[0:1]
	s_cbranch_vccnz .LBB115_297
; %bb.296:
	v_lshl_add_u64 v[12:13], v[0:1], 3, v[10:11]
	flat_load_dwordx2 v[12:13], v[12:13]
	s_waitcnt vmcnt(0) lgkmcnt(0)
	v_mul_f64 v[12:13], v[12:13], s[14:15]
	s_branch .LBB115_298
.LBB115_297:
	v_mov_b64_e32 v[12:13], 0
.LBB115_298:
	v_cvt_f32_f64_e32 v12, v[12:13]
	v_max_f32_e32 v13, v109, v109
	v_min_f32_e32 v12, v12, v13
	v_cvt_f64_f32_e32 v[12:13], v12
	v_lshl_add_u64 v[16:17], v[0:1], 3, v[8:9]
	global_store_dwordx2 v[16:17], v[12:13], off
	s_or_b64 exec, exec, s[20:21]
	s_and_b64 s[24:25], s[4:5], s[10:11]
	s_and_saveexec_b64 s[20:21], s[24:25]
	s_cbranch_execz .LBB115_293
.LBB115_299:
	s_and_b64 vcc, exec, s[0:1]
	s_cbranch_vccnz .LBB115_301
; %bb.300:
	v_lshl_add_u64 v[12:13], v[2:3], 3, v[10:11]
	flat_load_dwordx2 v[12:13], v[12:13]
	s_waitcnt vmcnt(0) lgkmcnt(0)
	v_mul_f64 v[12:13], v[12:13], s[14:15]
	s_branch .LBB115_302
.LBB115_301:
	v_mov_b64_e32 v[12:13], 0
.LBB115_302:
	v_cvt_f32_f64_e32 v12, v[12:13]
	v_max_f32_e32 v13, v108, v108
	v_min_f32_e32 v12, v12, v13
	v_cvt_f64_f32_e32 v[12:13], v12
	v_lshl_add_u64 v[16:17], v[2:3], 3, v[8:9]
	global_store_dwordx2 v[16:17], v[12:13], off
	s_or_b64 exec, exec, s[20:21]
	s_and_b64 s[24:25], s[6:7], s[10:11]
	s_and_saveexec_b64 s[20:21], s[24:25]
	s_cbranch_execz .LBB115_294
.LBB115_303:
	s_and_b64 vcc, exec, s[0:1]
	s_cbranch_vccnz .LBB115_305
; %bb.304:
	v_lshl_add_u64 v[12:13], v[4:5], 3, v[10:11]
	flat_load_dwordx2 v[12:13], v[12:13]
	s_waitcnt vmcnt(0) lgkmcnt(0)
	v_mul_f64 v[12:13], v[12:13], s[14:15]
	s_branch .LBB115_306
.LBB115_305:
	v_mov_b64_e32 v[12:13], 0
.LBB115_306:
	v_cvt_f32_f64_e32 v12, v[12:13]
	v_max_f32_e32 v13, v107, v107
	v_min_f32_e32 v12, v12, v13
	v_cvt_f64_f32_e32 v[12:13], v12
	v_lshl_add_u64 v[16:17], v[4:5], 3, v[8:9]
	global_store_dwordx2 v[16:17], v[12:13], off
	s_or_b64 exec, exec, s[20:21]
	s_and_b64 s[20:21], s[8:9], s[10:11]
	s_and_saveexec_b64 s[10:11], s[20:21]
	s_cbranch_execz .LBB115_311
.LBB115_307:
	s_and_b64 vcc, exec, s[0:1]
	s_cbranch_vccnz .LBB115_309
; %bb.308:
	v_lshl_add_u64 v[10:11], v[6:7], 3, v[10:11]
	flat_load_dwordx2 v[10:11], v[10:11]
	s_waitcnt vmcnt(0) lgkmcnt(0)
	v_mul_f64 v[10:11], v[10:11], s[14:15]
	s_branch .LBB115_310
.LBB115_309:
	v_mov_b64_e32 v[10:11], 0
.LBB115_310:
	v_cvt_f32_f64_e32 v10, v[10:11]
	v_max_f32_e32 v11, v106, v106
	v_min_f32_e32 v10, v10, v11
	v_cvt_f64_f32_e32 v[10:11], v10
	v_lshl_add_u64 v[8:9], v[6:7], 3, v[8:9]
	global_store_dwordx2 v[8:9], v[10:11], off
.LBB115_311:
	s_or_b64 exec, exec, s[10:11]
	v_add_u32_e32 v12, 0x68, v14
	v_mad_i64_i32 v[8:9], s[20:21], v12, s23, 0
	v_cmp_gt_i32_e64 s[10:11], s17, v12
	v_lshl_add_u64 v[10:11], v[8:9], 3, s[12:13]
	v_mad_i64_i32 v[8:9], s[20:21], v12, s22, 0
	v_lshl_add_u64 v[8:9], v[8:9], 3, s[18:19]
	s_and_b64 s[24:25], s[2:3], s[10:11]
	s_and_saveexec_b64 s[20:21], s[24:25]
	s_cbranch_execnz .LBB115_315
; %bb.312:
	s_or_b64 exec, exec, s[20:21]
	s_and_b64 s[24:25], s[4:5], s[10:11]
	s_and_saveexec_b64 s[20:21], s[24:25]
	s_cbranch_execnz .LBB115_319
.LBB115_313:
	s_or_b64 exec, exec, s[20:21]
	s_and_b64 s[24:25], s[6:7], s[10:11]
	s_and_saveexec_b64 s[20:21], s[24:25]
	s_cbranch_execnz .LBB115_323
.LBB115_314:
	s_or_b64 exec, exec, s[20:21]
	s_and_b64 s[20:21], s[8:9], s[10:11]
	s_and_saveexec_b64 s[10:11], s[20:21]
	s_cbranch_execnz .LBB115_327
	s_branch .LBB115_331
.LBB115_315:
	s_and_b64 vcc, exec, s[0:1]
	s_cbranch_vccnz .LBB115_317
; %bb.316:
	v_lshl_add_u64 v[12:13], v[0:1], 3, v[10:11]
	flat_load_dwordx2 v[12:13], v[12:13]
	s_waitcnt vmcnt(0) lgkmcnt(0)
	v_mul_f64 v[12:13], v[12:13], s[14:15]
	s_branch .LBB115_318
.LBB115_317:
	v_mov_b64_e32 v[12:13], 0
.LBB115_318:
	v_cvt_f32_f64_e32 v12, v[12:13]
	v_max_f32_e32 v13, v105, v105
	v_min_f32_e32 v12, v12, v13
	v_cvt_f64_f32_e32 v[12:13], v12
	v_lshl_add_u64 v[16:17], v[0:1], 3, v[8:9]
	global_store_dwordx2 v[16:17], v[12:13], off
	s_or_b64 exec, exec, s[20:21]
	s_and_b64 s[24:25], s[4:5], s[10:11]
	s_and_saveexec_b64 s[20:21], s[24:25]
	s_cbranch_execz .LBB115_313
.LBB115_319:
	s_and_b64 vcc, exec, s[0:1]
	s_cbranch_vccnz .LBB115_321
; %bb.320:
	v_lshl_add_u64 v[12:13], v[2:3], 3, v[10:11]
	flat_load_dwordx2 v[12:13], v[12:13]
	s_waitcnt vmcnt(0) lgkmcnt(0)
	v_mul_f64 v[12:13], v[12:13], s[14:15]
	s_branch .LBB115_322
.LBB115_321:
	v_mov_b64_e32 v[12:13], 0
.LBB115_322:
	v_cvt_f32_f64_e32 v12, v[12:13]
	v_max_f32_e32 v13, v104, v104
	v_min_f32_e32 v12, v12, v13
	v_cvt_f64_f32_e32 v[12:13], v12
	v_lshl_add_u64 v[16:17], v[2:3], 3, v[8:9]
	global_store_dwordx2 v[16:17], v[12:13], off
	s_or_b64 exec, exec, s[20:21]
	s_and_b64 s[24:25], s[6:7], s[10:11]
	s_and_saveexec_b64 s[20:21], s[24:25]
	s_cbranch_execz .LBB115_314
.LBB115_323:
	s_and_b64 vcc, exec, s[0:1]
	s_cbranch_vccnz .LBB115_325
; %bb.324:
	v_lshl_add_u64 v[12:13], v[4:5], 3, v[10:11]
	flat_load_dwordx2 v[12:13], v[12:13]
	s_waitcnt vmcnt(0) lgkmcnt(0)
	v_mul_f64 v[12:13], v[12:13], s[14:15]
	s_branch .LBB115_326
.LBB115_325:
	v_mov_b64_e32 v[12:13], 0
.LBB115_326:
	v_cvt_f32_f64_e32 v12, v[12:13]
	v_max_f32_e32 v13, v103, v103
	v_min_f32_e32 v12, v12, v13
	v_cvt_f64_f32_e32 v[12:13], v12
	v_lshl_add_u64 v[16:17], v[4:5], 3, v[8:9]
	global_store_dwordx2 v[16:17], v[12:13], off
	s_or_b64 exec, exec, s[20:21]
	s_and_b64 s[20:21], s[8:9], s[10:11]
	s_and_saveexec_b64 s[10:11], s[20:21]
	s_cbranch_execz .LBB115_331
.LBB115_327:
	s_and_b64 vcc, exec, s[0:1]
	s_cbranch_vccnz .LBB115_329
; %bb.328:
	v_lshl_add_u64 v[10:11], v[6:7], 3, v[10:11]
	flat_load_dwordx2 v[10:11], v[10:11]
	s_waitcnt vmcnt(0) lgkmcnt(0)
	v_mul_f64 v[10:11], v[10:11], s[14:15]
	s_branch .LBB115_330
.LBB115_329:
	v_mov_b64_e32 v[10:11], 0
.LBB115_330:
	v_cvt_f32_f64_e32 v10, v[10:11]
	v_max_f32_e32 v11, v102, v102
	v_min_f32_e32 v10, v10, v11
	v_cvt_f64_f32_e32 v[10:11], v10
	v_lshl_add_u64 v[8:9], v[6:7], 3, v[8:9]
	global_store_dwordx2 v[8:9], v[10:11], off
.LBB115_331:
	s_or_b64 exec, exec, s[10:11]
	v_add_u32_e32 v12, 0x70, v14
	v_mad_i64_i32 v[8:9], s[20:21], v12, s23, 0
	v_cmp_gt_i32_e64 s[10:11], s17, v12
	v_lshl_add_u64 v[10:11], v[8:9], 3, s[12:13]
	v_mad_i64_i32 v[8:9], s[20:21], v12, s22, 0
	v_lshl_add_u64 v[8:9], v[8:9], 3, s[18:19]
	s_and_b64 s[24:25], s[2:3], s[10:11]
	s_and_saveexec_b64 s[20:21], s[24:25]
	s_cbranch_execnz .LBB115_335
; %bb.332:
	s_or_b64 exec, exec, s[20:21]
	s_and_b64 s[24:25], s[4:5], s[10:11]
	s_and_saveexec_b64 s[20:21], s[24:25]
	s_cbranch_execnz .LBB115_339
.LBB115_333:
	s_or_b64 exec, exec, s[20:21]
	s_and_b64 s[24:25], s[6:7], s[10:11]
	s_and_saveexec_b64 s[20:21], s[24:25]
	s_cbranch_execnz .LBB115_343
.LBB115_334:
	s_or_b64 exec, exec, s[20:21]
	s_and_b64 s[20:21], s[8:9], s[10:11]
	s_and_saveexec_b64 s[10:11], s[20:21]
	s_cbranch_execnz .LBB115_347
	s_branch .LBB115_351
.LBB115_335:
	s_and_b64 vcc, exec, s[0:1]
	s_cbranch_vccnz .LBB115_337
; %bb.336:
	v_lshl_add_u64 v[12:13], v[0:1], 3, v[10:11]
	flat_load_dwordx2 v[12:13], v[12:13]
	s_waitcnt vmcnt(0) lgkmcnt(0)
	v_mul_f64 v[12:13], v[12:13], s[14:15]
	v_cvt_f32_f64_e32 v12, v[12:13]
	s_branch .LBB115_338
.LBB115_337:
	v_mov_b32_e32 v12, 0
.LBB115_338:
	v_max_f32_e32 v13, v101, v101
	v_max_f32_e32 v12, v12, v12
	v_min_f32_e32 v12, v12, v13
	v_cvt_f64_f32_e32 v[12:13], v12
	v_lshl_add_u64 v[16:17], v[0:1], 3, v[8:9]
	global_store_dwordx2 v[16:17], v[12:13], off
	s_or_b64 exec, exec, s[20:21]
	s_and_b64 s[24:25], s[4:5], s[10:11]
	s_and_saveexec_b64 s[20:21], s[24:25]
	s_cbranch_execz .LBB115_333
.LBB115_339:
	s_and_b64 vcc, exec, s[0:1]
	s_cbranch_vccnz .LBB115_341
; %bb.340:
	v_lshl_add_u64 v[12:13], v[2:3], 3, v[10:11]
	flat_load_dwordx2 v[12:13], v[12:13]
	s_waitcnt vmcnt(0) lgkmcnt(0)
	v_mul_f64 v[12:13], v[12:13], s[14:15]
	v_cvt_f32_f64_e32 v12, v[12:13]
	s_branch .LBB115_342
.LBB115_341:
	v_mov_b32_e32 v12, 0
.LBB115_342:
	v_max_f32_e32 v13, v100, v100
	v_max_f32_e32 v12, v12, v12
	v_min_f32_e32 v12, v12, v13
	v_cvt_f64_f32_e32 v[12:13], v12
	v_lshl_add_u64 v[16:17], v[2:3], 3, v[8:9]
	global_store_dwordx2 v[16:17], v[12:13], off
	s_or_b64 exec, exec, s[20:21]
	s_and_b64 s[24:25], s[6:7], s[10:11]
	s_and_saveexec_b64 s[20:21], s[24:25]
	s_cbranch_execz .LBB115_334
.LBB115_343:
	s_and_b64 vcc, exec, s[0:1]
	s_cbranch_vccnz .LBB115_345
; %bb.344:
	v_lshl_add_u64 v[12:13], v[4:5], 3, v[10:11]
	flat_load_dwordx2 v[12:13], v[12:13]
	s_waitcnt vmcnt(0) lgkmcnt(0)
	v_mul_f64 v[12:13], v[12:13], s[14:15]
	v_cvt_f32_f64_e32 v12, v[12:13]
	s_branch .LBB115_346
.LBB115_345:
	v_mov_b32_e32 v12, 0
.LBB115_346:
	v_max_f32_e32 v13, v99, v99
	v_max_f32_e32 v12, v12, v12
	v_min_f32_e32 v12, v12, v13
	v_cvt_f64_f32_e32 v[12:13], v12
	v_lshl_add_u64 v[16:17], v[4:5], 3, v[8:9]
	global_store_dwordx2 v[16:17], v[12:13], off
	s_or_b64 exec, exec, s[20:21]
	s_and_b64 s[20:21], s[8:9], s[10:11]
	s_and_saveexec_b64 s[10:11], s[20:21]
	s_cbranch_execz .LBB115_351
.LBB115_347:
	s_and_b64 vcc, exec, s[0:1]
	s_cbranch_vccnz .LBB115_349
; %bb.348:
	v_lshl_add_u64 v[10:11], v[6:7], 3, v[10:11]
	flat_load_dwordx2 v[10:11], v[10:11]
	s_waitcnt vmcnt(0) lgkmcnt(0)
	v_mul_f64 v[10:11], v[10:11], s[14:15]
	v_cvt_f32_f64_e32 v10, v[10:11]
	s_branch .LBB115_350
.LBB115_349:
	v_mov_b32_e32 v10, 0
.LBB115_350:
	v_max_f32_e32 v11, v98, v98
	v_max_f32_e32 v10, v10, v10
	v_min_f32_e32 v10, v10, v11
	v_cvt_f64_f32_e32 v[10:11], v10
	v_lshl_add_u64 v[8:9], v[6:7], 3, v[8:9]
	global_store_dwordx2 v[8:9], v[10:11], off
.LBB115_351:
	s_or_b64 exec, exec, s[10:11]
	v_add_u32_e32 v12, 0x78, v14
	v_cmp_gt_i32_e64 s[10:11], s17, v12
	v_mad_i64_i32 v[8:9], s[16:17], v12, s23, 0
	v_lshl_add_u64 v[10:11], v[8:9], 3, s[12:13]
	v_mad_i64_i32 v[8:9], s[12:13], v12, s22, 0
	v_lshl_add_u64 v[8:9], v[8:9], 3, s[18:19]
	s_and_b64 s[12:13], s[2:3], s[10:11]
	s_and_saveexec_b64 s[2:3], s[12:13]
	s_cbranch_execnz .LBB115_356
; %bb.352:
	s_or_b64 exec, exec, s[2:3]
	s_and_b64 s[4:5], s[4:5], s[10:11]
	s_and_saveexec_b64 s[2:3], s[4:5]
	s_cbranch_execnz .LBB115_360
.LBB115_353:
	s_or_b64 exec, exec, s[2:3]
	s_and_b64 s[4:5], s[6:7], s[10:11]
	s_and_saveexec_b64 s[2:3], s[4:5]
	s_cbranch_execnz .LBB115_364
.LBB115_354:
	s_or_b64 exec, exec, s[2:3]
	s_and_b64 s[2:3], s[8:9], s[10:11]
	s_and_saveexec_b64 s[4:5], s[2:3]
	s_cbranch_execnz .LBB115_368
.LBB115_355:
	s_endpgm
.LBB115_356:
	s_and_b64 vcc, exec, s[0:1]
	s_cbranch_vccnz .LBB115_358
; %bb.357:
	v_lshl_add_u64 v[12:13], v[0:1], 3, v[10:11]
	flat_load_dwordx2 v[12:13], v[12:13]
	s_waitcnt vmcnt(0) lgkmcnt(0)
	v_mul_f64 v[12:13], v[12:13], s[14:15]
	v_cvt_f32_f64_e32 v12, v[12:13]
	s_branch .LBB115_359
.LBB115_358:
	v_mov_b32_e32 v12, 0
.LBB115_359:
	v_max_f32_e32 v13, v97, v97
	v_max_f32_e32 v12, v12, v12
	v_min_f32_e32 v12, v12, v13
	v_cvt_f64_f32_e32 v[12:13], v12
	v_lshl_add_u64 v[0:1], v[0:1], 3, v[8:9]
	global_store_dwordx2 v[0:1], v[12:13], off
	s_or_b64 exec, exec, s[2:3]
	s_and_b64 s[4:5], s[4:5], s[10:11]
	s_and_saveexec_b64 s[2:3], s[4:5]
	s_cbranch_execz .LBB115_353
.LBB115_360:
	s_and_b64 vcc, exec, s[0:1]
	s_cbranch_vccnz .LBB115_362
; %bb.361:
	v_lshl_add_u64 v[0:1], v[2:3], 3, v[10:11]
	flat_load_dwordx2 v[0:1], v[0:1]
	s_waitcnt vmcnt(0) lgkmcnt(0)
	v_mul_f64 v[0:1], v[0:1], s[14:15]
	v_cvt_f32_f64_e32 v0, v[0:1]
	s_branch .LBB115_363
.LBB115_362:
	v_mov_b32_e32 v0, 0
.LBB115_363:
	v_max_f32_e32 v1, v96, v96
	v_max_f32_e32 v0, v0, v0
	v_min_f32_e32 v0, v0, v1
	v_cvt_f64_f32_e32 v[0:1], v0
	v_lshl_add_u64 v[2:3], v[2:3], 3, v[8:9]
	global_store_dwordx2 v[2:3], v[0:1], off
	s_or_b64 exec, exec, s[2:3]
	s_and_b64 s[4:5], s[6:7], s[10:11]
	s_and_saveexec_b64 s[2:3], s[4:5]
	s_cbranch_execz .LBB115_354
.LBB115_364:
	s_and_b64 vcc, exec, s[0:1]
	s_cbranch_vccnz .LBB115_366
; %bb.365:
	v_lshl_add_u64 v[0:1], v[4:5], 3, v[10:11]
	flat_load_dwordx2 v[0:1], v[0:1]
	s_waitcnt vmcnt(0) lgkmcnt(0)
	v_mul_f64 v[0:1], v[0:1], s[14:15]
	v_cvt_f32_f64_e32 v0, v[0:1]
	s_branch .LBB115_367
.LBB115_366:
	v_mov_b32_e32 v0, 0
.LBB115_367:
	v_max_f32_e32 v1, v95, v95
	v_max_f32_e32 v0, v0, v0
	v_min_f32_e32 v0, v0, v1
	v_cvt_f64_f32_e32 v[0:1], v0
	v_lshl_add_u64 v[2:3], v[4:5], 3, v[8:9]
	global_store_dwordx2 v[2:3], v[0:1], off
	s_or_b64 exec, exec, s[2:3]
	s_and_b64 s[2:3], s[8:9], s[10:11]
	s_and_saveexec_b64 s[4:5], s[2:3]
	s_cbranch_execz .LBB115_355
.LBB115_368:
	s_and_b64 vcc, exec, s[0:1]
	s_cbranch_vccnz .LBB115_370
; %bb.369:
	v_lshl_add_u64 v[0:1], v[6:7], 3, v[10:11]
	flat_load_dwordx2 v[0:1], v[0:1]
	s_waitcnt vmcnt(0) lgkmcnt(0)
	v_mul_f64 v[0:1], v[0:1], s[14:15]
	v_cvt_f32_f64_e32 v0, v[0:1]
	s_branch .LBB115_371
.LBB115_370:
	v_mov_b32_e32 v0, 0
.LBB115_371:
	v_max_f32_e32 v1, v94, v94
	v_max_f32_e32 v0, v0, v0
	v_min_f32_e32 v0, v0, v1
	v_cvt_f64_f32_e32 v[0:1], v0
	v_lshl_add_u64 v[2:3], v[6:7], 3, v[8:9]
	global_store_dwordx2 v[2:3], v[0:1], off
	s_endpgm
	.section	.rodata,"a",@progbits
	.p2align	6, 0x0
	.amdhsa_kernel _ZN12_GLOBAL__N_120geam_min_plus_kernelId15HIP_vector_typeIdLj2EEdLi32ELi8ELi128ELi128ELi4ELi4ELi64ELi4ELi64ELc84ELc78ELb1ELb1ELb1EdKPKdKPdEEviiiT16_PT17_ilSA_ilS8_SA_ilPT18_ili26rocblas_geam_ex_operation_
		.amdhsa_group_segment_fixed_size 16384
		.amdhsa_private_segment_fixed_size 0
		.amdhsa_kernarg_size 136
		.amdhsa_user_sgpr_count 2
		.amdhsa_user_sgpr_dispatch_ptr 0
		.amdhsa_user_sgpr_queue_ptr 0
		.amdhsa_user_sgpr_kernarg_segment_ptr 1
		.amdhsa_user_sgpr_dispatch_id 0
		.amdhsa_user_sgpr_kernarg_preload_length 0
		.amdhsa_user_sgpr_kernarg_preload_offset 0
		.amdhsa_user_sgpr_private_segment_size 0
		.amdhsa_uses_dynamic_stack 0
		.amdhsa_enable_private_segment 0
		.amdhsa_system_sgpr_workgroup_id_x 1
		.amdhsa_system_sgpr_workgroup_id_y 0
		.amdhsa_system_sgpr_workgroup_id_z 1
		.amdhsa_system_sgpr_workgroup_info 0
		.amdhsa_system_vgpr_workitem_id 1
		.amdhsa_next_free_vgpr 182
		.amdhsa_next_free_sgpr 38
		.amdhsa_accum_offset 184
		.amdhsa_reserve_vcc 1
		.amdhsa_float_round_mode_32 0
		.amdhsa_float_round_mode_16_64 0
		.amdhsa_float_denorm_mode_32 3
		.amdhsa_float_denorm_mode_16_64 3
		.amdhsa_dx10_clamp 1
		.amdhsa_ieee_mode 1
		.amdhsa_fp16_overflow 0
		.amdhsa_tg_split 0
		.amdhsa_exception_fp_ieee_invalid_op 0
		.amdhsa_exception_fp_denorm_src 0
		.amdhsa_exception_fp_ieee_div_zero 0
		.amdhsa_exception_fp_ieee_overflow 0
		.amdhsa_exception_fp_ieee_underflow 0
		.amdhsa_exception_fp_ieee_inexact 0
		.amdhsa_exception_int_div_zero 0
	.end_amdhsa_kernel
	.section	.text._ZN12_GLOBAL__N_120geam_min_plus_kernelId15HIP_vector_typeIdLj2EEdLi32ELi8ELi128ELi128ELi4ELi4ELi64ELi4ELi64ELc84ELc78ELb1ELb1ELb1EdKPKdKPdEEviiiT16_PT17_ilSA_ilS8_SA_ilPT18_ili26rocblas_geam_ex_operation_,"axG",@progbits,_ZN12_GLOBAL__N_120geam_min_plus_kernelId15HIP_vector_typeIdLj2EEdLi32ELi8ELi128ELi128ELi4ELi4ELi64ELi4ELi64ELc84ELc78ELb1ELb1ELb1EdKPKdKPdEEviiiT16_PT17_ilSA_ilS8_SA_ilPT18_ili26rocblas_geam_ex_operation_,comdat
.Lfunc_end115:
	.size	_ZN12_GLOBAL__N_120geam_min_plus_kernelId15HIP_vector_typeIdLj2EEdLi32ELi8ELi128ELi128ELi4ELi4ELi64ELi4ELi64ELc84ELc78ELb1ELb1ELb1EdKPKdKPdEEviiiT16_PT17_ilSA_ilS8_SA_ilPT18_ili26rocblas_geam_ex_operation_, .Lfunc_end115-_ZN12_GLOBAL__N_120geam_min_plus_kernelId15HIP_vector_typeIdLj2EEdLi32ELi8ELi128ELi128ELi4ELi4ELi64ELi4ELi64ELc84ELc78ELb1ELb1ELb1EdKPKdKPdEEviiiT16_PT17_ilSA_ilS8_SA_ilPT18_ili26rocblas_geam_ex_operation_
                                        ; -- End function
	.section	.AMDGPU.csdata,"",@progbits
; Kernel info:
; codeLenInByte = 18760
; NumSgprs: 44
; NumVgprs: 182
; NumAgprs: 0
; TotalNumVgprs: 182
; ScratchSize: 0
; MemoryBound: 0
; FloatMode: 240
; IeeeMode: 1
; LDSByteSize: 16384 bytes/workgroup (compile time only)
; SGPRBlocks: 5
; VGPRBlocks: 22
; NumSGPRsForWavesPerEU: 44
; NumVGPRsForWavesPerEU: 182
; AccumOffset: 184
; Occupancy: 2
; WaveLimiterHint : 1
; COMPUTE_PGM_RSRC2:SCRATCH_EN: 0
; COMPUTE_PGM_RSRC2:USER_SGPR: 2
; COMPUTE_PGM_RSRC2:TRAP_HANDLER: 0
; COMPUTE_PGM_RSRC2:TGID_X_EN: 1
; COMPUTE_PGM_RSRC2:TGID_Y_EN: 0
; COMPUTE_PGM_RSRC2:TGID_Z_EN: 1
; COMPUTE_PGM_RSRC2:TIDIG_COMP_CNT: 1
; COMPUTE_PGM_RSRC3_GFX90A:ACCUM_OFFSET: 45
; COMPUTE_PGM_RSRC3_GFX90A:TG_SPLIT: 0
	.section	.text._ZN12_GLOBAL__N_120geam_min_plus_kernelId15HIP_vector_typeIdLj2EEdLi32ELi8ELi128ELi128ELi4ELi4ELi64ELi4ELi64ELc84ELc78ELb0ELb1ELb1EdKPKdKPdEEviiiT16_PT17_ilSA_ilS8_SA_ilPT18_ili26rocblas_geam_ex_operation_,"axG",@progbits,_ZN12_GLOBAL__N_120geam_min_plus_kernelId15HIP_vector_typeIdLj2EEdLi32ELi8ELi128ELi128ELi4ELi4ELi64ELi4ELi64ELc84ELc78ELb0ELb1ELb1EdKPKdKPdEEviiiT16_PT17_ilSA_ilS8_SA_ilPT18_ili26rocblas_geam_ex_operation_,comdat
	.globl	_ZN12_GLOBAL__N_120geam_min_plus_kernelId15HIP_vector_typeIdLj2EEdLi32ELi8ELi128ELi128ELi4ELi4ELi64ELi4ELi64ELc84ELc78ELb0ELb1ELb1EdKPKdKPdEEviiiT16_PT17_ilSA_ilS8_SA_ilPT18_ili26rocblas_geam_ex_operation_ ; -- Begin function _ZN12_GLOBAL__N_120geam_min_plus_kernelId15HIP_vector_typeIdLj2EEdLi32ELi8ELi128ELi128ELi4ELi4ELi64ELi4ELi64ELc84ELc78ELb0ELb1ELb1EdKPKdKPdEEviiiT16_PT17_ilSA_ilS8_SA_ilPT18_ili26rocblas_geam_ex_operation_
	.p2align	8
	.type	_ZN12_GLOBAL__N_120geam_min_plus_kernelId15HIP_vector_typeIdLj2EEdLi32ELi8ELi128ELi128ELi4ELi4ELi64ELi4ELi64ELc84ELc78ELb0ELb1ELb1EdKPKdKPdEEviiiT16_PT17_ilSA_ilS8_SA_ilPT18_ili26rocblas_geam_ex_operation_,@function
_ZN12_GLOBAL__N_120geam_min_plus_kernelId15HIP_vector_typeIdLj2EEdLi32ELi8ELi128ELi128ELi4ELi4ELi64ELi4ELi64ELc84ELc78ELb0ELb1ELb1EdKPKdKPdEEviiiT16_PT17_ilSA_ilS8_SA_ilPT18_ili26rocblas_geam_ex_operation_: ; @_ZN12_GLOBAL__N_120geam_min_plus_kernelId15HIP_vector_typeIdLj2EEdLi32ELi8ELi128ELi128ELi4ELi4ELi64ELi4ELi64ELc84ELc78ELb0ELb1ELb1EdKPKdKPdEEviiiT16_PT17_ilSA_ilS8_SA_ilPT18_ili26rocblas_geam_ex_operation_
; %bb.0:
	s_load_dwordx4 s[20:23], s[0:1], 0x10
	s_load_dwordx4 s[4:7], s[0:1], 0x28
	s_mov_b32 s8, s3
	s_mov_b64 s[26:27], 0
	s_waitcnt lgkmcnt(0)
	v_cmp_eq_f64_e64 s[16:17], s[20:21], 0
	s_and_b64 vcc, exec, s[16:17]
	s_cbranch_vccnz .LBB116_2
; %bb.1:
	s_mov_b32 s9, 0
	s_lshl_b64 s[10:11], s[8:9], 3
	s_add_u32 s10, s22, s10
	s_addc_u32 s11, s23, s11
	s_load_dwordx2 s[10:11], s[10:11], 0x0
	s_lshl_b64 s[4:5], s[4:5], 3
	s_waitcnt lgkmcnt(0)
	s_add_u32 s26, s10, s4
	s_addc_u32 s27, s11, s5
.LBB116_2:
	s_load_dwordx4 s[12:15], s[0:1], 0x40
	s_load_dwordx2 s[10:11], s[0:1], 0x50
	s_andn2_b64 vcc, exec, s[16:17]
	s_cbranch_vccnz .LBB116_4
; %bb.3:
	s_mov_b32 s9, 0
	s_mov_b64 s[28:29], 0
	s_cbranch_execz .LBB116_5
	s_branch .LBB116_6
.LBB116_4:
                                        ; implicit-def: $sgpr28_sgpr29
.LBB116_5:
	s_mov_b32 s9, 0
	s_lshl_b64 s[4:5], s[8:9], 3
	s_add_u32 s4, s6, s4
	s_addc_u32 s5, s7, s5
	s_load_dwordx2 s[4:5], s[4:5], 0x0
	s_waitcnt lgkmcnt(0)
	s_lshl_b64 s[6:7], s[12:13], 3
	s_add_u32 s28, s4, s6
	s_addc_u32 s29, s5, s7
.LBB116_6:
	s_load_dwordx4 s[4:7], s[0:1], 0x60
	s_waitcnt lgkmcnt(0)
	v_cmp_eq_f64_e64 s[16:17], s[14:15], 0
	s_mov_b64 s[12:13], 0
	v_cmp_neq_f64_e64 s[22:23], s[14:15], 0
	s_and_b64 vcc, exec, s[16:17]
	s_cbranch_vccnz .LBB116_8
; %bb.7:
	s_lshl_b64 s[12:13], s[8:9], 3
	s_add_u32 s10, s10, s12
	s_addc_u32 s11, s11, s13
	s_load_dwordx2 s[10:11], s[10:11], 0x0
	s_lshl_b64 s[4:5], s[4:5], 3
	s_waitcnt lgkmcnt(0)
	s_add_u32 s12, s10, s4
	s_addc_u32 s13, s11, s5
.LBB116_8:
	s_load_dwordx4 s[16:19], s[0:1], 0x0
	s_load_dword s37, s[0:1], 0x20
	s_lshl_b64 s[4:5], s[8:9], 3
	s_add_u32 s4, s6, s4
	s_addc_u32 s5, s7, s5
	s_waitcnt lgkmcnt(0)
	s_add_i32 s3, s16, -1
	s_ashr_i32 s6, s3, 31
	s_lshr_b32 s6, s6, 25
	s_add_i32 s3, s3, s6
	s_ashr_i32 s3, s3, 7
	s_add_i32 s6, s3, 1
	v_cvt_f32_u32_e32 v1, s6
	s_load_dwordx2 s[24:25], s[4:5], 0x0
	s_not_b32 s3, s3
	v_and_b32_e32 v139, 0x3ff, v0
	v_rcp_iflag_f32_e32 v1, v1
	v_bfe_u32 v140, v0, 10, 10
	v_lshl_add_u32 v0, v140, 5, v139
	v_lshrrev_b32_e32 v12, 2, v0
	v_mul_f32_e32 v1, 0x4f7ffffe, v1
	v_cvt_u32_f32_e32 v1, v1
	v_and_b32_e32 v150, 3, v139
	v_cmp_le_i32_e32 vcc, s18, v150
	v_cmp_eq_f64_e64 s[30:31], s[20:21], 0
	v_readfirstlane_b32 s4, v1
	s_mul_i32 s3, s3, s4
	s_mul_hi_u32 s3, s4, s3
	s_add_i32 s4, s4, s3
	s_mul_hi_u32 s3, s2, s4
	s_mul_i32 s4, s3, s6
	s_sub_i32 s4, s2, s4
	s_add_i32 s5, s3, 1
	s_sub_i32 s7, s4, s6
	s_cmp_ge_u32 s4, s6
	s_cselect_b32 s3, s5, s3
	s_cselect_b32 s4, s7, s4
	s_add_i32 s5, s3, 1
	s_cmp_ge_u32 s4, s6
	s_cselect_b32 s8, s5, s3
	s_mul_i32 s3, s8, s6
	s_sub_i32 s2, s2, s3
	s_lshl_b32 s19, s2, 7
	v_add_u32_e32 v80, s19, v12
	s_add_i32 s34, s18, -1
	v_cmp_le_i32_e64 s[2:3], s16, v80
	v_min_i32_e32 v4, s34, v150
	s_or_b64 s[4:5], vcc, s[2:3]
	v_ashrrev_i32_e32 v5, 31, v4
	v_mov_b32_e32 v2, 0x7fefffff
	s_or_b64 s[6:7], s[30:31], s[4:5]
	v_lshl_add_u64 v[6:7], v[4:5], 3, s[26:27]
	v_cndmask_b32_e64 v1, 0, v2, s[4:5]
	s_xor_b64 s[6:7], s[6:7], -1
	v_cndmask_b32_e64 v0, 0, -1, s[4:5]
	s_and_saveexec_b64 s[4:5], s[6:7]
	s_cbranch_execz .LBB116_10
; %bb.9:
	v_mad_i64_i32 v[0:1], s[6:7], v80, s37, 0
	v_lshl_add_u64 v[0:1], v[0:1], 3, v[6:7]
	flat_load_dwordx2 v[0:1], v[0:1]
	s_waitcnt vmcnt(0) lgkmcnt(0)
	v_mul_f64 v[0:1], v[0:1], s[20:21]
.LBB116_10:
	s_or_b64 exec, exec, s[4:5]
	v_add_u32_e32 v81, 64, v80
	v_cmp_le_i32_e64 s[4:5], s16, v81
	s_or_b64 s[6:7], vcc, s[4:5]
	s_or_b64 s[10:11], s[30:31], s[6:7]
	v_cndmask_b32_e64 v3, 0, v2, s[6:7]
	s_xor_b64 s[10:11], s[10:11], -1
	v_cndmask_b32_e64 v2, 0, -1, s[6:7]
	s_and_saveexec_b64 s[6:7], s[10:11]
	s_cbranch_execz .LBB116_12
; %bb.11:
	v_mad_i64_i32 v[2:3], s[10:11], v81, s37, 0
	v_lshl_add_u64 v[2:3], v[2:3], 3, v[6:7]
	flat_load_dwordx2 v[2:3], v[2:3]
	s_waitcnt vmcnt(0) lgkmcnt(0)
	v_mul_f64 v[2:3], v[2:3], s[20:21]
.LBB116_12:
	s_or_b64 exec, exec, s[6:7]
	s_lshl_b32 s33, s8, 7
	s_load_dword s38, s[0:1], 0x38
	v_add_u32_e32 v82, s33, v12
	v_cmp_le_i32_e64 s[6:7], s17, v82
	s_or_b64 s[8:9], vcc, s[6:7]
	v_mov_b32_e32 v6, 0x7fefffff
	s_or_b64 s[10:11], s[30:31], s[8:9]
	v_lshl_add_u64 v[8:9], v[4:5], 3, s[28:29]
	v_cndmask_b32_e64 v5, 0, v6, s[8:9]
	s_xor_b64 s[10:11], s[10:11], -1
	v_cndmask_b32_e64 v4, 0, -1, s[8:9]
	s_and_saveexec_b64 s[8:9], s[10:11]
	s_cbranch_execz .LBB116_14
; %bb.13:
	s_waitcnt lgkmcnt(0)
	v_mad_i64_i32 v[4:5], s[10:11], v82, s38, 0
	v_lshl_add_u64 v[4:5], v[4:5], 3, v[8:9]
	flat_load_dwordx2 v[4:5], v[4:5]
	s_waitcnt vmcnt(0) lgkmcnt(0)
	v_mul_f64 v[4:5], v[4:5], s[20:21]
.LBB116_14:
	s_or_b64 exec, exec, s[8:9]
	v_add_u32_e32 v83, 64, v82
	v_cmp_le_i32_e64 s[8:9], s17, v83
	s_or_b64 vcc, vcc, s[8:9]
	s_or_b64 s[10:11], s[30:31], vcc
	v_cndmask_b32_e32 v7, 0, v6, vcc
	s_xor_b64 s[40:41], s[10:11], -1
	v_cndmask_b32_e64 v6, 0, -1, vcc
	s_and_saveexec_b64 s[10:11], s[40:41]
	s_cbranch_execz .LBB116_16
; %bb.15:
	s_waitcnt lgkmcnt(0)
	v_mad_i64_i32 v[6:7], s[40:41], v83, s38, 0
	v_lshl_add_u64 v[6:7], v[6:7], 3, v[8:9]
	flat_load_dwordx2 v[6:7], v[6:7]
	s_waitcnt vmcnt(0) lgkmcnt(0)
	v_mul_f64 v[6:7], v[6:7], s[20:21]
.LBB116_16:
	s_or_b64 exec, exec, s[10:11]
	v_or_b32_e32 v8, 4, v150
	v_cmp_le_i32_e32 vcc, s18, v8
	v_min_i32_e32 v8, s34, v8
	s_or_b64 s[10:11], vcc, s[2:3]
	v_ashrrev_i32_e32 v9, 31, v8
	v_mov_b32_e32 v13, 0x7fefffff
	s_or_b64 s[40:41], s[30:31], s[10:11]
	v_lshl_add_u64 v[10:11], v[8:9], 3, s[26:27]
	v_cndmask_b32_e64 v73, 0, v13, s[10:11]
	s_xor_b64 s[40:41], s[40:41], -1
	v_cndmask_b32_e64 v72, 0, -1, s[10:11]
	s_and_saveexec_b64 s[10:11], s[40:41]
	s_cbranch_execz .LBB116_18
; %bb.17:
	v_mad_i64_i32 v[14:15], s[40:41], v80, s37, 0
	v_lshl_add_u64 v[14:15], v[14:15], 3, v[10:11]
	flat_load_dwordx2 v[14:15], v[14:15]
	s_waitcnt vmcnt(0) lgkmcnt(0)
	v_mul_f64 v[72:73], v[14:15], s[20:21]
.LBB116_18:
	s_or_b64 exec, exec, s[10:11]
	s_or_b64 s[10:11], vcc, s[4:5]
	s_or_b64 s[40:41], s[30:31], s[10:11]
	v_cndmask_b32_e64 v75, 0, v13, s[10:11]
	s_xor_b64 s[40:41], s[40:41], -1
	v_cndmask_b32_e64 v74, 0, -1, s[10:11]
	s_and_saveexec_b64 s[10:11], s[40:41]
	s_cbranch_execz .LBB116_20
; %bb.19:
	v_mad_i64_i32 v[14:15], s[40:41], v81, s37, 0
	v_lshl_add_u64 v[10:11], v[14:15], 3, v[10:11]
	flat_load_dwordx2 v[10:11], v[10:11]
	s_waitcnt vmcnt(0) lgkmcnt(0)
	v_mul_f64 v[74:75], v[10:11], s[20:21]
.LBB116_20:
	s_or_b64 exec, exec, s[10:11]
	s_or_b64 s[10:11], vcc, s[6:7]
	v_mov_b32_e32 v10, 0x7fefffff
	s_or_b64 s[40:41], s[30:31], s[10:11]
	v_lshl_add_u64 v[8:9], v[8:9], 3, s[28:29]
	v_cndmask_b32_e64 v77, 0, v10, s[10:11]
	s_xor_b64 s[40:41], s[40:41], -1
	v_cndmask_b32_e64 v76, 0, -1, s[10:11]
	s_and_saveexec_b64 s[10:11], s[40:41]
	s_cbranch_execz .LBB116_22
; %bb.21:
	s_waitcnt lgkmcnt(0)
	v_mad_i64_i32 v[14:15], s[40:41], v82, s38, 0
	v_lshl_add_u64 v[14:15], v[14:15], 3, v[8:9]
	flat_load_dwordx2 v[14:15], v[14:15]
	s_waitcnt vmcnt(0) lgkmcnt(0)
	v_mul_f64 v[76:77], v[14:15], s[20:21]
.LBB116_22:
	s_or_b64 exec, exec, s[10:11]
	s_or_b64 vcc, vcc, s[8:9]
	s_or_b64 s[10:11], s[30:31], vcc
	v_cndmask_b32_e32 v79, 0, v10, vcc
	s_xor_b64 s[40:41], s[10:11], -1
	s_mov_b32 s35, 0
	v_cndmask_b32_e64 v78, 0, -1, vcc
	s_and_saveexec_b64 s[10:11], s[40:41]
	s_cbranch_execz .LBB116_24
; %bb.23:
	s_waitcnt lgkmcnt(0)
	v_mad_i64_i32 v[10:11], s[40:41], v83, s38, 0
	v_lshl_add_u64 v[8:9], v[10:11], 3, v[8:9]
	flat_load_dwordx2 v[8:9], v[8:9]
	s_waitcnt vmcnt(0) lgkmcnt(0)
	v_mul_f64 v[78:79], v[8:9], s[20:21]
.LBB116_24:
	s_or_b64 exec, exec, s[10:11]
	v_lshlrev_b32_e32 v8, 3, v150
	v_lshl_or_b32 v151, v12, 5, v8
	v_add_u32_e32 v152, 0x2000, v151
	s_mov_b64 s[10:11], -1
	v_mov_b32_e32 v84, 0x7f800000
	v_mov_b32_e32 v85, 0x7f800000
	;; [unrolled: 1-line block ×64, first 2 shown]
	ds_write2st64_b64 v151, v[0:1], v[2:3] offset1:4
	ds_write2st64_b64 v151, v[4:5], v[6:7] offset0:16 offset1:20
	s_waitcnt lgkmcnt(0)
	s_barrier
.LBB116_25:                             ; =>This Inner Loop Header: Depth=1
	v_cndmask_b32_e64 v0, 0, 1, s[10:11]
	s_lshl_b32 s10, s35, 3
	v_cmp_ne_u32_e32 vcc, 1, v0
	v_lshl_add_u32 v0, v139, 5, s10
	ds_read_b128 v[12:15], v0
	ds_read_b128 v[8:11], v0 offset:1024
	ds_read_b128 v[4:7], v0 offset:2048
	;; [unrolled: 1-line block ×3, first 2 shown]
	v_lshl_add_u32 v16, v140, 5, s10
	ds_read_b128 v[154:157], v16 offset:8192
	ds_read_b128 v[158:161], v16 offset:8448
	;; [unrolled: 1-line block ×16, first 2 shown]
	s_waitcnt lgkmcnt(14)
	v_add_f64 v[162:163], v[14:15], v[156:157]
	v_add_f64 v[164:165], v[12:13], v[154:155]
	v_cvt_f32_f64_e32 v153, v[164:165]
	v_cvt_f32_f64_e32 v162, v[162:163]
	v_min3_f32 v149, v153, v162, v149
	v_add_f64 v[162:163], v[10:11], v[156:157]
	v_add_f64 v[164:165], v[8:9], v[154:155]
	v_cvt_f32_f64_e32 v153, v[164:165]
	v_cvt_f32_f64_e32 v162, v[162:163]
	v_min3_f32 v148, v153, v162, v148
	v_add_f64 v[162:163], v[6:7], v[156:157]
	v_add_f64 v[164:165], v[4:5], v[154:155]
	v_cvt_f32_f64_e32 v153, v[164:165]
	v_cvt_f32_f64_e32 v162, v[162:163]
	v_add_f64 v[156:157], v[2:3], v[156:157]
	v_add_f64 v[154:155], v[0:1], v[154:155]
	v_min3_f32 v147, v153, v162, v147
	v_cvt_f32_f64_e32 v153, v[154:155]
	v_cvt_f32_f64_e32 v154, v[156:157]
	v_min3_f32 v146, v153, v154, v146
	v_add_f64 v[154:155], v[14:15], v[160:161]
	v_add_f64 v[156:157], v[12:13], v[158:159]
	v_cvt_f32_f64_e32 v153, v[156:157]
	v_cvt_f32_f64_e32 v154, v[154:155]
	v_min3_f32 v145, v153, v154, v145
	v_add_f64 v[154:155], v[10:11], v[160:161]
	v_add_f64 v[156:157], v[8:9], v[158:159]
	;; [unrolled: 5-line block ×4, first 2 shown]
	v_cvt_f32_f64_e32 v153, v[156:157]
	v_cvt_f32_f64_e32 v154, v[154:155]
	v_min3_f32 v142, v153, v154, v142
	s_waitcnt lgkmcnt(13)
	v_add_f64 v[154:155], v[14:15], v[70:71]
	v_add_f64 v[156:157], v[12:13], v[68:69]
	v_cvt_f32_f64_e32 v153, v[156:157]
	v_cvt_f32_f64_e32 v154, v[154:155]
	v_min3_f32 v141, v153, v154, v141
	v_add_f64 v[154:155], v[10:11], v[70:71]
	v_add_f64 v[156:157], v[8:9], v[68:69]
	v_cvt_f32_f64_e32 v153, v[156:157]
	v_cvt_f32_f64_e32 v154, v[154:155]
	v_min3_f32 v138, v153, v154, v138
	v_add_f64 v[154:155], v[6:7], v[70:71]
	v_add_f64 v[156:157], v[4:5], v[68:69]
	v_add_f64 v[70:71], v[2:3], v[70:71]
	v_add_f64 v[68:69], v[0:1], v[68:69]
	v_cvt_f32_f64_e32 v68, v[68:69]
	v_cvt_f32_f64_e32 v69, v[70:71]
	v_min3_f32 v136, v68, v69, v136
	s_waitcnt lgkmcnt(12)
	v_add_f64 v[68:69], v[14:15], v[66:67]
	v_add_f64 v[70:71], v[12:13], v[64:65]
	v_cvt_f32_f64_e32 v70, v[70:71]
	v_cvt_f32_f64_e32 v68, v[68:69]
	v_min3_f32 v135, v70, v68, v135
	v_add_f64 v[68:69], v[10:11], v[66:67]
	v_add_f64 v[70:71], v[8:9], v[64:65]
	v_cvt_f32_f64_e32 v70, v[70:71]
	v_cvt_f32_f64_e32 v68, v[68:69]
	v_min3_f32 v134, v70, v68, v134
	v_add_f64 v[68:69], v[6:7], v[66:67]
	v_add_f64 v[70:71], v[4:5], v[64:65]
	v_add_f64 v[66:67], v[2:3], v[66:67]
	v_add_f64 v[64:65], v[0:1], v[64:65]
	;; [unrolled: 18-line block ×13, first 2 shown]
	s_waitcnt lgkmcnt(0)
	v_add_f64 v[14:15], v[14:15], v[18:19]
	v_add_f64 v[12:13], v[12:13], v[16:17]
	;; [unrolled: 1-line block ×8, first 2 shown]
	v_cvt_f32_f64_e32 v153, v[156:157]
	v_cvt_f32_f64_e32 v154, v[154:155]
	;; [unrolled: 1-line block ×36, first 2 shown]
	v_min3_f32 v137, v153, v154, v137
	v_min3_f32 v133, v70, v68, v133
	;; [unrolled: 1-line block ×18, first 2 shown]
	s_mov_b32 s35, 2
	s_mov_b64 s[10:11], 0
	s_cbranch_vccz .LBB116_25
; %bb.26:
	s_cmp_gt_i32 s18, 8
	s_mov_b32 s35, 8
	ds_write2st64_b64 v151, v[72:73], v[74:75] offset0:8 offset1:12
	ds_write2st64_b64 v151, v[76:77], v[78:79] offset0:24 offset1:28
	s_waitcnt lgkmcnt(0)
	s_barrier
	s_cbranch_scc0 .LBB116_49
; %bb.27:
	v_add_u32_e32 v153, 0x1000, v151
	v_add_u32_e32 v154, 0x3000, v151
	s_add_i32 s36, s18, -8
	v_mad_i64_i32 v[68:69], s[10:11], v80, s37, 0
	v_mad_i64_i32 v[70:71], s[10:11], v81, s37, 0
	;; [unrolled: 1-line block ×4, first 2 shown]
	s_mov_b32 s37, 0
	v_mov_b32_e32 v155, 0x7fefffff
.LBB116_28:                             ; =>This Loop Header: Depth=1
                                        ;     Child Loop BB116_37 Depth 2
                                        ;     Child Loop BB116_47 Depth 2
	v_or_b32_e32 v156, s35, v150
	v_cmp_le_i32_e32 vcc, s18, v156
	v_min_i32_e32 v0, s34, v156
	s_or_b64 s[10:11], s[2:3], vcc
	v_ashrrev_i32_e32 v1, 31, v0
	s_or_b64 s[38:39], s[30:31], s[10:11]
	v_lshl_add_u64 v[2:3], v[0:1], 3, s[26:27]
	v_cndmask_b32_e64 v77, 0, v155, s[10:11]
	s_xor_b64 s[38:39], s[38:39], -1
	v_cndmask_b32_e64 v76, 0, -1, s[10:11]
	s_and_saveexec_b64 s[10:11], s[38:39]
	s_cbranch_execz .LBB116_30
; %bb.29:                               ;   in Loop: Header=BB116_28 Depth=1
	v_lshl_add_u64 v[4:5], v[68:69], 3, v[2:3]
	flat_load_dwordx2 v[4:5], v[4:5]
	s_waitcnt vmcnt(0) lgkmcnt(0)
	v_mul_f64 v[76:77], v[4:5], s[20:21]
.LBB116_30:                             ;   in Loop: Header=BB116_28 Depth=1
	s_or_b64 exec, exec, s[10:11]
	s_or_b64 s[10:11], s[4:5], vcc
	s_or_b64 s[38:39], s[30:31], s[10:11]
	v_cndmask_b32_e64 v79, 0, v155, s[10:11]
	s_xor_b64 s[38:39], s[38:39], -1
	v_cndmask_b32_e64 v78, 0, -1, s[10:11]
	s_and_saveexec_b64 s[10:11], s[38:39]
	s_cbranch_execz .LBB116_32
; %bb.31:                               ;   in Loop: Header=BB116_28 Depth=1
	v_lshl_add_u64 v[2:3], v[70:71], 3, v[2:3]
	flat_load_dwordx2 v[2:3], v[2:3]
	s_waitcnt vmcnt(0) lgkmcnt(0)
	v_mul_f64 v[78:79], v[2:3], s[20:21]
.LBB116_32:                             ;   in Loop: Header=BB116_28 Depth=1
	s_or_b64 exec, exec, s[10:11]
	s_or_b64 s[10:11], s[6:7], vcc
	s_or_b64 s[38:39], s[30:31], s[10:11]
	v_lshl_add_u64 v[0:1], v[0:1], 3, s[28:29]
	v_cndmask_b32_e64 v81, 0, v155, s[10:11]
	s_xor_b64 s[38:39], s[38:39], -1
	v_cndmask_b32_e64 v80, 0, -1, s[10:11]
	s_and_saveexec_b64 s[10:11], s[38:39]
	s_cbranch_execz .LBB116_34
; %bb.33:                               ;   in Loop: Header=BB116_28 Depth=1
	v_lshl_add_u64 v[2:3], v[72:73], 3, v[0:1]
	flat_load_dwordx2 v[2:3], v[2:3]
	s_waitcnt vmcnt(0) lgkmcnt(0)
	v_mul_f64 v[80:81], v[2:3], s[20:21]
.LBB116_34:                             ;   in Loop: Header=BB116_28 Depth=1
	s_or_b64 exec, exec, s[10:11]
	s_or_b64 vcc, s[8:9], vcc
	s_or_b64 s[10:11], s[30:31], vcc
	v_cndmask_b32_e32 v83, 0, v155, vcc
	s_xor_b64 s[38:39], s[10:11], -1
	v_cndmask_b32_e64 v82, 0, -1, vcc
	s_and_saveexec_b64 s[10:11], s[38:39]
	s_cbranch_execz .LBB116_36
; %bb.35:                               ;   in Loop: Header=BB116_28 Depth=1
	v_lshl_add_u64 v[0:1], v[74:75], 3, v[0:1]
	flat_load_dwordx2 v[0:1], v[0:1]
	s_waitcnt vmcnt(0) lgkmcnt(0)
	v_mul_f64 v[82:83], v[0:1], s[20:21]
.LBB116_36:                             ;   in Loop: Header=BB116_28 Depth=1
	s_or_b64 exec, exec, s[10:11]
	s_mov_b32 s38, 0
	s_mov_b64 s[10:11], -1
.LBB116_37:                             ;   Parent Loop BB116_28 Depth=1
                                        ; =>  This Inner Loop Header: Depth=2
	v_cndmask_b32_e64 v0, 0, 1, s[10:11]
	s_lshl_b32 s10, s38, 3
	v_cmp_ne_u32_e32 vcc, 1, v0
	v_lshl_add_u32 v0, v139, 5, s10
	ds_read_b128 v[12:15], v0 offset:4096
	ds_read_b128 v[8:11], v0 offset:5120
	;; [unrolled: 1-line block ×4, first 2 shown]
	v_lshl_add_u32 v16, v140, 5, s10
	ds_read_b128 v[158:161], v16 offset:12288
	ds_read_b128 v[162:165], v16 offset:12544
	;; [unrolled: 1-line block ×16, first 2 shown]
	s_waitcnt lgkmcnt(14)
	v_add_f64 v[170:171], v[14:15], v[160:161]
	v_add_f64 v[172:173], v[12:13], v[158:159]
	v_cvt_f32_f64_e32 v157, v[172:173]
	v_cvt_f32_f64_e32 v170, v[170:171]
	v_min3_f32 v149, v157, v170, v149
	v_add_f64 v[170:171], v[10:11], v[160:161]
	v_add_f64 v[172:173], v[8:9], v[158:159]
	v_cvt_f32_f64_e32 v157, v[172:173]
	v_cvt_f32_f64_e32 v170, v[170:171]
	v_min3_f32 v148, v157, v170, v148
	v_add_f64 v[170:171], v[6:7], v[160:161]
	v_add_f64 v[172:173], v[4:5], v[158:159]
	v_cvt_f32_f64_e32 v157, v[172:173]
	v_cvt_f32_f64_e32 v170, v[170:171]
	v_add_f64 v[160:161], v[2:3], v[160:161]
	v_add_f64 v[158:159], v[0:1], v[158:159]
	v_min3_f32 v147, v157, v170, v147
	v_cvt_f32_f64_e32 v157, v[158:159]
	v_cvt_f32_f64_e32 v158, v[160:161]
	v_min3_f32 v146, v157, v158, v146
	v_add_f64 v[158:159], v[14:15], v[164:165]
	v_add_f64 v[160:161], v[12:13], v[162:163]
	v_cvt_f32_f64_e32 v157, v[160:161]
	v_cvt_f32_f64_e32 v158, v[158:159]
	v_min3_f32 v145, v157, v158, v145
	v_add_f64 v[158:159], v[10:11], v[164:165]
	v_add_f64 v[160:161], v[8:9], v[162:163]
	;; [unrolled: 5-line block ×4, first 2 shown]
	v_cvt_f32_f64_e32 v157, v[160:161]
	v_cvt_f32_f64_e32 v158, v[158:159]
	v_min3_f32 v142, v157, v158, v142
	s_waitcnt lgkmcnt(13)
	v_add_f64 v[158:159], v[14:15], v[168:169]
	v_add_f64 v[160:161], v[12:13], v[166:167]
	v_cvt_f32_f64_e32 v157, v[160:161]
	v_cvt_f32_f64_e32 v158, v[158:159]
	v_min3_f32 v141, v157, v158, v141
	v_add_f64 v[158:159], v[10:11], v[168:169]
	v_add_f64 v[160:161], v[8:9], v[166:167]
	v_cvt_f32_f64_e32 v157, v[160:161]
	v_cvt_f32_f64_e32 v158, v[158:159]
	v_min3_f32 v138, v157, v158, v138
	;; [unrolled: 5-line block ×4, first 2 shown]
	s_waitcnt lgkmcnt(12)
	v_add_f64 v[158:159], v[14:15], v[66:67]
	v_add_f64 v[160:161], v[12:13], v[64:65]
	v_cvt_f32_f64_e32 v157, v[160:161]
	v_cvt_f32_f64_e32 v158, v[158:159]
	v_min3_f32 v135, v157, v158, v135
	v_add_f64 v[158:159], v[10:11], v[66:67]
	v_add_f64 v[160:161], v[8:9], v[64:65]
	v_cvt_f32_f64_e32 v157, v[160:161]
	v_cvt_f32_f64_e32 v158, v[158:159]
	v_min3_f32 v134, v157, v158, v134
	v_add_f64 v[158:159], v[6:7], v[66:67]
	v_add_f64 v[160:161], v[4:5], v[64:65]
	v_add_f64 v[66:67], v[2:3], v[66:67]
	v_add_f64 v[64:65], v[0:1], v[64:65]
	v_cvt_f32_f64_e32 v64, v[64:65]
	v_cvt_f32_f64_e32 v65, v[66:67]
	v_min3_f32 v132, v64, v65, v132
	s_waitcnt lgkmcnt(11)
	v_add_f64 v[64:65], v[14:15], v[62:63]
	v_add_f64 v[66:67], v[12:13], v[60:61]
	v_cvt_f32_f64_e32 v66, v[66:67]
	v_cvt_f32_f64_e32 v64, v[64:65]
	v_min3_f32 v131, v66, v64, v131
	v_add_f64 v[64:65], v[10:11], v[62:63]
	v_add_f64 v[66:67], v[8:9], v[60:61]
	v_cvt_f32_f64_e32 v66, v[66:67]
	v_cvt_f32_f64_e32 v64, v[64:65]
	v_min3_f32 v130, v66, v64, v130
	v_add_f64 v[64:65], v[6:7], v[62:63]
	v_add_f64 v[66:67], v[4:5], v[60:61]
	v_add_f64 v[62:63], v[2:3], v[62:63]
	v_add_f64 v[60:61], v[0:1], v[60:61]
	v_cvt_f32_f64_e32 v60, v[60:61]
	v_cvt_f32_f64_e32 v61, v[62:63]
	v_min3_f32 v128, v60, v61, v128
	;; [unrolled: 18-line block ×11, first 2 shown]
	s_waitcnt lgkmcnt(1)
	v_add_f64 v[24:25], v[14:15], v[22:23]
	v_add_f64 v[26:27], v[12:13], v[20:21]
	v_cvt_f32_f64_e32 v26, v[26:27]
	v_cvt_f32_f64_e32 v24, v[24:25]
	v_min3_f32 v91, v26, v24, v91
	v_add_f64 v[24:25], v[10:11], v[22:23]
	v_add_f64 v[26:27], v[8:9], v[20:21]
	v_cvt_f32_f64_e32 v26, v[26:27]
	v_cvt_f32_f64_e32 v24, v[24:25]
	v_min3_f32 v90, v26, v24, v90
	v_add_f64 v[24:25], v[6:7], v[22:23]
	v_add_f64 v[26:27], v[4:5], v[20:21]
	v_add_f64 v[22:23], v[2:3], v[22:23]
	v_add_f64 v[20:21], v[0:1], v[20:21]
	s_waitcnt lgkmcnt(0)
	v_add_f64 v[14:15], v[14:15], v[18:19]
	v_add_f64 v[12:13], v[12:13], v[16:17]
	;; [unrolled: 1-line block ×8, first 2 shown]
	v_cvt_f32_f64_e32 v157, v[160:161]
	v_cvt_f32_f64_e32 v158, v[158:159]
	;; [unrolled: 1-line block ×34, first 2 shown]
	v_min3_f32 v133, v157, v158, v133
	v_min3_f32 v129, v66, v64, v129
	;; [unrolled: 1-line block ×17, first 2 shown]
	s_mov_b32 s38, 2
	s_mov_b64 s[10:11], 0
	s_cbranch_vccz .LBB116_37
; %bb.38:                               ;   in Loop: Header=BB116_28 Depth=1
	v_or_b32_e32 v0, 4, v156
	v_cmp_le_i32_e32 vcc, s18, v0
	v_min_i32_e32 v0, s34, v0
	s_or_b64 s[10:11], s[2:3], vcc
	v_ashrrev_i32_e32 v1, 31, v0
	s_or_b64 s[38:39], s[30:31], s[10:11]
	ds_write2st64_b64 v151, v[76:77], v[78:79] offset1:4
	ds_write2st64_b64 v152, v[80:81], v[82:83] offset1:4
	v_lshl_add_u64 v[2:3], v[0:1], 3, s[26:27]
	v_cndmask_b32_e64 v77, 0, v155, s[10:11]
	s_xor_b64 s[38:39], s[38:39], -1
	v_cndmask_b32_e64 v76, 0, -1, s[10:11]
	s_waitcnt lgkmcnt(0)
	s_barrier
	s_and_saveexec_b64 s[10:11], s[38:39]
	s_cbranch_execz .LBB116_40
; %bb.39:                               ;   in Loop: Header=BB116_28 Depth=1
	v_lshl_add_u64 v[4:5], v[68:69], 3, v[2:3]
	flat_load_dwordx2 v[4:5], v[4:5]
	s_waitcnt vmcnt(0) lgkmcnt(0)
	v_mul_f64 v[76:77], v[4:5], s[20:21]
.LBB116_40:                             ;   in Loop: Header=BB116_28 Depth=1
	s_or_b64 exec, exec, s[10:11]
	s_or_b64 s[10:11], s[4:5], vcc
	s_or_b64 s[38:39], s[30:31], s[10:11]
	v_cndmask_b32_e64 v79, 0, v155, s[10:11]
	s_xor_b64 s[38:39], s[38:39], -1
	v_cndmask_b32_e64 v78, 0, -1, s[10:11]
	s_and_saveexec_b64 s[10:11], s[38:39]
	s_cbranch_execz .LBB116_42
; %bb.41:                               ;   in Loop: Header=BB116_28 Depth=1
	v_lshl_add_u64 v[2:3], v[70:71], 3, v[2:3]
	flat_load_dwordx2 v[2:3], v[2:3]
	s_waitcnt vmcnt(0) lgkmcnt(0)
	v_mul_f64 v[78:79], v[2:3], s[20:21]
.LBB116_42:                             ;   in Loop: Header=BB116_28 Depth=1
	s_or_b64 exec, exec, s[10:11]
	s_or_b64 s[10:11], s[6:7], vcc
	s_or_b64 s[38:39], s[30:31], s[10:11]
	v_lshl_add_u64 v[0:1], v[0:1], 3, s[28:29]
	v_cndmask_b32_e64 v81, 0, v155, s[10:11]
	s_xor_b64 s[38:39], s[38:39], -1
	v_cndmask_b32_e64 v80, 0, -1, s[10:11]
	s_and_saveexec_b64 s[10:11], s[38:39]
	s_cbranch_execz .LBB116_44
; %bb.43:                               ;   in Loop: Header=BB116_28 Depth=1
	v_lshl_add_u64 v[2:3], v[72:73], 3, v[0:1]
	flat_load_dwordx2 v[2:3], v[2:3]
	s_waitcnt vmcnt(0) lgkmcnt(0)
	v_mul_f64 v[80:81], v[2:3], s[20:21]
.LBB116_44:                             ;   in Loop: Header=BB116_28 Depth=1
	s_or_b64 exec, exec, s[10:11]
	s_or_b64 vcc, s[8:9], vcc
	s_or_b64 s[10:11], s[30:31], vcc
	v_cndmask_b32_e32 v83, 0, v155, vcc
	s_xor_b64 s[38:39], s[10:11], -1
	v_cndmask_b32_e64 v82, 0, -1, vcc
	s_and_saveexec_b64 s[10:11], s[38:39]
	s_cbranch_execz .LBB116_46
; %bb.45:                               ;   in Loop: Header=BB116_28 Depth=1
	v_lshl_add_u64 v[0:1], v[74:75], 3, v[0:1]
	flat_load_dwordx2 v[0:1], v[0:1]
	s_waitcnt vmcnt(0) lgkmcnt(0)
	v_mul_f64 v[82:83], v[0:1], s[20:21]
.LBB116_46:                             ;   in Loop: Header=BB116_28 Depth=1
	s_or_b64 exec, exec, s[10:11]
	s_mov_b32 s38, 0
	s_mov_b64 s[10:11], -1
.LBB116_47:                             ;   Parent Loop BB116_28 Depth=1
                                        ; =>  This Inner Loop Header: Depth=2
	v_cndmask_b32_e64 v0, 0, 1, s[10:11]
	s_lshl_b32 s10, s38, 3
	v_cmp_ne_u32_e32 vcc, 1, v0
	v_lshl_add_u32 v0, v139, 5, s10
	ds_read_b128 v[12:15], v0
	ds_read_b128 v[8:11], v0 offset:1024
	ds_read_b128 v[4:7], v0 offset:2048
	;; [unrolled: 1-line block ×3, first 2 shown]
	v_lshl_add_u32 v16, v140, 5, s10
	ds_read_b128 v[156:159], v16 offset:8192
	ds_read_b128 v[160:163], v16 offset:8448
	;; [unrolled: 1-line block ×16, first 2 shown]
	s_waitcnt lgkmcnt(14)
	v_add_f64 v[168:169], v[14:15], v[158:159]
	v_add_f64 v[170:171], v[12:13], v[156:157]
	v_cvt_f32_f64_e32 v170, v[170:171]
	v_cvt_f32_f64_e32 v168, v[168:169]
	v_min3_f32 v149, v170, v168, v149
	v_add_f64 v[168:169], v[10:11], v[158:159]
	v_add_f64 v[170:171], v[8:9], v[156:157]
	v_cvt_f32_f64_e32 v170, v[170:171]
	v_cvt_f32_f64_e32 v168, v[168:169]
	v_min3_f32 v148, v170, v168, v148
	v_add_f64 v[168:169], v[6:7], v[158:159]
	v_add_f64 v[170:171], v[4:5], v[156:157]
	;; [unrolled: 1-line block ×4, first 2 shown]
	v_cvt_f32_f64_e32 v156, v[156:157]
	v_cvt_f32_f64_e32 v157, v[158:159]
	v_min3_f32 v146, v156, v157, v146
	v_add_f64 v[156:157], v[14:15], v[162:163]
	v_add_f64 v[158:159], v[12:13], v[160:161]
	v_cvt_f32_f64_e32 v158, v[158:159]
	v_cvt_f32_f64_e32 v156, v[156:157]
	v_min3_f32 v145, v158, v156, v145
	v_add_f64 v[156:157], v[10:11], v[162:163]
	v_add_f64 v[158:159], v[8:9], v[160:161]
	;; [unrolled: 5-line block ×4, first 2 shown]
	v_cvt_f32_f64_e32 v158, v[158:159]
	v_cvt_f32_f64_e32 v156, v[156:157]
	v_min3_f32 v142, v158, v156, v142
	s_waitcnt lgkmcnt(13)
	v_add_f64 v[156:157], v[14:15], v[166:167]
	v_add_f64 v[158:159], v[12:13], v[164:165]
	v_cvt_f32_f64_e32 v158, v[158:159]
	v_cvt_f32_f64_e32 v156, v[156:157]
	v_min3_f32 v141, v158, v156, v141
	v_add_f64 v[156:157], v[10:11], v[166:167]
	v_add_f64 v[158:159], v[8:9], v[164:165]
	v_cvt_f32_f64_e32 v158, v[158:159]
	v_cvt_f32_f64_e32 v156, v[156:157]
	v_min3_f32 v138, v158, v156, v138
	;; [unrolled: 5-line block ×4, first 2 shown]
	s_waitcnt lgkmcnt(12)
	v_add_f64 v[156:157], v[14:15], v[66:67]
	v_add_f64 v[158:159], v[12:13], v[64:65]
	v_cvt_f32_f64_e32 v158, v[158:159]
	v_cvt_f32_f64_e32 v156, v[156:157]
	v_min3_f32 v135, v158, v156, v135
	v_add_f64 v[156:157], v[10:11], v[66:67]
	v_add_f64 v[158:159], v[8:9], v[64:65]
	v_cvt_f32_f64_e32 v158, v[158:159]
	v_cvt_f32_f64_e32 v156, v[156:157]
	v_min3_f32 v134, v158, v156, v134
	v_add_f64 v[156:157], v[6:7], v[66:67]
	v_add_f64 v[158:159], v[4:5], v[64:65]
	v_add_f64 v[66:67], v[2:3], v[66:67]
	v_add_f64 v[64:65], v[0:1], v[64:65]
	v_cvt_f32_f64_e32 v64, v[64:65]
	v_cvt_f32_f64_e32 v65, v[66:67]
	v_min3_f32 v132, v64, v65, v132
	s_waitcnt lgkmcnt(11)
	v_add_f64 v[64:65], v[14:15], v[62:63]
	v_add_f64 v[66:67], v[12:13], v[60:61]
	v_cvt_f32_f64_e32 v66, v[66:67]
	v_cvt_f32_f64_e32 v64, v[64:65]
	v_min3_f32 v131, v66, v64, v131
	v_add_f64 v[64:65], v[10:11], v[62:63]
	v_add_f64 v[66:67], v[8:9], v[60:61]
	v_cvt_f32_f64_e32 v66, v[66:67]
	v_cvt_f32_f64_e32 v64, v[64:65]
	v_min3_f32 v130, v66, v64, v130
	v_add_f64 v[64:65], v[6:7], v[62:63]
	v_add_f64 v[66:67], v[4:5], v[60:61]
	v_add_f64 v[62:63], v[2:3], v[62:63]
	v_add_f64 v[60:61], v[0:1], v[60:61]
	v_cvt_f32_f64_e32 v60, v[60:61]
	v_cvt_f32_f64_e32 v61, v[62:63]
	v_min3_f32 v128, v60, v61, v128
	;; [unrolled: 18-line block ×11, first 2 shown]
	s_waitcnt lgkmcnt(1)
	v_add_f64 v[24:25], v[14:15], v[22:23]
	v_add_f64 v[26:27], v[12:13], v[20:21]
	v_cvt_f32_f64_e32 v26, v[26:27]
	v_cvt_f32_f64_e32 v24, v[24:25]
	v_min3_f32 v91, v26, v24, v91
	v_add_f64 v[24:25], v[10:11], v[22:23]
	v_add_f64 v[26:27], v[8:9], v[20:21]
	v_cvt_f32_f64_e32 v26, v[26:27]
	v_cvt_f32_f64_e32 v24, v[24:25]
	v_min3_f32 v90, v26, v24, v90
	v_add_f64 v[24:25], v[6:7], v[22:23]
	v_add_f64 v[26:27], v[4:5], v[20:21]
	;; [unrolled: 1-line block ×4, first 2 shown]
	s_waitcnt lgkmcnt(0)
	v_add_f64 v[14:15], v[14:15], v[18:19]
	v_add_f64 v[12:13], v[12:13], v[16:17]
	;; [unrolled: 1-line block ×8, first 2 shown]
	v_cvt_f32_f64_e32 v170, v[170:171]
	v_cvt_f32_f64_e32 v168, v[168:169]
	;; [unrolled: 1-line block ×36, first 2 shown]
	v_min3_f32 v147, v170, v168, v147
	v_min3_f32 v133, v158, v156, v133
	;; [unrolled: 1-line block ×18, first 2 shown]
	s_mov_b32 s38, 2
	s_mov_b64 s[10:11], 0
	s_cbranch_vccz .LBB116_47
; %bb.48:                               ;   in Loop: Header=BB116_28 Depth=1
	s_add_i32 s35, s35, 8
	s_add_i32 s37, s37, 8
	s_cmp_ge_i32 s37, s36
	ds_write2st64_b64 v153, v[76:77], v[78:79] offset1:4
	ds_write2st64_b64 v154, v[80:81], v[82:83] offset1:4
	s_waitcnt lgkmcnt(0)
	s_barrier
	s_cbranch_scc0 .LBB116_28
.LBB116_49:
	s_mov_b32 s4, 0
	s_mov_b64 s[2:3], -1
.LBB116_50:                             ; =>This Inner Loop Header: Depth=1
	v_cndmask_b32_e64 v0, 0, 1, s[2:3]
	s_lshl_b32 s2, s4, 3
	v_cmp_ne_u32_e32 vcc, 1, v0
	v_lshl_add_u32 v0, v139, 5, s2
	ds_read_b128 v[12:15], v0 offset:4096
	ds_read_b128 v[8:11], v0 offset:5120
	ds_read_b128 v[4:7], v0 offset:6144
	ds_read_b128 v[0:3], v0 offset:7168
	v_lshl_add_u32 v16, v140, 5, s2
	ds_read_b128 v[68:71], v16 offset:12288
	ds_read_b128 v[72:75], v16 offset:12544
	;; [unrolled: 1-line block ×16, first 2 shown]
	s_waitcnt lgkmcnt(14)
	v_add_f64 v[80:81], v[14:15], v[70:71]
	v_add_f64 v[82:83], v[12:13], v[68:69]
	v_cvt_f32_f64_e32 v82, v[82:83]
	v_cvt_f32_f64_e32 v80, v[80:81]
	v_min3_f32 v149, v82, v80, v149
	v_add_f64 v[80:81], v[10:11], v[70:71]
	v_add_f64 v[82:83], v[8:9], v[68:69]
	v_cvt_f32_f64_e32 v82, v[82:83]
	v_cvt_f32_f64_e32 v80, v[80:81]
	v_min3_f32 v148, v82, v80, v148
	v_add_f64 v[80:81], v[6:7], v[70:71]
	v_add_f64 v[82:83], v[4:5], v[68:69]
	;; [unrolled: 1-line block ×4, first 2 shown]
	v_cvt_f32_f64_e32 v68, v[68:69]
	v_cvt_f32_f64_e32 v69, v[70:71]
	v_min3_f32 v146, v68, v69, v146
	v_add_f64 v[68:69], v[14:15], v[74:75]
	v_add_f64 v[70:71], v[12:13], v[72:73]
	v_cvt_f32_f64_e32 v70, v[70:71]
	v_cvt_f32_f64_e32 v68, v[68:69]
	v_min3_f32 v145, v70, v68, v145
	v_add_f64 v[68:69], v[10:11], v[74:75]
	v_add_f64 v[70:71], v[8:9], v[72:73]
	;; [unrolled: 5-line block ×4, first 2 shown]
	v_cvt_f32_f64_e32 v70, v[70:71]
	v_cvt_f32_f64_e32 v68, v[68:69]
	v_min3_f32 v142, v70, v68, v142
	s_waitcnt lgkmcnt(13)
	v_add_f64 v[68:69], v[14:15], v[78:79]
	v_add_f64 v[70:71], v[12:13], v[76:77]
	v_cvt_f32_f64_e32 v70, v[70:71]
	v_cvt_f32_f64_e32 v68, v[68:69]
	v_min3_f32 v141, v70, v68, v141
	v_add_f64 v[68:69], v[10:11], v[78:79]
	v_add_f64 v[70:71], v[8:9], v[76:77]
	v_cvt_f32_f64_e32 v70, v[70:71]
	v_cvt_f32_f64_e32 v68, v[68:69]
	v_min3_f32 v138, v70, v68, v138
	;; [unrolled: 5-line block ×4, first 2 shown]
	s_waitcnt lgkmcnt(12)
	v_add_f64 v[68:69], v[14:15], v[66:67]
	v_add_f64 v[70:71], v[12:13], v[64:65]
	v_cvt_f32_f64_e32 v70, v[70:71]
	v_cvt_f32_f64_e32 v68, v[68:69]
	v_min3_f32 v135, v70, v68, v135
	v_add_f64 v[68:69], v[10:11], v[66:67]
	v_add_f64 v[70:71], v[8:9], v[64:65]
	v_cvt_f32_f64_e32 v70, v[70:71]
	v_cvt_f32_f64_e32 v68, v[68:69]
	v_min3_f32 v134, v70, v68, v134
	v_add_f64 v[68:69], v[6:7], v[66:67]
	v_add_f64 v[70:71], v[4:5], v[64:65]
	v_add_f64 v[66:67], v[2:3], v[66:67]
	v_add_f64 v[64:65], v[0:1], v[64:65]
	v_cvt_f32_f64_e32 v64, v[64:65]
	v_cvt_f32_f64_e32 v65, v[66:67]
	v_min3_f32 v132, v64, v65, v132
	s_waitcnt lgkmcnt(11)
	v_add_f64 v[64:65], v[14:15], v[62:63]
	v_add_f64 v[66:67], v[12:13], v[60:61]
	v_cvt_f32_f64_e32 v66, v[66:67]
	v_cvt_f32_f64_e32 v64, v[64:65]
	v_min3_f32 v131, v66, v64, v131
	v_add_f64 v[64:65], v[10:11], v[62:63]
	v_add_f64 v[66:67], v[8:9], v[60:61]
	v_cvt_f32_f64_e32 v66, v[66:67]
	v_cvt_f32_f64_e32 v64, v[64:65]
	v_min3_f32 v130, v66, v64, v130
	v_add_f64 v[64:65], v[6:7], v[62:63]
	v_add_f64 v[66:67], v[4:5], v[60:61]
	v_add_f64 v[62:63], v[2:3], v[62:63]
	v_add_f64 v[60:61], v[0:1], v[60:61]
	v_cvt_f32_f64_e32 v60, v[60:61]
	v_cvt_f32_f64_e32 v61, v[62:63]
	v_min3_f32 v128, v60, v61, v128
	;; [unrolled: 18-line block ×11, first 2 shown]
	s_waitcnt lgkmcnt(1)
	v_add_f64 v[24:25], v[14:15], v[22:23]
	v_add_f64 v[26:27], v[12:13], v[20:21]
	v_cvt_f32_f64_e32 v26, v[26:27]
	v_cvt_f32_f64_e32 v24, v[24:25]
	v_min3_f32 v91, v26, v24, v91
	v_add_f64 v[24:25], v[10:11], v[22:23]
	v_add_f64 v[26:27], v[8:9], v[20:21]
	v_cvt_f32_f64_e32 v26, v[26:27]
	v_cvt_f32_f64_e32 v24, v[24:25]
	v_min3_f32 v90, v26, v24, v90
	v_add_f64 v[24:25], v[6:7], v[22:23]
	v_add_f64 v[26:27], v[4:5], v[20:21]
	;; [unrolled: 1-line block ×4, first 2 shown]
	s_waitcnt lgkmcnt(0)
	v_add_f64 v[14:15], v[14:15], v[18:19]
	v_add_f64 v[12:13], v[12:13], v[16:17]
	;; [unrolled: 1-line block ×8, first 2 shown]
	v_cvt_f32_f64_e32 v82, v[82:83]
	v_cvt_f32_f64_e32 v80, v[80:81]
	;; [unrolled: 1-line block ×36, first 2 shown]
	v_min3_f32 v147, v82, v80, v147
	v_min3_f32 v133, v70, v68, v133
	;; [unrolled: 1-line block ×18, first 2 shown]
	s_mov_b32 s4, 2
	s_mov_b64 s[2:3], 0
	s_cbranch_vccz .LBB116_50
; %bb.51:
	s_load_dwordx2 s[2:3], s[0:1], 0x78
	s_load_dword s27, s[0:1], 0x58
	s_load_dword s26, s[0:1], 0x70
	v_add_u32_e32 v14, s33, v140
	v_add_u32_e32 v0, s19, v139
	s_waitcnt lgkmcnt(0)
	s_lshl_b64 s[0:1], s[2:3], 3
	s_add_u32 s18, s24, s0
	s_addc_u32 s19, s25, s1
	v_mad_i64_i32 v[2:3], s[0:1], v14, s27, 0
	v_lshl_add_u64 v[10:11], v[2:3], 3, s[12:13]
	v_mad_i64_i32 v[2:3], s[0:1], v14, s26, 0
	v_cmp_gt_i32_e64 s[2:3], s16, v0
	v_cmp_gt_i32_e64 s[10:11], s17, v14
	v_lshl_add_u64 v[8:9], v[2:3], 3, s[18:19]
	v_cndmask_b32_e64 v2, 0, 1, s[22:23]
	v_ashrrev_i32_e32 v1, 31, v0
	s_and_b64 s[6:7], s[2:3], s[10:11]
	v_cmp_ne_u32_e64 s[0:1], 1, v2
	s_and_saveexec_b64 s[4:5], s[6:7]
	s_cbranch_execz .LBB116_56
; %bb.52:
	s_and_b64 vcc, exec, s[0:1]
	s_cbranch_vccnz .LBB116_54
; %bb.53:
	v_lshl_add_u64 v[2:3], v[0:1], 3, v[10:11]
	flat_load_dwordx2 v[2:3], v[2:3]
	s_waitcnt vmcnt(0) lgkmcnt(0)
	v_mul_f64 v[2:3], v[2:3], s[14:15]
	s_branch .LBB116_55
.LBB116_54:
	v_mov_b64_e32 v[2:3], 0
.LBB116_55:
	v_cvt_f32_f64_e32 v2, v[2:3]
	v_max_f32_e32 v3, v149, v149
	v_min_f32_e32 v2, v2, v3
	v_cvt_f64_f32_e32 v[2:3], v2
	v_lshl_add_u64 v[4:5], v[0:1], 3, v[8:9]
	global_store_dwordx2 v[4:5], v[2:3], off
.LBB116_56:
	s_or_b64 exec, exec, s[4:5]
	v_add_u32_e32 v2, 32, v0
	v_cmp_gt_i32_e64 s[4:5], s16, v2
	v_ashrrev_i32_e32 v3, 31, v2
	s_and_b64 s[8:9], s[4:5], s[10:11]
	s_and_saveexec_b64 s[6:7], s[8:9]
	s_cbranch_execz .LBB116_61
; %bb.57:
	s_and_b64 vcc, exec, s[0:1]
	s_cbranch_vccnz .LBB116_59
; %bb.58:
	v_lshl_add_u64 v[4:5], v[2:3], 3, v[10:11]
	flat_load_dwordx2 v[4:5], v[4:5]
	s_waitcnt vmcnt(0) lgkmcnt(0)
	v_mul_f64 v[4:5], v[4:5], s[14:15]
	s_branch .LBB116_60
.LBB116_59:
	v_mov_b64_e32 v[4:5], 0
.LBB116_60:
	v_cvt_f32_f64_e32 v4, v[4:5]
	v_max_f32_e32 v5, v148, v148
	v_min_f32_e32 v4, v4, v5
	v_cvt_f64_f32_e32 v[4:5], v4
	v_lshl_add_u64 v[6:7], v[2:3], 3, v[8:9]
	global_store_dwordx2 v[6:7], v[4:5], off
.LBB116_61:
	s_or_b64 exec, exec, s[6:7]
	v_add_u32_e32 v4, 64, v0
	v_cmp_gt_i32_e64 s[6:7], s16, v4
	v_ashrrev_i32_e32 v5, 31, v4
	s_and_b64 s[20:21], s[6:7], s[10:11]
	;; [unrolled: 26-line block ×3, first 2 shown]
	s_and_saveexec_b64 s[10:11], s[20:21]
	s_cbranch_execz .LBB116_71
; %bb.67:
	s_and_b64 vcc, exec, s[0:1]
	s_cbranch_vccnz .LBB116_69
; %bb.68:
	v_lshl_add_u64 v[10:11], v[6:7], 3, v[10:11]
	flat_load_dwordx2 v[10:11], v[10:11]
	s_waitcnt vmcnt(0) lgkmcnt(0)
	v_mul_f64 v[10:11], v[10:11], s[14:15]
	s_branch .LBB116_70
.LBB116_69:
	v_mov_b64_e32 v[10:11], 0
.LBB116_70:
	v_cvt_f32_f64_e32 v10, v[10:11]
	v_max_f32_e32 v11, v146, v146
	v_min_f32_e32 v10, v10, v11
	v_cvt_f64_f32_e32 v[10:11], v10
	v_lshl_add_u64 v[8:9], v[6:7], 3, v[8:9]
	global_store_dwordx2 v[8:9], v[10:11], off
.LBB116_71:
	s_or_b64 exec, exec, s[10:11]
	v_add_u32_e32 v12, 8, v14
	v_mad_i64_i32 v[8:9], s[20:21], v12, s27, 0
	v_cmp_gt_i32_e64 s[10:11], s17, v12
	v_lshl_add_u64 v[10:11], v[8:9], 3, s[12:13]
	v_mad_i64_i32 v[8:9], s[20:21], v12, s26, 0
	v_lshl_add_u64 v[8:9], v[8:9], 3, s[18:19]
	s_and_b64 s[22:23], s[2:3], s[10:11]
	s_and_saveexec_b64 s[20:21], s[22:23]
	s_cbranch_execnz .LBB116_75
; %bb.72:
	s_or_b64 exec, exec, s[20:21]
	s_and_b64 s[22:23], s[4:5], s[10:11]
	s_and_saveexec_b64 s[20:21], s[22:23]
	s_cbranch_execnz .LBB116_79
.LBB116_73:
	s_or_b64 exec, exec, s[20:21]
	s_and_b64 s[22:23], s[6:7], s[10:11]
	s_and_saveexec_b64 s[20:21], s[22:23]
	s_cbranch_execnz .LBB116_83
.LBB116_74:
	s_or_b64 exec, exec, s[20:21]
	s_and_b64 s[20:21], s[8:9], s[10:11]
	s_and_saveexec_b64 s[10:11], s[20:21]
	s_cbranch_execnz .LBB116_87
	s_branch .LBB116_91
.LBB116_75:
	s_and_b64 vcc, exec, s[0:1]
	s_cbranch_vccnz .LBB116_77
; %bb.76:
	v_lshl_add_u64 v[12:13], v[0:1], 3, v[10:11]
	flat_load_dwordx2 v[12:13], v[12:13]
	s_waitcnt vmcnt(0) lgkmcnt(0)
	v_mul_f64 v[12:13], v[12:13], s[14:15]
	s_branch .LBB116_78
.LBB116_77:
	v_mov_b64_e32 v[12:13], 0
.LBB116_78:
	v_cvt_f32_f64_e32 v12, v[12:13]
	v_max_f32_e32 v13, v145, v145
	v_min_f32_e32 v12, v12, v13
	v_cvt_f64_f32_e32 v[12:13], v12
	v_lshl_add_u64 v[16:17], v[0:1], 3, v[8:9]
	global_store_dwordx2 v[16:17], v[12:13], off
	s_or_b64 exec, exec, s[20:21]
	s_and_b64 s[22:23], s[4:5], s[10:11]
	s_and_saveexec_b64 s[20:21], s[22:23]
	s_cbranch_execz .LBB116_73
.LBB116_79:
	s_and_b64 vcc, exec, s[0:1]
	s_cbranch_vccnz .LBB116_81
; %bb.80:
	v_lshl_add_u64 v[12:13], v[2:3], 3, v[10:11]
	flat_load_dwordx2 v[12:13], v[12:13]
	s_waitcnt vmcnt(0) lgkmcnt(0)
	v_mul_f64 v[12:13], v[12:13], s[14:15]
	s_branch .LBB116_82
.LBB116_81:
	v_mov_b64_e32 v[12:13], 0
.LBB116_82:
	v_cvt_f32_f64_e32 v12, v[12:13]
	v_max_f32_e32 v13, v144, v144
	v_min_f32_e32 v12, v12, v13
	v_cvt_f64_f32_e32 v[12:13], v12
	v_lshl_add_u64 v[16:17], v[2:3], 3, v[8:9]
	global_store_dwordx2 v[16:17], v[12:13], off
	s_or_b64 exec, exec, s[20:21]
	s_and_b64 s[22:23], s[6:7], s[10:11]
	s_and_saveexec_b64 s[20:21], s[22:23]
	s_cbranch_execz .LBB116_74
.LBB116_83:
	s_and_b64 vcc, exec, s[0:1]
	s_cbranch_vccnz .LBB116_85
; %bb.84:
	v_lshl_add_u64 v[12:13], v[4:5], 3, v[10:11]
	flat_load_dwordx2 v[12:13], v[12:13]
	s_waitcnt vmcnt(0) lgkmcnt(0)
	v_mul_f64 v[12:13], v[12:13], s[14:15]
	s_branch .LBB116_86
.LBB116_85:
	v_mov_b64_e32 v[12:13], 0
.LBB116_86:
	v_cvt_f32_f64_e32 v12, v[12:13]
	v_max_f32_e32 v13, v143, v143
	v_min_f32_e32 v12, v12, v13
	v_cvt_f64_f32_e32 v[12:13], v12
	v_lshl_add_u64 v[16:17], v[4:5], 3, v[8:9]
	global_store_dwordx2 v[16:17], v[12:13], off
	s_or_b64 exec, exec, s[20:21]
	s_and_b64 s[20:21], s[8:9], s[10:11]
	s_and_saveexec_b64 s[10:11], s[20:21]
	s_cbranch_execz .LBB116_91
.LBB116_87:
	s_and_b64 vcc, exec, s[0:1]
	s_cbranch_vccnz .LBB116_89
; %bb.88:
	v_lshl_add_u64 v[10:11], v[6:7], 3, v[10:11]
	flat_load_dwordx2 v[10:11], v[10:11]
	s_waitcnt vmcnt(0) lgkmcnt(0)
	v_mul_f64 v[10:11], v[10:11], s[14:15]
	s_branch .LBB116_90
.LBB116_89:
	v_mov_b64_e32 v[10:11], 0
.LBB116_90:
	v_cvt_f32_f64_e32 v10, v[10:11]
	v_max_f32_e32 v11, v142, v142
	v_min_f32_e32 v10, v10, v11
	v_cvt_f64_f32_e32 v[10:11], v10
	v_lshl_add_u64 v[8:9], v[6:7], 3, v[8:9]
	global_store_dwordx2 v[8:9], v[10:11], off
.LBB116_91:
	s_or_b64 exec, exec, s[10:11]
	v_add_u32_e32 v12, 16, v14
	v_mad_i64_i32 v[8:9], s[20:21], v12, s27, 0
	v_cmp_gt_i32_e64 s[10:11], s17, v12
	v_lshl_add_u64 v[10:11], v[8:9], 3, s[12:13]
	v_mad_i64_i32 v[8:9], s[20:21], v12, s26, 0
	v_lshl_add_u64 v[8:9], v[8:9], 3, s[18:19]
	s_and_b64 s[22:23], s[2:3], s[10:11]
	s_and_saveexec_b64 s[20:21], s[22:23]
	s_cbranch_execnz .LBB116_95
; %bb.92:
	s_or_b64 exec, exec, s[20:21]
	s_and_b64 s[22:23], s[4:5], s[10:11]
	s_and_saveexec_b64 s[20:21], s[22:23]
	s_cbranch_execnz .LBB116_99
.LBB116_93:
	s_or_b64 exec, exec, s[20:21]
	s_and_b64 s[22:23], s[6:7], s[10:11]
	s_and_saveexec_b64 s[20:21], s[22:23]
	s_cbranch_execnz .LBB116_103
.LBB116_94:
	s_or_b64 exec, exec, s[20:21]
	s_and_b64 s[20:21], s[8:9], s[10:11]
	s_and_saveexec_b64 s[10:11], s[20:21]
	s_cbranch_execnz .LBB116_107
	s_branch .LBB116_111
.LBB116_95:
	s_and_b64 vcc, exec, s[0:1]
	s_cbranch_vccnz .LBB116_97
; %bb.96:
	v_lshl_add_u64 v[12:13], v[0:1], 3, v[10:11]
	flat_load_dwordx2 v[12:13], v[12:13]
	s_waitcnt vmcnt(0) lgkmcnt(0)
	v_mul_f64 v[12:13], v[12:13], s[14:15]
	s_branch .LBB116_98
.LBB116_97:
	v_mov_b64_e32 v[12:13], 0
.LBB116_98:
	v_cvt_f32_f64_e32 v12, v[12:13]
	v_max_f32_e32 v13, v141, v141
	v_min_f32_e32 v12, v12, v13
	v_cvt_f64_f32_e32 v[12:13], v12
	v_lshl_add_u64 v[16:17], v[0:1], 3, v[8:9]
	global_store_dwordx2 v[16:17], v[12:13], off
	s_or_b64 exec, exec, s[20:21]
	s_and_b64 s[22:23], s[4:5], s[10:11]
	s_and_saveexec_b64 s[20:21], s[22:23]
	s_cbranch_execz .LBB116_93
.LBB116_99:
	s_and_b64 vcc, exec, s[0:1]
	s_cbranch_vccnz .LBB116_101
; %bb.100:
	v_lshl_add_u64 v[12:13], v[2:3], 3, v[10:11]
	flat_load_dwordx2 v[12:13], v[12:13]
	s_waitcnt vmcnt(0) lgkmcnt(0)
	v_mul_f64 v[12:13], v[12:13], s[14:15]
	s_branch .LBB116_102
.LBB116_101:
	v_mov_b64_e32 v[12:13], 0
.LBB116_102:
	v_cvt_f32_f64_e32 v12, v[12:13]
	v_max_f32_e32 v13, v138, v138
	v_min_f32_e32 v12, v12, v13
	v_cvt_f64_f32_e32 v[12:13], v12
	v_lshl_add_u64 v[16:17], v[2:3], 3, v[8:9]
	global_store_dwordx2 v[16:17], v[12:13], off
	s_or_b64 exec, exec, s[20:21]
	s_and_b64 s[22:23], s[6:7], s[10:11]
	s_and_saveexec_b64 s[20:21], s[22:23]
	s_cbranch_execz .LBB116_94
.LBB116_103:
	s_and_b64 vcc, exec, s[0:1]
	s_cbranch_vccnz .LBB116_105
; %bb.104:
	v_lshl_add_u64 v[12:13], v[4:5], 3, v[10:11]
	flat_load_dwordx2 v[12:13], v[12:13]
	s_waitcnt vmcnt(0) lgkmcnt(0)
	v_mul_f64 v[12:13], v[12:13], s[14:15]
	s_branch .LBB116_106
.LBB116_105:
	v_mov_b64_e32 v[12:13], 0
.LBB116_106:
	v_cvt_f32_f64_e32 v12, v[12:13]
	v_max_f32_e32 v13, v137, v137
	v_min_f32_e32 v12, v12, v13
	v_cvt_f64_f32_e32 v[12:13], v12
	v_lshl_add_u64 v[16:17], v[4:5], 3, v[8:9]
	global_store_dwordx2 v[16:17], v[12:13], off
	s_or_b64 exec, exec, s[20:21]
	s_and_b64 s[20:21], s[8:9], s[10:11]
	s_and_saveexec_b64 s[10:11], s[20:21]
	s_cbranch_execz .LBB116_111
.LBB116_107:
	s_and_b64 vcc, exec, s[0:1]
	s_cbranch_vccnz .LBB116_109
; %bb.108:
	v_lshl_add_u64 v[10:11], v[6:7], 3, v[10:11]
	flat_load_dwordx2 v[10:11], v[10:11]
	s_waitcnt vmcnt(0) lgkmcnt(0)
	v_mul_f64 v[10:11], v[10:11], s[14:15]
	s_branch .LBB116_110
.LBB116_109:
	v_mov_b64_e32 v[10:11], 0
.LBB116_110:
	v_cvt_f32_f64_e32 v10, v[10:11]
	v_max_f32_e32 v11, v136, v136
	v_min_f32_e32 v10, v10, v11
	v_cvt_f64_f32_e32 v[10:11], v10
	v_lshl_add_u64 v[8:9], v[6:7], 3, v[8:9]
	global_store_dwordx2 v[8:9], v[10:11], off
.LBB116_111:
	s_or_b64 exec, exec, s[10:11]
	v_add_u32_e32 v12, 24, v14
	v_mad_i64_i32 v[8:9], s[20:21], v12, s27, 0
	v_cmp_gt_i32_e64 s[10:11], s17, v12
	v_lshl_add_u64 v[10:11], v[8:9], 3, s[12:13]
	v_mad_i64_i32 v[8:9], s[20:21], v12, s26, 0
	v_lshl_add_u64 v[8:9], v[8:9], 3, s[18:19]
	s_and_b64 s[22:23], s[2:3], s[10:11]
	s_and_saveexec_b64 s[20:21], s[22:23]
	s_cbranch_execnz .LBB116_115
; %bb.112:
	s_or_b64 exec, exec, s[20:21]
	s_and_b64 s[22:23], s[4:5], s[10:11]
	s_and_saveexec_b64 s[20:21], s[22:23]
	s_cbranch_execnz .LBB116_119
.LBB116_113:
	s_or_b64 exec, exec, s[20:21]
	s_and_b64 s[22:23], s[6:7], s[10:11]
	s_and_saveexec_b64 s[20:21], s[22:23]
	s_cbranch_execnz .LBB116_123
.LBB116_114:
	s_or_b64 exec, exec, s[20:21]
	s_and_b64 s[20:21], s[8:9], s[10:11]
	s_and_saveexec_b64 s[10:11], s[20:21]
	s_cbranch_execnz .LBB116_127
	s_branch .LBB116_131
.LBB116_115:
	s_and_b64 vcc, exec, s[0:1]
	s_cbranch_vccnz .LBB116_117
; %bb.116:
	v_lshl_add_u64 v[12:13], v[0:1], 3, v[10:11]
	flat_load_dwordx2 v[12:13], v[12:13]
	s_waitcnt vmcnt(0) lgkmcnt(0)
	v_mul_f64 v[12:13], v[12:13], s[14:15]
	s_branch .LBB116_118
.LBB116_117:
	v_mov_b64_e32 v[12:13], 0
.LBB116_118:
	v_cvt_f32_f64_e32 v12, v[12:13]
	v_max_f32_e32 v13, v135, v135
	v_min_f32_e32 v12, v12, v13
	v_cvt_f64_f32_e32 v[12:13], v12
	v_lshl_add_u64 v[16:17], v[0:1], 3, v[8:9]
	global_store_dwordx2 v[16:17], v[12:13], off
	s_or_b64 exec, exec, s[20:21]
	s_and_b64 s[22:23], s[4:5], s[10:11]
	s_and_saveexec_b64 s[20:21], s[22:23]
	s_cbranch_execz .LBB116_113
.LBB116_119:
	s_and_b64 vcc, exec, s[0:1]
	s_cbranch_vccnz .LBB116_121
; %bb.120:
	v_lshl_add_u64 v[12:13], v[2:3], 3, v[10:11]
	flat_load_dwordx2 v[12:13], v[12:13]
	s_waitcnt vmcnt(0) lgkmcnt(0)
	v_mul_f64 v[12:13], v[12:13], s[14:15]
	s_branch .LBB116_122
.LBB116_121:
	v_mov_b64_e32 v[12:13], 0
.LBB116_122:
	v_cvt_f32_f64_e32 v12, v[12:13]
	v_max_f32_e32 v13, v134, v134
	v_min_f32_e32 v12, v12, v13
	v_cvt_f64_f32_e32 v[12:13], v12
	v_lshl_add_u64 v[16:17], v[2:3], 3, v[8:9]
	global_store_dwordx2 v[16:17], v[12:13], off
	s_or_b64 exec, exec, s[20:21]
	s_and_b64 s[22:23], s[6:7], s[10:11]
	s_and_saveexec_b64 s[20:21], s[22:23]
	s_cbranch_execz .LBB116_114
.LBB116_123:
	s_and_b64 vcc, exec, s[0:1]
	s_cbranch_vccnz .LBB116_125
; %bb.124:
	v_lshl_add_u64 v[12:13], v[4:5], 3, v[10:11]
	flat_load_dwordx2 v[12:13], v[12:13]
	s_waitcnt vmcnt(0) lgkmcnt(0)
	v_mul_f64 v[12:13], v[12:13], s[14:15]
	s_branch .LBB116_126
.LBB116_125:
	v_mov_b64_e32 v[12:13], 0
.LBB116_126:
	v_cvt_f32_f64_e32 v12, v[12:13]
	v_max_f32_e32 v13, v133, v133
	v_min_f32_e32 v12, v12, v13
	v_cvt_f64_f32_e32 v[12:13], v12
	v_lshl_add_u64 v[16:17], v[4:5], 3, v[8:9]
	global_store_dwordx2 v[16:17], v[12:13], off
	s_or_b64 exec, exec, s[20:21]
	s_and_b64 s[20:21], s[8:9], s[10:11]
	s_and_saveexec_b64 s[10:11], s[20:21]
	s_cbranch_execz .LBB116_131
.LBB116_127:
	s_and_b64 vcc, exec, s[0:1]
	s_cbranch_vccnz .LBB116_129
; %bb.128:
	v_lshl_add_u64 v[10:11], v[6:7], 3, v[10:11]
	flat_load_dwordx2 v[10:11], v[10:11]
	s_waitcnt vmcnt(0) lgkmcnt(0)
	v_mul_f64 v[10:11], v[10:11], s[14:15]
	s_branch .LBB116_130
.LBB116_129:
	v_mov_b64_e32 v[10:11], 0
.LBB116_130:
	v_cvt_f32_f64_e32 v10, v[10:11]
	v_max_f32_e32 v11, v132, v132
	v_min_f32_e32 v10, v10, v11
	v_cvt_f64_f32_e32 v[10:11], v10
	v_lshl_add_u64 v[8:9], v[6:7], 3, v[8:9]
	global_store_dwordx2 v[8:9], v[10:11], off
.LBB116_131:
	s_or_b64 exec, exec, s[10:11]
	v_add_u32_e32 v12, 32, v14
	v_mad_i64_i32 v[8:9], s[20:21], v12, s27, 0
	v_cmp_gt_i32_e64 s[10:11], s17, v12
	v_lshl_add_u64 v[10:11], v[8:9], 3, s[12:13]
	v_mad_i64_i32 v[8:9], s[20:21], v12, s26, 0
	v_lshl_add_u64 v[8:9], v[8:9], 3, s[18:19]
	s_and_b64 s[22:23], s[2:3], s[10:11]
	s_and_saveexec_b64 s[20:21], s[22:23]
	s_cbranch_execnz .LBB116_135
; %bb.132:
	s_or_b64 exec, exec, s[20:21]
	s_and_b64 s[22:23], s[4:5], s[10:11]
	s_and_saveexec_b64 s[20:21], s[22:23]
	s_cbranch_execnz .LBB116_139
.LBB116_133:
	s_or_b64 exec, exec, s[20:21]
	s_and_b64 s[22:23], s[6:7], s[10:11]
	s_and_saveexec_b64 s[20:21], s[22:23]
	s_cbranch_execnz .LBB116_143
.LBB116_134:
	s_or_b64 exec, exec, s[20:21]
	s_and_b64 s[20:21], s[8:9], s[10:11]
	s_and_saveexec_b64 s[10:11], s[20:21]
	s_cbranch_execnz .LBB116_147
	s_branch .LBB116_151
.LBB116_135:
	s_and_b64 vcc, exec, s[0:1]
	s_cbranch_vccnz .LBB116_137
; %bb.136:
	v_lshl_add_u64 v[12:13], v[0:1], 3, v[10:11]
	flat_load_dwordx2 v[12:13], v[12:13]
	s_waitcnt vmcnt(0) lgkmcnt(0)
	v_mul_f64 v[12:13], v[12:13], s[14:15]
	s_branch .LBB116_138
.LBB116_137:
	v_mov_b64_e32 v[12:13], 0
.LBB116_138:
	v_cvt_f32_f64_e32 v12, v[12:13]
	v_max_f32_e32 v13, v131, v131
	v_min_f32_e32 v12, v12, v13
	v_cvt_f64_f32_e32 v[12:13], v12
	v_lshl_add_u64 v[16:17], v[0:1], 3, v[8:9]
	global_store_dwordx2 v[16:17], v[12:13], off
	s_or_b64 exec, exec, s[20:21]
	s_and_b64 s[22:23], s[4:5], s[10:11]
	s_and_saveexec_b64 s[20:21], s[22:23]
	s_cbranch_execz .LBB116_133
.LBB116_139:
	s_and_b64 vcc, exec, s[0:1]
	s_cbranch_vccnz .LBB116_141
; %bb.140:
	v_lshl_add_u64 v[12:13], v[2:3], 3, v[10:11]
	flat_load_dwordx2 v[12:13], v[12:13]
	s_waitcnt vmcnt(0) lgkmcnt(0)
	v_mul_f64 v[12:13], v[12:13], s[14:15]
	s_branch .LBB116_142
.LBB116_141:
	v_mov_b64_e32 v[12:13], 0
.LBB116_142:
	v_cvt_f32_f64_e32 v12, v[12:13]
	v_max_f32_e32 v13, v130, v130
	v_min_f32_e32 v12, v12, v13
	v_cvt_f64_f32_e32 v[12:13], v12
	v_lshl_add_u64 v[16:17], v[2:3], 3, v[8:9]
	global_store_dwordx2 v[16:17], v[12:13], off
	s_or_b64 exec, exec, s[20:21]
	s_and_b64 s[22:23], s[6:7], s[10:11]
	s_and_saveexec_b64 s[20:21], s[22:23]
	s_cbranch_execz .LBB116_134
.LBB116_143:
	s_and_b64 vcc, exec, s[0:1]
	s_cbranch_vccnz .LBB116_145
; %bb.144:
	v_lshl_add_u64 v[12:13], v[4:5], 3, v[10:11]
	flat_load_dwordx2 v[12:13], v[12:13]
	s_waitcnt vmcnt(0) lgkmcnt(0)
	v_mul_f64 v[12:13], v[12:13], s[14:15]
	s_branch .LBB116_146
.LBB116_145:
	v_mov_b64_e32 v[12:13], 0
.LBB116_146:
	v_cvt_f32_f64_e32 v12, v[12:13]
	v_max_f32_e32 v13, v129, v129
	v_min_f32_e32 v12, v12, v13
	v_cvt_f64_f32_e32 v[12:13], v12
	v_lshl_add_u64 v[16:17], v[4:5], 3, v[8:9]
	global_store_dwordx2 v[16:17], v[12:13], off
	s_or_b64 exec, exec, s[20:21]
	s_and_b64 s[20:21], s[8:9], s[10:11]
	s_and_saveexec_b64 s[10:11], s[20:21]
	s_cbranch_execz .LBB116_151
.LBB116_147:
	s_and_b64 vcc, exec, s[0:1]
	s_cbranch_vccnz .LBB116_149
; %bb.148:
	v_lshl_add_u64 v[10:11], v[6:7], 3, v[10:11]
	flat_load_dwordx2 v[10:11], v[10:11]
	s_waitcnt vmcnt(0) lgkmcnt(0)
	v_mul_f64 v[10:11], v[10:11], s[14:15]
	s_branch .LBB116_150
.LBB116_149:
	v_mov_b64_e32 v[10:11], 0
.LBB116_150:
	v_cvt_f32_f64_e32 v10, v[10:11]
	v_max_f32_e32 v11, v128, v128
	v_min_f32_e32 v10, v10, v11
	v_cvt_f64_f32_e32 v[10:11], v10
	v_lshl_add_u64 v[8:9], v[6:7], 3, v[8:9]
	global_store_dwordx2 v[8:9], v[10:11], off
.LBB116_151:
	s_or_b64 exec, exec, s[10:11]
	v_add_u32_e32 v12, 40, v14
	v_mad_i64_i32 v[8:9], s[20:21], v12, s27, 0
	v_cmp_gt_i32_e64 s[10:11], s17, v12
	v_lshl_add_u64 v[10:11], v[8:9], 3, s[12:13]
	v_mad_i64_i32 v[8:9], s[20:21], v12, s26, 0
	v_lshl_add_u64 v[8:9], v[8:9], 3, s[18:19]
	s_and_b64 s[22:23], s[2:3], s[10:11]
	s_and_saveexec_b64 s[20:21], s[22:23]
	s_cbranch_execnz .LBB116_155
; %bb.152:
	s_or_b64 exec, exec, s[20:21]
	s_and_b64 s[22:23], s[4:5], s[10:11]
	s_and_saveexec_b64 s[20:21], s[22:23]
	s_cbranch_execnz .LBB116_159
.LBB116_153:
	s_or_b64 exec, exec, s[20:21]
	s_and_b64 s[22:23], s[6:7], s[10:11]
	s_and_saveexec_b64 s[20:21], s[22:23]
	s_cbranch_execnz .LBB116_163
.LBB116_154:
	s_or_b64 exec, exec, s[20:21]
	s_and_b64 s[20:21], s[8:9], s[10:11]
	s_and_saveexec_b64 s[10:11], s[20:21]
	s_cbranch_execnz .LBB116_167
	s_branch .LBB116_171
.LBB116_155:
	s_and_b64 vcc, exec, s[0:1]
	s_cbranch_vccnz .LBB116_157
; %bb.156:
	v_lshl_add_u64 v[12:13], v[0:1], 3, v[10:11]
	flat_load_dwordx2 v[12:13], v[12:13]
	s_waitcnt vmcnt(0) lgkmcnt(0)
	v_mul_f64 v[12:13], v[12:13], s[14:15]
	s_branch .LBB116_158
.LBB116_157:
	v_mov_b64_e32 v[12:13], 0
.LBB116_158:
	v_cvt_f32_f64_e32 v12, v[12:13]
	v_max_f32_e32 v13, v127, v127
	v_min_f32_e32 v12, v12, v13
	v_cvt_f64_f32_e32 v[12:13], v12
	v_lshl_add_u64 v[16:17], v[0:1], 3, v[8:9]
	global_store_dwordx2 v[16:17], v[12:13], off
	s_or_b64 exec, exec, s[20:21]
	s_and_b64 s[22:23], s[4:5], s[10:11]
	s_and_saveexec_b64 s[20:21], s[22:23]
	s_cbranch_execz .LBB116_153
.LBB116_159:
	s_and_b64 vcc, exec, s[0:1]
	s_cbranch_vccnz .LBB116_161
; %bb.160:
	v_lshl_add_u64 v[12:13], v[2:3], 3, v[10:11]
	flat_load_dwordx2 v[12:13], v[12:13]
	s_waitcnt vmcnt(0) lgkmcnt(0)
	v_mul_f64 v[12:13], v[12:13], s[14:15]
	s_branch .LBB116_162
.LBB116_161:
	v_mov_b64_e32 v[12:13], 0
.LBB116_162:
	v_cvt_f32_f64_e32 v12, v[12:13]
	v_max_f32_e32 v13, v126, v126
	v_min_f32_e32 v12, v12, v13
	v_cvt_f64_f32_e32 v[12:13], v12
	v_lshl_add_u64 v[16:17], v[2:3], 3, v[8:9]
	global_store_dwordx2 v[16:17], v[12:13], off
	s_or_b64 exec, exec, s[20:21]
	s_and_b64 s[22:23], s[6:7], s[10:11]
	s_and_saveexec_b64 s[20:21], s[22:23]
	s_cbranch_execz .LBB116_154
.LBB116_163:
	s_and_b64 vcc, exec, s[0:1]
	s_cbranch_vccnz .LBB116_165
; %bb.164:
	v_lshl_add_u64 v[12:13], v[4:5], 3, v[10:11]
	flat_load_dwordx2 v[12:13], v[12:13]
	s_waitcnt vmcnt(0) lgkmcnt(0)
	v_mul_f64 v[12:13], v[12:13], s[14:15]
	s_branch .LBB116_166
.LBB116_165:
	v_mov_b64_e32 v[12:13], 0
.LBB116_166:
	v_cvt_f32_f64_e32 v12, v[12:13]
	v_max_f32_e32 v13, v125, v125
	v_min_f32_e32 v12, v12, v13
	v_cvt_f64_f32_e32 v[12:13], v12
	v_lshl_add_u64 v[16:17], v[4:5], 3, v[8:9]
	global_store_dwordx2 v[16:17], v[12:13], off
	s_or_b64 exec, exec, s[20:21]
	s_and_b64 s[20:21], s[8:9], s[10:11]
	s_and_saveexec_b64 s[10:11], s[20:21]
	s_cbranch_execz .LBB116_171
.LBB116_167:
	s_and_b64 vcc, exec, s[0:1]
	s_cbranch_vccnz .LBB116_169
; %bb.168:
	v_lshl_add_u64 v[10:11], v[6:7], 3, v[10:11]
	flat_load_dwordx2 v[10:11], v[10:11]
	s_waitcnt vmcnt(0) lgkmcnt(0)
	v_mul_f64 v[10:11], v[10:11], s[14:15]
	s_branch .LBB116_170
.LBB116_169:
	v_mov_b64_e32 v[10:11], 0
.LBB116_170:
	v_cvt_f32_f64_e32 v10, v[10:11]
	v_max_f32_e32 v11, v124, v124
	v_min_f32_e32 v10, v10, v11
	v_cvt_f64_f32_e32 v[10:11], v10
	v_lshl_add_u64 v[8:9], v[6:7], 3, v[8:9]
	global_store_dwordx2 v[8:9], v[10:11], off
.LBB116_171:
	s_or_b64 exec, exec, s[10:11]
	v_add_u32_e32 v12, 48, v14
	v_mad_i64_i32 v[8:9], s[20:21], v12, s27, 0
	v_cmp_gt_i32_e64 s[10:11], s17, v12
	v_lshl_add_u64 v[10:11], v[8:9], 3, s[12:13]
	v_mad_i64_i32 v[8:9], s[20:21], v12, s26, 0
	v_lshl_add_u64 v[8:9], v[8:9], 3, s[18:19]
	s_and_b64 s[22:23], s[2:3], s[10:11]
	s_and_saveexec_b64 s[20:21], s[22:23]
	s_cbranch_execnz .LBB116_175
; %bb.172:
	s_or_b64 exec, exec, s[20:21]
	s_and_b64 s[22:23], s[4:5], s[10:11]
	s_and_saveexec_b64 s[20:21], s[22:23]
	s_cbranch_execnz .LBB116_179
.LBB116_173:
	s_or_b64 exec, exec, s[20:21]
	s_and_b64 s[22:23], s[6:7], s[10:11]
	s_and_saveexec_b64 s[20:21], s[22:23]
	s_cbranch_execnz .LBB116_183
.LBB116_174:
	s_or_b64 exec, exec, s[20:21]
	s_and_b64 s[20:21], s[8:9], s[10:11]
	s_and_saveexec_b64 s[10:11], s[20:21]
	s_cbranch_execnz .LBB116_187
	s_branch .LBB116_191
.LBB116_175:
	s_and_b64 vcc, exec, s[0:1]
	s_cbranch_vccnz .LBB116_177
; %bb.176:
	v_lshl_add_u64 v[12:13], v[0:1], 3, v[10:11]
	flat_load_dwordx2 v[12:13], v[12:13]
	s_waitcnt vmcnt(0) lgkmcnt(0)
	v_mul_f64 v[12:13], v[12:13], s[14:15]
	s_branch .LBB116_178
.LBB116_177:
	v_mov_b64_e32 v[12:13], 0
.LBB116_178:
	v_cvt_f32_f64_e32 v12, v[12:13]
	v_max_f32_e32 v13, v123, v123
	v_min_f32_e32 v12, v12, v13
	v_cvt_f64_f32_e32 v[12:13], v12
	v_lshl_add_u64 v[16:17], v[0:1], 3, v[8:9]
	global_store_dwordx2 v[16:17], v[12:13], off
	s_or_b64 exec, exec, s[20:21]
	s_and_b64 s[22:23], s[4:5], s[10:11]
	s_and_saveexec_b64 s[20:21], s[22:23]
	s_cbranch_execz .LBB116_173
.LBB116_179:
	s_and_b64 vcc, exec, s[0:1]
	s_cbranch_vccnz .LBB116_181
; %bb.180:
	v_lshl_add_u64 v[12:13], v[2:3], 3, v[10:11]
	flat_load_dwordx2 v[12:13], v[12:13]
	s_waitcnt vmcnt(0) lgkmcnt(0)
	v_mul_f64 v[12:13], v[12:13], s[14:15]
	s_branch .LBB116_182
.LBB116_181:
	v_mov_b64_e32 v[12:13], 0
.LBB116_182:
	v_cvt_f32_f64_e32 v12, v[12:13]
	v_max_f32_e32 v13, v122, v122
	v_min_f32_e32 v12, v12, v13
	v_cvt_f64_f32_e32 v[12:13], v12
	v_lshl_add_u64 v[16:17], v[2:3], 3, v[8:9]
	global_store_dwordx2 v[16:17], v[12:13], off
	s_or_b64 exec, exec, s[20:21]
	s_and_b64 s[22:23], s[6:7], s[10:11]
	s_and_saveexec_b64 s[20:21], s[22:23]
	s_cbranch_execz .LBB116_174
.LBB116_183:
	s_and_b64 vcc, exec, s[0:1]
	s_cbranch_vccnz .LBB116_185
; %bb.184:
	v_lshl_add_u64 v[12:13], v[4:5], 3, v[10:11]
	flat_load_dwordx2 v[12:13], v[12:13]
	s_waitcnt vmcnt(0) lgkmcnt(0)
	v_mul_f64 v[12:13], v[12:13], s[14:15]
	s_branch .LBB116_186
.LBB116_185:
	v_mov_b64_e32 v[12:13], 0
.LBB116_186:
	v_cvt_f32_f64_e32 v12, v[12:13]
	v_max_f32_e32 v13, v121, v121
	v_min_f32_e32 v12, v12, v13
	v_cvt_f64_f32_e32 v[12:13], v12
	v_lshl_add_u64 v[16:17], v[4:5], 3, v[8:9]
	global_store_dwordx2 v[16:17], v[12:13], off
	s_or_b64 exec, exec, s[20:21]
	s_and_b64 s[20:21], s[8:9], s[10:11]
	s_and_saveexec_b64 s[10:11], s[20:21]
	s_cbranch_execz .LBB116_191
.LBB116_187:
	s_and_b64 vcc, exec, s[0:1]
	s_cbranch_vccnz .LBB116_189
; %bb.188:
	v_lshl_add_u64 v[10:11], v[6:7], 3, v[10:11]
	flat_load_dwordx2 v[10:11], v[10:11]
	s_waitcnt vmcnt(0) lgkmcnt(0)
	v_mul_f64 v[10:11], v[10:11], s[14:15]
	s_branch .LBB116_190
.LBB116_189:
	v_mov_b64_e32 v[10:11], 0
.LBB116_190:
	v_cvt_f32_f64_e32 v10, v[10:11]
	v_max_f32_e32 v11, v120, v120
	v_min_f32_e32 v10, v10, v11
	v_cvt_f64_f32_e32 v[10:11], v10
	v_lshl_add_u64 v[8:9], v[6:7], 3, v[8:9]
	global_store_dwordx2 v[8:9], v[10:11], off
.LBB116_191:
	s_or_b64 exec, exec, s[10:11]
	v_add_u32_e32 v12, 56, v14
	v_mad_i64_i32 v[8:9], s[20:21], v12, s27, 0
	v_cmp_gt_i32_e64 s[10:11], s17, v12
	v_lshl_add_u64 v[10:11], v[8:9], 3, s[12:13]
	v_mad_i64_i32 v[8:9], s[20:21], v12, s26, 0
	v_lshl_add_u64 v[8:9], v[8:9], 3, s[18:19]
	s_and_b64 s[22:23], s[2:3], s[10:11]
	s_and_saveexec_b64 s[20:21], s[22:23]
	s_cbranch_execnz .LBB116_195
; %bb.192:
	s_or_b64 exec, exec, s[20:21]
	s_and_b64 s[22:23], s[4:5], s[10:11]
	s_and_saveexec_b64 s[20:21], s[22:23]
	s_cbranch_execnz .LBB116_199
.LBB116_193:
	s_or_b64 exec, exec, s[20:21]
	s_and_b64 s[22:23], s[6:7], s[10:11]
	s_and_saveexec_b64 s[20:21], s[22:23]
	s_cbranch_execnz .LBB116_203
.LBB116_194:
	s_or_b64 exec, exec, s[20:21]
	s_and_b64 s[20:21], s[8:9], s[10:11]
	s_and_saveexec_b64 s[10:11], s[20:21]
	s_cbranch_execnz .LBB116_207
	s_branch .LBB116_211
.LBB116_195:
	s_and_b64 vcc, exec, s[0:1]
	s_cbranch_vccnz .LBB116_197
; %bb.196:
	v_lshl_add_u64 v[12:13], v[0:1], 3, v[10:11]
	flat_load_dwordx2 v[12:13], v[12:13]
	s_waitcnt vmcnt(0) lgkmcnt(0)
	v_mul_f64 v[12:13], v[12:13], s[14:15]
	s_branch .LBB116_198
.LBB116_197:
	v_mov_b64_e32 v[12:13], 0
.LBB116_198:
	v_cvt_f32_f64_e32 v12, v[12:13]
	v_max_f32_e32 v13, v119, v119
	v_min_f32_e32 v12, v12, v13
	v_cvt_f64_f32_e32 v[12:13], v12
	v_lshl_add_u64 v[16:17], v[0:1], 3, v[8:9]
	global_store_dwordx2 v[16:17], v[12:13], off
	s_or_b64 exec, exec, s[20:21]
	s_and_b64 s[22:23], s[4:5], s[10:11]
	s_and_saveexec_b64 s[20:21], s[22:23]
	s_cbranch_execz .LBB116_193
.LBB116_199:
	s_and_b64 vcc, exec, s[0:1]
	s_cbranch_vccnz .LBB116_201
; %bb.200:
	v_lshl_add_u64 v[12:13], v[2:3], 3, v[10:11]
	flat_load_dwordx2 v[12:13], v[12:13]
	s_waitcnt vmcnt(0) lgkmcnt(0)
	v_mul_f64 v[12:13], v[12:13], s[14:15]
	s_branch .LBB116_202
.LBB116_201:
	v_mov_b64_e32 v[12:13], 0
.LBB116_202:
	v_cvt_f32_f64_e32 v12, v[12:13]
	v_max_f32_e32 v13, v118, v118
	v_min_f32_e32 v12, v12, v13
	v_cvt_f64_f32_e32 v[12:13], v12
	v_lshl_add_u64 v[16:17], v[2:3], 3, v[8:9]
	global_store_dwordx2 v[16:17], v[12:13], off
	s_or_b64 exec, exec, s[20:21]
	s_and_b64 s[22:23], s[6:7], s[10:11]
	s_and_saveexec_b64 s[20:21], s[22:23]
	s_cbranch_execz .LBB116_194
.LBB116_203:
	s_and_b64 vcc, exec, s[0:1]
	s_cbranch_vccnz .LBB116_205
; %bb.204:
	v_lshl_add_u64 v[12:13], v[4:5], 3, v[10:11]
	flat_load_dwordx2 v[12:13], v[12:13]
	s_waitcnt vmcnt(0) lgkmcnt(0)
	v_mul_f64 v[12:13], v[12:13], s[14:15]
	s_branch .LBB116_206
.LBB116_205:
	v_mov_b64_e32 v[12:13], 0
.LBB116_206:
	v_cvt_f32_f64_e32 v12, v[12:13]
	v_max_f32_e32 v13, v117, v117
	v_min_f32_e32 v12, v12, v13
	v_cvt_f64_f32_e32 v[12:13], v12
	v_lshl_add_u64 v[16:17], v[4:5], 3, v[8:9]
	global_store_dwordx2 v[16:17], v[12:13], off
	s_or_b64 exec, exec, s[20:21]
	s_and_b64 s[20:21], s[8:9], s[10:11]
	s_and_saveexec_b64 s[10:11], s[20:21]
	s_cbranch_execz .LBB116_211
.LBB116_207:
	s_and_b64 vcc, exec, s[0:1]
	s_cbranch_vccnz .LBB116_209
; %bb.208:
	v_lshl_add_u64 v[10:11], v[6:7], 3, v[10:11]
	flat_load_dwordx2 v[10:11], v[10:11]
	s_waitcnt vmcnt(0) lgkmcnt(0)
	v_mul_f64 v[10:11], v[10:11], s[14:15]
	s_branch .LBB116_210
.LBB116_209:
	v_mov_b64_e32 v[10:11], 0
.LBB116_210:
	v_cvt_f32_f64_e32 v10, v[10:11]
	v_max_f32_e32 v11, v116, v116
	v_min_f32_e32 v10, v10, v11
	v_cvt_f64_f32_e32 v[10:11], v10
	v_lshl_add_u64 v[8:9], v[6:7], 3, v[8:9]
	global_store_dwordx2 v[8:9], v[10:11], off
.LBB116_211:
	s_or_b64 exec, exec, s[10:11]
	v_add_u32_e32 v12, 64, v14
	v_mad_i64_i32 v[8:9], s[20:21], v12, s27, 0
	v_cmp_gt_i32_e64 s[10:11], s17, v12
	v_lshl_add_u64 v[10:11], v[8:9], 3, s[12:13]
	v_mad_i64_i32 v[8:9], s[20:21], v12, s26, 0
	v_lshl_add_u64 v[8:9], v[8:9], 3, s[18:19]
	s_and_b64 s[22:23], s[2:3], s[10:11]
	s_and_saveexec_b64 s[20:21], s[22:23]
	s_cbranch_execnz .LBB116_215
; %bb.212:
	s_or_b64 exec, exec, s[20:21]
	s_and_b64 s[22:23], s[4:5], s[10:11]
	s_and_saveexec_b64 s[20:21], s[22:23]
	s_cbranch_execnz .LBB116_219
.LBB116_213:
	s_or_b64 exec, exec, s[20:21]
	s_and_b64 s[22:23], s[6:7], s[10:11]
	s_and_saveexec_b64 s[20:21], s[22:23]
	s_cbranch_execnz .LBB116_223
.LBB116_214:
	s_or_b64 exec, exec, s[20:21]
	s_and_b64 s[20:21], s[8:9], s[10:11]
	s_and_saveexec_b64 s[10:11], s[20:21]
	s_cbranch_execnz .LBB116_227
	s_branch .LBB116_231
.LBB116_215:
	s_and_b64 vcc, exec, s[0:1]
	s_cbranch_vccnz .LBB116_217
; %bb.216:
	v_lshl_add_u64 v[12:13], v[0:1], 3, v[10:11]
	flat_load_dwordx2 v[12:13], v[12:13]
	s_waitcnt vmcnt(0) lgkmcnt(0)
	v_mul_f64 v[12:13], v[12:13], s[14:15]
	s_branch .LBB116_218
.LBB116_217:
	v_mov_b64_e32 v[12:13], 0
.LBB116_218:
	v_cvt_f32_f64_e32 v12, v[12:13]
	v_max_f32_e32 v13, v115, v115
	v_min_f32_e32 v12, v12, v13
	v_cvt_f64_f32_e32 v[12:13], v12
	v_lshl_add_u64 v[16:17], v[0:1], 3, v[8:9]
	global_store_dwordx2 v[16:17], v[12:13], off
	s_or_b64 exec, exec, s[20:21]
	s_and_b64 s[22:23], s[4:5], s[10:11]
	s_and_saveexec_b64 s[20:21], s[22:23]
	s_cbranch_execz .LBB116_213
.LBB116_219:
	s_and_b64 vcc, exec, s[0:1]
	s_cbranch_vccnz .LBB116_221
; %bb.220:
	v_lshl_add_u64 v[12:13], v[2:3], 3, v[10:11]
	flat_load_dwordx2 v[12:13], v[12:13]
	s_waitcnt vmcnt(0) lgkmcnt(0)
	v_mul_f64 v[12:13], v[12:13], s[14:15]
	s_branch .LBB116_222
.LBB116_221:
	v_mov_b64_e32 v[12:13], 0
.LBB116_222:
	v_cvt_f32_f64_e32 v12, v[12:13]
	v_max_f32_e32 v13, v114, v114
	v_min_f32_e32 v12, v12, v13
	v_cvt_f64_f32_e32 v[12:13], v12
	v_lshl_add_u64 v[16:17], v[2:3], 3, v[8:9]
	global_store_dwordx2 v[16:17], v[12:13], off
	s_or_b64 exec, exec, s[20:21]
	s_and_b64 s[22:23], s[6:7], s[10:11]
	s_and_saveexec_b64 s[20:21], s[22:23]
	s_cbranch_execz .LBB116_214
.LBB116_223:
	s_and_b64 vcc, exec, s[0:1]
	s_cbranch_vccnz .LBB116_225
; %bb.224:
	v_lshl_add_u64 v[12:13], v[4:5], 3, v[10:11]
	flat_load_dwordx2 v[12:13], v[12:13]
	s_waitcnt vmcnt(0) lgkmcnt(0)
	v_mul_f64 v[12:13], v[12:13], s[14:15]
	s_branch .LBB116_226
.LBB116_225:
	v_mov_b64_e32 v[12:13], 0
.LBB116_226:
	v_cvt_f32_f64_e32 v12, v[12:13]
	v_max_f32_e32 v13, v113, v113
	v_min_f32_e32 v12, v12, v13
	v_cvt_f64_f32_e32 v[12:13], v12
	v_lshl_add_u64 v[16:17], v[4:5], 3, v[8:9]
	global_store_dwordx2 v[16:17], v[12:13], off
	s_or_b64 exec, exec, s[20:21]
	s_and_b64 s[20:21], s[8:9], s[10:11]
	s_and_saveexec_b64 s[10:11], s[20:21]
	s_cbranch_execz .LBB116_231
.LBB116_227:
	s_and_b64 vcc, exec, s[0:1]
	s_cbranch_vccnz .LBB116_229
; %bb.228:
	v_lshl_add_u64 v[10:11], v[6:7], 3, v[10:11]
	flat_load_dwordx2 v[10:11], v[10:11]
	s_waitcnt vmcnt(0) lgkmcnt(0)
	v_mul_f64 v[10:11], v[10:11], s[14:15]
	s_branch .LBB116_230
.LBB116_229:
	v_mov_b64_e32 v[10:11], 0
.LBB116_230:
	v_cvt_f32_f64_e32 v10, v[10:11]
	v_max_f32_e32 v11, v112, v112
	v_min_f32_e32 v10, v10, v11
	v_cvt_f64_f32_e32 v[10:11], v10
	v_lshl_add_u64 v[8:9], v[6:7], 3, v[8:9]
	global_store_dwordx2 v[8:9], v[10:11], off
.LBB116_231:
	s_or_b64 exec, exec, s[10:11]
	v_add_u32_e32 v12, 0x48, v14
	v_mad_i64_i32 v[8:9], s[20:21], v12, s27, 0
	v_cmp_gt_i32_e64 s[10:11], s17, v12
	v_lshl_add_u64 v[10:11], v[8:9], 3, s[12:13]
	v_mad_i64_i32 v[8:9], s[20:21], v12, s26, 0
	v_lshl_add_u64 v[8:9], v[8:9], 3, s[18:19]
	s_and_b64 s[22:23], s[2:3], s[10:11]
	s_and_saveexec_b64 s[20:21], s[22:23]
	s_cbranch_execnz .LBB116_235
; %bb.232:
	s_or_b64 exec, exec, s[20:21]
	s_and_b64 s[22:23], s[4:5], s[10:11]
	s_and_saveexec_b64 s[20:21], s[22:23]
	s_cbranch_execnz .LBB116_239
.LBB116_233:
	s_or_b64 exec, exec, s[20:21]
	s_and_b64 s[22:23], s[6:7], s[10:11]
	s_and_saveexec_b64 s[20:21], s[22:23]
	s_cbranch_execnz .LBB116_243
.LBB116_234:
	s_or_b64 exec, exec, s[20:21]
	s_and_b64 s[20:21], s[8:9], s[10:11]
	s_and_saveexec_b64 s[10:11], s[20:21]
	s_cbranch_execnz .LBB116_247
	s_branch .LBB116_251
.LBB116_235:
	s_and_b64 vcc, exec, s[0:1]
	s_cbranch_vccnz .LBB116_237
; %bb.236:
	v_lshl_add_u64 v[12:13], v[0:1], 3, v[10:11]
	flat_load_dwordx2 v[12:13], v[12:13]
	s_waitcnt vmcnt(0) lgkmcnt(0)
	v_mul_f64 v[12:13], v[12:13], s[14:15]
	s_branch .LBB116_238
.LBB116_237:
	v_mov_b64_e32 v[12:13], 0
.LBB116_238:
	v_cvt_f32_f64_e32 v12, v[12:13]
	v_max_f32_e32 v13, v111, v111
	v_min_f32_e32 v12, v12, v13
	v_cvt_f64_f32_e32 v[12:13], v12
	v_lshl_add_u64 v[16:17], v[0:1], 3, v[8:9]
	global_store_dwordx2 v[16:17], v[12:13], off
	s_or_b64 exec, exec, s[20:21]
	s_and_b64 s[22:23], s[4:5], s[10:11]
	s_and_saveexec_b64 s[20:21], s[22:23]
	s_cbranch_execz .LBB116_233
.LBB116_239:
	s_and_b64 vcc, exec, s[0:1]
	s_cbranch_vccnz .LBB116_241
; %bb.240:
	v_lshl_add_u64 v[12:13], v[2:3], 3, v[10:11]
	flat_load_dwordx2 v[12:13], v[12:13]
	s_waitcnt vmcnt(0) lgkmcnt(0)
	v_mul_f64 v[12:13], v[12:13], s[14:15]
	s_branch .LBB116_242
.LBB116_241:
	v_mov_b64_e32 v[12:13], 0
.LBB116_242:
	v_cvt_f32_f64_e32 v12, v[12:13]
	v_max_f32_e32 v13, v110, v110
	v_min_f32_e32 v12, v12, v13
	v_cvt_f64_f32_e32 v[12:13], v12
	v_lshl_add_u64 v[16:17], v[2:3], 3, v[8:9]
	global_store_dwordx2 v[16:17], v[12:13], off
	s_or_b64 exec, exec, s[20:21]
	s_and_b64 s[22:23], s[6:7], s[10:11]
	s_and_saveexec_b64 s[20:21], s[22:23]
	s_cbranch_execz .LBB116_234
.LBB116_243:
	s_and_b64 vcc, exec, s[0:1]
	s_cbranch_vccnz .LBB116_245
; %bb.244:
	v_lshl_add_u64 v[12:13], v[4:5], 3, v[10:11]
	flat_load_dwordx2 v[12:13], v[12:13]
	s_waitcnt vmcnt(0) lgkmcnt(0)
	v_mul_f64 v[12:13], v[12:13], s[14:15]
	s_branch .LBB116_246
.LBB116_245:
	v_mov_b64_e32 v[12:13], 0
.LBB116_246:
	v_cvt_f32_f64_e32 v12, v[12:13]
	v_max_f32_e32 v13, v109, v109
	v_min_f32_e32 v12, v12, v13
	v_cvt_f64_f32_e32 v[12:13], v12
	v_lshl_add_u64 v[16:17], v[4:5], 3, v[8:9]
	global_store_dwordx2 v[16:17], v[12:13], off
	s_or_b64 exec, exec, s[20:21]
	s_and_b64 s[20:21], s[8:9], s[10:11]
	s_and_saveexec_b64 s[10:11], s[20:21]
	s_cbranch_execz .LBB116_251
.LBB116_247:
	s_and_b64 vcc, exec, s[0:1]
	s_cbranch_vccnz .LBB116_249
; %bb.248:
	v_lshl_add_u64 v[10:11], v[6:7], 3, v[10:11]
	flat_load_dwordx2 v[10:11], v[10:11]
	s_waitcnt vmcnt(0) lgkmcnt(0)
	v_mul_f64 v[10:11], v[10:11], s[14:15]
	s_branch .LBB116_250
.LBB116_249:
	v_mov_b64_e32 v[10:11], 0
.LBB116_250:
	v_cvt_f32_f64_e32 v10, v[10:11]
	v_max_f32_e32 v11, v108, v108
	v_min_f32_e32 v10, v10, v11
	v_cvt_f64_f32_e32 v[10:11], v10
	v_lshl_add_u64 v[8:9], v[6:7], 3, v[8:9]
	global_store_dwordx2 v[8:9], v[10:11], off
.LBB116_251:
	s_or_b64 exec, exec, s[10:11]
	v_add_u32_e32 v12, 0x50, v14
	v_mad_i64_i32 v[8:9], s[20:21], v12, s27, 0
	v_cmp_gt_i32_e64 s[10:11], s17, v12
	v_lshl_add_u64 v[10:11], v[8:9], 3, s[12:13]
	v_mad_i64_i32 v[8:9], s[20:21], v12, s26, 0
	v_lshl_add_u64 v[8:9], v[8:9], 3, s[18:19]
	s_and_b64 s[22:23], s[2:3], s[10:11]
	s_and_saveexec_b64 s[20:21], s[22:23]
	s_cbranch_execnz .LBB116_255
; %bb.252:
	s_or_b64 exec, exec, s[20:21]
	s_and_b64 s[22:23], s[4:5], s[10:11]
	s_and_saveexec_b64 s[20:21], s[22:23]
	s_cbranch_execnz .LBB116_259
.LBB116_253:
	s_or_b64 exec, exec, s[20:21]
	s_and_b64 s[22:23], s[6:7], s[10:11]
	s_and_saveexec_b64 s[20:21], s[22:23]
	s_cbranch_execnz .LBB116_263
.LBB116_254:
	s_or_b64 exec, exec, s[20:21]
	s_and_b64 s[20:21], s[8:9], s[10:11]
	s_and_saveexec_b64 s[10:11], s[20:21]
	s_cbranch_execnz .LBB116_267
	s_branch .LBB116_271
.LBB116_255:
	s_and_b64 vcc, exec, s[0:1]
	s_cbranch_vccnz .LBB116_257
; %bb.256:
	v_lshl_add_u64 v[12:13], v[0:1], 3, v[10:11]
	flat_load_dwordx2 v[12:13], v[12:13]
	s_waitcnt vmcnt(0) lgkmcnt(0)
	v_mul_f64 v[12:13], v[12:13], s[14:15]
	s_branch .LBB116_258
.LBB116_257:
	v_mov_b64_e32 v[12:13], 0
.LBB116_258:
	v_cvt_f32_f64_e32 v12, v[12:13]
	v_max_f32_e32 v13, v107, v107
	v_min_f32_e32 v12, v12, v13
	v_cvt_f64_f32_e32 v[12:13], v12
	v_lshl_add_u64 v[16:17], v[0:1], 3, v[8:9]
	global_store_dwordx2 v[16:17], v[12:13], off
	s_or_b64 exec, exec, s[20:21]
	s_and_b64 s[22:23], s[4:5], s[10:11]
	s_and_saveexec_b64 s[20:21], s[22:23]
	s_cbranch_execz .LBB116_253
.LBB116_259:
	s_and_b64 vcc, exec, s[0:1]
	s_cbranch_vccnz .LBB116_261
; %bb.260:
	v_lshl_add_u64 v[12:13], v[2:3], 3, v[10:11]
	flat_load_dwordx2 v[12:13], v[12:13]
	s_waitcnt vmcnt(0) lgkmcnt(0)
	v_mul_f64 v[12:13], v[12:13], s[14:15]
	s_branch .LBB116_262
.LBB116_261:
	v_mov_b64_e32 v[12:13], 0
.LBB116_262:
	v_cvt_f32_f64_e32 v12, v[12:13]
	v_max_f32_e32 v13, v106, v106
	v_min_f32_e32 v12, v12, v13
	v_cvt_f64_f32_e32 v[12:13], v12
	v_lshl_add_u64 v[16:17], v[2:3], 3, v[8:9]
	global_store_dwordx2 v[16:17], v[12:13], off
	s_or_b64 exec, exec, s[20:21]
	s_and_b64 s[22:23], s[6:7], s[10:11]
	s_and_saveexec_b64 s[20:21], s[22:23]
	s_cbranch_execz .LBB116_254
.LBB116_263:
	s_and_b64 vcc, exec, s[0:1]
	s_cbranch_vccnz .LBB116_265
; %bb.264:
	v_lshl_add_u64 v[12:13], v[4:5], 3, v[10:11]
	flat_load_dwordx2 v[12:13], v[12:13]
	s_waitcnt vmcnt(0) lgkmcnt(0)
	v_mul_f64 v[12:13], v[12:13], s[14:15]
	s_branch .LBB116_266
.LBB116_265:
	v_mov_b64_e32 v[12:13], 0
.LBB116_266:
	v_cvt_f32_f64_e32 v12, v[12:13]
	v_max_f32_e32 v13, v105, v105
	v_min_f32_e32 v12, v12, v13
	v_cvt_f64_f32_e32 v[12:13], v12
	v_lshl_add_u64 v[16:17], v[4:5], 3, v[8:9]
	global_store_dwordx2 v[16:17], v[12:13], off
	s_or_b64 exec, exec, s[20:21]
	s_and_b64 s[20:21], s[8:9], s[10:11]
	s_and_saveexec_b64 s[10:11], s[20:21]
	s_cbranch_execz .LBB116_271
.LBB116_267:
	s_and_b64 vcc, exec, s[0:1]
	s_cbranch_vccnz .LBB116_269
; %bb.268:
	v_lshl_add_u64 v[10:11], v[6:7], 3, v[10:11]
	flat_load_dwordx2 v[10:11], v[10:11]
	s_waitcnt vmcnt(0) lgkmcnt(0)
	v_mul_f64 v[10:11], v[10:11], s[14:15]
	s_branch .LBB116_270
.LBB116_269:
	v_mov_b64_e32 v[10:11], 0
.LBB116_270:
	v_cvt_f32_f64_e32 v10, v[10:11]
	v_max_f32_e32 v11, v104, v104
	v_min_f32_e32 v10, v10, v11
	v_cvt_f64_f32_e32 v[10:11], v10
	v_lshl_add_u64 v[8:9], v[6:7], 3, v[8:9]
	global_store_dwordx2 v[8:9], v[10:11], off
.LBB116_271:
	s_or_b64 exec, exec, s[10:11]
	v_add_u32_e32 v12, 0x58, v14
	v_mad_i64_i32 v[8:9], s[20:21], v12, s27, 0
	v_cmp_gt_i32_e64 s[10:11], s17, v12
	v_lshl_add_u64 v[10:11], v[8:9], 3, s[12:13]
	v_mad_i64_i32 v[8:9], s[20:21], v12, s26, 0
	v_lshl_add_u64 v[8:9], v[8:9], 3, s[18:19]
	s_and_b64 s[22:23], s[2:3], s[10:11]
	s_and_saveexec_b64 s[20:21], s[22:23]
	s_cbranch_execnz .LBB116_275
; %bb.272:
	s_or_b64 exec, exec, s[20:21]
	s_and_b64 s[22:23], s[4:5], s[10:11]
	s_and_saveexec_b64 s[20:21], s[22:23]
	s_cbranch_execnz .LBB116_279
.LBB116_273:
	s_or_b64 exec, exec, s[20:21]
	s_and_b64 s[22:23], s[6:7], s[10:11]
	s_and_saveexec_b64 s[20:21], s[22:23]
	s_cbranch_execnz .LBB116_283
.LBB116_274:
	s_or_b64 exec, exec, s[20:21]
	s_and_b64 s[20:21], s[8:9], s[10:11]
	s_and_saveexec_b64 s[10:11], s[20:21]
	s_cbranch_execnz .LBB116_287
	s_branch .LBB116_291
.LBB116_275:
	s_and_b64 vcc, exec, s[0:1]
	s_cbranch_vccnz .LBB116_277
; %bb.276:
	v_lshl_add_u64 v[12:13], v[0:1], 3, v[10:11]
	flat_load_dwordx2 v[12:13], v[12:13]
	s_waitcnt vmcnt(0) lgkmcnt(0)
	v_mul_f64 v[12:13], v[12:13], s[14:15]
	s_branch .LBB116_278
.LBB116_277:
	v_mov_b64_e32 v[12:13], 0
.LBB116_278:
	v_cvt_f32_f64_e32 v12, v[12:13]
	v_max_f32_e32 v13, v103, v103
	v_min_f32_e32 v12, v12, v13
	v_cvt_f64_f32_e32 v[12:13], v12
	v_lshl_add_u64 v[16:17], v[0:1], 3, v[8:9]
	global_store_dwordx2 v[16:17], v[12:13], off
	s_or_b64 exec, exec, s[20:21]
	s_and_b64 s[22:23], s[4:5], s[10:11]
	s_and_saveexec_b64 s[20:21], s[22:23]
	s_cbranch_execz .LBB116_273
.LBB116_279:
	s_and_b64 vcc, exec, s[0:1]
	s_cbranch_vccnz .LBB116_281
; %bb.280:
	v_lshl_add_u64 v[12:13], v[2:3], 3, v[10:11]
	flat_load_dwordx2 v[12:13], v[12:13]
	s_waitcnt vmcnt(0) lgkmcnt(0)
	v_mul_f64 v[12:13], v[12:13], s[14:15]
	s_branch .LBB116_282
.LBB116_281:
	v_mov_b64_e32 v[12:13], 0
.LBB116_282:
	v_cvt_f32_f64_e32 v12, v[12:13]
	v_max_f32_e32 v13, v102, v102
	v_min_f32_e32 v12, v12, v13
	v_cvt_f64_f32_e32 v[12:13], v12
	v_lshl_add_u64 v[16:17], v[2:3], 3, v[8:9]
	global_store_dwordx2 v[16:17], v[12:13], off
	s_or_b64 exec, exec, s[20:21]
	s_and_b64 s[22:23], s[6:7], s[10:11]
	s_and_saveexec_b64 s[20:21], s[22:23]
	s_cbranch_execz .LBB116_274
.LBB116_283:
	s_and_b64 vcc, exec, s[0:1]
	s_cbranch_vccnz .LBB116_285
; %bb.284:
	v_lshl_add_u64 v[12:13], v[4:5], 3, v[10:11]
	flat_load_dwordx2 v[12:13], v[12:13]
	s_waitcnt vmcnt(0) lgkmcnt(0)
	v_mul_f64 v[12:13], v[12:13], s[14:15]
	s_branch .LBB116_286
.LBB116_285:
	v_mov_b64_e32 v[12:13], 0
.LBB116_286:
	v_cvt_f32_f64_e32 v12, v[12:13]
	v_max_f32_e32 v13, v101, v101
	v_min_f32_e32 v12, v12, v13
	v_cvt_f64_f32_e32 v[12:13], v12
	v_lshl_add_u64 v[16:17], v[4:5], 3, v[8:9]
	global_store_dwordx2 v[16:17], v[12:13], off
	s_or_b64 exec, exec, s[20:21]
	s_and_b64 s[20:21], s[8:9], s[10:11]
	s_and_saveexec_b64 s[10:11], s[20:21]
	s_cbranch_execz .LBB116_291
.LBB116_287:
	s_and_b64 vcc, exec, s[0:1]
	s_cbranch_vccnz .LBB116_289
; %bb.288:
	v_lshl_add_u64 v[10:11], v[6:7], 3, v[10:11]
	flat_load_dwordx2 v[10:11], v[10:11]
	s_waitcnt vmcnt(0) lgkmcnt(0)
	v_mul_f64 v[10:11], v[10:11], s[14:15]
	s_branch .LBB116_290
.LBB116_289:
	v_mov_b64_e32 v[10:11], 0
.LBB116_290:
	v_cvt_f32_f64_e32 v10, v[10:11]
	v_max_f32_e32 v11, v100, v100
	v_min_f32_e32 v10, v10, v11
	v_cvt_f64_f32_e32 v[10:11], v10
	v_lshl_add_u64 v[8:9], v[6:7], 3, v[8:9]
	global_store_dwordx2 v[8:9], v[10:11], off
.LBB116_291:
	s_or_b64 exec, exec, s[10:11]
	v_add_u32_e32 v12, 0x60, v14
	v_mad_i64_i32 v[8:9], s[20:21], v12, s27, 0
	v_cmp_gt_i32_e64 s[10:11], s17, v12
	v_lshl_add_u64 v[10:11], v[8:9], 3, s[12:13]
	v_mad_i64_i32 v[8:9], s[20:21], v12, s26, 0
	v_lshl_add_u64 v[8:9], v[8:9], 3, s[18:19]
	s_and_b64 s[22:23], s[2:3], s[10:11]
	s_and_saveexec_b64 s[20:21], s[22:23]
	s_cbranch_execnz .LBB116_295
; %bb.292:
	s_or_b64 exec, exec, s[20:21]
	s_and_b64 s[22:23], s[4:5], s[10:11]
	s_and_saveexec_b64 s[20:21], s[22:23]
	s_cbranch_execnz .LBB116_299
.LBB116_293:
	s_or_b64 exec, exec, s[20:21]
	s_and_b64 s[22:23], s[6:7], s[10:11]
	s_and_saveexec_b64 s[20:21], s[22:23]
	s_cbranch_execnz .LBB116_303
.LBB116_294:
	s_or_b64 exec, exec, s[20:21]
	s_and_b64 s[20:21], s[8:9], s[10:11]
	s_and_saveexec_b64 s[10:11], s[20:21]
	s_cbranch_execnz .LBB116_307
	s_branch .LBB116_311
.LBB116_295:
	s_and_b64 vcc, exec, s[0:1]
	s_cbranch_vccnz .LBB116_297
; %bb.296:
	v_lshl_add_u64 v[12:13], v[0:1], 3, v[10:11]
	flat_load_dwordx2 v[12:13], v[12:13]
	s_waitcnt vmcnt(0) lgkmcnt(0)
	v_mul_f64 v[12:13], v[12:13], s[14:15]
	s_branch .LBB116_298
.LBB116_297:
	v_mov_b64_e32 v[12:13], 0
.LBB116_298:
	v_cvt_f32_f64_e32 v12, v[12:13]
	v_max_f32_e32 v13, v99, v99
	v_min_f32_e32 v12, v12, v13
	v_cvt_f64_f32_e32 v[12:13], v12
	v_lshl_add_u64 v[16:17], v[0:1], 3, v[8:9]
	global_store_dwordx2 v[16:17], v[12:13], off
	s_or_b64 exec, exec, s[20:21]
	s_and_b64 s[22:23], s[4:5], s[10:11]
	s_and_saveexec_b64 s[20:21], s[22:23]
	s_cbranch_execz .LBB116_293
.LBB116_299:
	s_and_b64 vcc, exec, s[0:1]
	s_cbranch_vccnz .LBB116_301
; %bb.300:
	v_lshl_add_u64 v[12:13], v[2:3], 3, v[10:11]
	flat_load_dwordx2 v[12:13], v[12:13]
	s_waitcnt vmcnt(0) lgkmcnt(0)
	v_mul_f64 v[12:13], v[12:13], s[14:15]
	s_branch .LBB116_302
.LBB116_301:
	v_mov_b64_e32 v[12:13], 0
.LBB116_302:
	v_cvt_f32_f64_e32 v12, v[12:13]
	v_max_f32_e32 v13, v98, v98
	v_min_f32_e32 v12, v12, v13
	v_cvt_f64_f32_e32 v[12:13], v12
	v_lshl_add_u64 v[16:17], v[2:3], 3, v[8:9]
	global_store_dwordx2 v[16:17], v[12:13], off
	s_or_b64 exec, exec, s[20:21]
	s_and_b64 s[22:23], s[6:7], s[10:11]
	s_and_saveexec_b64 s[20:21], s[22:23]
	s_cbranch_execz .LBB116_294
.LBB116_303:
	s_and_b64 vcc, exec, s[0:1]
	s_cbranch_vccnz .LBB116_305
; %bb.304:
	v_lshl_add_u64 v[12:13], v[4:5], 3, v[10:11]
	flat_load_dwordx2 v[12:13], v[12:13]
	s_waitcnt vmcnt(0) lgkmcnt(0)
	v_mul_f64 v[12:13], v[12:13], s[14:15]
	s_branch .LBB116_306
.LBB116_305:
	v_mov_b64_e32 v[12:13], 0
.LBB116_306:
	v_cvt_f32_f64_e32 v12, v[12:13]
	v_max_f32_e32 v13, v97, v97
	v_min_f32_e32 v12, v12, v13
	v_cvt_f64_f32_e32 v[12:13], v12
	v_lshl_add_u64 v[16:17], v[4:5], 3, v[8:9]
	global_store_dwordx2 v[16:17], v[12:13], off
	s_or_b64 exec, exec, s[20:21]
	s_and_b64 s[20:21], s[8:9], s[10:11]
	s_and_saveexec_b64 s[10:11], s[20:21]
	s_cbranch_execz .LBB116_311
.LBB116_307:
	s_and_b64 vcc, exec, s[0:1]
	s_cbranch_vccnz .LBB116_309
; %bb.308:
	v_lshl_add_u64 v[10:11], v[6:7], 3, v[10:11]
	flat_load_dwordx2 v[10:11], v[10:11]
	s_waitcnt vmcnt(0) lgkmcnt(0)
	v_mul_f64 v[10:11], v[10:11], s[14:15]
	s_branch .LBB116_310
.LBB116_309:
	v_mov_b64_e32 v[10:11], 0
.LBB116_310:
	v_cvt_f32_f64_e32 v10, v[10:11]
	v_max_f32_e32 v11, v96, v96
	v_min_f32_e32 v10, v10, v11
	v_cvt_f64_f32_e32 v[10:11], v10
	v_lshl_add_u64 v[8:9], v[6:7], 3, v[8:9]
	global_store_dwordx2 v[8:9], v[10:11], off
.LBB116_311:
	s_or_b64 exec, exec, s[10:11]
	v_add_u32_e32 v12, 0x68, v14
	v_mad_i64_i32 v[8:9], s[20:21], v12, s27, 0
	v_cmp_gt_i32_e64 s[10:11], s17, v12
	v_lshl_add_u64 v[10:11], v[8:9], 3, s[12:13]
	v_mad_i64_i32 v[8:9], s[20:21], v12, s26, 0
	v_lshl_add_u64 v[8:9], v[8:9], 3, s[18:19]
	s_and_b64 s[22:23], s[2:3], s[10:11]
	s_and_saveexec_b64 s[20:21], s[22:23]
	s_cbranch_execnz .LBB116_315
; %bb.312:
	s_or_b64 exec, exec, s[20:21]
	s_and_b64 s[22:23], s[4:5], s[10:11]
	s_and_saveexec_b64 s[20:21], s[22:23]
	s_cbranch_execnz .LBB116_319
.LBB116_313:
	s_or_b64 exec, exec, s[20:21]
	s_and_b64 s[22:23], s[6:7], s[10:11]
	s_and_saveexec_b64 s[20:21], s[22:23]
	s_cbranch_execnz .LBB116_323
.LBB116_314:
	s_or_b64 exec, exec, s[20:21]
	s_and_b64 s[20:21], s[8:9], s[10:11]
	s_and_saveexec_b64 s[10:11], s[20:21]
	s_cbranch_execnz .LBB116_327
	s_branch .LBB116_331
.LBB116_315:
	s_and_b64 vcc, exec, s[0:1]
	s_cbranch_vccnz .LBB116_317
; %bb.316:
	v_lshl_add_u64 v[12:13], v[0:1], 3, v[10:11]
	flat_load_dwordx2 v[12:13], v[12:13]
	s_waitcnt vmcnt(0) lgkmcnt(0)
	v_mul_f64 v[12:13], v[12:13], s[14:15]
	s_branch .LBB116_318
.LBB116_317:
	v_mov_b64_e32 v[12:13], 0
.LBB116_318:
	v_cvt_f32_f64_e32 v12, v[12:13]
	v_max_f32_e32 v13, v95, v95
	v_min_f32_e32 v12, v12, v13
	v_cvt_f64_f32_e32 v[12:13], v12
	v_lshl_add_u64 v[16:17], v[0:1], 3, v[8:9]
	global_store_dwordx2 v[16:17], v[12:13], off
	s_or_b64 exec, exec, s[20:21]
	s_and_b64 s[22:23], s[4:5], s[10:11]
	s_and_saveexec_b64 s[20:21], s[22:23]
	s_cbranch_execz .LBB116_313
.LBB116_319:
	s_and_b64 vcc, exec, s[0:1]
	s_cbranch_vccnz .LBB116_321
; %bb.320:
	v_lshl_add_u64 v[12:13], v[2:3], 3, v[10:11]
	flat_load_dwordx2 v[12:13], v[12:13]
	s_waitcnt vmcnt(0) lgkmcnt(0)
	v_mul_f64 v[12:13], v[12:13], s[14:15]
	s_branch .LBB116_322
.LBB116_321:
	v_mov_b64_e32 v[12:13], 0
.LBB116_322:
	v_cvt_f32_f64_e32 v12, v[12:13]
	v_max_f32_e32 v13, v94, v94
	v_min_f32_e32 v12, v12, v13
	v_cvt_f64_f32_e32 v[12:13], v12
	v_lshl_add_u64 v[16:17], v[2:3], 3, v[8:9]
	global_store_dwordx2 v[16:17], v[12:13], off
	s_or_b64 exec, exec, s[20:21]
	s_and_b64 s[22:23], s[6:7], s[10:11]
	s_and_saveexec_b64 s[20:21], s[22:23]
	s_cbranch_execz .LBB116_314
.LBB116_323:
	s_and_b64 vcc, exec, s[0:1]
	s_cbranch_vccnz .LBB116_325
; %bb.324:
	v_lshl_add_u64 v[12:13], v[4:5], 3, v[10:11]
	flat_load_dwordx2 v[12:13], v[12:13]
	s_waitcnt vmcnt(0) lgkmcnt(0)
	v_mul_f64 v[12:13], v[12:13], s[14:15]
	s_branch .LBB116_326
.LBB116_325:
	v_mov_b64_e32 v[12:13], 0
.LBB116_326:
	v_cvt_f32_f64_e32 v12, v[12:13]
	v_max_f32_e32 v13, v93, v93
	v_min_f32_e32 v12, v12, v13
	v_cvt_f64_f32_e32 v[12:13], v12
	v_lshl_add_u64 v[16:17], v[4:5], 3, v[8:9]
	global_store_dwordx2 v[16:17], v[12:13], off
	s_or_b64 exec, exec, s[20:21]
	s_and_b64 s[20:21], s[8:9], s[10:11]
	s_and_saveexec_b64 s[10:11], s[20:21]
	s_cbranch_execz .LBB116_331
.LBB116_327:
	s_and_b64 vcc, exec, s[0:1]
	s_cbranch_vccnz .LBB116_329
; %bb.328:
	v_lshl_add_u64 v[10:11], v[6:7], 3, v[10:11]
	flat_load_dwordx2 v[10:11], v[10:11]
	s_waitcnt vmcnt(0) lgkmcnt(0)
	v_mul_f64 v[10:11], v[10:11], s[14:15]
	s_branch .LBB116_330
.LBB116_329:
	v_mov_b64_e32 v[10:11], 0
.LBB116_330:
	v_cvt_f32_f64_e32 v10, v[10:11]
	v_max_f32_e32 v11, v92, v92
	v_min_f32_e32 v10, v10, v11
	v_cvt_f64_f32_e32 v[10:11], v10
	v_lshl_add_u64 v[8:9], v[6:7], 3, v[8:9]
	global_store_dwordx2 v[8:9], v[10:11], off
.LBB116_331:
	s_or_b64 exec, exec, s[10:11]
	v_add_u32_e32 v12, 0x70, v14
	v_mad_i64_i32 v[8:9], s[20:21], v12, s27, 0
	v_cmp_gt_i32_e64 s[10:11], s17, v12
	v_lshl_add_u64 v[10:11], v[8:9], 3, s[12:13]
	v_mad_i64_i32 v[8:9], s[20:21], v12, s26, 0
	v_lshl_add_u64 v[8:9], v[8:9], 3, s[18:19]
	s_and_b64 s[22:23], s[2:3], s[10:11]
	s_and_saveexec_b64 s[20:21], s[22:23]
	s_cbranch_execnz .LBB116_335
; %bb.332:
	s_or_b64 exec, exec, s[20:21]
	s_and_b64 s[22:23], s[4:5], s[10:11]
	s_and_saveexec_b64 s[20:21], s[22:23]
	s_cbranch_execnz .LBB116_339
.LBB116_333:
	s_or_b64 exec, exec, s[20:21]
	s_and_b64 s[22:23], s[6:7], s[10:11]
	s_and_saveexec_b64 s[20:21], s[22:23]
	s_cbranch_execnz .LBB116_343
.LBB116_334:
	s_or_b64 exec, exec, s[20:21]
	s_and_b64 s[20:21], s[8:9], s[10:11]
	s_and_saveexec_b64 s[10:11], s[20:21]
	s_cbranch_execnz .LBB116_347
	s_branch .LBB116_351
.LBB116_335:
	s_and_b64 vcc, exec, s[0:1]
	s_cbranch_vccnz .LBB116_337
; %bb.336:
	v_lshl_add_u64 v[12:13], v[0:1], 3, v[10:11]
	flat_load_dwordx2 v[12:13], v[12:13]
	s_waitcnt vmcnt(0) lgkmcnt(0)
	v_mul_f64 v[12:13], v[12:13], s[14:15]
	v_cvt_f32_f64_e32 v12, v[12:13]
	s_branch .LBB116_338
.LBB116_337:
	v_mov_b32_e32 v12, 0
.LBB116_338:
	v_max_f32_e32 v13, v91, v91
	v_max_f32_e32 v12, v12, v12
	v_min_f32_e32 v12, v12, v13
	v_cvt_f64_f32_e32 v[12:13], v12
	v_lshl_add_u64 v[16:17], v[0:1], 3, v[8:9]
	global_store_dwordx2 v[16:17], v[12:13], off
	s_or_b64 exec, exec, s[20:21]
	s_and_b64 s[22:23], s[4:5], s[10:11]
	s_and_saveexec_b64 s[20:21], s[22:23]
	s_cbranch_execz .LBB116_333
.LBB116_339:
	s_and_b64 vcc, exec, s[0:1]
	s_cbranch_vccnz .LBB116_341
; %bb.340:
	v_lshl_add_u64 v[12:13], v[2:3], 3, v[10:11]
	flat_load_dwordx2 v[12:13], v[12:13]
	s_waitcnt vmcnt(0) lgkmcnt(0)
	v_mul_f64 v[12:13], v[12:13], s[14:15]
	v_cvt_f32_f64_e32 v12, v[12:13]
	s_branch .LBB116_342
.LBB116_341:
	v_mov_b32_e32 v12, 0
.LBB116_342:
	v_max_f32_e32 v13, v90, v90
	v_max_f32_e32 v12, v12, v12
	v_min_f32_e32 v12, v12, v13
	v_cvt_f64_f32_e32 v[12:13], v12
	v_lshl_add_u64 v[16:17], v[2:3], 3, v[8:9]
	global_store_dwordx2 v[16:17], v[12:13], off
	s_or_b64 exec, exec, s[20:21]
	s_and_b64 s[22:23], s[6:7], s[10:11]
	s_and_saveexec_b64 s[20:21], s[22:23]
	s_cbranch_execz .LBB116_334
.LBB116_343:
	s_and_b64 vcc, exec, s[0:1]
	s_cbranch_vccnz .LBB116_345
; %bb.344:
	v_lshl_add_u64 v[12:13], v[4:5], 3, v[10:11]
	flat_load_dwordx2 v[12:13], v[12:13]
	s_waitcnt vmcnt(0) lgkmcnt(0)
	v_mul_f64 v[12:13], v[12:13], s[14:15]
	v_cvt_f32_f64_e32 v12, v[12:13]
	s_branch .LBB116_346
.LBB116_345:
	v_mov_b32_e32 v12, 0
.LBB116_346:
	v_max_f32_e32 v13, v89, v89
	v_max_f32_e32 v12, v12, v12
	v_min_f32_e32 v12, v12, v13
	v_cvt_f64_f32_e32 v[12:13], v12
	v_lshl_add_u64 v[16:17], v[4:5], 3, v[8:9]
	global_store_dwordx2 v[16:17], v[12:13], off
	s_or_b64 exec, exec, s[20:21]
	s_and_b64 s[20:21], s[8:9], s[10:11]
	s_and_saveexec_b64 s[10:11], s[20:21]
	s_cbranch_execz .LBB116_351
.LBB116_347:
	s_and_b64 vcc, exec, s[0:1]
	s_cbranch_vccnz .LBB116_349
; %bb.348:
	v_lshl_add_u64 v[10:11], v[6:7], 3, v[10:11]
	flat_load_dwordx2 v[10:11], v[10:11]
	s_waitcnt vmcnt(0) lgkmcnt(0)
	v_mul_f64 v[10:11], v[10:11], s[14:15]
	v_cvt_f32_f64_e32 v10, v[10:11]
	s_branch .LBB116_350
.LBB116_349:
	v_mov_b32_e32 v10, 0
.LBB116_350:
	v_max_f32_e32 v11, v88, v88
	v_max_f32_e32 v10, v10, v10
	v_min_f32_e32 v10, v10, v11
	v_cvt_f64_f32_e32 v[10:11], v10
	v_lshl_add_u64 v[8:9], v[6:7], 3, v[8:9]
	global_store_dwordx2 v[8:9], v[10:11], off
.LBB116_351:
	s_or_b64 exec, exec, s[10:11]
	v_add_u32_e32 v12, 0x78, v14
	v_cmp_gt_i32_e64 s[10:11], s17, v12
	v_mad_i64_i32 v[8:9], s[16:17], v12, s27, 0
	v_lshl_add_u64 v[10:11], v[8:9], 3, s[12:13]
	v_mad_i64_i32 v[8:9], s[12:13], v12, s26, 0
	v_lshl_add_u64 v[8:9], v[8:9], 3, s[18:19]
	s_and_b64 s[12:13], s[2:3], s[10:11]
	s_and_saveexec_b64 s[2:3], s[12:13]
	s_cbranch_execnz .LBB116_356
; %bb.352:
	s_or_b64 exec, exec, s[2:3]
	s_and_b64 s[4:5], s[4:5], s[10:11]
	s_and_saveexec_b64 s[2:3], s[4:5]
	s_cbranch_execnz .LBB116_360
.LBB116_353:
	s_or_b64 exec, exec, s[2:3]
	s_and_b64 s[4:5], s[6:7], s[10:11]
	s_and_saveexec_b64 s[2:3], s[4:5]
	s_cbranch_execnz .LBB116_364
.LBB116_354:
	s_or_b64 exec, exec, s[2:3]
	s_and_b64 s[2:3], s[8:9], s[10:11]
	s_and_saveexec_b64 s[4:5], s[2:3]
	s_cbranch_execnz .LBB116_368
.LBB116_355:
	s_endpgm
.LBB116_356:
	s_and_b64 vcc, exec, s[0:1]
	s_cbranch_vccnz .LBB116_358
; %bb.357:
	v_lshl_add_u64 v[12:13], v[0:1], 3, v[10:11]
	flat_load_dwordx2 v[12:13], v[12:13]
	s_waitcnt vmcnt(0) lgkmcnt(0)
	v_mul_f64 v[12:13], v[12:13], s[14:15]
	v_cvt_f32_f64_e32 v12, v[12:13]
	s_branch .LBB116_359
.LBB116_358:
	v_mov_b32_e32 v12, 0
.LBB116_359:
	v_max_f32_e32 v13, v87, v87
	v_max_f32_e32 v12, v12, v12
	v_min_f32_e32 v12, v12, v13
	v_cvt_f64_f32_e32 v[12:13], v12
	v_lshl_add_u64 v[0:1], v[0:1], 3, v[8:9]
	global_store_dwordx2 v[0:1], v[12:13], off
	s_or_b64 exec, exec, s[2:3]
	s_and_b64 s[4:5], s[4:5], s[10:11]
	s_and_saveexec_b64 s[2:3], s[4:5]
	s_cbranch_execz .LBB116_353
.LBB116_360:
	s_and_b64 vcc, exec, s[0:1]
	s_cbranch_vccnz .LBB116_362
; %bb.361:
	v_lshl_add_u64 v[0:1], v[2:3], 3, v[10:11]
	flat_load_dwordx2 v[0:1], v[0:1]
	s_waitcnt vmcnt(0) lgkmcnt(0)
	v_mul_f64 v[0:1], v[0:1], s[14:15]
	v_cvt_f32_f64_e32 v0, v[0:1]
	s_branch .LBB116_363
.LBB116_362:
	v_mov_b32_e32 v0, 0
.LBB116_363:
	v_max_f32_e32 v1, v86, v86
	v_max_f32_e32 v0, v0, v0
	v_min_f32_e32 v0, v0, v1
	v_cvt_f64_f32_e32 v[0:1], v0
	v_lshl_add_u64 v[2:3], v[2:3], 3, v[8:9]
	global_store_dwordx2 v[2:3], v[0:1], off
	s_or_b64 exec, exec, s[2:3]
	s_and_b64 s[4:5], s[6:7], s[10:11]
	s_and_saveexec_b64 s[2:3], s[4:5]
	s_cbranch_execz .LBB116_354
.LBB116_364:
	s_and_b64 vcc, exec, s[0:1]
	s_cbranch_vccnz .LBB116_366
; %bb.365:
	v_lshl_add_u64 v[0:1], v[4:5], 3, v[10:11]
	flat_load_dwordx2 v[0:1], v[0:1]
	s_waitcnt vmcnt(0) lgkmcnt(0)
	v_mul_f64 v[0:1], v[0:1], s[14:15]
	v_cvt_f32_f64_e32 v0, v[0:1]
	s_branch .LBB116_367
.LBB116_366:
	v_mov_b32_e32 v0, 0
.LBB116_367:
	v_max_f32_e32 v1, v85, v85
	v_max_f32_e32 v0, v0, v0
	v_min_f32_e32 v0, v0, v1
	v_cvt_f64_f32_e32 v[0:1], v0
	v_lshl_add_u64 v[2:3], v[4:5], 3, v[8:9]
	global_store_dwordx2 v[2:3], v[0:1], off
	s_or_b64 exec, exec, s[2:3]
	s_and_b64 s[2:3], s[8:9], s[10:11]
	s_and_saveexec_b64 s[4:5], s[2:3]
	s_cbranch_execz .LBB116_355
.LBB116_368:
	s_and_b64 vcc, exec, s[0:1]
	s_cbranch_vccnz .LBB116_370
; %bb.369:
	v_lshl_add_u64 v[0:1], v[6:7], 3, v[10:11]
	flat_load_dwordx2 v[0:1], v[0:1]
	s_waitcnt vmcnt(0) lgkmcnt(0)
	v_mul_f64 v[0:1], v[0:1], s[14:15]
	v_cvt_f32_f64_e32 v0, v[0:1]
	s_branch .LBB116_371
.LBB116_370:
	v_mov_b32_e32 v0, 0
.LBB116_371:
	v_max_f32_e32 v1, v84, v84
	v_max_f32_e32 v0, v0, v0
	v_min_f32_e32 v0, v0, v1
	v_cvt_f64_f32_e32 v[0:1], v0
	v_lshl_add_u64 v[2:3], v[6:7], 3, v[8:9]
	global_store_dwordx2 v[2:3], v[0:1], off
	s_endpgm
	.section	.rodata,"a",@progbits
	.p2align	6, 0x0
	.amdhsa_kernel _ZN12_GLOBAL__N_120geam_min_plus_kernelId15HIP_vector_typeIdLj2EEdLi32ELi8ELi128ELi128ELi4ELi4ELi64ELi4ELi64ELc84ELc78ELb0ELb1ELb1EdKPKdKPdEEviiiT16_PT17_ilSA_ilS8_SA_ilPT18_ili26rocblas_geam_ex_operation_
		.amdhsa_group_segment_fixed_size 16384
		.amdhsa_private_segment_fixed_size 0
		.amdhsa_kernarg_size 136
		.amdhsa_user_sgpr_count 2
		.amdhsa_user_sgpr_dispatch_ptr 0
		.amdhsa_user_sgpr_queue_ptr 0
		.amdhsa_user_sgpr_kernarg_segment_ptr 1
		.amdhsa_user_sgpr_dispatch_id 0
		.amdhsa_user_sgpr_kernarg_preload_length 0
		.amdhsa_user_sgpr_kernarg_preload_offset 0
		.amdhsa_user_sgpr_private_segment_size 0
		.amdhsa_uses_dynamic_stack 0
		.amdhsa_enable_private_segment 0
		.amdhsa_system_sgpr_workgroup_id_x 1
		.amdhsa_system_sgpr_workgroup_id_y 0
		.amdhsa_system_sgpr_workgroup_id_z 1
		.amdhsa_system_sgpr_workgroup_info 0
		.amdhsa_system_vgpr_workitem_id 1
		.amdhsa_next_free_vgpr 174
		.amdhsa_next_free_sgpr 42
		.amdhsa_accum_offset 176
		.amdhsa_reserve_vcc 1
		.amdhsa_float_round_mode_32 0
		.amdhsa_float_round_mode_16_64 0
		.amdhsa_float_denorm_mode_32 3
		.amdhsa_float_denorm_mode_16_64 3
		.amdhsa_dx10_clamp 1
		.amdhsa_ieee_mode 1
		.amdhsa_fp16_overflow 0
		.amdhsa_tg_split 0
		.amdhsa_exception_fp_ieee_invalid_op 0
		.amdhsa_exception_fp_denorm_src 0
		.amdhsa_exception_fp_ieee_div_zero 0
		.amdhsa_exception_fp_ieee_overflow 0
		.amdhsa_exception_fp_ieee_underflow 0
		.amdhsa_exception_fp_ieee_inexact 0
		.amdhsa_exception_int_div_zero 0
	.end_amdhsa_kernel
	.section	.text._ZN12_GLOBAL__N_120geam_min_plus_kernelId15HIP_vector_typeIdLj2EEdLi32ELi8ELi128ELi128ELi4ELi4ELi64ELi4ELi64ELc84ELc78ELb0ELb1ELb1EdKPKdKPdEEviiiT16_PT17_ilSA_ilS8_SA_ilPT18_ili26rocblas_geam_ex_operation_,"axG",@progbits,_ZN12_GLOBAL__N_120geam_min_plus_kernelId15HIP_vector_typeIdLj2EEdLi32ELi8ELi128ELi128ELi4ELi4ELi64ELi4ELi64ELc84ELc78ELb0ELb1ELb1EdKPKdKPdEEviiiT16_PT17_ilSA_ilS8_SA_ilPT18_ili26rocblas_geam_ex_operation_,comdat
.Lfunc_end116:
	.size	_ZN12_GLOBAL__N_120geam_min_plus_kernelId15HIP_vector_typeIdLj2EEdLi32ELi8ELi128ELi128ELi4ELi4ELi64ELi4ELi64ELc84ELc78ELb0ELb1ELb1EdKPKdKPdEEviiiT16_PT17_ilSA_ilS8_SA_ilPT18_ili26rocblas_geam_ex_operation_, .Lfunc_end116-_ZN12_GLOBAL__N_120geam_min_plus_kernelId15HIP_vector_typeIdLj2EEdLi32ELi8ELi128ELi128ELi4ELi4ELi64ELi4ELi64ELc84ELc78ELb0ELb1ELb1EdKPKdKPdEEviiiT16_PT17_ilSA_ilS8_SA_ilPT18_ili26rocblas_geam_ex_operation_
                                        ; -- End function
	.section	.AMDGPU.csdata,"",@progbits
; Kernel info:
; codeLenInByte = 19368
; NumSgprs: 48
; NumVgprs: 174
; NumAgprs: 0
; TotalNumVgprs: 174
; ScratchSize: 0
; MemoryBound: 0
; FloatMode: 240
; IeeeMode: 1
; LDSByteSize: 16384 bytes/workgroup (compile time only)
; SGPRBlocks: 5
; VGPRBlocks: 21
; NumSGPRsForWavesPerEU: 48
; NumVGPRsForWavesPerEU: 174
; AccumOffset: 176
; Occupancy: 2
; WaveLimiterHint : 1
; COMPUTE_PGM_RSRC2:SCRATCH_EN: 0
; COMPUTE_PGM_RSRC2:USER_SGPR: 2
; COMPUTE_PGM_RSRC2:TRAP_HANDLER: 0
; COMPUTE_PGM_RSRC2:TGID_X_EN: 1
; COMPUTE_PGM_RSRC2:TGID_Y_EN: 0
; COMPUTE_PGM_RSRC2:TGID_Z_EN: 1
; COMPUTE_PGM_RSRC2:TIDIG_COMP_CNT: 1
; COMPUTE_PGM_RSRC3_GFX90A:ACCUM_OFFSET: 43
; COMPUTE_PGM_RSRC3_GFX90A:TG_SPLIT: 0
	.section	.text._ZN12_GLOBAL__N_120geam_min_plus_kernelId15HIP_vector_typeIdLj2EEdLi8ELi32ELi64ELi256ELi4ELi64ELi4ELi64ELi4ELc78ELc84ELb0ELb0ELb1EPKdKS4_KPdEEviiiT16_PT17_ilSA_ilS8_SA_ilPT18_ili26rocblas_geam_ex_operation_,"axG",@progbits,_ZN12_GLOBAL__N_120geam_min_plus_kernelId15HIP_vector_typeIdLj2EEdLi8ELi32ELi64ELi256ELi4ELi64ELi4ELi64ELi4ELc78ELc84ELb0ELb0ELb1EPKdKS4_KPdEEviiiT16_PT17_ilSA_ilS8_SA_ilPT18_ili26rocblas_geam_ex_operation_,comdat
	.globl	_ZN12_GLOBAL__N_120geam_min_plus_kernelId15HIP_vector_typeIdLj2EEdLi8ELi32ELi64ELi256ELi4ELi64ELi4ELi64ELi4ELc78ELc84ELb0ELb0ELb1EPKdKS4_KPdEEviiiT16_PT17_ilSA_ilS8_SA_ilPT18_ili26rocblas_geam_ex_operation_ ; -- Begin function _ZN12_GLOBAL__N_120geam_min_plus_kernelId15HIP_vector_typeIdLj2EEdLi8ELi32ELi64ELi256ELi4ELi64ELi4ELi64ELi4ELc78ELc84ELb0ELb0ELb1EPKdKS4_KPdEEviiiT16_PT17_ilSA_ilS8_SA_ilPT18_ili26rocblas_geam_ex_operation_
	.p2align	8
	.type	_ZN12_GLOBAL__N_120geam_min_plus_kernelId15HIP_vector_typeIdLj2EEdLi8ELi32ELi64ELi256ELi4ELi64ELi4ELi64ELi4ELc78ELc84ELb0ELb0ELb1EPKdKS4_KPdEEviiiT16_PT17_ilSA_ilS8_SA_ilPT18_ili26rocblas_geam_ex_operation_,@function
_ZN12_GLOBAL__N_120geam_min_plus_kernelId15HIP_vector_typeIdLj2EEdLi8ELi32ELi64ELi256ELi4ELi64ELi4ELi64ELi4ELc78ELc84ELb0ELb0ELb1EPKdKS4_KPdEEviiiT16_PT17_ilSA_ilS8_SA_ilPT18_ili26rocblas_geam_ex_operation_: ; @_ZN12_GLOBAL__N_120geam_min_plus_kernelId15HIP_vector_typeIdLj2EEdLi8ELi32ELi64ELi256ELi4ELi64ELi4ELi64ELi4ELc78ELc84ELb0ELb0ELb1EPKdKS4_KPdEEviiiT16_PT17_ilSA_ilS8_SA_ilPT18_ili26rocblas_geam_ex_operation_
; %bb.0:
	s_load_dwordx4 s[12:15], s[0:1], 0x10
	s_load_dwordx4 s[4:7], s[0:1], 0x28
	s_mov_b32 s8, s3
	s_mov_b32 s9, 0
	s_lshl_b64 s[26:27], s[8:9], 3
	s_waitcnt lgkmcnt(0)
	s_add_u32 s12, s12, s26
	s_load_dwordx4 s[8:11], s[0:1], 0x40
	s_addc_u32 s13, s13, s27
	s_load_dwordx2 s[18:19], s[12:13], 0x0
	s_load_dwordx2 s[28:29], s[0:1], 0x50
	s_mov_b64 s[20:21], 0
	s_mov_b64 s[22:23], 0
	s_waitcnt lgkmcnt(0)
	s_add_u32 s10, s10, s26
	v_cmp_eq_f64_e64 s[24:25], s[18:19], 0
	s_addc_u32 s11, s11, s27
	v_cmp_neq_f64_e64 s[12:13], s[18:19], 0
	s_and_b64 vcc, exec, s[24:25]
	s_cbranch_vccnz .LBB117_2
; %bb.1:
	s_add_u32 s14, s14, s26
	s_addc_u32 s15, s15, s27
	s_load_dwordx2 s[14:15], s[14:15], 0x0
	s_lshl_b64 s[4:5], s[4:5], 3
	s_waitcnt lgkmcnt(0)
	s_add_u32 s22, s14, s4
	s_addc_u32 s23, s15, s5
.LBB117_2:
	s_load_dwordx2 s[10:11], s[10:11], 0x0
	v_cndmask_b32_e64 v1, 0, 1, s[12:13]
	v_cmp_ne_u32_e64 s[4:5], 1, v1
	s_andn2_b64 vcc, exec, s[12:13]
	s_cbranch_vccnz .LBB117_4
; %bb.3:
	s_add_u32 s6, s6, s26
	s_addc_u32 s7, s7, s27
	s_load_dwordx2 s[6:7], s[6:7], 0x0
	s_lshl_b64 s[8:9], s[8:9], 3
	s_waitcnt lgkmcnt(0)
	s_add_u32 s20, s6, s8
	s_addc_u32 s21, s7, s9
.LBB117_4:
	s_load_dwordx4 s[12:15], s[0:1], 0x60
	s_waitcnt lgkmcnt(0)
	v_cmp_eq_f64_e64 s[6:7], s[10:11], 0
	s_and_b64 s[8:9], exec, s[6:7]
	s_mov_b64 s[16:17], 0
	s_mov_b64 vcc, s[8:9]
	s_cbranch_vccnz .LBB117_6
; %bb.5:
	s_add_u32 s6, s28, s26
	s_addc_u32 s7, s29, s27
	s_load_dwordx2 s[6:7], s[6:7], 0x0
	s_lshl_b64 s[12:13], s[12:13], 3
	s_waitcnt lgkmcnt(0)
	s_add_u32 s16, s6, s12
	s_addc_u32 s17, s7, s13
.LBB117_6:
	s_load_dword s28, s[0:1], 0x20
	s_load_dword s3, s[0:1], 0x0
	v_and_b32_e32 v131, 0x3ff, v0
	v_bfe_u32 v132, v0, 10, 10
	v_cndmask_b32_e64 v0, 0, 1, s[24:25]
	s_waitcnt lgkmcnt(0)
	s_ashr_i32 s29, s28, 31
	s_add_u32 s12, s14, s26
	s_addc_u32 s13, s15, s27
	s_add_i32 s3, s3, -1
	s_ashr_i32 s6, s3, 31
	s_lshr_b32 s6, s6, 26
	s_add_i32 s3, s3, s6
	s_ashr_i32 s3, s3, 6
	s_add_i32 s14, s3, 1
	v_cvt_f32_u32_e32 v1, s14
	v_cmp_ne_u32_e64 s[6:7], 1, v0
	s_not_b32 s3, s3
	s_load_dwordx2 s[12:13], s[12:13], 0x0
	v_rcp_iflag_f32_e32 v1, v1
	v_lshl_add_u32 v2, v132, 3, v131
	v_and_b32_e32 v144, 63, v2
	v_lshrrev_b32_e32 v60, 6, v2
	v_mul_f32_e32 v0, 0x4f7ffffe, v1
	v_cvt_u32_f32_e32 v0, v0
	s_nop 0
	v_readfirstlane_b32 s15, v0
	s_mul_i32 s3, s3, s15
	s_mul_hi_u32 s3, s15, s3
	s_add_i32 s15, s15, s3
	s_mul_hi_u32 s3, s2, s15
	s_mul_i32 s15, s3, s14
	s_sub_i32 s15, s2, s15
	s_add_i32 s26, s3, 1
	s_sub_i32 s27, s15, s14
	s_cmp_ge_u32 s15, s14
	s_cselect_b32 s3, s26, s3
	s_cselect_b32 s15, s27, s15
	s_add_i32 s26, s3, 1
	s_cmp_ge_u32 s15, s14
	s_cselect_b32 s26, s26, s3
	s_mul_i32 s3, s26, s14
	s_sub_i32 s2, s2, s3
	s_andn2_b64 vcc, exec, s[24:25]
	s_lshl_b32 s24, s2, 6
	s_cbranch_vccnz .LBB117_9
; %bb.7:
	v_mov_b32_e32 v3, 0
	s_mov_b64 s[2:3], 0
	v_or_b32_e32 v66, s24, v144
	v_ashrrev_i32_e32 v67, 31, v66
	s_cbranch_execz .LBB117_10
; %bb.8:
	v_mov_b64_e32 v[0:1], s[2:3]
	s_branch .LBB117_11
.LBB117_9:
                                        ; implicit-def: $sgpr2_sgpr3
                                        ; implicit-def: $vgpr2_vgpr3
	v_or_b32_e32 v66, s24, v144
	v_ashrrev_i32_e32 v67, 31, v66
.LBB117_10:
	v_mad_i64_i32 v[0:1], s[2:3], s28, v60, 0
	v_lshl_add_u64 v[0:1], v[0:1], 3, s[22:23]
	v_lshl_add_u64 v[0:1], v[66:67], 3, v[0:1]
	flat_load_dwordx2 v[0:1], v[0:1]
	v_mov_b32_e32 v3, 0
	s_waitcnt vmcnt(0) lgkmcnt(0)
	v_mul_f64 v[0:1], s[18:19], v[0:1]
.LBB117_11:
	s_load_dword s15, s[0:1], 0x38
	s_lshl_b32 s14, s26, 8
	v_or_b32_e32 v62, s14, v144
	s_and_b64 vcc, exec, s[4:5]
	v_ashrrev_i32_e32 v63, 31, v62
	s_waitcnt lgkmcnt(0)
	s_ashr_i32 s25, s15, 31
	v_mul_lo_u32 v4, v3, s15
	v_mul_lo_u32 v5, v60, s25
	v_mad_u64_u32 v[2:3], s[2:3], v60, s15, 0
	v_add3_u32 v3, v3, v5, v4
	v_lshl_add_u64 v[6:7], v[2:3], 3, s[20:21]
	s_cbranch_vccnz .LBB117_16
; %bb.12:
	v_lshl_add_u64 v[2:3], v[62:63], 3, v[6:7]
	flat_load_dwordx2 v[4:5], v[2:3]
	flat_load_dwordx2 v[8:9], v[2:3] offset:512
	s_waitcnt vmcnt(0) lgkmcnt(0)
	v_mul_f64 v[2:3], s[18:19], v[4:5]
	v_mul_f64 v[4:5], s[18:19], v[8:9]
	s_and_b64 vcc, exec, s[4:5]
	s_cbranch_vccnz .LBB117_17
.LBB117_13:
	v_lshl_add_u64 v[6:7], v[62:63], 3, v[6:7]
	flat_load_dwordx2 v[8:9], v[6:7] offset:1024
	flat_load_dwordx2 v[10:11], v[6:7] offset:1536
	s_waitcnt vmcnt(0) lgkmcnt(0)
	v_mul_f64 v[6:7], s[18:19], v[8:9]
	v_mul_f64 v[8:9], s[18:19], v[10:11]
	s_and_b64 vcc, exec, s[6:7]
	v_add_u32_e32 v64, 4, v60
	s_cbranch_vccnz .LBB117_18
.LBB117_14:
	v_mov_b32_e32 v11, 0
	s_mov_b64 s[2:3], 0
	s_cbranch_execz .LBB117_19
; %bb.15:
	v_mov_b64_e32 v[68:69], s[2:3]
	s_branch .LBB117_20
.LBB117_16:
	v_mov_b64_e32 v[2:3], 0
	v_mov_b64_e32 v[4:5], 0
	s_and_b64 vcc, exec, s[4:5]
	s_cbranch_vccz .LBB117_13
.LBB117_17:
	v_mov_b64_e32 v[6:7], 0
	v_mov_b64_e32 v[8:9], 0
	s_and_b64 vcc, exec, s[6:7]
	v_add_u32_e32 v64, 4, v60
	s_cbranch_vccz .LBB117_14
.LBB117_18:
                                        ; implicit-def: $sgpr2_sgpr3
                                        ; implicit-def: $vgpr10_vgpr11
.LBB117_19:
	v_mad_i64_i32 v[10:11], s[2:3], s28, v64, 0
	v_lshl_add_u64 v[10:11], v[10:11], 3, s[22:23]
	v_lshl_add_u64 v[10:11], v[66:67], 3, v[10:11]
	flat_load_dwordx2 v[12:13], v[10:11]
	v_mov_b32_e32 v11, 0
	s_waitcnt vmcnt(0) lgkmcnt(0)
	v_mul_f64 v[68:69], s[18:19], v[12:13]
.LBB117_20:
	v_mul_lo_u32 v12, v11, s15
	v_mul_lo_u32 v13, v64, s25
	v_mad_u64_u32 v[10:11], s[2:3], v64, s15, 0
	v_add3_u32 v11, v11, v13, v12
	s_and_b64 vcc, exec, s[4:5]
	v_lshl_add_u64 v[10:11], v[10:11], 3, s[20:21]
	s_cbranch_vccnz .LBB117_23
; %bb.21:
	v_lshl_add_u64 v[12:13], v[62:63], 3, v[10:11]
	flat_load_dwordx2 v[14:15], v[12:13]
	flat_load_dwordx2 v[16:17], v[12:13] offset:512
	s_waitcnt vmcnt(0) lgkmcnt(0)
	v_mul_f64 v[70:71], s[18:19], v[14:15]
	v_mul_f64 v[72:73], s[18:19], v[16:17]
	s_and_b64 vcc, exec, s[4:5]
	s_cbranch_vccnz .LBB117_24
.LBB117_22:
	v_lshl_add_u64 v[10:11], v[62:63], 3, v[10:11]
	flat_load_dwordx2 v[12:13], v[10:11] offset:1024
	flat_load_dwordx2 v[14:15], v[10:11] offset:1536
	s_waitcnt vmcnt(0) lgkmcnt(0)
	v_mul_f64 v[74:75], s[18:19], v[12:13]
	v_mul_f64 v[76:77], s[18:19], v[14:15]
	s_branch .LBB117_25
.LBB117_23:
	v_mov_b64_e32 v[70:71], 0
	v_mov_b64_e32 v[72:73], 0
	s_and_b64 vcc, exec, s[4:5]
	s_cbranch_vccz .LBB117_22
.LBB117_24:
	v_mov_b64_e32 v[74:75], 0
	v_mov_b64_e32 v[76:77], 0
.LBB117_25:
	v_lshlrev_b32_e32 v10, 3, v60
	v_lshl_add_u32 v142, v144, 5, v10
	v_or_b32_e32 v143, 0x4000, v142
	s_mov_b32 s6, 0
	s_mov_b64 s[2:3], -1
	v_mov_b32_e32 v61, 0x7f800000
	v_mov_b32_e32 v65, 0x7f800000
	;; [unrolled: 1-line block ×64, first 2 shown]
	ds_write_b64 v142, v[0:1] offset:16384
	ds_write2st64_b64 v142, v[2:3], v[4:5] offset1:4
	ds_write2st64_b64 v142, v[6:7], v[8:9] offset0:8 offset1:12
	s_waitcnt lgkmcnt(0)
	s_barrier
.LBB117_26:                             ; =>This Inner Loop Header: Depth=1
	v_cndmask_b32_e64 v0, 0, 1, s[2:3]
	s_lshl_b32 s2, s6, 3
	v_cmp_ne_u32_e32 vcc, 1, v0
	v_lshl_add_u32 v0, v131, 5, s2
	v_lshl_add_u32 v20, v132, 5, s2
	ds_read_b128 v[32:35], v0 offset:16384
	ds_read_b128 v[28:31], v0 offset:16640
	;; [unrolled: 1-line block ×8, first 2 shown]
	ds_read_b128 v[146:149], v20
	ds_read_b128 v[56:59], v20 offset:1024
	ds_read_b128 v[52:55], v20 offset:2048
	ds_read_b128 v[48:51], v20 offset:3072
	ds_read_b128 v[44:47], v20 offset:4096
	ds_read_b128 v[40:43], v20 offset:5120
	ds_read_b128 v[36:39], v20 offset:6144
	ds_read_b128 v[20:23], v20 offset:7168
	s_waitcnt lgkmcnt(7)
	v_add_f64 v[150:151], v[34:35], v[148:149]
	v_add_f64 v[152:153], v[32:33], v[146:147]
	v_cvt_f32_f64_e32 v145, v[152:153]
	v_cvt_f32_f64_e32 v150, v[150:151]
	v_min3_f32 v141, v145, v150, v141
	v_add_f64 v[150:151], v[30:31], v[148:149]
	v_add_f64 v[152:153], v[28:29], v[146:147]
	v_cvt_f32_f64_e32 v145, v[152:153]
	v_cvt_f32_f64_e32 v150, v[150:151]
	v_min3_f32 v140, v145, v150, v140
	;; [unrolled: 5-line block ×6, first 2 shown]
	v_add_f64 v[150:151], v[6:7], v[148:149]
	v_add_f64 v[152:153], v[4:5], v[146:147]
	v_cvt_f32_f64_e32 v145, v[152:153]
	v_cvt_f32_f64_e32 v150, v[150:151]
	v_add_f64 v[148:149], v[2:3], v[148:149]
	v_add_f64 v[146:147], v[0:1], v[146:147]
	v_min3_f32 v135, v145, v150, v135
	v_cvt_f32_f64_e32 v145, v[146:147]
	v_cvt_f32_f64_e32 v146, v[148:149]
	v_min3_f32 v134, v145, v146, v134
	s_waitcnt lgkmcnt(6)
	v_add_f64 v[146:147], v[34:35], v[58:59]
	v_add_f64 v[148:149], v[32:33], v[56:57]
	v_cvt_f32_f64_e32 v145, v[148:149]
	v_cvt_f32_f64_e32 v146, v[146:147]
	v_min3_f32 v133, v145, v146, v133
	v_add_f64 v[146:147], v[30:31], v[58:59]
	v_add_f64 v[148:149], v[28:29], v[56:57]
	v_cvt_f32_f64_e32 v145, v[148:149]
	v_cvt_f32_f64_e32 v146, v[146:147]
	v_min3_f32 v130, v145, v146, v130
	v_add_f64 v[146:147], v[26:27], v[58:59]
	v_add_f64 v[148:149], v[24:25], v[56:57]
	v_cvt_f32_f64_e32 v145, v[148:149]
	v_cvt_f32_f64_e32 v146, v[146:147]
	v_min3_f32 v129, v145, v146, v129
	v_add_f64 v[146:147], v[18:19], v[58:59]
	v_add_f64 v[148:149], v[16:17], v[56:57]
	v_cvt_f32_f64_e32 v145, v[148:149]
	v_cvt_f32_f64_e32 v146, v[146:147]
	v_min3_f32 v128, v145, v146, v128
	v_add_f64 v[146:147], v[14:15], v[58:59]
	v_add_f64 v[148:149], v[12:13], v[56:57]
	v_cvt_f32_f64_e32 v145, v[148:149]
	v_cvt_f32_f64_e32 v146, v[146:147]
	v_min3_f32 v127, v145, v146, v127
	v_add_f64 v[146:147], v[10:11], v[58:59]
	v_add_f64 v[148:149], v[8:9], v[56:57]
	v_cvt_f32_f64_e32 v145, v[148:149]
	v_cvt_f32_f64_e32 v146, v[146:147]
	v_min3_f32 v126, v145, v146, v126
	v_add_f64 v[146:147], v[6:7], v[58:59]
	v_add_f64 v[148:149], v[4:5], v[56:57]
	v_add_f64 v[58:59], v[2:3], v[58:59]
	v_add_f64 v[56:57], v[0:1], v[56:57]
	v_cvt_f32_f64_e32 v56, v[56:57]
	v_cvt_f32_f64_e32 v57, v[58:59]
	v_min3_f32 v124, v56, v57, v124
	s_waitcnt lgkmcnt(5)
	v_add_f64 v[56:57], v[34:35], v[54:55]
	v_add_f64 v[58:59], v[32:33], v[52:53]
	v_cvt_f32_f64_e32 v58, v[58:59]
	v_cvt_f32_f64_e32 v56, v[56:57]
	v_min3_f32 v123, v58, v56, v123
	v_add_f64 v[56:57], v[30:31], v[54:55]
	v_add_f64 v[58:59], v[28:29], v[52:53]
	v_cvt_f32_f64_e32 v58, v[58:59]
	v_cvt_f32_f64_e32 v56, v[56:57]
	v_min3_f32 v122, v58, v56, v122
	v_add_f64 v[56:57], v[26:27], v[54:55]
	v_add_f64 v[58:59], v[24:25], v[52:53]
	v_cvt_f32_f64_e32 v58, v[58:59]
	v_cvt_f32_f64_e32 v56, v[56:57]
	v_min3_f32 v121, v58, v56, v121
	v_add_f64 v[56:57], v[18:19], v[54:55]
	v_add_f64 v[58:59], v[16:17], v[52:53]
	v_cvt_f32_f64_e32 v58, v[58:59]
	v_cvt_f32_f64_e32 v56, v[56:57]
	v_min3_f32 v120, v58, v56, v120
	v_add_f64 v[56:57], v[14:15], v[54:55]
	v_add_f64 v[58:59], v[12:13], v[52:53]
	v_cvt_f32_f64_e32 v58, v[58:59]
	v_cvt_f32_f64_e32 v56, v[56:57]
	v_min3_f32 v119, v58, v56, v119
	v_add_f64 v[56:57], v[10:11], v[54:55]
	v_add_f64 v[58:59], v[8:9], v[52:53]
	v_cvt_f32_f64_e32 v58, v[58:59]
	v_cvt_f32_f64_e32 v56, v[56:57]
	v_min3_f32 v118, v58, v56, v118
	v_add_f64 v[56:57], v[6:7], v[54:55]
	v_add_f64 v[58:59], v[4:5], v[52:53]
	v_add_f64 v[54:55], v[2:3], v[54:55]
	v_add_f64 v[52:53], v[0:1], v[52:53]
	v_cvt_f32_f64_e32 v52, v[52:53]
	v_cvt_f32_f64_e32 v53, v[54:55]
	v_min3_f32 v116, v52, v53, v116
	s_waitcnt lgkmcnt(4)
	v_add_f64 v[52:53], v[34:35], v[50:51]
	v_add_f64 v[54:55], v[32:33], v[48:49]
	v_cvt_f32_f64_e32 v54, v[54:55]
	v_cvt_f32_f64_e32 v52, v[52:53]
	v_min3_f32 v115, v54, v52, v115
	v_add_f64 v[52:53], v[30:31], v[50:51]
	v_add_f64 v[54:55], v[28:29], v[48:49]
	v_cvt_f32_f64_e32 v54, v[54:55]
	v_cvt_f32_f64_e32 v52, v[52:53]
	v_min3_f32 v114, v54, v52, v114
	v_add_f64 v[52:53], v[26:27], v[50:51]
	v_add_f64 v[54:55], v[24:25], v[48:49]
	v_cvt_f32_f64_e32 v54, v[54:55]
	v_cvt_f32_f64_e32 v52, v[52:53]
	v_min3_f32 v113, v54, v52, v113
	v_add_f64 v[52:53], v[18:19], v[50:51]
	v_add_f64 v[54:55], v[16:17], v[48:49]
	v_cvt_f32_f64_e32 v54, v[54:55]
	v_cvt_f32_f64_e32 v52, v[52:53]
	v_min3_f32 v112, v54, v52, v112
	v_add_f64 v[52:53], v[14:15], v[50:51]
	v_add_f64 v[54:55], v[12:13], v[48:49]
	v_cvt_f32_f64_e32 v54, v[54:55]
	v_cvt_f32_f64_e32 v52, v[52:53]
	v_min3_f32 v111, v54, v52, v111
	v_add_f64 v[52:53], v[10:11], v[50:51]
	v_add_f64 v[54:55], v[8:9], v[48:49]
	v_cvt_f32_f64_e32 v54, v[54:55]
	v_cvt_f32_f64_e32 v52, v[52:53]
	v_min3_f32 v110, v54, v52, v110
	v_add_f64 v[52:53], v[6:7], v[50:51]
	v_add_f64 v[54:55], v[4:5], v[48:49]
	v_add_f64 v[50:51], v[2:3], v[50:51]
	v_add_f64 v[48:49], v[0:1], v[48:49]
	v_cvt_f32_f64_e32 v48, v[48:49]
	v_cvt_f32_f64_e32 v49, v[50:51]
	v_min3_f32 v108, v48, v49, v108
	s_waitcnt lgkmcnt(3)
	v_add_f64 v[48:49], v[34:35], v[46:47]
	v_add_f64 v[50:51], v[32:33], v[44:45]
	v_cvt_f32_f64_e32 v50, v[50:51]
	v_cvt_f32_f64_e32 v48, v[48:49]
	v_min3_f32 v107, v50, v48, v107
	v_add_f64 v[48:49], v[30:31], v[46:47]
	v_add_f64 v[50:51], v[28:29], v[44:45]
	v_cvt_f32_f64_e32 v50, v[50:51]
	v_cvt_f32_f64_e32 v48, v[48:49]
	v_min3_f32 v106, v50, v48, v106
	v_add_f64 v[48:49], v[26:27], v[46:47]
	v_add_f64 v[50:51], v[24:25], v[44:45]
	v_cvt_f32_f64_e32 v50, v[50:51]
	v_cvt_f32_f64_e32 v48, v[48:49]
	v_min3_f32 v105, v50, v48, v105
	v_add_f64 v[48:49], v[18:19], v[46:47]
	v_add_f64 v[50:51], v[16:17], v[44:45]
	v_cvt_f32_f64_e32 v50, v[50:51]
	v_cvt_f32_f64_e32 v48, v[48:49]
	v_min3_f32 v104, v50, v48, v104
	v_add_f64 v[48:49], v[14:15], v[46:47]
	v_add_f64 v[50:51], v[12:13], v[44:45]
	v_cvt_f32_f64_e32 v50, v[50:51]
	v_cvt_f32_f64_e32 v48, v[48:49]
	v_min3_f32 v103, v50, v48, v103
	v_add_f64 v[48:49], v[10:11], v[46:47]
	v_add_f64 v[50:51], v[8:9], v[44:45]
	v_cvt_f32_f64_e32 v50, v[50:51]
	v_cvt_f32_f64_e32 v48, v[48:49]
	v_min3_f32 v102, v50, v48, v102
	v_add_f64 v[48:49], v[6:7], v[46:47]
	v_add_f64 v[50:51], v[4:5], v[44:45]
	v_add_f64 v[46:47], v[2:3], v[46:47]
	v_add_f64 v[44:45], v[0:1], v[44:45]
	v_cvt_f32_f64_e32 v44, v[44:45]
	v_cvt_f32_f64_e32 v45, v[46:47]
	v_min3_f32 v100, v44, v45, v100
	s_waitcnt lgkmcnt(2)
	v_add_f64 v[44:45], v[34:35], v[42:43]
	v_add_f64 v[46:47], v[32:33], v[40:41]
	v_cvt_f32_f64_e32 v46, v[46:47]
	v_cvt_f32_f64_e32 v44, v[44:45]
	v_min3_f32 v99, v46, v44, v99
	v_add_f64 v[44:45], v[30:31], v[42:43]
	v_add_f64 v[46:47], v[28:29], v[40:41]
	v_cvt_f32_f64_e32 v46, v[46:47]
	v_cvt_f32_f64_e32 v44, v[44:45]
	v_min3_f32 v98, v46, v44, v98
	v_add_f64 v[44:45], v[26:27], v[42:43]
	v_add_f64 v[46:47], v[24:25], v[40:41]
	v_cvt_f32_f64_e32 v46, v[46:47]
	v_cvt_f32_f64_e32 v44, v[44:45]
	v_min3_f32 v97, v46, v44, v97
	v_add_f64 v[44:45], v[18:19], v[42:43]
	v_add_f64 v[46:47], v[16:17], v[40:41]
	v_cvt_f32_f64_e32 v46, v[46:47]
	v_cvt_f32_f64_e32 v44, v[44:45]
	v_min3_f32 v96, v46, v44, v96
	v_add_f64 v[44:45], v[14:15], v[42:43]
	v_add_f64 v[46:47], v[12:13], v[40:41]
	v_cvt_f32_f64_e32 v46, v[46:47]
	v_cvt_f32_f64_e32 v44, v[44:45]
	v_min3_f32 v95, v46, v44, v95
	v_add_f64 v[44:45], v[10:11], v[42:43]
	v_add_f64 v[46:47], v[8:9], v[40:41]
	v_cvt_f32_f64_e32 v46, v[46:47]
	v_cvt_f32_f64_e32 v44, v[44:45]
	v_min3_f32 v94, v46, v44, v94
	v_add_f64 v[44:45], v[6:7], v[42:43]
	v_add_f64 v[46:47], v[4:5], v[40:41]
	v_add_f64 v[42:43], v[2:3], v[42:43]
	v_add_f64 v[40:41], v[0:1], v[40:41]
	v_cvt_f32_f64_e32 v40, v[40:41]
	v_cvt_f32_f64_e32 v41, v[42:43]
	v_min3_f32 v92, v40, v41, v92
	s_waitcnt lgkmcnt(1)
	v_add_f64 v[40:41], v[34:35], v[38:39]
	v_add_f64 v[42:43], v[32:33], v[36:37]
	v_cvt_f32_f64_e32 v42, v[42:43]
	v_cvt_f32_f64_e32 v40, v[40:41]
	v_min3_f32 v91, v42, v40, v91
	v_add_f64 v[40:41], v[30:31], v[38:39]
	v_add_f64 v[42:43], v[28:29], v[36:37]
	v_cvt_f32_f64_e32 v42, v[42:43]
	v_cvt_f32_f64_e32 v40, v[40:41]
	v_min3_f32 v90, v42, v40, v90
	v_add_f64 v[40:41], v[26:27], v[38:39]
	v_add_f64 v[42:43], v[24:25], v[36:37]
	v_cvt_f32_f64_e32 v42, v[42:43]
	v_cvt_f32_f64_e32 v40, v[40:41]
	v_min3_f32 v89, v42, v40, v89
	v_add_f64 v[40:41], v[18:19], v[38:39]
	v_add_f64 v[42:43], v[16:17], v[36:37]
	v_cvt_f32_f64_e32 v42, v[42:43]
	v_cvt_f32_f64_e32 v40, v[40:41]
	v_min3_f32 v88, v42, v40, v88
	v_add_f64 v[40:41], v[14:15], v[38:39]
	v_add_f64 v[42:43], v[12:13], v[36:37]
	v_cvt_f32_f64_e32 v42, v[42:43]
	v_cvt_f32_f64_e32 v40, v[40:41]
	v_min3_f32 v87, v42, v40, v87
	v_add_f64 v[40:41], v[10:11], v[38:39]
	v_add_f64 v[42:43], v[8:9], v[36:37]
	v_cvt_f32_f64_e32 v42, v[42:43]
	v_cvt_f32_f64_e32 v40, v[40:41]
	v_min3_f32 v86, v42, v40, v86
	v_add_f64 v[40:41], v[6:7], v[38:39]
	v_add_f64 v[42:43], v[4:5], v[36:37]
	v_add_f64 v[38:39], v[2:3], v[38:39]
	v_add_f64 v[36:37], v[0:1], v[36:37]
	s_waitcnt lgkmcnt(0)
	v_add_f64 v[34:35], v[34:35], v[22:23]
	v_add_f64 v[32:33], v[32:33], v[20:21]
	;; [unrolled: 1-line block ×16, first 2 shown]
	v_cvt_f32_f64_e32 v145, v[148:149]
	v_cvt_f32_f64_e32 v146, v[146:147]
	;; [unrolled: 1-line block ×30, first 2 shown]
	v_min3_f32 v125, v145, v146, v125
	v_min3_f32 v117, v58, v56, v117
	;; [unrolled: 1-line block ×15, first 2 shown]
	s_mov_b32 s6, 2
	s_mov_b64 s[2:3], 0
	s_cbranch_vccz .LBB117_26
; %bb.27:
	s_load_dword s7, s[0:1], 0x8
	v_lshlrev_b32_e32 v0, 5, v144
	v_lshl_add_u32 v0, v60, 3, v0
	s_mov_b32 s6, 8
	ds_write_b64 v0, v[68:69] offset:18432
	ds_write2st64_b64 v0, v[70:71], v[72:73] offset0:16 offset1:20
	ds_write2st64_b64 v0, v[74:75], v[76:77] offset0:24 offset1:28
	s_waitcnt lgkmcnt(0)
	s_cmp_gt_i32 s7, 8
	s_barrier
	s_cbranch_scc0 .LBB117_50
; %bb.28:
	v_add_u32_e32 v144, 0x4800, v0
	v_or_b32_e32 v145, 0x2000, v0
	s_add_i32 s7, s7, -8
	v_lshl_add_u64 v[66:67], v[66:67], 3, s[22:23]
	s_mov_b32 s22, 0
.LBB117_29:                             ; =>This Loop Header: Depth=1
                                        ;     Child Loop BB117_38 Depth 2
                                        ;     Child Loop BB117_48 Depth 2
	s_and_b64 vcc, exec, s[4:5]
	v_add_u32_e32 v0, s6, v60
	s_cbranch_vccnz .LBB117_31
; %bb.30:                               ;   in Loop: Header=BB117_29 Depth=1
	v_mad_u64_u32 v[2:3], s[2:3], v0, s28, 0
	v_mov_b32_e32 v4, v3
	v_mad_u64_u32 v[4:5], s[2:3], v0, s29, v[4:5]
	v_mov_b32_e32 v3, v4
	v_lshl_add_u64 v[2:3], v[2:3], 3, v[66:67]
	flat_load_dwordx2 v[2:3], v[2:3]
	s_waitcnt vmcnt(0) lgkmcnt(0)
	v_mul_f64 v[68:69], s[18:19], v[2:3]
	s_branch .LBB117_32
.LBB117_31:                             ;   in Loop: Header=BB117_29 Depth=1
	v_mov_b64_e32 v[68:69], 0
.LBB117_32:                             ;   in Loop: Header=BB117_29 Depth=1
	v_mad_u64_u32 v[2:3], s[2:3], v0, s15, 0
	v_mov_b32_e32 v4, v3
	v_mad_u64_u32 v[0:1], s[2:3], v0, s25, v[4:5]
	v_mov_b32_e32 v3, v0
	v_lshl_add_u64 v[0:1], v[2:3], 3, s[20:21]
	s_and_b64 vcc, exec, s[4:5]
	v_lshl_add_u64 v[0:1], v[62:63], 3, v[0:1]
	s_cbranch_vccnz .LBB117_35
; %bb.33:                               ;   in Loop: Header=BB117_29 Depth=1
	flat_load_dwordx2 v[2:3], v[0:1]
	flat_load_dwordx2 v[4:5], v[0:1] offset:512
	s_waitcnt vmcnt(0) lgkmcnt(0)
	v_mul_f64 v[70:71], s[18:19], v[2:3]
	v_mul_f64 v[72:73], s[18:19], v[4:5]
	s_and_b64 vcc, exec, s[4:5]
	s_cbranch_vccnz .LBB117_36
.LBB117_34:                             ;   in Loop: Header=BB117_29 Depth=1
	flat_load_dwordx2 v[2:3], v[0:1] offset:1024
	flat_load_dwordx2 v[4:5], v[0:1] offset:1536
	s_waitcnt vmcnt(0) lgkmcnt(0)
	v_mul_f64 v[74:75], s[18:19], v[2:3]
	v_mul_f64 v[76:77], s[18:19], v[4:5]
	s_branch .LBB117_37
.LBB117_35:                             ;   in Loop: Header=BB117_29 Depth=1
	v_mov_b64_e32 v[70:71], 0
	v_mov_b64_e32 v[72:73], 0
	s_and_b64 vcc, exec, s[4:5]
	s_cbranch_vccz .LBB117_34
.LBB117_36:                             ;   in Loop: Header=BB117_29 Depth=1
	v_mov_b64_e32 v[74:75], 0
	v_mov_b64_e32 v[76:77], 0
.LBB117_37:                             ;   in Loop: Header=BB117_29 Depth=1
	s_mov_b32 s23, 0
	s_mov_b64 s[2:3], -1
.LBB117_38:                             ;   Parent Loop BB117_29 Depth=1
                                        ; =>  This Inner Loop Header: Depth=2
	v_cndmask_b32_e64 v0, 0, 1, s[2:3]
	s_lshl_b32 s2, s23, 3
	v_cmp_ne_u32_e32 vcc, 1, v0
	v_lshl_add_u32 v0, v131, 5, s2
	v_lshl_add_u32 v20, v132, 5, s2
	ds_read_b128 v[32:35], v0 offset:18432
	ds_read_b128 v[28:31], v0 offset:18688
	;; [unrolled: 1-line block ×16, first 2 shown]
	s_waitcnt lgkmcnt(7)
	v_add_f64 v[150:151], v[34:35], v[148:149]
	v_add_f64 v[152:153], v[32:33], v[146:147]
	v_cvt_f32_f64_e32 v152, v[152:153]
	v_cvt_f32_f64_e32 v150, v[150:151]
	v_min3_f32 v141, v152, v150, v141
	v_add_f64 v[150:151], v[30:31], v[148:149]
	v_add_f64 v[152:153], v[28:29], v[146:147]
	v_cvt_f32_f64_e32 v152, v[152:153]
	v_cvt_f32_f64_e32 v150, v[150:151]
	v_min3_f32 v140, v152, v150, v140
	v_add_f64 v[150:151], v[26:27], v[148:149]
	v_add_f64 v[152:153], v[24:25], v[146:147]
	v_cvt_f32_f64_e32 v152, v[152:153]
	v_cvt_f32_f64_e32 v150, v[150:151]
	v_min3_f32 v139, v152, v150, v139
	v_add_f64 v[150:151], v[18:19], v[148:149]
	v_add_f64 v[152:153], v[16:17], v[146:147]
	v_cvt_f32_f64_e32 v152, v[152:153]
	v_cvt_f32_f64_e32 v150, v[150:151]
	v_min3_f32 v138, v152, v150, v138
	v_add_f64 v[150:151], v[14:15], v[148:149]
	v_add_f64 v[152:153], v[12:13], v[146:147]
	v_cvt_f32_f64_e32 v152, v[152:153]
	v_cvt_f32_f64_e32 v150, v[150:151]
	v_min3_f32 v137, v152, v150, v137
	v_add_f64 v[150:151], v[10:11], v[148:149]
	v_add_f64 v[152:153], v[8:9], v[146:147]
	v_cvt_f32_f64_e32 v152, v[152:153]
	v_cvt_f32_f64_e32 v150, v[150:151]
	v_min3_f32 v136, v152, v150, v136
	v_add_f64 v[150:151], v[6:7], v[148:149]
	v_add_f64 v[152:153], v[4:5], v[146:147]
	v_add_f64 v[148:149], v[2:3], v[148:149]
	v_add_f64 v[146:147], v[0:1], v[146:147]
	v_cvt_f32_f64_e32 v146, v[146:147]
	v_cvt_f32_f64_e32 v147, v[148:149]
	v_min3_f32 v134, v146, v147, v134
	s_waitcnt lgkmcnt(6)
	v_add_f64 v[146:147], v[34:35], v[58:59]
	v_add_f64 v[148:149], v[32:33], v[56:57]
	v_cvt_f32_f64_e32 v148, v[148:149]
	v_cvt_f32_f64_e32 v146, v[146:147]
	v_min3_f32 v133, v148, v146, v133
	v_add_f64 v[146:147], v[30:31], v[58:59]
	v_add_f64 v[148:149], v[28:29], v[56:57]
	v_cvt_f32_f64_e32 v148, v[148:149]
	v_cvt_f32_f64_e32 v146, v[146:147]
	v_min3_f32 v130, v148, v146, v130
	v_add_f64 v[146:147], v[26:27], v[58:59]
	v_add_f64 v[148:149], v[24:25], v[56:57]
	v_cvt_f32_f64_e32 v148, v[148:149]
	v_cvt_f32_f64_e32 v146, v[146:147]
	v_min3_f32 v129, v148, v146, v129
	v_add_f64 v[146:147], v[18:19], v[58:59]
	v_add_f64 v[148:149], v[16:17], v[56:57]
	v_cvt_f32_f64_e32 v148, v[148:149]
	v_cvt_f32_f64_e32 v146, v[146:147]
	v_min3_f32 v128, v148, v146, v128
	v_add_f64 v[146:147], v[14:15], v[58:59]
	v_add_f64 v[148:149], v[12:13], v[56:57]
	v_cvt_f32_f64_e32 v148, v[148:149]
	v_cvt_f32_f64_e32 v146, v[146:147]
	v_min3_f32 v127, v148, v146, v127
	v_add_f64 v[146:147], v[10:11], v[58:59]
	v_add_f64 v[148:149], v[8:9], v[56:57]
	v_cvt_f32_f64_e32 v148, v[148:149]
	v_cvt_f32_f64_e32 v146, v[146:147]
	v_min3_f32 v126, v148, v146, v126
	v_add_f64 v[146:147], v[6:7], v[58:59]
	v_add_f64 v[148:149], v[4:5], v[56:57]
	v_add_f64 v[58:59], v[2:3], v[58:59]
	v_add_f64 v[56:57], v[0:1], v[56:57]
	v_cvt_f32_f64_e32 v56, v[56:57]
	v_cvt_f32_f64_e32 v57, v[58:59]
	v_min3_f32 v124, v56, v57, v124
	s_waitcnt lgkmcnt(5)
	v_add_f64 v[56:57], v[34:35], v[54:55]
	v_add_f64 v[58:59], v[32:33], v[52:53]
	v_cvt_f32_f64_e32 v58, v[58:59]
	v_cvt_f32_f64_e32 v56, v[56:57]
	v_min3_f32 v123, v58, v56, v123
	v_add_f64 v[56:57], v[30:31], v[54:55]
	v_add_f64 v[58:59], v[28:29], v[52:53]
	v_cvt_f32_f64_e32 v58, v[58:59]
	v_cvt_f32_f64_e32 v56, v[56:57]
	v_min3_f32 v122, v58, v56, v122
	v_add_f64 v[56:57], v[26:27], v[54:55]
	v_add_f64 v[58:59], v[24:25], v[52:53]
	v_cvt_f32_f64_e32 v58, v[58:59]
	v_cvt_f32_f64_e32 v56, v[56:57]
	v_min3_f32 v121, v58, v56, v121
	v_add_f64 v[56:57], v[18:19], v[54:55]
	v_add_f64 v[58:59], v[16:17], v[52:53]
	v_cvt_f32_f64_e32 v58, v[58:59]
	v_cvt_f32_f64_e32 v56, v[56:57]
	v_min3_f32 v120, v58, v56, v120
	v_add_f64 v[56:57], v[14:15], v[54:55]
	v_add_f64 v[58:59], v[12:13], v[52:53]
	v_cvt_f32_f64_e32 v58, v[58:59]
	v_cvt_f32_f64_e32 v56, v[56:57]
	v_min3_f32 v119, v58, v56, v119
	v_add_f64 v[56:57], v[10:11], v[54:55]
	v_add_f64 v[58:59], v[8:9], v[52:53]
	v_cvt_f32_f64_e32 v58, v[58:59]
	v_cvt_f32_f64_e32 v56, v[56:57]
	v_min3_f32 v118, v58, v56, v118
	v_add_f64 v[56:57], v[6:7], v[54:55]
	v_add_f64 v[58:59], v[4:5], v[52:53]
	v_add_f64 v[54:55], v[2:3], v[54:55]
	v_add_f64 v[52:53], v[0:1], v[52:53]
	v_cvt_f32_f64_e32 v52, v[52:53]
	v_cvt_f32_f64_e32 v53, v[54:55]
	v_min3_f32 v116, v52, v53, v116
	s_waitcnt lgkmcnt(4)
	v_add_f64 v[52:53], v[34:35], v[50:51]
	v_add_f64 v[54:55], v[32:33], v[48:49]
	v_cvt_f32_f64_e32 v54, v[54:55]
	v_cvt_f32_f64_e32 v52, v[52:53]
	v_min3_f32 v115, v54, v52, v115
	v_add_f64 v[52:53], v[30:31], v[50:51]
	v_add_f64 v[54:55], v[28:29], v[48:49]
	v_cvt_f32_f64_e32 v54, v[54:55]
	v_cvt_f32_f64_e32 v52, v[52:53]
	v_min3_f32 v114, v54, v52, v114
	v_add_f64 v[52:53], v[26:27], v[50:51]
	v_add_f64 v[54:55], v[24:25], v[48:49]
	v_cvt_f32_f64_e32 v54, v[54:55]
	v_cvt_f32_f64_e32 v52, v[52:53]
	v_min3_f32 v113, v54, v52, v113
	v_add_f64 v[52:53], v[18:19], v[50:51]
	v_add_f64 v[54:55], v[16:17], v[48:49]
	v_cvt_f32_f64_e32 v54, v[54:55]
	v_cvt_f32_f64_e32 v52, v[52:53]
	v_min3_f32 v112, v54, v52, v112
	v_add_f64 v[52:53], v[14:15], v[50:51]
	v_add_f64 v[54:55], v[12:13], v[48:49]
	v_cvt_f32_f64_e32 v54, v[54:55]
	v_cvt_f32_f64_e32 v52, v[52:53]
	v_min3_f32 v111, v54, v52, v111
	v_add_f64 v[52:53], v[10:11], v[50:51]
	v_add_f64 v[54:55], v[8:9], v[48:49]
	v_cvt_f32_f64_e32 v54, v[54:55]
	v_cvt_f32_f64_e32 v52, v[52:53]
	v_min3_f32 v110, v54, v52, v110
	v_add_f64 v[52:53], v[6:7], v[50:51]
	v_add_f64 v[54:55], v[4:5], v[48:49]
	v_add_f64 v[50:51], v[2:3], v[50:51]
	v_add_f64 v[48:49], v[0:1], v[48:49]
	v_cvt_f32_f64_e32 v48, v[48:49]
	v_cvt_f32_f64_e32 v49, v[50:51]
	v_min3_f32 v108, v48, v49, v108
	s_waitcnt lgkmcnt(3)
	v_add_f64 v[48:49], v[34:35], v[46:47]
	v_add_f64 v[50:51], v[32:33], v[44:45]
	v_cvt_f32_f64_e32 v50, v[50:51]
	v_cvt_f32_f64_e32 v48, v[48:49]
	v_min3_f32 v107, v50, v48, v107
	v_add_f64 v[48:49], v[30:31], v[46:47]
	v_add_f64 v[50:51], v[28:29], v[44:45]
	v_cvt_f32_f64_e32 v50, v[50:51]
	v_cvt_f32_f64_e32 v48, v[48:49]
	v_min3_f32 v106, v50, v48, v106
	v_add_f64 v[48:49], v[26:27], v[46:47]
	v_add_f64 v[50:51], v[24:25], v[44:45]
	v_cvt_f32_f64_e32 v50, v[50:51]
	v_cvt_f32_f64_e32 v48, v[48:49]
	v_min3_f32 v105, v50, v48, v105
	v_add_f64 v[48:49], v[18:19], v[46:47]
	v_add_f64 v[50:51], v[16:17], v[44:45]
	v_cvt_f32_f64_e32 v50, v[50:51]
	v_cvt_f32_f64_e32 v48, v[48:49]
	v_min3_f32 v104, v50, v48, v104
	v_add_f64 v[48:49], v[14:15], v[46:47]
	v_add_f64 v[50:51], v[12:13], v[44:45]
	v_cvt_f32_f64_e32 v50, v[50:51]
	v_cvt_f32_f64_e32 v48, v[48:49]
	v_min3_f32 v103, v50, v48, v103
	v_add_f64 v[48:49], v[10:11], v[46:47]
	v_add_f64 v[50:51], v[8:9], v[44:45]
	v_cvt_f32_f64_e32 v50, v[50:51]
	v_cvt_f32_f64_e32 v48, v[48:49]
	v_min3_f32 v102, v50, v48, v102
	v_add_f64 v[48:49], v[6:7], v[46:47]
	v_add_f64 v[50:51], v[4:5], v[44:45]
	v_add_f64 v[46:47], v[2:3], v[46:47]
	v_add_f64 v[44:45], v[0:1], v[44:45]
	v_cvt_f32_f64_e32 v44, v[44:45]
	v_cvt_f32_f64_e32 v45, v[46:47]
	v_min3_f32 v100, v44, v45, v100
	s_waitcnt lgkmcnt(2)
	v_add_f64 v[44:45], v[34:35], v[42:43]
	v_add_f64 v[46:47], v[32:33], v[40:41]
	v_cvt_f32_f64_e32 v46, v[46:47]
	v_cvt_f32_f64_e32 v44, v[44:45]
	v_min3_f32 v99, v46, v44, v99
	v_add_f64 v[44:45], v[30:31], v[42:43]
	v_add_f64 v[46:47], v[28:29], v[40:41]
	v_cvt_f32_f64_e32 v46, v[46:47]
	v_cvt_f32_f64_e32 v44, v[44:45]
	v_min3_f32 v98, v46, v44, v98
	v_add_f64 v[44:45], v[26:27], v[42:43]
	v_add_f64 v[46:47], v[24:25], v[40:41]
	v_cvt_f32_f64_e32 v46, v[46:47]
	v_cvt_f32_f64_e32 v44, v[44:45]
	v_min3_f32 v97, v46, v44, v97
	v_add_f64 v[44:45], v[18:19], v[42:43]
	v_add_f64 v[46:47], v[16:17], v[40:41]
	v_cvt_f32_f64_e32 v46, v[46:47]
	v_cvt_f32_f64_e32 v44, v[44:45]
	v_min3_f32 v96, v46, v44, v96
	v_add_f64 v[44:45], v[14:15], v[42:43]
	v_add_f64 v[46:47], v[12:13], v[40:41]
	v_cvt_f32_f64_e32 v46, v[46:47]
	v_cvt_f32_f64_e32 v44, v[44:45]
	v_min3_f32 v95, v46, v44, v95
	v_add_f64 v[44:45], v[10:11], v[42:43]
	v_add_f64 v[46:47], v[8:9], v[40:41]
	v_cvt_f32_f64_e32 v46, v[46:47]
	v_cvt_f32_f64_e32 v44, v[44:45]
	v_min3_f32 v94, v46, v44, v94
	v_add_f64 v[44:45], v[6:7], v[42:43]
	v_add_f64 v[46:47], v[4:5], v[40:41]
	v_add_f64 v[42:43], v[2:3], v[42:43]
	v_add_f64 v[40:41], v[0:1], v[40:41]
	v_cvt_f32_f64_e32 v40, v[40:41]
	v_cvt_f32_f64_e32 v41, v[42:43]
	v_min3_f32 v92, v40, v41, v92
	s_waitcnt lgkmcnt(1)
	v_add_f64 v[40:41], v[34:35], v[38:39]
	v_add_f64 v[42:43], v[32:33], v[36:37]
	v_cvt_f32_f64_e32 v42, v[42:43]
	v_cvt_f32_f64_e32 v40, v[40:41]
	v_min3_f32 v91, v42, v40, v91
	v_add_f64 v[40:41], v[30:31], v[38:39]
	v_add_f64 v[42:43], v[28:29], v[36:37]
	v_cvt_f32_f64_e32 v42, v[42:43]
	v_cvt_f32_f64_e32 v40, v[40:41]
	v_min3_f32 v90, v42, v40, v90
	;; [unrolled: 5-line block ×6, first 2 shown]
	v_add_f64 v[40:41], v[6:7], v[38:39]
	v_add_f64 v[42:43], v[4:5], v[36:37]
	;; [unrolled: 1-line block ×4, first 2 shown]
	s_waitcnt lgkmcnt(0)
	v_add_f64 v[34:35], v[34:35], v[22:23]
	v_add_f64 v[32:33], v[32:33], v[20:21]
	;; [unrolled: 1-line block ×16, first 2 shown]
	v_cvt_f32_f64_e32 v152, v[152:153]
	v_cvt_f32_f64_e32 v150, v[150:151]
	;; [unrolled: 1-line block ×32, first 2 shown]
	v_min3_f32 v135, v152, v150, v135
	v_min3_f32 v125, v148, v146, v125
	v_min3_f32 v117, v58, v56, v117
	v_min3_f32 v109, v54, v52, v109
	v_min3_f32 v101, v50, v48, v101
	v_min3_f32 v93, v46, v44, v93
	v_min3_f32 v85, v42, v40, v85
	v_min3_f32 v84, v36, v37, v84
	v_min3_f32 v83, v32, v33, v83
	v_min3_f32 v82, v28, v29, v82
	v_min3_f32 v81, v24, v25, v81
	v_min3_f32 v80, v16, v17, v80
	v_min3_f32 v79, v12, v13, v79
	v_min3_f32 v78, v8, v9, v78
	v_min3_f32 v65, v4, v5, v65
	v_min3_f32 v61, v0, v1, v61
	s_mov_b32 s23, 2
	s_mov_b64 s[2:3], 0
	s_cbranch_vccz .LBB117_38
; %bb.39:                               ;   in Loop: Header=BB117_29 Depth=1
	s_and_b64 vcc, exec, s[4:5]
	v_add_u32_e32 v0, s6, v64
	ds_write_b64 v143, v[68:69]
	ds_write2st64_b64 v142, v[70:71], v[72:73] offset1:4
	ds_write2st64_b64 v142, v[74:75], v[76:77] offset0:8 offset1:12
	s_waitcnt lgkmcnt(0)
	s_barrier
	s_cbranch_vccnz .LBB117_41
; %bb.40:                               ;   in Loop: Header=BB117_29 Depth=1
	v_mad_u64_u32 v[2:3], s[2:3], v0, s28, 0
	v_mov_b32_e32 v4, v3
	v_mad_u64_u32 v[4:5], s[2:3], v0, s29, v[4:5]
	v_mov_b32_e32 v3, v4
	v_lshl_add_u64 v[2:3], v[2:3], 3, v[66:67]
	flat_load_dwordx2 v[2:3], v[2:3]
	s_waitcnt vmcnt(0) lgkmcnt(0)
	v_mul_f64 v[68:69], s[18:19], v[2:3]
	s_branch .LBB117_42
.LBB117_41:                             ;   in Loop: Header=BB117_29 Depth=1
	v_mov_b64_e32 v[68:69], 0
.LBB117_42:                             ;   in Loop: Header=BB117_29 Depth=1
	v_mad_u64_u32 v[2:3], s[2:3], v0, s15, 0
	v_mov_b32_e32 v4, v3
	v_mad_u64_u32 v[0:1], s[2:3], v0, s25, v[4:5]
	v_mov_b32_e32 v3, v0
	v_lshl_add_u64 v[0:1], v[2:3], 3, s[20:21]
	s_and_b64 vcc, exec, s[4:5]
	v_lshl_add_u64 v[0:1], v[62:63], 3, v[0:1]
	s_cbranch_vccnz .LBB117_45
; %bb.43:                               ;   in Loop: Header=BB117_29 Depth=1
	flat_load_dwordx2 v[2:3], v[0:1]
	flat_load_dwordx2 v[4:5], v[0:1] offset:512
	s_waitcnt vmcnt(0) lgkmcnt(0)
	v_mul_f64 v[70:71], s[18:19], v[2:3]
	v_mul_f64 v[72:73], s[18:19], v[4:5]
	s_and_b64 vcc, exec, s[4:5]
	s_cbranch_vccnz .LBB117_46
.LBB117_44:                             ;   in Loop: Header=BB117_29 Depth=1
	flat_load_dwordx2 v[2:3], v[0:1] offset:1024
	flat_load_dwordx2 v[4:5], v[0:1] offset:1536
	s_waitcnt vmcnt(0) lgkmcnt(0)
	v_mul_f64 v[74:75], s[18:19], v[2:3]
	v_mul_f64 v[76:77], s[18:19], v[4:5]
	s_branch .LBB117_47
.LBB117_45:                             ;   in Loop: Header=BB117_29 Depth=1
	v_mov_b64_e32 v[70:71], 0
	v_mov_b64_e32 v[72:73], 0
	s_and_b64 vcc, exec, s[4:5]
	s_cbranch_vccz .LBB117_44
.LBB117_46:                             ;   in Loop: Header=BB117_29 Depth=1
	v_mov_b64_e32 v[74:75], 0
	v_mov_b64_e32 v[76:77], 0
.LBB117_47:                             ;   in Loop: Header=BB117_29 Depth=1
	s_mov_b32 s23, 0
	s_mov_b64 s[2:3], -1
.LBB117_48:                             ;   Parent Loop BB117_29 Depth=1
                                        ; =>  This Inner Loop Header: Depth=2
	v_cndmask_b32_e64 v0, 0, 1, s[2:3]
	s_lshl_b32 s2, s23, 3
	v_cmp_ne_u32_e32 vcc, 1, v0
	v_lshl_add_u32 v0, v131, 5, s2
	v_lshl_add_u32 v20, v132, 5, s2
	ds_read_b128 v[32:35], v0 offset:16384
	ds_read_b128 v[28:31], v0 offset:16640
	;; [unrolled: 1-line block ×8, first 2 shown]
	ds_read_b128 v[146:149], v20
	ds_read_b128 v[56:59], v20 offset:1024
	ds_read_b128 v[52:55], v20 offset:2048
	;; [unrolled: 1-line block ×7, first 2 shown]
	s_waitcnt lgkmcnt(7)
	v_add_f64 v[150:151], v[34:35], v[148:149]
	v_add_f64 v[152:153], v[32:33], v[146:147]
	v_cvt_f32_f64_e32 v152, v[152:153]
	v_cvt_f32_f64_e32 v150, v[150:151]
	v_min3_f32 v141, v152, v150, v141
	v_add_f64 v[150:151], v[30:31], v[148:149]
	v_add_f64 v[152:153], v[28:29], v[146:147]
	v_cvt_f32_f64_e32 v152, v[152:153]
	v_cvt_f32_f64_e32 v150, v[150:151]
	v_min3_f32 v140, v152, v150, v140
	v_add_f64 v[150:151], v[26:27], v[148:149]
	v_add_f64 v[152:153], v[24:25], v[146:147]
	v_cvt_f32_f64_e32 v152, v[152:153]
	v_cvt_f32_f64_e32 v150, v[150:151]
	v_min3_f32 v139, v152, v150, v139
	v_add_f64 v[150:151], v[18:19], v[148:149]
	v_add_f64 v[152:153], v[16:17], v[146:147]
	v_cvt_f32_f64_e32 v152, v[152:153]
	v_cvt_f32_f64_e32 v150, v[150:151]
	v_min3_f32 v138, v152, v150, v138
	v_add_f64 v[150:151], v[14:15], v[148:149]
	v_add_f64 v[152:153], v[12:13], v[146:147]
	v_cvt_f32_f64_e32 v152, v[152:153]
	v_cvt_f32_f64_e32 v150, v[150:151]
	v_min3_f32 v137, v152, v150, v137
	v_add_f64 v[150:151], v[10:11], v[148:149]
	v_add_f64 v[152:153], v[8:9], v[146:147]
	v_cvt_f32_f64_e32 v152, v[152:153]
	v_cvt_f32_f64_e32 v150, v[150:151]
	v_min3_f32 v136, v152, v150, v136
	v_add_f64 v[150:151], v[6:7], v[148:149]
	v_add_f64 v[152:153], v[4:5], v[146:147]
	v_add_f64 v[148:149], v[2:3], v[148:149]
	v_add_f64 v[146:147], v[0:1], v[146:147]
	v_cvt_f32_f64_e32 v146, v[146:147]
	v_cvt_f32_f64_e32 v147, v[148:149]
	v_min3_f32 v134, v146, v147, v134
	s_waitcnt lgkmcnt(6)
	v_add_f64 v[146:147], v[34:35], v[58:59]
	v_add_f64 v[148:149], v[32:33], v[56:57]
	v_cvt_f32_f64_e32 v148, v[148:149]
	v_cvt_f32_f64_e32 v146, v[146:147]
	v_min3_f32 v133, v148, v146, v133
	v_add_f64 v[146:147], v[30:31], v[58:59]
	v_add_f64 v[148:149], v[28:29], v[56:57]
	v_cvt_f32_f64_e32 v148, v[148:149]
	v_cvt_f32_f64_e32 v146, v[146:147]
	v_min3_f32 v130, v148, v146, v130
	v_add_f64 v[146:147], v[26:27], v[58:59]
	v_add_f64 v[148:149], v[24:25], v[56:57]
	v_cvt_f32_f64_e32 v148, v[148:149]
	v_cvt_f32_f64_e32 v146, v[146:147]
	v_min3_f32 v129, v148, v146, v129
	v_add_f64 v[146:147], v[18:19], v[58:59]
	v_add_f64 v[148:149], v[16:17], v[56:57]
	v_cvt_f32_f64_e32 v148, v[148:149]
	v_cvt_f32_f64_e32 v146, v[146:147]
	v_min3_f32 v128, v148, v146, v128
	v_add_f64 v[146:147], v[14:15], v[58:59]
	v_add_f64 v[148:149], v[12:13], v[56:57]
	v_cvt_f32_f64_e32 v148, v[148:149]
	v_cvt_f32_f64_e32 v146, v[146:147]
	v_min3_f32 v127, v148, v146, v127
	v_add_f64 v[146:147], v[10:11], v[58:59]
	v_add_f64 v[148:149], v[8:9], v[56:57]
	v_cvt_f32_f64_e32 v148, v[148:149]
	v_cvt_f32_f64_e32 v146, v[146:147]
	v_min3_f32 v126, v148, v146, v126
	v_add_f64 v[146:147], v[6:7], v[58:59]
	v_add_f64 v[148:149], v[4:5], v[56:57]
	v_add_f64 v[58:59], v[2:3], v[58:59]
	v_add_f64 v[56:57], v[0:1], v[56:57]
	v_cvt_f32_f64_e32 v56, v[56:57]
	v_cvt_f32_f64_e32 v57, v[58:59]
	v_min3_f32 v124, v56, v57, v124
	;; [unrolled: 38-line block ×6, first 2 shown]
	s_waitcnt lgkmcnt(1)
	v_add_f64 v[40:41], v[34:35], v[38:39]
	v_add_f64 v[42:43], v[32:33], v[36:37]
	v_cvt_f32_f64_e32 v42, v[42:43]
	v_cvt_f32_f64_e32 v40, v[40:41]
	v_min3_f32 v91, v42, v40, v91
	v_add_f64 v[40:41], v[30:31], v[38:39]
	v_add_f64 v[42:43], v[28:29], v[36:37]
	v_cvt_f32_f64_e32 v42, v[42:43]
	v_cvt_f32_f64_e32 v40, v[40:41]
	v_min3_f32 v90, v42, v40, v90
	;; [unrolled: 5-line block ×6, first 2 shown]
	v_add_f64 v[40:41], v[6:7], v[38:39]
	v_add_f64 v[42:43], v[4:5], v[36:37]
	;; [unrolled: 1-line block ×4, first 2 shown]
	s_waitcnt lgkmcnt(0)
	v_add_f64 v[34:35], v[34:35], v[22:23]
	v_add_f64 v[32:33], v[32:33], v[20:21]
	;; [unrolled: 1-line block ×16, first 2 shown]
	v_cvt_f32_f64_e32 v152, v[152:153]
	v_cvt_f32_f64_e32 v150, v[150:151]
	;; [unrolled: 1-line block ×32, first 2 shown]
	v_min3_f32 v135, v152, v150, v135
	v_min3_f32 v125, v148, v146, v125
	;; [unrolled: 1-line block ×16, first 2 shown]
	s_mov_b32 s23, 2
	s_mov_b64 s[2:3], 0
	s_cbranch_vccz .LBB117_48
; %bb.49:                               ;   in Loop: Header=BB117_29 Depth=1
	s_add_i32 s6, s6, 8
	s_add_i32 s22, s22, 8
	s_cmp_ge_i32 s22, s7
	ds_write_b64 v144, v[68:69]
	ds_write2st64_b64 v145, v[70:71], v[72:73] offset1:4
	ds_write2st64_b64 v145, v[74:75], v[76:77] offset0:8 offset1:12
	s_waitcnt lgkmcnt(0)
	s_barrier
	s_cbranch_scc0 .LBB117_29
.LBB117_50:
	s_mov_b32 s4, 0
	s_mov_b64 s[2:3], -1
.LBB117_51:                             ; =>This Inner Loop Header: Depth=1
	v_cndmask_b32_e64 v0, 0, 1, s[2:3]
	s_lshl_b32 s2, s4, 3
	v_cmp_ne_u32_e32 vcc, 1, v0
	v_lshl_add_u32 v0, v131, 5, s2
	v_lshl_add_u32 v20, v132, 5, s2
	ds_read_b128 v[32:35], v0 offset:18432
	ds_read_b128 v[28:31], v0 offset:18688
	;; [unrolled: 1-line block ×16, first 2 shown]
	s_waitcnt lgkmcnt(7)
	v_add_f64 v[62:63], v[34:35], v[68:69]
	v_add_f64 v[70:71], v[32:33], v[66:67]
	v_cvt_f32_f64_e32 v60, v[70:71]
	v_cvt_f32_f64_e32 v62, v[62:63]
	v_min3_f32 v141, v60, v62, v141
	v_add_f64 v[62:63], v[30:31], v[68:69]
	v_add_f64 v[70:71], v[28:29], v[66:67]
	v_cvt_f32_f64_e32 v60, v[70:71]
	v_cvt_f32_f64_e32 v62, v[62:63]
	v_min3_f32 v140, v60, v62, v140
	;; [unrolled: 5-line block ×8, first 2 shown]
	s_waitcnt lgkmcnt(6)
	v_add_f64 v[62:63], v[34:35], v[58:59]
	v_add_f64 v[66:67], v[32:33], v[56:57]
	v_cvt_f32_f64_e32 v60, v[66:67]
	v_cvt_f32_f64_e32 v62, v[62:63]
	v_min3_f32 v133, v60, v62, v133
	v_add_f64 v[62:63], v[30:31], v[58:59]
	v_add_f64 v[66:67], v[28:29], v[56:57]
	v_cvt_f32_f64_e32 v60, v[66:67]
	v_cvt_f32_f64_e32 v62, v[62:63]
	v_min3_f32 v130, v60, v62, v130
	v_add_f64 v[62:63], v[26:27], v[58:59]
	v_add_f64 v[66:67], v[24:25], v[56:57]
	v_cvt_f32_f64_e32 v60, v[66:67]
	v_cvt_f32_f64_e32 v62, v[62:63]
	v_min3_f32 v129, v60, v62, v129
	v_add_f64 v[62:63], v[18:19], v[58:59]
	v_add_f64 v[66:67], v[16:17], v[56:57]
	v_cvt_f32_f64_e32 v60, v[66:67]
	v_cvt_f32_f64_e32 v62, v[62:63]
	v_min3_f32 v128, v60, v62, v128
	v_add_f64 v[62:63], v[14:15], v[58:59]
	v_add_f64 v[66:67], v[12:13], v[56:57]
	v_cvt_f32_f64_e32 v60, v[66:67]
	v_cvt_f32_f64_e32 v62, v[62:63]
	v_min3_f32 v127, v60, v62, v127
	v_add_f64 v[62:63], v[10:11], v[58:59]
	v_add_f64 v[66:67], v[8:9], v[56:57]
	v_cvt_f32_f64_e32 v60, v[66:67]
	v_cvt_f32_f64_e32 v62, v[62:63]
	v_min3_f32 v126, v60, v62, v126
	v_add_f64 v[62:63], v[6:7], v[58:59]
	v_add_f64 v[66:67], v[4:5], v[56:57]
	v_add_f64 v[58:59], v[2:3], v[58:59]
	v_add_f64 v[56:57], v[0:1], v[56:57]
	v_cvt_f32_f64_e32 v56, v[56:57]
	v_cvt_f32_f64_e32 v57, v[58:59]
	v_min3_f32 v124, v56, v57, v124
	s_waitcnt lgkmcnt(5)
	v_add_f64 v[56:57], v[34:35], v[54:55]
	v_add_f64 v[58:59], v[32:33], v[52:53]
	v_cvt_f32_f64_e32 v58, v[58:59]
	v_cvt_f32_f64_e32 v56, v[56:57]
	v_min3_f32 v123, v58, v56, v123
	v_add_f64 v[56:57], v[30:31], v[54:55]
	v_add_f64 v[58:59], v[28:29], v[52:53]
	v_cvt_f32_f64_e32 v58, v[58:59]
	v_cvt_f32_f64_e32 v56, v[56:57]
	v_min3_f32 v122, v58, v56, v122
	v_add_f64 v[56:57], v[26:27], v[54:55]
	v_add_f64 v[58:59], v[24:25], v[52:53]
	v_cvt_f32_f64_e32 v58, v[58:59]
	v_cvt_f32_f64_e32 v56, v[56:57]
	v_min3_f32 v121, v58, v56, v121
	v_add_f64 v[56:57], v[18:19], v[54:55]
	v_add_f64 v[58:59], v[16:17], v[52:53]
	v_cvt_f32_f64_e32 v58, v[58:59]
	v_cvt_f32_f64_e32 v56, v[56:57]
	v_min3_f32 v120, v58, v56, v120
	v_add_f64 v[56:57], v[14:15], v[54:55]
	v_add_f64 v[58:59], v[12:13], v[52:53]
	v_cvt_f32_f64_e32 v58, v[58:59]
	v_cvt_f32_f64_e32 v56, v[56:57]
	v_min3_f32 v119, v58, v56, v119
	v_add_f64 v[56:57], v[10:11], v[54:55]
	v_add_f64 v[58:59], v[8:9], v[52:53]
	v_cvt_f32_f64_e32 v58, v[58:59]
	v_cvt_f32_f64_e32 v56, v[56:57]
	v_min3_f32 v118, v58, v56, v118
	v_add_f64 v[56:57], v[6:7], v[54:55]
	v_add_f64 v[58:59], v[4:5], v[52:53]
	v_add_f64 v[54:55], v[2:3], v[54:55]
	v_add_f64 v[52:53], v[0:1], v[52:53]
	v_cvt_f32_f64_e32 v52, v[52:53]
	v_cvt_f32_f64_e32 v53, v[54:55]
	v_min3_f32 v116, v52, v53, v116
	;; [unrolled: 38-line block ×5, first 2 shown]
	s_waitcnt lgkmcnt(1)
	v_add_f64 v[40:41], v[34:35], v[38:39]
	v_add_f64 v[42:43], v[32:33], v[36:37]
	v_cvt_f32_f64_e32 v42, v[42:43]
	v_cvt_f32_f64_e32 v40, v[40:41]
	v_min3_f32 v91, v42, v40, v91
	v_add_f64 v[40:41], v[30:31], v[38:39]
	v_add_f64 v[42:43], v[28:29], v[36:37]
	v_cvt_f32_f64_e32 v42, v[42:43]
	v_cvt_f32_f64_e32 v40, v[40:41]
	v_min3_f32 v90, v42, v40, v90
	v_add_f64 v[40:41], v[26:27], v[38:39]
	v_add_f64 v[42:43], v[24:25], v[36:37]
	v_cvt_f32_f64_e32 v42, v[42:43]
	v_cvt_f32_f64_e32 v40, v[40:41]
	v_min3_f32 v89, v42, v40, v89
	v_add_f64 v[40:41], v[18:19], v[38:39]
	v_add_f64 v[42:43], v[16:17], v[36:37]
	v_cvt_f32_f64_e32 v42, v[42:43]
	v_cvt_f32_f64_e32 v40, v[40:41]
	v_min3_f32 v88, v42, v40, v88
	v_add_f64 v[40:41], v[14:15], v[38:39]
	v_add_f64 v[42:43], v[12:13], v[36:37]
	v_cvt_f32_f64_e32 v42, v[42:43]
	v_cvt_f32_f64_e32 v40, v[40:41]
	v_min3_f32 v87, v42, v40, v87
	v_add_f64 v[40:41], v[10:11], v[38:39]
	v_add_f64 v[42:43], v[8:9], v[36:37]
	v_cvt_f32_f64_e32 v42, v[42:43]
	v_cvt_f32_f64_e32 v40, v[40:41]
	v_min3_f32 v86, v42, v40, v86
	v_add_f64 v[40:41], v[6:7], v[38:39]
	v_add_f64 v[42:43], v[4:5], v[36:37]
	;; [unrolled: 1-line block ×4, first 2 shown]
	s_waitcnt lgkmcnt(0)
	v_add_f64 v[34:35], v[34:35], v[22:23]
	v_add_f64 v[32:33], v[32:33], v[20:21]
	;; [unrolled: 1-line block ×16, first 2 shown]
	v_cvt_f32_f64_e32 v60, v[66:67]
	v_cvt_f32_f64_e32 v62, v[62:63]
	;; [unrolled: 1-line block ×30, first 2 shown]
	v_min3_f32 v125, v60, v62, v125
	v_min3_f32 v117, v58, v56, v117
	;; [unrolled: 1-line block ×15, first 2 shown]
	s_mov_b32 s4, 2
	s_mov_b64 s[2:3], 0
	s_cbranch_vccz .LBB117_51
; %bb.52:
	s_load_dwordx2 s[2:3], s[0:1], 0x78
	s_load_dword s6, s[0:1], 0x58
	s_load_dword s7, s[0:1], 0x70
	v_add_u32_e32 v8, s24, v131
	v_add_u32_e32 v30, s14, v132
	s_waitcnt lgkmcnt(0)
	s_lshl_b64 s[0:1], s[2:3], 3
	s_add_u32 s0, s12, s0
	s_addc_u32 s1, s13, s1
	v_add_u32_e32 v0, 8, v8
	v_mad_i64_i32 v[2:3], s[2:3], v30, s7, 0
	v_ashrrev_i32_e32 v9, 31, v8
	v_ashrrev_i32_e32 v1, 31, v0
	v_lshl_add_u64 v[24:25], v[2:3], 3, s[0:1]
	v_mad_i64_i32 v[2:3], s[2:3], v30, s6, 0
	v_max_f32_e32 v4, v141, v141
	s_mov_b64 vcc, s[8:9]
	s_cbranch_vccz .LBB117_55
; %bb.53:
	v_min_f32_e32 v5, 0, v4
	v_cvt_f64_f32_e32 v[6:7], v5
	v_lshl_add_u64 v[10:11], v[8:9], 3, v[24:25]
	global_store_dwordx2 v[10:11], v[6:7], off
	s_mov_b64 s[2:3], 0
	v_lshl_add_u64 v[26:27], v[2:3], 3, s[16:17]
	v_lshlrev_b64 v[12:13], 3, v[8:9]
	s_cbranch_execz .LBB117_56
; %bb.54:
	v_mov_b64_e32 v[4:5], s[2:3]
	s_branch .LBB117_57
.LBB117_55:
                                        ; implicit-def: $sgpr2_sgpr3
	v_lshl_add_u64 v[26:27], v[2:3], 3, s[16:17]
	v_lshlrev_b64 v[12:13], 3, v[8:9]
.LBB117_56:
	v_lshl_add_u64 v[2:3], v[26:27], 0, v[12:13]
	flat_load_dwordx2 v[2:3], v[2:3]
	v_lshl_add_u64 v[6:7], v[24:25], 0, v[12:13]
	s_waitcnt vmcnt(0) lgkmcnt(0)
	v_mul_f64 v[2:3], s[10:11], v[2:3]
	v_cvt_f32_f64_e32 v2, v[2:3]
	v_min_f32_e32 v2, v2, v4
	v_cvt_f64_f32_e32 v[2:3], v2
	global_store_dwordx2 v[6:7], v[2:3], off
	v_lshl_add_u64 v[2:3], v[0:1], 3, v[26:27]
	flat_load_dwordx2 v[2:3], v[2:3]
	s_waitcnt vmcnt(0) lgkmcnt(0)
	v_mul_f64 v[4:5], s[10:11], v[2:3]
.LBB117_57:
	v_cvt_f32_f64_e32 v4, v[4:5]
	v_max_f32_e32 v5, v140, v140
	v_min_f32_e32 v4, v4, v5
	v_add_u32_e32 v10, 16, v8
	v_add_u32_e32 v2, 24, v8
	v_cvt_f64_f32_e32 v[4:5], v4
	v_lshl_add_u64 v[6:7], v[0:1], 3, v[24:25]
	v_ashrrev_i32_e32 v11, 31, v10
	v_ashrrev_i32_e32 v3, 31, v2
	global_store_dwordx2 v[6:7], v[4:5], off
	v_max_f32_e32 v4, v139, v139
	s_mov_b64 vcc, s[8:9]
	s_cbranch_vccz .LBB117_60
; %bb.58:
	v_min_f32_e32 v5, 0, v4
	v_cvt_f64_f32_e32 v[6:7], v5
	v_lshl_add_u64 v[14:15], v[10:11], 3, v[24:25]
	global_store_dwordx2 v[14:15], v[6:7], off
	s_mov_b64 s[2:3], 0
	v_lshlrev_b64 v[16:17], 3, v[10:11]
	s_cbranch_execz .LBB117_61
; %bb.59:
	v_mov_b64_e32 v[6:7], s[2:3]
	s_branch .LBB117_62
.LBB117_60:
                                        ; implicit-def: $sgpr2_sgpr3
	v_lshlrev_b64 v[16:17], 3, v[10:11]
.LBB117_61:
	v_lshl_add_u64 v[6:7], v[26:27], 0, v[16:17]
	flat_load_dwordx2 v[6:7], v[6:7]
	v_lshl_add_u64 v[14:15], v[24:25], 0, v[16:17]
	s_waitcnt vmcnt(0) lgkmcnt(0)
	v_mul_f64 v[6:7], s[10:11], v[6:7]
	v_cvt_f32_f64_e32 v5, v[6:7]
	v_min_f32_e32 v4, v5, v4
	v_cvt_f64_f32_e32 v[4:5], v4
	global_store_dwordx2 v[14:15], v[4:5], off
	v_lshl_add_u64 v[4:5], v[2:3], 3, v[26:27]
	flat_load_dwordx2 v[4:5], v[4:5]
	s_waitcnt vmcnt(0) lgkmcnt(0)
	v_mul_f64 v[6:7], s[10:11], v[4:5]
.LBB117_62:
	v_cvt_f32_f64_e32 v6, v[6:7]
	v_max_f32_e32 v7, v138, v138
	v_min_f32_e32 v6, v6, v7
	v_add_u32_e32 v14, 32, v8
	v_add_u32_e32 v4, 40, v8
	v_cvt_f64_f32_e32 v[6:7], v6
	v_lshl_add_u64 v[18:19], v[2:3], 3, v[24:25]
	v_ashrrev_i32_e32 v15, 31, v14
	v_ashrrev_i32_e32 v5, 31, v4
	global_store_dwordx2 v[18:19], v[6:7], off
	v_max_f32_e32 v6, v137, v137
	s_mov_b64 vcc, s[8:9]
	s_cbranch_vccz .LBB117_65
; %bb.63:
	v_min_f32_e32 v7, 0, v6
	v_cvt_f64_f32_e32 v[18:19], v7
	v_lshl_add_u64 v[20:21], v[14:15], 3, v[24:25]
	global_store_dwordx2 v[20:21], v[18:19], off
	s_mov_b64 s[2:3], 0
	v_lshlrev_b64 v[20:21], 3, v[14:15]
	s_cbranch_execz .LBB117_66
; %bb.64:
	v_mov_b64_e32 v[22:23], s[2:3]
	s_branch .LBB117_67
.LBB117_65:
                                        ; implicit-def: $sgpr2_sgpr3
	v_lshlrev_b64 v[20:21], 3, v[14:15]
.LBB117_66:
	v_lshl_add_u64 v[18:19], v[26:27], 0, v[20:21]
	flat_load_dwordx2 v[18:19], v[18:19]
	v_lshl_add_u64 v[22:23], v[24:25], 0, v[20:21]
	s_waitcnt vmcnt(0) lgkmcnt(0)
	v_mul_f64 v[18:19], s[10:11], v[18:19]
	v_cvt_f32_f64_e32 v7, v[18:19]
	v_min_f32_e32 v6, v7, v6
	v_cvt_f64_f32_e32 v[6:7], v6
	global_store_dwordx2 v[22:23], v[6:7], off
	v_lshl_add_u64 v[6:7], v[4:5], 3, v[26:27]
	flat_load_dwordx2 v[6:7], v[6:7]
	s_waitcnt vmcnt(0) lgkmcnt(0)
	v_mul_f64 v[22:23], s[10:11], v[6:7]
.LBB117_67:
	v_cvt_f32_f64_e32 v22, v[22:23]
	v_max_f32_e32 v23, v136, v136
	v_min_f32_e32 v22, v22, v23
	v_add_u32_e32 v18, 48, v8
	v_add_u32_e32 v6, 56, v8
	v_cvt_f64_f32_e32 v[22:23], v22
	v_lshl_add_u64 v[28:29], v[4:5], 3, v[24:25]
	v_ashrrev_i32_e32 v19, 31, v18
	v_ashrrev_i32_e32 v7, 31, v6
	global_store_dwordx2 v[28:29], v[22:23], off
	v_max_f32_e32 v28, v135, v135
	s_mov_b64 vcc, s[8:9]
	s_cbranch_vccz .LBB117_70
; %bb.68:
	v_min_f32_e32 v22, 0, v28
	v_cvt_f64_f32_e32 v[22:23], v22
	v_lshl_add_u64 v[32:33], v[18:19], 3, v[24:25]
	global_store_dwordx2 v[32:33], v[22:23], off
	s_mov_b64 s[2:3], 0
	v_lshlrev_b64 v[22:23], 3, v[18:19]
	s_cbranch_execz .LBB117_71
; %bb.69:
	v_mov_b64_e32 v[26:27], s[2:3]
	s_branch .LBB117_72
.LBB117_70:
                                        ; implicit-def: $sgpr2_sgpr3
	v_lshlrev_b64 v[22:23], 3, v[18:19]
.LBB117_71:
	v_lshl_add_u64 v[32:33], v[26:27], 0, v[22:23]
	flat_load_dwordx2 v[32:33], v[32:33]
	v_lshl_add_u64 v[34:35], v[24:25], 0, v[22:23]
	v_lshl_add_u64 v[26:27], v[6:7], 3, v[26:27]
	s_waitcnt vmcnt(0) lgkmcnt(0)
	v_mul_f64 v[32:33], s[10:11], v[32:33]
	v_cvt_f32_f64_e32 v29, v[32:33]
	v_min_f32_e32 v28, v29, v28
	v_cvt_f64_f32_e32 v[28:29], v28
	global_store_dwordx2 v[34:35], v[28:29], off
	flat_load_dwordx2 v[26:27], v[26:27]
	s_waitcnt vmcnt(0) lgkmcnt(0)
	v_mul_f64 v[26:27], s[10:11], v[26:27]
.LBB117_72:
	v_cvt_f32_f64_e32 v26, v[26:27]
	v_max_f32_e32 v27, v134, v134
	v_min_f32_e32 v26, v26, v27
	v_cvt_f64_f32_e32 v[26:27], v26
	v_lshl_add_u64 v[24:25], v[6:7], 3, v[24:25]
	global_store_dwordx2 v[24:25], v[26:27], off
	v_add_u32_e32 v26, 32, v30
	v_mad_i64_i32 v[24:25], s[2:3], v26, s7, 0
	v_lshl_add_u64 v[24:25], v[24:25], 3, s[0:1]
	v_mad_i64_i32 v[26:27], s[2:3], v26, s6, 0
	v_max_f32_e32 v28, v133, v133
	s_mov_b64 vcc, s[8:9]
	s_cbranch_vccz .LBB117_75
; %bb.73:
	v_min_f32_e32 v29, 0, v28
	v_cvt_f64_f32_e32 v[32:33], v29
	v_lshl_add_u64 v[34:35], v[8:9], 3, v[24:25]
	global_store_dwordx2 v[34:35], v[32:33], off
	s_mov_b64 s[2:3], 0
	v_lshl_add_u64 v[26:27], v[26:27], 3, s[16:17]
	s_cbranch_execz .LBB117_76
; %bb.74:
	v_mov_b64_e32 v[28:29], s[2:3]
	s_branch .LBB117_77
.LBB117_75:
                                        ; implicit-def: $sgpr2_sgpr3
	v_lshl_add_u64 v[26:27], v[26:27], 3, s[16:17]
.LBB117_76:
	v_lshl_add_u64 v[32:33], v[26:27], 0, v[12:13]
	flat_load_dwordx2 v[32:33], v[32:33]
	v_lshl_add_u64 v[34:35], v[24:25], 0, v[12:13]
	s_waitcnt vmcnt(0) lgkmcnt(0)
	v_mul_f64 v[32:33], s[10:11], v[32:33]
	v_cvt_f32_f64_e32 v29, v[32:33]
	v_min_f32_e32 v28, v29, v28
	v_cvt_f64_f32_e32 v[28:29], v28
	global_store_dwordx2 v[34:35], v[28:29], off
	v_lshl_add_u64 v[28:29], v[0:1], 3, v[26:27]
	flat_load_dwordx2 v[28:29], v[28:29]
	s_waitcnt vmcnt(0) lgkmcnt(0)
	v_mul_f64 v[28:29], s[10:11], v[28:29]
.LBB117_77:
	v_cvt_f32_f64_e32 v28, v[28:29]
	v_max_f32_e32 v29, v130, v130
	v_min_f32_e32 v28, v28, v29
	v_cvt_f64_f32_e32 v[28:29], v28
	v_lshl_add_u64 v[32:33], v[0:1], 3, v[24:25]
	global_store_dwordx2 v[32:33], v[28:29], off
	v_max_f32_e32 v28, v129, v129
	s_mov_b64 vcc, s[8:9]
	s_cbranch_vccz .LBB117_80
; %bb.78:
	v_min_f32_e32 v29, 0, v28
	v_cvt_f64_f32_e32 v[32:33], v29
	v_lshl_add_u64 v[34:35], v[10:11], 3, v[24:25]
	global_store_dwordx2 v[34:35], v[32:33], off
	s_mov_b64 s[2:3], 0
	s_cbranch_execz .LBB117_81
; %bb.79:
	v_mov_b64_e32 v[28:29], s[2:3]
	s_branch .LBB117_82
.LBB117_80:
                                        ; implicit-def: $sgpr2_sgpr3
.LBB117_81:
	v_lshl_add_u64 v[32:33], v[26:27], 0, v[16:17]
	flat_load_dwordx2 v[32:33], v[32:33]
	v_lshl_add_u64 v[34:35], v[24:25], 0, v[16:17]
	s_waitcnt vmcnt(0) lgkmcnt(0)
	v_mul_f64 v[32:33], s[10:11], v[32:33]
	v_cvt_f32_f64_e32 v29, v[32:33]
	v_min_f32_e32 v28, v29, v28
	v_cvt_f64_f32_e32 v[28:29], v28
	global_store_dwordx2 v[34:35], v[28:29], off
	v_lshl_add_u64 v[28:29], v[2:3], 3, v[26:27]
	flat_load_dwordx2 v[28:29], v[28:29]
	s_waitcnt vmcnt(0) lgkmcnt(0)
	v_mul_f64 v[28:29], s[10:11], v[28:29]
.LBB117_82:
	v_cvt_f32_f64_e32 v28, v[28:29]
	v_max_f32_e32 v29, v128, v128
	v_min_f32_e32 v28, v28, v29
	v_cvt_f64_f32_e32 v[28:29], v28
	v_lshl_add_u64 v[32:33], v[2:3], 3, v[24:25]
	global_store_dwordx2 v[32:33], v[28:29], off
	v_max_f32_e32 v28, v127, v127
	s_mov_b64 vcc, s[8:9]
	s_cbranch_vccz .LBB117_85
; %bb.83:
	v_min_f32_e32 v29, 0, v28
	v_cvt_f64_f32_e32 v[32:33], v29
	v_lshl_add_u64 v[34:35], v[14:15], 3, v[24:25]
	global_store_dwordx2 v[34:35], v[32:33], off
	s_mov_b64 s[2:3], 0
	s_cbranch_execz .LBB117_86
; %bb.84:
	v_mov_b64_e32 v[28:29], s[2:3]
	s_branch .LBB117_87
.LBB117_85:
                                        ; implicit-def: $sgpr2_sgpr3
.LBB117_86:
	v_lshl_add_u64 v[32:33], v[26:27], 0, v[20:21]
	flat_load_dwordx2 v[32:33], v[32:33]
	v_lshl_add_u64 v[34:35], v[24:25], 0, v[20:21]
	s_waitcnt vmcnt(0) lgkmcnt(0)
	v_mul_f64 v[32:33], s[10:11], v[32:33]
	v_cvt_f32_f64_e32 v29, v[32:33]
	v_min_f32_e32 v28, v29, v28
	v_cvt_f64_f32_e32 v[28:29], v28
	global_store_dwordx2 v[34:35], v[28:29], off
	v_lshl_add_u64 v[28:29], v[4:5], 3, v[26:27]
	flat_load_dwordx2 v[28:29], v[28:29]
	s_waitcnt vmcnt(0) lgkmcnt(0)
	v_mul_f64 v[28:29], s[10:11], v[28:29]
.LBB117_87:
	v_cvt_f32_f64_e32 v28, v[28:29]
	v_max_f32_e32 v29, v126, v126
	v_min_f32_e32 v28, v28, v29
	v_cvt_f64_f32_e32 v[28:29], v28
	v_lshl_add_u64 v[32:33], v[4:5], 3, v[24:25]
	global_store_dwordx2 v[32:33], v[28:29], off
	v_max_f32_e32 v28, v125, v125
	s_mov_b64 vcc, s[8:9]
	s_cbranch_vccz .LBB117_90
; %bb.88:
	v_min_f32_e32 v29, 0, v28
	v_cvt_f64_f32_e32 v[32:33], v29
	v_lshl_add_u64 v[34:35], v[18:19], 3, v[24:25]
	global_store_dwordx2 v[34:35], v[32:33], off
	s_mov_b64 s[2:3], 0
	s_cbranch_execz .LBB117_91
; %bb.89:
	v_mov_b64_e32 v[26:27], s[2:3]
	s_branch .LBB117_92
.LBB117_90:
                                        ; implicit-def: $sgpr2_sgpr3
.LBB117_91:
	v_lshl_add_u64 v[32:33], v[26:27], 0, v[22:23]
	flat_load_dwordx2 v[32:33], v[32:33]
	v_lshl_add_u64 v[34:35], v[24:25], 0, v[22:23]
	v_lshl_add_u64 v[26:27], v[6:7], 3, v[26:27]
	s_waitcnt vmcnt(0) lgkmcnt(0)
	v_mul_f64 v[32:33], s[10:11], v[32:33]
	v_cvt_f32_f64_e32 v29, v[32:33]
	v_min_f32_e32 v28, v29, v28
	v_cvt_f64_f32_e32 v[28:29], v28
	global_store_dwordx2 v[34:35], v[28:29], off
	flat_load_dwordx2 v[26:27], v[26:27]
	s_waitcnt vmcnt(0) lgkmcnt(0)
	v_mul_f64 v[26:27], s[10:11], v[26:27]
.LBB117_92:
	v_cvt_f32_f64_e32 v26, v[26:27]
	v_max_f32_e32 v27, v124, v124
	v_min_f32_e32 v26, v26, v27
	v_cvt_f64_f32_e32 v[26:27], v26
	v_lshl_add_u64 v[24:25], v[6:7], 3, v[24:25]
	global_store_dwordx2 v[24:25], v[26:27], off
	v_add_u32_e32 v26, 64, v30
	v_mad_i64_i32 v[24:25], s[2:3], v26, s7, 0
	v_lshl_add_u64 v[24:25], v[24:25], 3, s[0:1]
	v_mad_i64_i32 v[26:27], s[2:3], v26, s6, 0
	v_max_f32_e32 v28, v123, v123
	s_mov_b64 vcc, s[8:9]
	s_cbranch_vccz .LBB117_95
; %bb.93:
	v_min_f32_e32 v29, 0, v28
	v_cvt_f64_f32_e32 v[32:33], v29
	v_lshl_add_u64 v[34:35], v[8:9], 3, v[24:25]
	global_store_dwordx2 v[34:35], v[32:33], off
	s_mov_b64 s[2:3], 0
	v_lshl_add_u64 v[26:27], v[26:27], 3, s[16:17]
	s_cbranch_execz .LBB117_96
; %bb.94:
	v_mov_b64_e32 v[28:29], s[2:3]
	s_branch .LBB117_97
.LBB117_95:
                                        ; implicit-def: $sgpr2_sgpr3
	v_lshl_add_u64 v[26:27], v[26:27], 3, s[16:17]
.LBB117_96:
	v_lshl_add_u64 v[32:33], v[26:27], 0, v[12:13]
	flat_load_dwordx2 v[32:33], v[32:33]
	v_lshl_add_u64 v[34:35], v[24:25], 0, v[12:13]
	s_waitcnt vmcnt(0) lgkmcnt(0)
	v_mul_f64 v[32:33], s[10:11], v[32:33]
	v_cvt_f32_f64_e32 v29, v[32:33]
	v_min_f32_e32 v28, v29, v28
	v_cvt_f64_f32_e32 v[28:29], v28
	global_store_dwordx2 v[34:35], v[28:29], off
	v_lshl_add_u64 v[28:29], v[0:1], 3, v[26:27]
	flat_load_dwordx2 v[28:29], v[28:29]
	s_waitcnt vmcnt(0) lgkmcnt(0)
	v_mul_f64 v[28:29], s[10:11], v[28:29]
.LBB117_97:
	v_cvt_f32_f64_e32 v28, v[28:29]
	v_max_f32_e32 v29, v122, v122
	v_min_f32_e32 v28, v28, v29
	v_cvt_f64_f32_e32 v[28:29], v28
	v_lshl_add_u64 v[32:33], v[0:1], 3, v[24:25]
	global_store_dwordx2 v[32:33], v[28:29], off
	v_max_f32_e32 v28, v121, v121
	s_mov_b64 vcc, s[8:9]
	s_cbranch_vccz .LBB117_100
; %bb.98:
	v_min_f32_e32 v29, 0, v28
	v_cvt_f64_f32_e32 v[32:33], v29
	v_lshl_add_u64 v[34:35], v[10:11], 3, v[24:25]
	global_store_dwordx2 v[34:35], v[32:33], off
	s_mov_b64 s[2:3], 0
	s_cbranch_execz .LBB117_101
; %bb.99:
	v_mov_b64_e32 v[28:29], s[2:3]
	s_branch .LBB117_102
.LBB117_100:
                                        ; implicit-def: $sgpr2_sgpr3
.LBB117_101:
	v_lshl_add_u64 v[32:33], v[26:27], 0, v[16:17]
	flat_load_dwordx2 v[32:33], v[32:33]
	v_lshl_add_u64 v[34:35], v[24:25], 0, v[16:17]
	s_waitcnt vmcnt(0) lgkmcnt(0)
	v_mul_f64 v[32:33], s[10:11], v[32:33]
	v_cvt_f32_f64_e32 v29, v[32:33]
	v_min_f32_e32 v28, v29, v28
	v_cvt_f64_f32_e32 v[28:29], v28
	global_store_dwordx2 v[34:35], v[28:29], off
	v_lshl_add_u64 v[28:29], v[2:3], 3, v[26:27]
	flat_load_dwordx2 v[28:29], v[28:29]
	s_waitcnt vmcnt(0) lgkmcnt(0)
	v_mul_f64 v[28:29], s[10:11], v[28:29]
.LBB117_102:
	v_cvt_f32_f64_e32 v28, v[28:29]
	v_max_f32_e32 v29, v120, v120
	v_min_f32_e32 v28, v28, v29
	v_cvt_f64_f32_e32 v[28:29], v28
	v_lshl_add_u64 v[32:33], v[2:3], 3, v[24:25]
	global_store_dwordx2 v[32:33], v[28:29], off
	v_max_f32_e32 v28, v119, v119
	s_mov_b64 vcc, s[8:9]
	s_cbranch_vccz .LBB117_105
; %bb.103:
	v_min_f32_e32 v29, 0, v28
	v_cvt_f64_f32_e32 v[32:33], v29
	v_lshl_add_u64 v[34:35], v[14:15], 3, v[24:25]
	global_store_dwordx2 v[34:35], v[32:33], off
	s_mov_b64 s[2:3], 0
	s_cbranch_execz .LBB117_106
; %bb.104:
	v_mov_b64_e32 v[28:29], s[2:3]
	s_branch .LBB117_107
.LBB117_105:
                                        ; implicit-def: $sgpr2_sgpr3
.LBB117_106:
	v_lshl_add_u64 v[32:33], v[26:27], 0, v[20:21]
	flat_load_dwordx2 v[32:33], v[32:33]
	v_lshl_add_u64 v[34:35], v[24:25], 0, v[20:21]
	s_waitcnt vmcnt(0) lgkmcnt(0)
	v_mul_f64 v[32:33], s[10:11], v[32:33]
	v_cvt_f32_f64_e32 v29, v[32:33]
	v_min_f32_e32 v28, v29, v28
	v_cvt_f64_f32_e32 v[28:29], v28
	global_store_dwordx2 v[34:35], v[28:29], off
	v_lshl_add_u64 v[28:29], v[4:5], 3, v[26:27]
	flat_load_dwordx2 v[28:29], v[28:29]
	s_waitcnt vmcnt(0) lgkmcnt(0)
	v_mul_f64 v[28:29], s[10:11], v[28:29]
.LBB117_107:
	v_cvt_f32_f64_e32 v28, v[28:29]
	v_max_f32_e32 v29, v118, v118
	v_min_f32_e32 v28, v28, v29
	v_cvt_f64_f32_e32 v[28:29], v28
	v_lshl_add_u64 v[32:33], v[4:5], 3, v[24:25]
	global_store_dwordx2 v[32:33], v[28:29], off
	v_max_f32_e32 v28, v117, v117
	s_mov_b64 vcc, s[8:9]
	s_cbranch_vccz .LBB117_110
; %bb.108:
	v_min_f32_e32 v29, 0, v28
	v_cvt_f64_f32_e32 v[32:33], v29
	v_lshl_add_u64 v[34:35], v[18:19], 3, v[24:25]
	global_store_dwordx2 v[34:35], v[32:33], off
	s_mov_b64 s[2:3], 0
	s_cbranch_execz .LBB117_111
; %bb.109:
	v_mov_b64_e32 v[26:27], s[2:3]
	s_branch .LBB117_112
.LBB117_110:
                                        ; implicit-def: $sgpr2_sgpr3
.LBB117_111:
	v_lshl_add_u64 v[32:33], v[26:27], 0, v[22:23]
	flat_load_dwordx2 v[32:33], v[32:33]
	v_lshl_add_u64 v[34:35], v[24:25], 0, v[22:23]
	v_lshl_add_u64 v[26:27], v[6:7], 3, v[26:27]
	s_waitcnt vmcnt(0) lgkmcnt(0)
	v_mul_f64 v[32:33], s[10:11], v[32:33]
	v_cvt_f32_f64_e32 v29, v[32:33]
	v_min_f32_e32 v28, v29, v28
	v_cvt_f64_f32_e32 v[28:29], v28
	global_store_dwordx2 v[34:35], v[28:29], off
	flat_load_dwordx2 v[26:27], v[26:27]
	s_waitcnt vmcnt(0) lgkmcnt(0)
	v_mul_f64 v[26:27], s[10:11], v[26:27]
.LBB117_112:
	v_cvt_f32_f64_e32 v26, v[26:27]
	v_max_f32_e32 v27, v116, v116
	v_min_f32_e32 v26, v26, v27
	v_cvt_f64_f32_e32 v[26:27], v26
	v_lshl_add_u64 v[24:25], v[6:7], 3, v[24:25]
	global_store_dwordx2 v[24:25], v[26:27], off
	v_add_u32_e32 v26, 0x60, v30
	v_mad_i64_i32 v[24:25], s[2:3], v26, s7, 0
	v_lshl_add_u64 v[24:25], v[24:25], 3, s[0:1]
	v_mad_i64_i32 v[26:27], s[2:3], v26, s6, 0
	v_max_f32_e32 v28, v115, v115
	s_mov_b64 vcc, s[8:9]
	s_cbranch_vccz .LBB117_115
; %bb.113:
	v_min_f32_e32 v29, 0, v28
	v_cvt_f64_f32_e32 v[32:33], v29
	v_lshl_add_u64 v[34:35], v[8:9], 3, v[24:25]
	global_store_dwordx2 v[34:35], v[32:33], off
	s_mov_b64 s[2:3], 0
	v_lshl_add_u64 v[26:27], v[26:27], 3, s[16:17]
	s_cbranch_execz .LBB117_116
; %bb.114:
	v_mov_b64_e32 v[28:29], s[2:3]
	s_branch .LBB117_117
.LBB117_115:
                                        ; implicit-def: $sgpr2_sgpr3
	v_lshl_add_u64 v[26:27], v[26:27], 3, s[16:17]
.LBB117_116:
	v_lshl_add_u64 v[32:33], v[26:27], 0, v[12:13]
	flat_load_dwordx2 v[32:33], v[32:33]
	v_lshl_add_u64 v[34:35], v[24:25], 0, v[12:13]
	s_waitcnt vmcnt(0) lgkmcnt(0)
	v_mul_f64 v[32:33], s[10:11], v[32:33]
	v_cvt_f32_f64_e32 v29, v[32:33]
	v_min_f32_e32 v28, v29, v28
	v_cvt_f64_f32_e32 v[28:29], v28
	global_store_dwordx2 v[34:35], v[28:29], off
	v_lshl_add_u64 v[28:29], v[0:1], 3, v[26:27]
	flat_load_dwordx2 v[28:29], v[28:29]
	s_waitcnt vmcnt(0) lgkmcnt(0)
	v_mul_f64 v[28:29], s[10:11], v[28:29]
.LBB117_117:
	v_cvt_f32_f64_e32 v28, v[28:29]
	v_max_f32_e32 v29, v114, v114
	v_min_f32_e32 v28, v28, v29
	v_cvt_f64_f32_e32 v[28:29], v28
	v_lshl_add_u64 v[32:33], v[0:1], 3, v[24:25]
	global_store_dwordx2 v[32:33], v[28:29], off
	v_max_f32_e32 v28, v113, v113
	s_mov_b64 vcc, s[8:9]
	s_cbranch_vccz .LBB117_120
; %bb.118:
	v_min_f32_e32 v29, 0, v28
	v_cvt_f64_f32_e32 v[32:33], v29
	v_lshl_add_u64 v[34:35], v[10:11], 3, v[24:25]
	global_store_dwordx2 v[34:35], v[32:33], off
	s_mov_b64 s[2:3], 0
	s_cbranch_execz .LBB117_121
; %bb.119:
	v_mov_b64_e32 v[28:29], s[2:3]
	s_branch .LBB117_122
.LBB117_120:
                                        ; implicit-def: $sgpr2_sgpr3
.LBB117_121:
	v_lshl_add_u64 v[32:33], v[26:27], 0, v[16:17]
	flat_load_dwordx2 v[32:33], v[32:33]
	v_lshl_add_u64 v[34:35], v[24:25], 0, v[16:17]
	s_waitcnt vmcnt(0) lgkmcnt(0)
	v_mul_f64 v[32:33], s[10:11], v[32:33]
	v_cvt_f32_f64_e32 v29, v[32:33]
	v_min_f32_e32 v28, v29, v28
	v_cvt_f64_f32_e32 v[28:29], v28
	global_store_dwordx2 v[34:35], v[28:29], off
	v_lshl_add_u64 v[28:29], v[2:3], 3, v[26:27]
	flat_load_dwordx2 v[28:29], v[28:29]
	s_waitcnt vmcnt(0) lgkmcnt(0)
	v_mul_f64 v[28:29], s[10:11], v[28:29]
.LBB117_122:
	v_cvt_f32_f64_e32 v28, v[28:29]
	v_max_f32_e32 v29, v112, v112
	v_min_f32_e32 v28, v28, v29
	v_cvt_f64_f32_e32 v[28:29], v28
	v_lshl_add_u64 v[32:33], v[2:3], 3, v[24:25]
	global_store_dwordx2 v[32:33], v[28:29], off
	v_max_f32_e32 v28, v111, v111
	s_mov_b64 vcc, s[8:9]
	s_cbranch_vccz .LBB117_125
; %bb.123:
	v_min_f32_e32 v29, 0, v28
	v_cvt_f64_f32_e32 v[32:33], v29
	v_lshl_add_u64 v[34:35], v[14:15], 3, v[24:25]
	global_store_dwordx2 v[34:35], v[32:33], off
	s_mov_b64 s[2:3], 0
	s_cbranch_execz .LBB117_126
; %bb.124:
	v_mov_b64_e32 v[28:29], s[2:3]
	s_branch .LBB117_127
.LBB117_125:
                                        ; implicit-def: $sgpr2_sgpr3
.LBB117_126:
	v_lshl_add_u64 v[32:33], v[26:27], 0, v[20:21]
	flat_load_dwordx2 v[32:33], v[32:33]
	v_lshl_add_u64 v[34:35], v[24:25], 0, v[20:21]
	s_waitcnt vmcnt(0) lgkmcnt(0)
	v_mul_f64 v[32:33], s[10:11], v[32:33]
	v_cvt_f32_f64_e32 v29, v[32:33]
	v_min_f32_e32 v28, v29, v28
	v_cvt_f64_f32_e32 v[28:29], v28
	global_store_dwordx2 v[34:35], v[28:29], off
	v_lshl_add_u64 v[28:29], v[4:5], 3, v[26:27]
	flat_load_dwordx2 v[28:29], v[28:29]
	s_waitcnt vmcnt(0) lgkmcnt(0)
	v_mul_f64 v[28:29], s[10:11], v[28:29]
.LBB117_127:
	v_cvt_f32_f64_e32 v28, v[28:29]
	v_max_f32_e32 v29, v110, v110
	v_min_f32_e32 v28, v28, v29
	v_cvt_f64_f32_e32 v[28:29], v28
	v_lshl_add_u64 v[32:33], v[4:5], 3, v[24:25]
	global_store_dwordx2 v[32:33], v[28:29], off
	v_max_f32_e32 v28, v109, v109
	s_mov_b64 vcc, s[8:9]
	s_cbranch_vccz .LBB117_130
; %bb.128:
	v_min_f32_e32 v29, 0, v28
	v_cvt_f64_f32_e32 v[32:33], v29
	v_lshl_add_u64 v[34:35], v[18:19], 3, v[24:25]
	global_store_dwordx2 v[34:35], v[32:33], off
	s_mov_b64 s[2:3], 0
	s_cbranch_execz .LBB117_131
; %bb.129:
	v_mov_b64_e32 v[26:27], s[2:3]
	s_branch .LBB117_132
.LBB117_130:
                                        ; implicit-def: $sgpr2_sgpr3
.LBB117_131:
	v_lshl_add_u64 v[32:33], v[26:27], 0, v[22:23]
	flat_load_dwordx2 v[32:33], v[32:33]
	v_lshl_add_u64 v[34:35], v[24:25], 0, v[22:23]
	v_lshl_add_u64 v[26:27], v[6:7], 3, v[26:27]
	s_waitcnt vmcnt(0) lgkmcnt(0)
	v_mul_f64 v[32:33], s[10:11], v[32:33]
	v_cvt_f32_f64_e32 v29, v[32:33]
	v_min_f32_e32 v28, v29, v28
	v_cvt_f64_f32_e32 v[28:29], v28
	global_store_dwordx2 v[34:35], v[28:29], off
	flat_load_dwordx2 v[26:27], v[26:27]
	s_waitcnt vmcnt(0) lgkmcnt(0)
	v_mul_f64 v[26:27], s[10:11], v[26:27]
.LBB117_132:
	v_cvt_f32_f64_e32 v26, v[26:27]
	v_max_f32_e32 v27, v108, v108
	v_min_f32_e32 v26, v26, v27
	v_cvt_f64_f32_e32 v[26:27], v26
	v_lshl_add_u64 v[24:25], v[6:7], 3, v[24:25]
	global_store_dwordx2 v[24:25], v[26:27], off
	v_add_u32_e32 v26, 0x80, v30
	v_mad_i64_i32 v[24:25], s[2:3], v26, s7, 0
	v_lshl_add_u64 v[24:25], v[24:25], 3, s[0:1]
	v_mad_i64_i32 v[26:27], s[2:3], v26, s6, 0
	v_max_f32_e32 v28, v107, v107
	s_mov_b64 vcc, s[8:9]
	s_cbranch_vccz .LBB117_135
; %bb.133:
	v_min_f32_e32 v29, 0, v28
	v_cvt_f64_f32_e32 v[32:33], v29
	v_lshl_add_u64 v[34:35], v[8:9], 3, v[24:25]
	global_store_dwordx2 v[34:35], v[32:33], off
	s_mov_b64 s[2:3], 0
	v_lshl_add_u64 v[26:27], v[26:27], 3, s[16:17]
	s_cbranch_execz .LBB117_136
; %bb.134:
	v_mov_b64_e32 v[28:29], s[2:3]
	s_branch .LBB117_137
.LBB117_135:
                                        ; implicit-def: $sgpr2_sgpr3
	v_lshl_add_u64 v[26:27], v[26:27], 3, s[16:17]
.LBB117_136:
	v_lshl_add_u64 v[32:33], v[26:27], 0, v[12:13]
	flat_load_dwordx2 v[32:33], v[32:33]
	v_lshl_add_u64 v[34:35], v[24:25], 0, v[12:13]
	s_waitcnt vmcnt(0) lgkmcnt(0)
	v_mul_f64 v[32:33], s[10:11], v[32:33]
	v_cvt_f32_f64_e32 v29, v[32:33]
	v_min_f32_e32 v28, v29, v28
	v_cvt_f64_f32_e32 v[28:29], v28
	global_store_dwordx2 v[34:35], v[28:29], off
	v_lshl_add_u64 v[28:29], v[0:1], 3, v[26:27]
	flat_load_dwordx2 v[28:29], v[28:29]
	s_waitcnt vmcnt(0) lgkmcnt(0)
	v_mul_f64 v[28:29], s[10:11], v[28:29]
.LBB117_137:
	v_cvt_f32_f64_e32 v28, v[28:29]
	v_max_f32_e32 v29, v106, v106
	v_min_f32_e32 v28, v28, v29
	v_cvt_f64_f32_e32 v[28:29], v28
	v_lshl_add_u64 v[32:33], v[0:1], 3, v[24:25]
	global_store_dwordx2 v[32:33], v[28:29], off
	v_max_f32_e32 v28, v105, v105
	s_mov_b64 vcc, s[8:9]
	s_cbranch_vccz .LBB117_140
; %bb.138:
	v_min_f32_e32 v29, 0, v28
	v_cvt_f64_f32_e32 v[32:33], v29
	v_lshl_add_u64 v[34:35], v[10:11], 3, v[24:25]
	global_store_dwordx2 v[34:35], v[32:33], off
	s_mov_b64 s[2:3], 0
	s_cbranch_execz .LBB117_141
; %bb.139:
	v_mov_b64_e32 v[28:29], s[2:3]
	s_branch .LBB117_142
.LBB117_140:
                                        ; implicit-def: $sgpr2_sgpr3
.LBB117_141:
	v_lshl_add_u64 v[32:33], v[26:27], 0, v[16:17]
	flat_load_dwordx2 v[32:33], v[32:33]
	v_lshl_add_u64 v[34:35], v[24:25], 0, v[16:17]
	s_waitcnt vmcnt(0) lgkmcnt(0)
	v_mul_f64 v[32:33], s[10:11], v[32:33]
	v_cvt_f32_f64_e32 v29, v[32:33]
	v_min_f32_e32 v28, v29, v28
	v_cvt_f64_f32_e32 v[28:29], v28
	global_store_dwordx2 v[34:35], v[28:29], off
	v_lshl_add_u64 v[28:29], v[2:3], 3, v[26:27]
	flat_load_dwordx2 v[28:29], v[28:29]
	s_waitcnt vmcnt(0) lgkmcnt(0)
	v_mul_f64 v[28:29], s[10:11], v[28:29]
.LBB117_142:
	v_cvt_f32_f64_e32 v28, v[28:29]
	v_max_f32_e32 v29, v104, v104
	v_min_f32_e32 v28, v28, v29
	v_cvt_f64_f32_e32 v[28:29], v28
	v_lshl_add_u64 v[32:33], v[2:3], 3, v[24:25]
	global_store_dwordx2 v[32:33], v[28:29], off
	v_max_f32_e32 v28, v103, v103
	s_mov_b64 vcc, s[8:9]
	s_cbranch_vccz .LBB117_145
; %bb.143:
	v_min_f32_e32 v29, 0, v28
	v_cvt_f64_f32_e32 v[32:33], v29
	v_lshl_add_u64 v[34:35], v[14:15], 3, v[24:25]
	global_store_dwordx2 v[34:35], v[32:33], off
	s_mov_b64 s[2:3], 0
	s_cbranch_execz .LBB117_146
; %bb.144:
	v_mov_b64_e32 v[28:29], s[2:3]
	s_branch .LBB117_147
.LBB117_145:
                                        ; implicit-def: $sgpr2_sgpr3
.LBB117_146:
	v_lshl_add_u64 v[32:33], v[26:27], 0, v[20:21]
	flat_load_dwordx2 v[32:33], v[32:33]
	v_lshl_add_u64 v[34:35], v[24:25], 0, v[20:21]
	s_waitcnt vmcnt(0) lgkmcnt(0)
	v_mul_f64 v[32:33], s[10:11], v[32:33]
	v_cvt_f32_f64_e32 v29, v[32:33]
	v_min_f32_e32 v28, v29, v28
	v_cvt_f64_f32_e32 v[28:29], v28
	global_store_dwordx2 v[34:35], v[28:29], off
	v_lshl_add_u64 v[28:29], v[4:5], 3, v[26:27]
	flat_load_dwordx2 v[28:29], v[28:29]
	s_waitcnt vmcnt(0) lgkmcnt(0)
	v_mul_f64 v[28:29], s[10:11], v[28:29]
.LBB117_147:
	v_cvt_f32_f64_e32 v28, v[28:29]
	v_max_f32_e32 v29, v102, v102
	v_min_f32_e32 v28, v28, v29
	v_cvt_f64_f32_e32 v[28:29], v28
	v_lshl_add_u64 v[32:33], v[4:5], 3, v[24:25]
	global_store_dwordx2 v[32:33], v[28:29], off
	v_max_f32_e32 v28, v101, v101
	s_mov_b64 vcc, s[8:9]
	s_cbranch_vccz .LBB117_150
; %bb.148:
	v_min_f32_e32 v29, 0, v28
	v_cvt_f64_f32_e32 v[32:33], v29
	v_lshl_add_u64 v[34:35], v[18:19], 3, v[24:25]
	global_store_dwordx2 v[34:35], v[32:33], off
	s_mov_b64 s[2:3], 0
	s_cbranch_execz .LBB117_151
; %bb.149:
	v_mov_b64_e32 v[26:27], s[2:3]
	s_branch .LBB117_152
.LBB117_150:
                                        ; implicit-def: $sgpr2_sgpr3
.LBB117_151:
	v_lshl_add_u64 v[32:33], v[26:27], 0, v[22:23]
	flat_load_dwordx2 v[32:33], v[32:33]
	v_lshl_add_u64 v[34:35], v[24:25], 0, v[22:23]
	v_lshl_add_u64 v[26:27], v[6:7], 3, v[26:27]
	s_waitcnt vmcnt(0) lgkmcnt(0)
	v_mul_f64 v[32:33], s[10:11], v[32:33]
	v_cvt_f32_f64_e32 v29, v[32:33]
	v_min_f32_e32 v28, v29, v28
	v_cvt_f64_f32_e32 v[28:29], v28
	global_store_dwordx2 v[34:35], v[28:29], off
	flat_load_dwordx2 v[26:27], v[26:27]
	s_waitcnt vmcnt(0) lgkmcnt(0)
	v_mul_f64 v[26:27], s[10:11], v[26:27]
.LBB117_152:
	v_cvt_f32_f64_e32 v26, v[26:27]
	v_max_f32_e32 v27, v100, v100
	v_min_f32_e32 v26, v26, v27
	v_cvt_f64_f32_e32 v[26:27], v26
	v_lshl_add_u64 v[24:25], v[6:7], 3, v[24:25]
	global_store_dwordx2 v[24:25], v[26:27], off
	v_add_u32_e32 v26, 0xa0, v30
	v_mad_i64_i32 v[24:25], s[2:3], v26, s7, 0
	v_lshl_add_u64 v[24:25], v[24:25], 3, s[0:1]
	v_mad_i64_i32 v[26:27], s[2:3], v26, s6, 0
	v_max_f32_e32 v28, v99, v99
	s_mov_b64 vcc, s[8:9]
	s_cbranch_vccz .LBB117_155
; %bb.153:
	v_min_f32_e32 v29, 0, v28
	v_cvt_f64_f32_e32 v[32:33], v29
	v_lshl_add_u64 v[34:35], v[8:9], 3, v[24:25]
	global_store_dwordx2 v[34:35], v[32:33], off
	s_mov_b64 s[2:3], 0
	v_lshl_add_u64 v[26:27], v[26:27], 3, s[16:17]
	s_cbranch_execz .LBB117_156
; %bb.154:
	v_mov_b64_e32 v[28:29], s[2:3]
	s_branch .LBB117_157
.LBB117_155:
                                        ; implicit-def: $sgpr2_sgpr3
	v_lshl_add_u64 v[26:27], v[26:27], 3, s[16:17]
.LBB117_156:
	v_lshl_add_u64 v[32:33], v[26:27], 0, v[12:13]
	flat_load_dwordx2 v[32:33], v[32:33]
	v_lshl_add_u64 v[34:35], v[24:25], 0, v[12:13]
	s_waitcnt vmcnt(0) lgkmcnt(0)
	v_mul_f64 v[32:33], s[10:11], v[32:33]
	v_cvt_f32_f64_e32 v29, v[32:33]
	v_min_f32_e32 v28, v29, v28
	v_cvt_f64_f32_e32 v[28:29], v28
	global_store_dwordx2 v[34:35], v[28:29], off
	v_lshl_add_u64 v[28:29], v[0:1], 3, v[26:27]
	flat_load_dwordx2 v[28:29], v[28:29]
	s_waitcnt vmcnt(0) lgkmcnt(0)
	v_mul_f64 v[28:29], s[10:11], v[28:29]
.LBB117_157:
	v_cvt_f32_f64_e32 v28, v[28:29]
	v_max_f32_e32 v29, v98, v98
	v_min_f32_e32 v28, v28, v29
	v_cvt_f64_f32_e32 v[28:29], v28
	v_lshl_add_u64 v[32:33], v[0:1], 3, v[24:25]
	global_store_dwordx2 v[32:33], v[28:29], off
	v_max_f32_e32 v28, v97, v97
	s_mov_b64 vcc, s[8:9]
	s_cbranch_vccz .LBB117_160
; %bb.158:
	v_min_f32_e32 v29, 0, v28
	v_cvt_f64_f32_e32 v[32:33], v29
	v_lshl_add_u64 v[34:35], v[10:11], 3, v[24:25]
	s_mov_b32 s4, 0
	global_store_dwordx2 v[34:35], v[32:33], off
	s_cbranch_execz .LBB117_161
; %bb.159:
	v_mov_b32_e32 v28, s4
	s_branch .LBB117_162
.LBB117_160:
                                        ; implicit-def: $sgpr4
.LBB117_161:
	v_lshl_add_u64 v[32:33], v[26:27], 0, v[16:17]
	flat_load_dwordx2 v[32:33], v[32:33]
	v_lshl_add_u64 v[34:35], v[24:25], 0, v[16:17]
	s_waitcnt vmcnt(0) lgkmcnt(0)
	v_mul_f64 v[32:33], s[10:11], v[32:33]
	v_cvt_f32_f64_e32 v29, v[32:33]
	v_min_f32_e32 v28, v29, v28
	v_cvt_f64_f32_e32 v[28:29], v28
	global_store_dwordx2 v[34:35], v[28:29], off
	v_lshl_add_u64 v[28:29], v[2:3], 3, v[26:27]
	flat_load_dwordx2 v[28:29], v[28:29]
	s_waitcnt vmcnt(0) lgkmcnt(0)
	v_mul_f64 v[28:29], s[10:11], v[28:29]
	v_cvt_f32_f64_e32 v28, v[28:29]
.LBB117_162:
	v_max_f32_e32 v29, v96, v96
	v_max_f32_e32 v28, v28, v28
	v_min_f32_e32 v28, v28, v29
	v_cvt_f64_f32_e32 v[28:29], v28
	v_lshl_add_u64 v[32:33], v[2:3], 3, v[24:25]
	global_store_dwordx2 v[32:33], v[28:29], off
	v_max_f32_e32 v28, v95, v95
	s_mov_b64 vcc, s[8:9]
	s_cbranch_vccz .LBB117_165
; %bb.163:
	v_min_f32_e32 v29, 0, v28
	v_cvt_f64_f32_e32 v[32:33], v29
	v_lshl_add_u64 v[34:35], v[14:15], 3, v[24:25]
	s_mov_b32 s4, 0
	global_store_dwordx2 v[34:35], v[32:33], off
	s_cbranch_execz .LBB117_166
; %bb.164:
	v_mov_b32_e32 v28, s4
	s_branch .LBB117_167
.LBB117_165:
                                        ; implicit-def: $sgpr4
.LBB117_166:
	v_lshl_add_u64 v[32:33], v[26:27], 0, v[20:21]
	flat_load_dwordx2 v[32:33], v[32:33]
	v_lshl_add_u64 v[34:35], v[24:25], 0, v[20:21]
	s_waitcnt vmcnt(0) lgkmcnt(0)
	v_mul_f64 v[32:33], s[10:11], v[32:33]
	v_cvt_f32_f64_e32 v29, v[32:33]
	v_min_f32_e32 v28, v29, v28
	v_cvt_f64_f32_e32 v[28:29], v28
	global_store_dwordx2 v[34:35], v[28:29], off
	v_lshl_add_u64 v[28:29], v[4:5], 3, v[26:27]
	flat_load_dwordx2 v[28:29], v[28:29]
	s_waitcnt vmcnt(0) lgkmcnt(0)
	v_mul_f64 v[28:29], s[10:11], v[28:29]
	v_cvt_f32_f64_e32 v28, v[28:29]
.LBB117_167:
	v_max_f32_e32 v29, v94, v94
	v_max_f32_e32 v28, v28, v28
	v_min_f32_e32 v28, v28, v29
	v_cvt_f64_f32_e32 v[28:29], v28
	v_lshl_add_u64 v[32:33], v[4:5], 3, v[24:25]
	global_store_dwordx2 v[32:33], v[28:29], off
	v_max_f32_e32 v28, v93, v93
	s_mov_b64 vcc, s[8:9]
	s_cbranch_vccz .LBB117_170
; %bb.168:
	v_min_f32_e32 v29, 0, v28
	v_cvt_f64_f32_e32 v[32:33], v29
	v_lshl_add_u64 v[34:35], v[18:19], 3, v[24:25]
	s_mov_b32 s4, 0
	global_store_dwordx2 v[34:35], v[32:33], off
	s_cbranch_execz .LBB117_171
; %bb.169:
	v_mov_b32_e32 v26, s4
	s_branch .LBB117_172
.LBB117_170:
                                        ; implicit-def: $sgpr4
.LBB117_171:
	v_lshl_add_u64 v[32:33], v[26:27], 0, v[22:23]
	flat_load_dwordx2 v[32:33], v[32:33]
	v_lshl_add_u64 v[34:35], v[24:25], 0, v[22:23]
	v_lshl_add_u64 v[26:27], v[6:7], 3, v[26:27]
	s_waitcnt vmcnt(0) lgkmcnt(0)
	v_mul_f64 v[32:33], s[10:11], v[32:33]
	v_cvt_f32_f64_e32 v29, v[32:33]
	v_min_f32_e32 v28, v29, v28
	v_cvt_f64_f32_e32 v[28:29], v28
	global_store_dwordx2 v[34:35], v[28:29], off
	flat_load_dwordx2 v[26:27], v[26:27]
	s_waitcnt vmcnt(0) lgkmcnt(0)
	v_mul_f64 v[26:27], s[10:11], v[26:27]
	v_cvt_f32_f64_e32 v26, v[26:27]
.LBB117_172:
	v_max_f32_e32 v27, v92, v92
	v_max_f32_e32 v26, v26, v26
	v_min_f32_e32 v26, v26, v27
	v_cvt_f64_f32_e32 v[26:27], v26
	v_lshl_add_u64 v[24:25], v[6:7], 3, v[24:25]
	global_store_dwordx2 v[24:25], v[26:27], off
	v_add_u32_e32 v26, 0xc0, v30
	v_mad_i64_i32 v[24:25], s[2:3], v26, s7, 0
	v_lshl_add_u64 v[24:25], v[24:25], 3, s[0:1]
	v_mad_i64_i32 v[26:27], s[2:3], v26, s6, 0
	v_max_f32_e32 v28, v91, v91
	s_mov_b64 vcc, s[8:9]
	s_cbranch_vccz .LBB117_175
; %bb.173:
	v_min_f32_e32 v29, 0, v28
	v_cvt_f64_f32_e32 v[32:33], v29
	v_lshl_add_u64 v[34:35], v[8:9], 3, v[24:25]
	s_mov_b32 s4, 0
	global_store_dwordx2 v[34:35], v[32:33], off
	v_lshl_add_u64 v[26:27], v[26:27], 3, s[16:17]
	s_cbranch_execz .LBB117_176
; %bb.174:
	v_mov_b32_e32 v28, s4
	s_branch .LBB117_177
.LBB117_175:
                                        ; implicit-def: $sgpr4
	v_lshl_add_u64 v[26:27], v[26:27], 3, s[16:17]
.LBB117_176:
	v_lshl_add_u64 v[32:33], v[26:27], 0, v[12:13]
	flat_load_dwordx2 v[32:33], v[32:33]
	v_lshl_add_u64 v[34:35], v[24:25], 0, v[12:13]
	s_waitcnt vmcnt(0) lgkmcnt(0)
	v_mul_f64 v[32:33], s[10:11], v[32:33]
	v_cvt_f32_f64_e32 v29, v[32:33]
	v_min_f32_e32 v28, v29, v28
	v_cvt_f64_f32_e32 v[28:29], v28
	global_store_dwordx2 v[34:35], v[28:29], off
	v_lshl_add_u64 v[28:29], v[0:1], 3, v[26:27]
	flat_load_dwordx2 v[28:29], v[28:29]
	s_waitcnt vmcnt(0) lgkmcnt(0)
	v_mul_f64 v[28:29], s[10:11], v[28:29]
	v_cvt_f32_f64_e32 v28, v[28:29]
.LBB117_177:
	v_max_f32_e32 v29, v90, v90
	v_max_f32_e32 v28, v28, v28
	v_min_f32_e32 v28, v28, v29
	v_cvt_f64_f32_e32 v[28:29], v28
	v_lshl_add_u64 v[32:33], v[0:1], 3, v[24:25]
	global_store_dwordx2 v[32:33], v[28:29], off
	v_max_f32_e32 v28, v89, v89
	s_mov_b64 vcc, s[8:9]
	s_cbranch_vccz .LBB117_180
; %bb.178:
	v_min_f32_e32 v29, 0, v28
	v_cvt_f64_f32_e32 v[32:33], v29
	v_lshl_add_u64 v[34:35], v[10:11], 3, v[24:25]
	s_mov_b32 s4, 0
	global_store_dwordx2 v[34:35], v[32:33], off
	s_cbranch_execz .LBB117_181
; %bb.179:
	v_mov_b32_e32 v28, s4
	s_branch .LBB117_182
.LBB117_180:
                                        ; implicit-def: $sgpr4
.LBB117_181:
	v_lshl_add_u64 v[32:33], v[26:27], 0, v[16:17]
	flat_load_dwordx2 v[32:33], v[32:33]
	v_lshl_add_u64 v[34:35], v[24:25], 0, v[16:17]
	s_waitcnt vmcnt(0) lgkmcnt(0)
	v_mul_f64 v[32:33], s[10:11], v[32:33]
	v_cvt_f32_f64_e32 v29, v[32:33]
	v_min_f32_e32 v28, v29, v28
	v_cvt_f64_f32_e32 v[28:29], v28
	global_store_dwordx2 v[34:35], v[28:29], off
	v_lshl_add_u64 v[28:29], v[2:3], 3, v[26:27]
	flat_load_dwordx2 v[28:29], v[28:29]
	s_waitcnt vmcnt(0) lgkmcnt(0)
	v_mul_f64 v[28:29], s[10:11], v[28:29]
	v_cvt_f32_f64_e32 v28, v[28:29]
.LBB117_182:
	v_max_f32_e32 v29, v88, v88
	v_max_f32_e32 v28, v28, v28
	v_min_f32_e32 v28, v28, v29
	v_cvt_f64_f32_e32 v[28:29], v28
	v_lshl_add_u64 v[32:33], v[2:3], 3, v[24:25]
	global_store_dwordx2 v[32:33], v[28:29], off
	v_max_f32_e32 v28, v87, v87
	s_mov_b64 vcc, s[8:9]
	s_cbranch_vccz .LBB117_185
; %bb.183:
	v_min_f32_e32 v29, 0, v28
	v_cvt_f64_f32_e32 v[32:33], v29
	v_lshl_add_u64 v[34:35], v[14:15], 3, v[24:25]
	s_mov_b32 s4, 0
	global_store_dwordx2 v[34:35], v[32:33], off
	s_cbranch_execz .LBB117_186
; %bb.184:
	v_mov_b32_e32 v28, s4
	s_branch .LBB117_187
.LBB117_185:
                                        ; implicit-def: $sgpr4
.LBB117_186:
	v_lshl_add_u64 v[32:33], v[26:27], 0, v[20:21]
	flat_load_dwordx2 v[32:33], v[32:33]
	v_lshl_add_u64 v[34:35], v[24:25], 0, v[20:21]
	s_waitcnt vmcnt(0) lgkmcnt(0)
	v_mul_f64 v[32:33], s[10:11], v[32:33]
	v_cvt_f32_f64_e32 v29, v[32:33]
	v_min_f32_e32 v28, v29, v28
	v_cvt_f64_f32_e32 v[28:29], v28
	global_store_dwordx2 v[34:35], v[28:29], off
	v_lshl_add_u64 v[28:29], v[4:5], 3, v[26:27]
	flat_load_dwordx2 v[28:29], v[28:29]
	s_waitcnt vmcnt(0) lgkmcnt(0)
	v_mul_f64 v[28:29], s[10:11], v[28:29]
	v_cvt_f32_f64_e32 v28, v[28:29]
.LBB117_187:
	v_max_f32_e32 v29, v86, v86
	v_max_f32_e32 v28, v28, v28
	v_min_f32_e32 v28, v28, v29
	v_cvt_f64_f32_e32 v[28:29], v28
	v_lshl_add_u64 v[32:33], v[4:5], 3, v[24:25]
	global_store_dwordx2 v[32:33], v[28:29], off
	v_max_f32_e32 v28, v85, v85
	s_mov_b64 vcc, s[8:9]
	s_cbranch_vccz .LBB117_190
; %bb.188:
	v_min_f32_e32 v29, 0, v28
	v_cvt_f64_f32_e32 v[32:33], v29
	v_lshl_add_u64 v[34:35], v[18:19], 3, v[24:25]
	s_mov_b32 s4, 0
	global_store_dwordx2 v[34:35], v[32:33], off
	s_cbranch_execz .LBB117_191
; %bb.189:
	v_mov_b32_e32 v26, s4
	s_branch .LBB117_192
.LBB117_190:
                                        ; implicit-def: $sgpr4
.LBB117_191:
	v_lshl_add_u64 v[32:33], v[26:27], 0, v[22:23]
	flat_load_dwordx2 v[32:33], v[32:33]
	v_lshl_add_u64 v[34:35], v[24:25], 0, v[22:23]
	v_lshl_add_u64 v[26:27], v[6:7], 3, v[26:27]
	s_waitcnt vmcnt(0) lgkmcnt(0)
	v_mul_f64 v[32:33], s[10:11], v[32:33]
	v_cvt_f32_f64_e32 v29, v[32:33]
	v_min_f32_e32 v28, v29, v28
	v_cvt_f64_f32_e32 v[28:29], v28
	global_store_dwordx2 v[34:35], v[28:29], off
	flat_load_dwordx2 v[26:27], v[26:27]
	s_waitcnt vmcnt(0) lgkmcnt(0)
	v_mul_f64 v[26:27], s[10:11], v[26:27]
	v_cvt_f32_f64_e32 v26, v[26:27]
.LBB117_192:
	v_max_f32_e32 v27, v84, v84
	v_max_f32_e32 v26, v26, v26
	v_min_f32_e32 v26, v26, v27
	v_cvt_f64_f32_e32 v[26:27], v26
	v_lshl_add_u64 v[24:25], v[6:7], 3, v[24:25]
	global_store_dwordx2 v[24:25], v[26:27], off
	v_add_u32_e32 v26, 0xe0, v30
	v_mad_i64_i32 v[24:25], s[2:3], v26, s7, 0
	v_lshl_add_u64 v[24:25], v[24:25], 3, s[0:1]
	v_mad_i64_i32 v[26:27], s[0:1], v26, s6, 0
	v_max_f32_e32 v28, v83, v83
	s_mov_b64 vcc, s[8:9]
	s_cbranch_vccz .LBB117_195
; %bb.193:
	v_min_f32_e32 v29, 0, v28
	v_cvt_f64_f32_e32 v[30:31], v29
	v_lshl_add_u64 v[8:9], v[8:9], 3, v[24:25]
	s_mov_b32 s2, 0
	global_store_dwordx2 v[8:9], v[30:31], off
	v_lshl_add_u64 v[8:9], v[26:27], 3, s[16:17]
	s_cbranch_execz .LBB117_196
; %bb.194:
	v_mov_b32_e32 v12, s2
	s_branch .LBB117_197
.LBB117_195:
                                        ; implicit-def: $sgpr2
	v_lshl_add_u64 v[8:9], v[26:27], 3, s[16:17]
.LBB117_196:
	v_lshl_add_u64 v[26:27], v[8:9], 0, v[12:13]
	flat_load_dwordx2 v[26:27], v[26:27]
	v_lshl_add_u64 v[12:13], v[24:25], 0, v[12:13]
	s_waitcnt vmcnt(0) lgkmcnt(0)
	v_mul_f64 v[26:27], s[10:11], v[26:27]
	v_cvt_f32_f64_e32 v26, v[26:27]
	v_min_f32_e32 v26, v26, v28
	v_cvt_f64_f32_e32 v[26:27], v26
	global_store_dwordx2 v[12:13], v[26:27], off
	v_lshl_add_u64 v[12:13], v[0:1], 3, v[8:9]
	flat_load_dwordx2 v[12:13], v[12:13]
	s_waitcnt vmcnt(0) lgkmcnt(0)
	v_mul_f64 v[12:13], s[10:11], v[12:13]
	v_cvt_f32_f64_e32 v12, v[12:13]
.LBB117_197:
	v_max_f32_e32 v13, v82, v82
	v_max_f32_e32 v12, v12, v12
	v_min_f32_e32 v12, v12, v13
	v_cvt_f64_f32_e32 v[12:13], v12
	v_lshl_add_u64 v[0:1], v[0:1], 3, v[24:25]
	global_store_dwordx2 v[0:1], v[12:13], off
	v_max_f32_e32 v0, v81, v81
	s_mov_b64 vcc, s[8:9]
	s_cbranch_vccz .LBB117_200
; %bb.198:
	v_min_f32_e32 v1, 0, v0
	v_cvt_f64_f32_e32 v[12:13], v1
	v_lshl_add_u64 v[10:11], v[10:11], 3, v[24:25]
	s_mov_b32 s2, 0
	global_store_dwordx2 v[10:11], v[12:13], off
	s_cbranch_execz .LBB117_201
; %bb.199:
	v_mov_b32_e32 v0, s2
	s_branch .LBB117_202
.LBB117_200:
                                        ; implicit-def: $sgpr2
.LBB117_201:
	v_lshl_add_u64 v[10:11], v[8:9], 0, v[16:17]
	flat_load_dwordx2 v[10:11], v[10:11]
	v_lshl_add_u64 v[12:13], v[24:25], 0, v[16:17]
	s_waitcnt vmcnt(0) lgkmcnt(0)
	v_mul_f64 v[10:11], s[10:11], v[10:11]
	v_cvt_f32_f64_e32 v1, v[10:11]
	v_min_f32_e32 v0, v1, v0
	v_cvt_f64_f32_e32 v[0:1], v0
	global_store_dwordx2 v[12:13], v[0:1], off
	v_lshl_add_u64 v[0:1], v[2:3], 3, v[8:9]
	flat_load_dwordx2 v[0:1], v[0:1]
	s_waitcnt vmcnt(0) lgkmcnt(0)
	v_mul_f64 v[0:1], s[10:11], v[0:1]
	v_cvt_f32_f64_e32 v0, v[0:1]
.LBB117_202:
	v_max_f32_e32 v1, v80, v80
	v_max_f32_e32 v0, v0, v0
	v_min_f32_e32 v0, v0, v1
	v_cvt_f64_f32_e32 v[0:1], v0
	v_lshl_add_u64 v[2:3], v[2:3], 3, v[24:25]
	global_store_dwordx2 v[2:3], v[0:1], off
	v_max_f32_e32 v0, v79, v79
	s_mov_b64 vcc, s[8:9]
	s_cbranch_vccz .LBB117_205
; %bb.203:
	v_min_f32_e32 v1, 0, v0
	v_cvt_f64_f32_e32 v[2:3], v1
	v_lshl_add_u64 v[10:11], v[14:15], 3, v[24:25]
	s_mov_b32 s2, 0
	global_store_dwordx2 v[10:11], v[2:3], off
	s_cbranch_execz .LBB117_206
; %bb.204:
	v_mov_b32_e32 v0, s2
	s_branch .LBB117_207
.LBB117_205:
                                        ; implicit-def: $sgpr2
.LBB117_206:
	v_lshl_add_u64 v[2:3], v[8:9], 0, v[20:21]
	flat_load_dwordx2 v[2:3], v[2:3]
	v_lshl_add_u64 v[10:11], v[24:25], 0, v[20:21]
	s_waitcnt vmcnt(0) lgkmcnt(0)
	v_mul_f64 v[2:3], s[10:11], v[2:3]
	v_cvt_f32_f64_e32 v1, v[2:3]
	v_min_f32_e32 v0, v1, v0
	v_cvt_f64_f32_e32 v[0:1], v0
	global_store_dwordx2 v[10:11], v[0:1], off
	v_lshl_add_u64 v[0:1], v[4:5], 3, v[8:9]
	flat_load_dwordx2 v[0:1], v[0:1]
	s_waitcnt vmcnt(0) lgkmcnt(0)
	v_mul_f64 v[0:1], s[10:11], v[0:1]
	v_cvt_f32_f64_e32 v0, v[0:1]
.LBB117_207:
	;; [unrolled: 37-line block ×3, first 2 shown]
	v_max_f32_e32 v1, v61, v61
	v_max_f32_e32 v0, v0, v0
	v_min_f32_e32 v0, v0, v1
	v_cvt_f64_f32_e32 v[0:1], v0
	v_lshl_add_u64 v[2:3], v[6:7], 3, v[24:25]
	global_store_dwordx2 v[2:3], v[0:1], off
	s_endpgm
	.section	.rodata,"a",@progbits
	.p2align	6, 0x0
	.amdhsa_kernel _ZN12_GLOBAL__N_120geam_min_plus_kernelId15HIP_vector_typeIdLj2EEdLi8ELi32ELi64ELi256ELi4ELi64ELi4ELi64ELi4ELc78ELc84ELb0ELb0ELb1EPKdKS4_KPdEEviiiT16_PT17_ilSA_ilS8_SA_ilPT18_ili26rocblas_geam_ex_operation_
		.amdhsa_group_segment_fixed_size 20480
		.amdhsa_private_segment_fixed_size 0
		.amdhsa_kernarg_size 136
		.amdhsa_user_sgpr_count 2
		.amdhsa_user_sgpr_dispatch_ptr 0
		.amdhsa_user_sgpr_queue_ptr 0
		.amdhsa_user_sgpr_kernarg_segment_ptr 1
		.amdhsa_user_sgpr_dispatch_id 0
		.amdhsa_user_sgpr_kernarg_preload_length 0
		.amdhsa_user_sgpr_kernarg_preload_offset 0
		.amdhsa_user_sgpr_private_segment_size 0
		.amdhsa_uses_dynamic_stack 0
		.amdhsa_enable_private_segment 0
		.amdhsa_system_sgpr_workgroup_id_x 1
		.amdhsa_system_sgpr_workgroup_id_y 0
		.amdhsa_system_sgpr_workgroup_id_z 1
		.amdhsa_system_sgpr_workgroup_info 0
		.amdhsa_system_vgpr_workitem_id 1
		.amdhsa_next_free_vgpr 154
		.amdhsa_next_free_sgpr 30
		.amdhsa_accum_offset 156
		.amdhsa_reserve_vcc 1
		.amdhsa_float_round_mode_32 0
		.amdhsa_float_round_mode_16_64 0
		.amdhsa_float_denorm_mode_32 3
		.amdhsa_float_denorm_mode_16_64 3
		.amdhsa_dx10_clamp 1
		.amdhsa_ieee_mode 1
		.amdhsa_fp16_overflow 0
		.amdhsa_tg_split 0
		.amdhsa_exception_fp_ieee_invalid_op 0
		.amdhsa_exception_fp_denorm_src 0
		.amdhsa_exception_fp_ieee_div_zero 0
		.amdhsa_exception_fp_ieee_overflow 0
		.amdhsa_exception_fp_ieee_underflow 0
		.amdhsa_exception_fp_ieee_inexact 0
		.amdhsa_exception_int_div_zero 0
	.end_amdhsa_kernel
	.section	.text._ZN12_GLOBAL__N_120geam_min_plus_kernelId15HIP_vector_typeIdLj2EEdLi8ELi32ELi64ELi256ELi4ELi64ELi4ELi64ELi4ELc78ELc84ELb0ELb0ELb1EPKdKS4_KPdEEviiiT16_PT17_ilSA_ilS8_SA_ilPT18_ili26rocblas_geam_ex_operation_,"axG",@progbits,_ZN12_GLOBAL__N_120geam_min_plus_kernelId15HIP_vector_typeIdLj2EEdLi8ELi32ELi64ELi256ELi4ELi64ELi4ELi64ELi4ELc78ELc84ELb0ELb0ELb1EPKdKS4_KPdEEviiiT16_PT17_ilSA_ilS8_SA_ilPT18_ili26rocblas_geam_ex_operation_,comdat
.Lfunc_end117:
	.size	_ZN12_GLOBAL__N_120geam_min_plus_kernelId15HIP_vector_typeIdLj2EEdLi8ELi32ELi64ELi256ELi4ELi64ELi4ELi64ELi4ELc78ELc84ELb0ELb0ELb1EPKdKS4_KPdEEviiiT16_PT17_ilSA_ilS8_SA_ilPT18_ili26rocblas_geam_ex_operation_, .Lfunc_end117-_ZN12_GLOBAL__N_120geam_min_plus_kernelId15HIP_vector_typeIdLj2EEdLi8ELi32ELi64ELi256ELi4ELi64ELi4ELi64ELi4ELc78ELc84ELb0ELb0ELb1EPKdKS4_KPdEEviiiT16_PT17_ilSA_ilS8_SA_ilPT18_ili26rocblas_geam_ex_operation_
                                        ; -- End function
	.section	.AMDGPU.csdata,"",@progbits
; Kernel info:
; codeLenInByte = 17236
; NumSgprs: 36
; NumVgprs: 154
; NumAgprs: 0
; TotalNumVgprs: 154
; ScratchSize: 0
; MemoryBound: 1
; FloatMode: 240
; IeeeMode: 1
; LDSByteSize: 20480 bytes/workgroup (compile time only)
; SGPRBlocks: 4
; VGPRBlocks: 19
; NumSGPRsForWavesPerEU: 36
; NumVGPRsForWavesPerEU: 154
; AccumOffset: 156
; Occupancy: 3
; WaveLimiterHint : 1
; COMPUTE_PGM_RSRC2:SCRATCH_EN: 0
; COMPUTE_PGM_RSRC2:USER_SGPR: 2
; COMPUTE_PGM_RSRC2:TRAP_HANDLER: 0
; COMPUTE_PGM_RSRC2:TGID_X_EN: 1
; COMPUTE_PGM_RSRC2:TGID_Y_EN: 0
; COMPUTE_PGM_RSRC2:TGID_Z_EN: 1
; COMPUTE_PGM_RSRC2:TIDIG_COMP_CNT: 1
; COMPUTE_PGM_RSRC3_GFX90A:ACCUM_OFFSET: 38
; COMPUTE_PGM_RSRC3_GFX90A:TG_SPLIT: 0
	.section	.text._ZN12_GLOBAL__N_120geam_min_plus_kernelId15HIP_vector_typeIdLj2EEdLi8ELi32ELi64ELi256ELi4ELi64ELi4ELi64ELi4ELc78ELc84ELb1ELb0ELb1EdKPKdKPdEEviiiT16_PT17_ilSA_ilS8_SA_ilPT18_ili26rocblas_geam_ex_operation_,"axG",@progbits,_ZN12_GLOBAL__N_120geam_min_plus_kernelId15HIP_vector_typeIdLj2EEdLi8ELi32ELi64ELi256ELi4ELi64ELi4ELi64ELi4ELc78ELc84ELb1ELb0ELb1EdKPKdKPdEEviiiT16_PT17_ilSA_ilS8_SA_ilPT18_ili26rocblas_geam_ex_operation_,comdat
	.globl	_ZN12_GLOBAL__N_120geam_min_plus_kernelId15HIP_vector_typeIdLj2EEdLi8ELi32ELi64ELi256ELi4ELi64ELi4ELi64ELi4ELc78ELc84ELb1ELb0ELb1EdKPKdKPdEEviiiT16_PT17_ilSA_ilS8_SA_ilPT18_ili26rocblas_geam_ex_operation_ ; -- Begin function _ZN12_GLOBAL__N_120geam_min_plus_kernelId15HIP_vector_typeIdLj2EEdLi8ELi32ELi64ELi256ELi4ELi64ELi4ELi64ELi4ELc78ELc84ELb1ELb0ELb1EdKPKdKPdEEviiiT16_PT17_ilSA_ilS8_SA_ilPT18_ili26rocblas_geam_ex_operation_
	.p2align	8
	.type	_ZN12_GLOBAL__N_120geam_min_plus_kernelId15HIP_vector_typeIdLj2EEdLi8ELi32ELi64ELi256ELi4ELi64ELi4ELi64ELi4ELc78ELc84ELb1ELb0ELb1EdKPKdKPdEEviiiT16_PT17_ilSA_ilS8_SA_ilPT18_ili26rocblas_geam_ex_operation_,@function
_ZN12_GLOBAL__N_120geam_min_plus_kernelId15HIP_vector_typeIdLj2EEdLi8ELi32ELi64ELi256ELi4ELi64ELi4ELi64ELi4ELc78ELc84ELb1ELb0ELb1EdKPKdKPdEEviiiT16_PT17_ilSA_ilS8_SA_ilPT18_ili26rocblas_geam_ex_operation_: ; @_ZN12_GLOBAL__N_120geam_min_plus_kernelId15HIP_vector_typeIdLj2EEdLi8ELi32ELi64ELi256ELi4ELi64ELi4ELi64ELi4ELc78ELc84ELb1ELb0ELb1EdKPKdKPdEEviiiT16_PT17_ilSA_ilS8_SA_ilPT18_ili26rocblas_geam_ex_operation_
; %bb.0:
	s_load_dwordx4 s[4:7], s[0:1], 0x10
	s_load_dwordx4 s[8:11], s[0:1], 0x28
	s_mov_b32 s18, s3
	s_mov_b64 s[14:15], 0
	s_waitcnt lgkmcnt(0)
	v_cmp_eq_f64_e64 s[12:13], s[4:5], 0
	s_and_b64 vcc, exec, s[12:13]
	s_cbranch_vccnz .LBB118_2
; %bb.1:
	s_mov_b32 s19, 0
	s_lshl_b64 s[4:5], s[18:19], 3
	s_add_u32 s4, s6, s4
	s_addc_u32 s5, s7, s5
	s_load_dwordx2 s[4:5], s[4:5], 0x0
	s_lshl_b64 s[6:7], s[8:9], 3
	s_waitcnt lgkmcnt(0)
	s_add_u32 s14, s4, s6
	s_addc_u32 s15, s5, s7
.LBB118_2:
	s_load_dwordx4 s[4:7], s[0:1], 0x40
	s_load_dwordx2 s[20:21], s[0:1], 0x50
	s_andn2_b64 vcc, exec, s[12:13]
	s_cbranch_vccnz .LBB118_4
; %bb.3:
	s_mov_b32 s19, 0
	s_mov_b64 s[16:17], 0
	s_cbranch_execz .LBB118_5
	s_branch .LBB118_6
.LBB118_4:
                                        ; implicit-def: $sgpr16_sgpr17
.LBB118_5:
	s_mov_b32 s19, 0
	s_lshl_b64 s[8:9], s[18:19], 3
	s_add_u32 s8, s10, s8
	s_addc_u32 s9, s11, s9
	s_load_dwordx2 s[8:9], s[8:9], 0x0
	s_waitcnt lgkmcnt(0)
	s_lshl_b64 s[4:5], s[4:5], 3
	s_add_u32 s16, s8, s4
	s_addc_u32 s17, s9, s5
.LBB118_6:
	s_load_dwordx4 s[8:11], s[0:1], 0x60
	s_waitcnt lgkmcnt(0)
	v_cmp_eq_f64_e64 s[4:5], s[6:7], 0
	s_and_b64 s[4:5], exec, s[4:5]
	s_mov_b64 s[12:13], 0
	s_mov_b64 vcc, s[4:5]
	s_cbranch_vccnz .LBB118_8
; %bb.7:
	s_lshl_b64 s[12:13], s[18:19], 3
	s_add_u32 s12, s20, s12
	s_addc_u32 s13, s21, s13
	s_load_dwordx2 s[12:13], s[12:13], 0x0
	s_lshl_b64 s[8:9], s[8:9], 3
	s_waitcnt lgkmcnt(0)
	s_add_u32 s12, s12, s8
	s_addc_u32 s13, s13, s9
.LBB118_8:
	s_load_dword s20, s[0:1], 0x20
	s_load_dword s21, s[0:1], 0x38
	;; [unrolled: 1-line block ×3, first 2 shown]
	s_lshl_b64 s[8:9], s[18:19], 3
	v_and_b32_e32 v133, 0x3ff, v0
	s_waitcnt lgkmcnt(0)
	s_ashr_i32 s22, s20, 31
	s_ashr_i32 s23, s21, 31
	s_add_u32 s10, s10, s8
	s_addc_u32 s11, s11, s9
	s_add_i32 s3, s3, -1
	s_ashr_i32 s8, s3, 31
	s_lshr_b32 s8, s8, 26
	s_add_i32 s3, s3, s8
	s_ashr_i32 s3, s3, 6
	s_add_i32 s8, s3, 1
	v_cvt_f32_u32_e32 v1, s8
	s_not_b32 s3, s3
	v_bfe_u32 v134, v0, 10, 10
	v_lshl_add_u32 v0, v134, 3, v133
	v_rcp_iflag_f32_e32 v1, v1
	v_and_b32_e32 v144, 63, v0
	v_lshrrev_b32_e32 v140, 6, v0
	v_add_u32_e32 v141, 4, v140
	v_mul_f32_e32 v1, 0x4f7ffffe, v1
	v_cvt_u32_f32_e32 v1, v1
	s_mov_b32 s24, 0
	v_mov_b32_e32 v74, 0x7f800000
	v_mov_b32_e32 v75, 0x7f800000
	v_readfirstlane_b32 s9, v1
	s_mul_i32 s3, s3, s9
	s_mul_hi_u32 s3, s9, s3
	s_add_i32 s9, s9, s3
	s_mul_hi_u32 s3, s2, s9
	s_mul_i32 s9, s3, s8
	s_sub_i32 s9, s2, s9
	s_add_i32 s18, s3, 1
	s_sub_i32 s19, s9, s8
	s_cmp_ge_u32 s9, s8
	s_cselect_b32 s3, s18, s3
	s_cselect_b32 s9, s19, s9
	s_add_i32 s18, s3, 1
	s_cmp_ge_u32 s9, s8
	s_cselect_b32 s3, s18, s3
	s_mul_i32 s8, s3, s8
	s_sub_i32 s2, s2, s8
	s_lshl_b32 s19, s3, 8
	s_lshl_b32 s18, s2, 6
	v_or_b32_e32 v62, s19, v144
	v_or_b32_e32 v60, s18, v144
	v_mad_i64_i32 v[4:5], s[2:3], s21, v140, 0
	v_ashrrev_i32_e32 v63, 31, v62
	v_mad_i64_i32 v[0:1], s[2:3], s20, v140, 0
	v_ashrrev_i32_e32 v61, 31, v60
	v_lshl_add_u64 v[4:5], v[4:5], 3, s[16:17]
	v_lshlrev_b64 v[6:7], 3, v[62:63]
	v_lshl_add_u64 v[0:1], v[0:1], 3, s[14:15]
	v_lshlrev_b64 v[2:3], 3, v[60:61]
	v_lshl_add_u64 v[4:5], v[4:5], 0, v[6:7]
	v_lshl_add_u64 v[0:1], v[0:1], 0, v[2:3]
	flat_load_dwordx2 v[8:9], v[4:5]
	flat_load_dwordx2 v[10:11], v[4:5] offset:512
	flat_load_dwordx2 v[12:13], v[4:5] offset:1024
	flat_load_dwordx2 v[14:15], v[4:5] offset:1536
	flat_load_dwordx2 v[16:17], v[0:1]
	v_mad_i64_i32 v[4:5], s[2:3], s21, v141, 0
	v_lshl_add_u64 v[4:5], v[4:5], 3, s[16:17]
	v_mad_i64_i32 v[0:1], s[2:3], s20, v141, 0
	v_lshl_add_u64 v[4:5], v[4:5], 0, v[6:7]
	v_lshl_add_u64 v[0:1], v[0:1], 3, s[14:15]
	flat_load_dwordx2 v[64:65], v[4:5]
	flat_load_dwordx2 v[66:67], v[4:5] offset:512
	flat_load_dwordx2 v[68:69], v[4:5] offset:1024
	;; [unrolled: 1-line block ×3, first 2 shown]
	v_lshl_add_u64 v[0:1], v[0:1], 0, v[2:3]
	flat_load_dwordx2 v[72:73], v[0:1]
	s_load_dwordx2 s[2:3], s[10:11], 0x0
	v_lshlrev_b32_e32 v0, 3, v140
	v_lshl_add_u32 v142, v144, 5, v0
	s_mov_b64 s[8:9], -1
	v_mov_b32_e32 v76, 0x7f800000
	v_mov_b32_e32 v77, 0x7f800000
	;; [unrolled: 1-line block ×37, first 2 shown]
	v_or_b32_e32 v143, 0x4000, v142
	v_mov_b32_e32 v113, 0x7f800000
	v_mov_b32_e32 v114, 0x7f800000
	;; [unrolled: 1-line block ×25, first 2 shown]
	s_waitcnt vmcnt(0) lgkmcnt(0)
	ds_write2st64_b64 v142, v[8:9], v[10:11] offset1:4
	ds_write2st64_b64 v142, v[12:13], v[14:15] offset0:8 offset1:12
	ds_write_b64 v142, v[16:17] offset:16384
	s_waitcnt lgkmcnt(0)
	s_barrier
.LBB118_9:                              ; =>This Inner Loop Header: Depth=1
	v_cndmask_b32_e64 v0, 0, 1, s[8:9]
	s_lshl_b32 s8, s24, 3
	v_cmp_ne_u32_e32 vcc, 1, v0
	v_lshl_add_u32 v0, v133, 5, s8
	v_lshl_add_u32 v20, v134, 5, s8
	ds_read_b128 v[32:35], v0 offset:16384
	ds_read_b128 v[28:31], v0 offset:16640
	;; [unrolled: 1-line block ×8, first 2 shown]
	ds_read_b128 v[146:149], v20
	ds_read_b128 v[56:59], v20 offset:1024
	ds_read_b128 v[52:55], v20 offset:2048
	;; [unrolled: 1-line block ×7, first 2 shown]
	s_waitcnt lgkmcnt(7)
	v_add_f64 v[150:151], v[34:35], v[148:149]
	v_add_f64 v[152:153], v[32:33], v[146:147]
	v_cvt_f32_f64_e32 v145, v[152:153]
	v_cvt_f32_f64_e32 v150, v[150:151]
	v_min3_f32 v139, v145, v150, v139
	v_add_f64 v[150:151], v[30:31], v[148:149]
	v_add_f64 v[152:153], v[28:29], v[146:147]
	v_cvt_f32_f64_e32 v145, v[152:153]
	v_cvt_f32_f64_e32 v150, v[150:151]
	v_min3_f32 v138, v145, v150, v138
	;; [unrolled: 5-line block ×6, first 2 shown]
	v_add_f64 v[150:151], v[6:7], v[148:149]
	v_add_f64 v[152:153], v[4:5], v[146:147]
	v_cvt_f32_f64_e32 v145, v[152:153]
	v_cvt_f32_f64_e32 v150, v[150:151]
	v_add_f64 v[148:149], v[2:3], v[148:149]
	v_add_f64 v[146:147], v[0:1], v[146:147]
	v_min3_f32 v131, v145, v150, v131
	v_cvt_f32_f64_e32 v145, v[146:147]
	v_cvt_f32_f64_e32 v146, v[148:149]
	v_min3_f32 v130, v145, v146, v130
	s_waitcnt lgkmcnt(6)
	v_add_f64 v[146:147], v[34:35], v[58:59]
	v_add_f64 v[148:149], v[32:33], v[56:57]
	v_cvt_f32_f64_e32 v145, v[148:149]
	v_cvt_f32_f64_e32 v146, v[146:147]
	v_min3_f32 v129, v145, v146, v129
	v_add_f64 v[146:147], v[30:31], v[58:59]
	v_add_f64 v[148:149], v[28:29], v[56:57]
	v_cvt_f32_f64_e32 v145, v[148:149]
	v_cvt_f32_f64_e32 v146, v[146:147]
	v_min3_f32 v128, v145, v146, v128
	v_add_f64 v[146:147], v[26:27], v[58:59]
	v_add_f64 v[148:149], v[24:25], v[56:57]
	v_cvt_f32_f64_e32 v145, v[148:149]
	v_cvt_f32_f64_e32 v146, v[146:147]
	v_min3_f32 v127, v145, v146, v127
	v_add_f64 v[146:147], v[18:19], v[58:59]
	v_add_f64 v[148:149], v[16:17], v[56:57]
	v_cvt_f32_f64_e32 v145, v[148:149]
	v_cvt_f32_f64_e32 v146, v[146:147]
	v_min3_f32 v126, v145, v146, v126
	v_add_f64 v[146:147], v[14:15], v[58:59]
	v_add_f64 v[148:149], v[12:13], v[56:57]
	v_cvt_f32_f64_e32 v145, v[148:149]
	v_cvt_f32_f64_e32 v146, v[146:147]
	v_min3_f32 v125, v145, v146, v125
	v_add_f64 v[146:147], v[10:11], v[58:59]
	v_add_f64 v[148:149], v[8:9], v[56:57]
	v_cvt_f32_f64_e32 v145, v[148:149]
	v_cvt_f32_f64_e32 v146, v[146:147]
	v_min3_f32 v124, v145, v146, v124
	v_add_f64 v[146:147], v[6:7], v[58:59]
	v_add_f64 v[148:149], v[4:5], v[56:57]
	v_add_f64 v[58:59], v[2:3], v[58:59]
	v_add_f64 v[56:57], v[0:1], v[56:57]
	v_cvt_f32_f64_e32 v56, v[56:57]
	v_cvt_f32_f64_e32 v57, v[58:59]
	v_min3_f32 v122, v56, v57, v122
	s_waitcnt lgkmcnt(5)
	v_add_f64 v[56:57], v[34:35], v[54:55]
	v_add_f64 v[58:59], v[32:33], v[52:53]
	v_cvt_f32_f64_e32 v58, v[58:59]
	v_cvt_f32_f64_e32 v56, v[56:57]
	v_min3_f32 v121, v58, v56, v121
	v_add_f64 v[56:57], v[30:31], v[54:55]
	v_add_f64 v[58:59], v[28:29], v[52:53]
	v_cvt_f32_f64_e32 v58, v[58:59]
	v_cvt_f32_f64_e32 v56, v[56:57]
	v_min3_f32 v120, v58, v56, v120
	v_add_f64 v[56:57], v[26:27], v[54:55]
	v_add_f64 v[58:59], v[24:25], v[52:53]
	v_cvt_f32_f64_e32 v58, v[58:59]
	v_cvt_f32_f64_e32 v56, v[56:57]
	v_min3_f32 v119, v58, v56, v119
	v_add_f64 v[56:57], v[18:19], v[54:55]
	v_add_f64 v[58:59], v[16:17], v[52:53]
	v_cvt_f32_f64_e32 v58, v[58:59]
	v_cvt_f32_f64_e32 v56, v[56:57]
	v_min3_f32 v118, v58, v56, v118
	v_add_f64 v[56:57], v[14:15], v[54:55]
	v_add_f64 v[58:59], v[12:13], v[52:53]
	v_cvt_f32_f64_e32 v58, v[58:59]
	v_cvt_f32_f64_e32 v56, v[56:57]
	v_min3_f32 v117, v58, v56, v117
	v_add_f64 v[56:57], v[10:11], v[54:55]
	v_add_f64 v[58:59], v[8:9], v[52:53]
	v_cvt_f32_f64_e32 v58, v[58:59]
	v_cvt_f32_f64_e32 v56, v[56:57]
	v_min3_f32 v116, v58, v56, v116
	v_add_f64 v[56:57], v[6:7], v[54:55]
	v_add_f64 v[58:59], v[4:5], v[52:53]
	v_add_f64 v[54:55], v[2:3], v[54:55]
	v_add_f64 v[52:53], v[0:1], v[52:53]
	;; [unrolled: 38-line block ×6, first 2 shown]
	s_waitcnt lgkmcnt(0)
	v_add_f64 v[34:35], v[34:35], v[22:23]
	v_add_f64 v[32:33], v[32:33], v[20:21]
	;; [unrolled: 1-line block ×16, first 2 shown]
	v_cvt_f32_f64_e32 v145, v[148:149]
	v_cvt_f32_f64_e32 v146, v[146:147]
	;; [unrolled: 1-line block ×30, first 2 shown]
	v_min3_f32 v123, v145, v146, v123
	v_min3_f32 v115, v58, v56, v115
	;; [unrolled: 1-line block ×15, first 2 shown]
	s_mov_b32 s24, 2
	s_mov_b64 s[8:9], 0
	s_cbranch_vccz .LBB118_9
; %bb.10:
	s_load_dword s10, s[0:1], 0x8
	v_lshlrev_b32_e32 v0, 5, v144
	v_lshl_add_u32 v0, v140, 3, v0
	ds_write_b64 v0, v[72:73] offset:18432
	ds_write2st64_b64 v0, v[64:65], v[66:67] offset0:16 offset1:20
	ds_write2st64_b64 v0, v[68:69], v[70:71] offset0:24 offset1:28
	s_waitcnt lgkmcnt(0)
	s_cmp_lt_i32 s10, 9
	s_barrier
	s_cbranch_scc1 .LBB118_17
; %bb.11:
	v_add_u32_e32 v144, 0x4800, v0
	v_or_b32_e32 v145, 0x2000, v0
	s_add_i32 s10, s10, -8
	v_lshl_add_u64 v[60:61], v[60:61], 3, s[14:15]
	v_lshl_add_u64 v[62:63], v[62:63], 3, s[16:17]
	s_mov_b32 s11, 8
	s_mov_b32 s14, 0
.LBB118_12:                             ; =>This Loop Header: Depth=1
                                        ;     Child Loop BB118_13 Depth 2
                                        ;     Child Loop BB118_15 Depth 2
	v_add_u32_e32 v4, s11, v140
	v_mad_u64_u32 v[0:1], s[8:9], v4, s20, 0
	v_mov_b32_e32 v2, v1
	v_mad_u64_u32 v[2:3], s[8:9], v4, s22, v[2:3]
	v_mov_b32_e32 v1, v2
	v_lshl_add_u64 v[0:1], v[0:1], 3, v[60:61]
	flat_load_dwordx2 v[64:65], v[0:1]
	v_mad_u64_u32 v[0:1], s[8:9], v4, s21, 0
	v_mov_b32_e32 v2, v1
	v_mad_u64_u32 v[2:3], s[8:9], v4, s23, v[2:3]
	v_mov_b32_e32 v1, v2
	v_lshl_add_u64 v[0:1], v[0:1], 3, v[62:63]
	flat_load_dwordx2 v[66:67], v[0:1]
	flat_load_dwordx2 v[68:69], v[0:1] offset:512
	flat_load_dwordx2 v[70:71], v[0:1] offset:1024
	;; [unrolled: 1-line block ×3, first 2 shown]
	s_mov_b64 s[8:9], -1
	s_mov_b32 s15, 0
.LBB118_13:                             ;   Parent Loop BB118_12 Depth=1
                                        ; =>  This Inner Loop Header: Depth=2
	v_cndmask_b32_e64 v0, 0, 1, s[8:9]
	s_lshl_b32 s8, s15, 3
	v_cmp_ne_u32_e32 vcc, 1, v0
	v_lshl_add_u32 v0, v133, 5, s8
	v_lshl_add_u32 v20, v134, 5, s8
	ds_read_b128 v[32:35], v0 offset:18432
	ds_read_b128 v[28:31], v0 offset:18688
	;; [unrolled: 1-line block ×16, first 2 shown]
	s_waitcnt lgkmcnt(0)
	v_add_f64 v[150:151], v[34:35], v[148:149]
	v_add_f64 v[152:153], v[32:33], v[146:147]
	v_cvt_f32_f64_e32 v152, v[152:153]
	v_cvt_f32_f64_e32 v150, v[150:151]
	v_min3_f32 v139, v152, v150, v139
	v_add_f64 v[150:151], v[30:31], v[148:149]
	v_add_f64 v[152:153], v[28:29], v[146:147]
	v_cvt_f32_f64_e32 v152, v[152:153]
	v_cvt_f32_f64_e32 v150, v[150:151]
	v_min3_f32 v138, v152, v150, v138
	v_add_f64 v[150:151], v[26:27], v[148:149]
	v_add_f64 v[152:153], v[24:25], v[146:147]
	v_cvt_f32_f64_e32 v152, v[152:153]
	v_cvt_f32_f64_e32 v150, v[150:151]
	v_min3_f32 v137, v152, v150, v137
	v_add_f64 v[150:151], v[18:19], v[148:149]
	v_add_f64 v[152:153], v[16:17], v[146:147]
	v_cvt_f32_f64_e32 v152, v[152:153]
	v_cvt_f32_f64_e32 v150, v[150:151]
	v_min3_f32 v136, v152, v150, v136
	v_add_f64 v[150:151], v[14:15], v[148:149]
	v_add_f64 v[152:153], v[12:13], v[146:147]
	v_cvt_f32_f64_e32 v152, v[152:153]
	v_cvt_f32_f64_e32 v150, v[150:151]
	v_min3_f32 v135, v152, v150, v135
	v_add_f64 v[150:151], v[10:11], v[148:149]
	v_add_f64 v[152:153], v[8:9], v[146:147]
	v_cvt_f32_f64_e32 v152, v[152:153]
	v_cvt_f32_f64_e32 v150, v[150:151]
	v_min3_f32 v132, v152, v150, v132
	v_add_f64 v[150:151], v[6:7], v[148:149]
	v_add_f64 v[152:153], v[4:5], v[146:147]
	v_add_f64 v[148:149], v[2:3], v[148:149]
	v_add_f64 v[146:147], v[0:1], v[146:147]
	v_cvt_f32_f64_e32 v146, v[146:147]
	v_cvt_f32_f64_e32 v147, v[148:149]
	v_min3_f32 v130, v146, v147, v130
	v_add_f64 v[146:147], v[34:35], v[58:59]
	v_add_f64 v[148:149], v[32:33], v[56:57]
	v_cvt_f32_f64_e32 v148, v[148:149]
	v_cvt_f32_f64_e32 v146, v[146:147]
	v_min3_f32 v129, v148, v146, v129
	v_add_f64 v[146:147], v[30:31], v[58:59]
	v_add_f64 v[148:149], v[28:29], v[56:57]
	v_cvt_f32_f64_e32 v148, v[148:149]
	v_cvt_f32_f64_e32 v146, v[146:147]
	v_min3_f32 v128, v148, v146, v128
	v_add_f64 v[146:147], v[26:27], v[58:59]
	v_add_f64 v[148:149], v[24:25], v[56:57]
	v_cvt_f32_f64_e32 v148, v[148:149]
	v_cvt_f32_f64_e32 v146, v[146:147]
	v_min3_f32 v127, v148, v146, v127
	v_add_f64 v[146:147], v[18:19], v[58:59]
	v_add_f64 v[148:149], v[16:17], v[56:57]
	v_cvt_f32_f64_e32 v148, v[148:149]
	v_cvt_f32_f64_e32 v146, v[146:147]
	v_min3_f32 v126, v148, v146, v126
	v_add_f64 v[146:147], v[14:15], v[58:59]
	v_add_f64 v[148:149], v[12:13], v[56:57]
	v_cvt_f32_f64_e32 v148, v[148:149]
	v_cvt_f32_f64_e32 v146, v[146:147]
	v_min3_f32 v125, v148, v146, v125
	v_add_f64 v[146:147], v[10:11], v[58:59]
	v_add_f64 v[148:149], v[8:9], v[56:57]
	v_cvt_f32_f64_e32 v148, v[148:149]
	v_cvt_f32_f64_e32 v146, v[146:147]
	v_min3_f32 v124, v148, v146, v124
	v_add_f64 v[146:147], v[6:7], v[58:59]
	v_add_f64 v[148:149], v[4:5], v[56:57]
	v_add_f64 v[58:59], v[2:3], v[58:59]
	v_add_f64 v[56:57], v[0:1], v[56:57]
	v_cvt_f32_f64_e32 v56, v[56:57]
	v_cvt_f32_f64_e32 v57, v[58:59]
	v_min3_f32 v122, v56, v57, v122
	;; [unrolled: 37-line block ×6, first 2 shown]
	v_add_f64 v[40:41], v[34:35], v[38:39]
	v_add_f64 v[42:43], v[32:33], v[36:37]
	v_cvt_f32_f64_e32 v42, v[42:43]
	v_cvt_f32_f64_e32 v40, v[40:41]
	v_min3_f32 v89, v42, v40, v89
	v_add_f64 v[40:41], v[30:31], v[38:39]
	v_add_f64 v[42:43], v[28:29], v[36:37]
	v_cvt_f32_f64_e32 v42, v[42:43]
	v_cvt_f32_f64_e32 v40, v[40:41]
	v_min3_f32 v88, v42, v40, v88
	;; [unrolled: 5-line block ×6, first 2 shown]
	v_add_f64 v[40:41], v[6:7], v[38:39]
	v_add_f64 v[42:43], v[4:5], v[36:37]
	;; [unrolled: 1-line block ×20, first 2 shown]
	v_cvt_f32_f64_e32 v152, v[152:153]
	v_cvt_f32_f64_e32 v150, v[150:151]
	;; [unrolled: 1-line block ×32, first 2 shown]
	v_min3_f32 v131, v152, v150, v131
	v_min3_f32 v123, v148, v146, v123
	;; [unrolled: 1-line block ×16, first 2 shown]
	s_mov_b32 s15, 2
	s_mov_b64 s[8:9], 0
	s_cbranch_vccz .LBB118_13
; %bb.14:                               ;   in Loop: Header=BB118_12 Depth=1
	v_add_u32_e32 v4, s11, v141
	v_mad_u64_u32 v[0:1], s[8:9], v4, s20, 0
	v_mov_b32_e32 v2, v1
	v_mad_u64_u32 v[2:3], s[8:9], v4, s22, v[2:3]
	v_mov_b32_e32 v1, v2
	v_lshl_add_u64 v[0:1], v[0:1], 3, v[60:61]
	s_waitcnt vmcnt(0)
	ds_write_b64 v143, v[64:65]
	ds_write2st64_b64 v142, v[66:67], v[68:69] offset1:4
	ds_write2st64_b64 v142, v[70:71], v[72:73] offset0:8 offset1:12
	s_waitcnt lgkmcnt(0)
	s_barrier
	flat_load_dwordx2 v[64:65], v[0:1]
	v_mad_u64_u32 v[0:1], s[8:9], v4, s21, 0
	v_mov_b32_e32 v2, v1
	v_mad_u64_u32 v[2:3], s[8:9], v4, s23, v[2:3]
	v_mov_b32_e32 v1, v2
	v_lshl_add_u64 v[0:1], v[0:1], 3, v[62:63]
	flat_load_dwordx2 v[66:67], v[0:1]
	flat_load_dwordx2 v[68:69], v[0:1] offset:512
	flat_load_dwordx2 v[70:71], v[0:1] offset:1024
	;; [unrolled: 1-line block ×3, first 2 shown]
	s_mov_b32 s15, 0
	s_mov_b64 s[8:9], -1
.LBB118_15:                             ;   Parent Loop BB118_12 Depth=1
                                        ; =>  This Inner Loop Header: Depth=2
	v_cndmask_b32_e64 v0, 0, 1, s[8:9]
	s_lshl_b32 s8, s15, 3
	v_cmp_ne_u32_e32 vcc, 1, v0
	v_lshl_add_u32 v0, v133, 5, s8
	v_lshl_add_u32 v20, v134, 5, s8
	ds_read_b128 v[32:35], v0 offset:16384
	ds_read_b128 v[28:31], v0 offset:16640
	;; [unrolled: 1-line block ×8, first 2 shown]
	ds_read_b128 v[146:149], v20
	ds_read_b128 v[56:59], v20 offset:1024
	ds_read_b128 v[52:55], v20 offset:2048
	;; [unrolled: 1-line block ×7, first 2 shown]
	s_waitcnt lgkmcnt(0)
	v_add_f64 v[150:151], v[34:35], v[148:149]
	v_add_f64 v[152:153], v[32:33], v[146:147]
	v_cvt_f32_f64_e32 v152, v[152:153]
	v_cvt_f32_f64_e32 v150, v[150:151]
	v_min3_f32 v139, v152, v150, v139
	v_add_f64 v[150:151], v[30:31], v[148:149]
	v_add_f64 v[152:153], v[28:29], v[146:147]
	v_cvt_f32_f64_e32 v152, v[152:153]
	v_cvt_f32_f64_e32 v150, v[150:151]
	v_min3_f32 v138, v152, v150, v138
	v_add_f64 v[150:151], v[26:27], v[148:149]
	v_add_f64 v[152:153], v[24:25], v[146:147]
	v_cvt_f32_f64_e32 v152, v[152:153]
	v_cvt_f32_f64_e32 v150, v[150:151]
	v_min3_f32 v137, v152, v150, v137
	v_add_f64 v[150:151], v[18:19], v[148:149]
	v_add_f64 v[152:153], v[16:17], v[146:147]
	v_cvt_f32_f64_e32 v152, v[152:153]
	v_cvt_f32_f64_e32 v150, v[150:151]
	v_min3_f32 v136, v152, v150, v136
	v_add_f64 v[150:151], v[14:15], v[148:149]
	v_add_f64 v[152:153], v[12:13], v[146:147]
	v_cvt_f32_f64_e32 v152, v[152:153]
	v_cvt_f32_f64_e32 v150, v[150:151]
	v_min3_f32 v135, v152, v150, v135
	v_add_f64 v[150:151], v[10:11], v[148:149]
	v_add_f64 v[152:153], v[8:9], v[146:147]
	v_cvt_f32_f64_e32 v152, v[152:153]
	v_cvt_f32_f64_e32 v150, v[150:151]
	v_min3_f32 v132, v152, v150, v132
	v_add_f64 v[150:151], v[6:7], v[148:149]
	v_add_f64 v[152:153], v[4:5], v[146:147]
	v_add_f64 v[148:149], v[2:3], v[148:149]
	v_add_f64 v[146:147], v[0:1], v[146:147]
	v_cvt_f32_f64_e32 v146, v[146:147]
	v_cvt_f32_f64_e32 v147, v[148:149]
	v_min3_f32 v130, v146, v147, v130
	v_add_f64 v[146:147], v[34:35], v[58:59]
	v_add_f64 v[148:149], v[32:33], v[56:57]
	v_cvt_f32_f64_e32 v148, v[148:149]
	v_cvt_f32_f64_e32 v146, v[146:147]
	v_min3_f32 v129, v148, v146, v129
	v_add_f64 v[146:147], v[30:31], v[58:59]
	v_add_f64 v[148:149], v[28:29], v[56:57]
	v_cvt_f32_f64_e32 v148, v[148:149]
	v_cvt_f32_f64_e32 v146, v[146:147]
	v_min3_f32 v128, v148, v146, v128
	v_add_f64 v[146:147], v[26:27], v[58:59]
	v_add_f64 v[148:149], v[24:25], v[56:57]
	v_cvt_f32_f64_e32 v148, v[148:149]
	v_cvt_f32_f64_e32 v146, v[146:147]
	v_min3_f32 v127, v148, v146, v127
	v_add_f64 v[146:147], v[18:19], v[58:59]
	v_add_f64 v[148:149], v[16:17], v[56:57]
	v_cvt_f32_f64_e32 v148, v[148:149]
	v_cvt_f32_f64_e32 v146, v[146:147]
	v_min3_f32 v126, v148, v146, v126
	v_add_f64 v[146:147], v[14:15], v[58:59]
	v_add_f64 v[148:149], v[12:13], v[56:57]
	v_cvt_f32_f64_e32 v148, v[148:149]
	v_cvt_f32_f64_e32 v146, v[146:147]
	v_min3_f32 v125, v148, v146, v125
	v_add_f64 v[146:147], v[10:11], v[58:59]
	v_add_f64 v[148:149], v[8:9], v[56:57]
	v_cvt_f32_f64_e32 v148, v[148:149]
	v_cvt_f32_f64_e32 v146, v[146:147]
	v_min3_f32 v124, v148, v146, v124
	v_add_f64 v[146:147], v[6:7], v[58:59]
	v_add_f64 v[148:149], v[4:5], v[56:57]
	v_add_f64 v[58:59], v[2:3], v[58:59]
	v_add_f64 v[56:57], v[0:1], v[56:57]
	v_cvt_f32_f64_e32 v56, v[56:57]
	v_cvt_f32_f64_e32 v57, v[58:59]
	v_min3_f32 v122, v56, v57, v122
	;; [unrolled: 37-line block ×6, first 2 shown]
	v_add_f64 v[40:41], v[34:35], v[38:39]
	v_add_f64 v[42:43], v[32:33], v[36:37]
	v_cvt_f32_f64_e32 v42, v[42:43]
	v_cvt_f32_f64_e32 v40, v[40:41]
	v_min3_f32 v89, v42, v40, v89
	v_add_f64 v[40:41], v[30:31], v[38:39]
	v_add_f64 v[42:43], v[28:29], v[36:37]
	v_cvt_f32_f64_e32 v42, v[42:43]
	v_cvt_f32_f64_e32 v40, v[40:41]
	v_min3_f32 v88, v42, v40, v88
	;; [unrolled: 5-line block ×6, first 2 shown]
	v_add_f64 v[40:41], v[6:7], v[38:39]
	v_add_f64 v[42:43], v[4:5], v[36:37]
	;; [unrolled: 1-line block ×20, first 2 shown]
	v_cvt_f32_f64_e32 v152, v[152:153]
	v_cvt_f32_f64_e32 v150, v[150:151]
	;; [unrolled: 1-line block ×32, first 2 shown]
	v_min3_f32 v131, v152, v150, v131
	v_min3_f32 v123, v148, v146, v123
	;; [unrolled: 1-line block ×16, first 2 shown]
	s_mov_b32 s15, 2
	s_mov_b64 s[8:9], 0
	s_cbranch_vccz .LBB118_15
; %bb.16:                               ;   in Loop: Header=BB118_12 Depth=1
	s_add_i32 s11, s11, 8
	s_add_i32 s14, s14, 8
	s_cmp_ge_i32 s14, s10
	s_waitcnt vmcnt(0)
	ds_write_b64 v144, v[64:65]
	ds_write2st64_b64 v145, v[66:67], v[68:69] offset1:4
	ds_write2st64_b64 v145, v[70:71], v[72:73] offset0:8 offset1:12
	s_waitcnt lgkmcnt(0)
	s_barrier
	s_cbranch_scc0 .LBB118_12
.LBB118_17:
	s_mov_b32 s10, 0
	s_mov_b64 s[8:9], -1
.LBB118_18:                             ; =>This Inner Loop Header: Depth=1
	v_cndmask_b32_e64 v0, 0, 1, s[8:9]
	s_lshl_b32 s8, s10, 3
	v_cmp_ne_u32_e32 vcc, 1, v0
	v_lshl_add_u32 v0, v133, 5, s8
	v_lshl_add_u32 v20, v134, 5, s8
	ds_read_b128 v[32:35], v0 offset:18432
	ds_read_b128 v[28:31], v0 offset:18688
	;; [unrolled: 1-line block ×16, first 2 shown]
	s_waitcnt lgkmcnt(7)
	v_add_f64 v[64:65], v[34:35], v[62:63]
	v_add_f64 v[66:67], v[32:33], v[60:61]
	v_cvt_f32_f64_e32 v66, v[66:67]
	v_cvt_f32_f64_e32 v64, v[64:65]
	v_min3_f32 v139, v66, v64, v139
	v_add_f64 v[64:65], v[30:31], v[62:63]
	v_add_f64 v[66:67], v[28:29], v[60:61]
	v_cvt_f32_f64_e32 v66, v[66:67]
	v_cvt_f32_f64_e32 v64, v[64:65]
	v_min3_f32 v138, v66, v64, v138
	v_add_f64 v[64:65], v[26:27], v[62:63]
	v_add_f64 v[66:67], v[24:25], v[60:61]
	v_cvt_f32_f64_e32 v66, v[66:67]
	v_cvt_f32_f64_e32 v64, v[64:65]
	v_min3_f32 v137, v66, v64, v137
	v_add_f64 v[64:65], v[18:19], v[62:63]
	v_add_f64 v[66:67], v[16:17], v[60:61]
	v_cvt_f32_f64_e32 v66, v[66:67]
	v_cvt_f32_f64_e32 v64, v[64:65]
	v_min3_f32 v136, v66, v64, v136
	v_add_f64 v[64:65], v[14:15], v[62:63]
	v_add_f64 v[66:67], v[12:13], v[60:61]
	v_cvt_f32_f64_e32 v66, v[66:67]
	v_cvt_f32_f64_e32 v64, v[64:65]
	v_min3_f32 v135, v66, v64, v135
	v_add_f64 v[64:65], v[10:11], v[62:63]
	v_add_f64 v[66:67], v[8:9], v[60:61]
	v_cvt_f32_f64_e32 v66, v[66:67]
	v_cvt_f32_f64_e32 v64, v[64:65]
	v_min3_f32 v132, v66, v64, v132
	v_add_f64 v[64:65], v[6:7], v[62:63]
	v_add_f64 v[66:67], v[4:5], v[60:61]
	v_add_f64 v[62:63], v[2:3], v[62:63]
	v_add_f64 v[60:61], v[0:1], v[60:61]
	v_cvt_f32_f64_e32 v60, v[60:61]
	v_cvt_f32_f64_e32 v61, v[62:63]
	v_min3_f32 v130, v60, v61, v130
	s_waitcnt lgkmcnt(6)
	v_add_f64 v[60:61], v[34:35], v[58:59]
	v_add_f64 v[62:63], v[32:33], v[56:57]
	v_cvt_f32_f64_e32 v62, v[62:63]
	v_cvt_f32_f64_e32 v60, v[60:61]
	v_min3_f32 v129, v62, v60, v129
	v_add_f64 v[60:61], v[30:31], v[58:59]
	v_add_f64 v[62:63], v[28:29], v[56:57]
	v_cvt_f32_f64_e32 v62, v[62:63]
	v_cvt_f32_f64_e32 v60, v[60:61]
	v_min3_f32 v128, v62, v60, v128
	v_add_f64 v[60:61], v[26:27], v[58:59]
	v_add_f64 v[62:63], v[24:25], v[56:57]
	v_cvt_f32_f64_e32 v62, v[62:63]
	v_cvt_f32_f64_e32 v60, v[60:61]
	v_min3_f32 v127, v62, v60, v127
	v_add_f64 v[60:61], v[18:19], v[58:59]
	v_add_f64 v[62:63], v[16:17], v[56:57]
	v_cvt_f32_f64_e32 v62, v[62:63]
	v_cvt_f32_f64_e32 v60, v[60:61]
	v_min3_f32 v126, v62, v60, v126
	v_add_f64 v[60:61], v[14:15], v[58:59]
	v_add_f64 v[62:63], v[12:13], v[56:57]
	v_cvt_f32_f64_e32 v62, v[62:63]
	v_cvt_f32_f64_e32 v60, v[60:61]
	v_min3_f32 v125, v62, v60, v125
	v_add_f64 v[60:61], v[10:11], v[58:59]
	v_add_f64 v[62:63], v[8:9], v[56:57]
	v_cvt_f32_f64_e32 v62, v[62:63]
	v_cvt_f32_f64_e32 v60, v[60:61]
	v_min3_f32 v124, v62, v60, v124
	v_add_f64 v[60:61], v[6:7], v[58:59]
	v_add_f64 v[62:63], v[4:5], v[56:57]
	v_add_f64 v[58:59], v[2:3], v[58:59]
	v_add_f64 v[56:57], v[0:1], v[56:57]
	v_cvt_f32_f64_e32 v56, v[56:57]
	v_cvt_f32_f64_e32 v57, v[58:59]
	v_min3_f32 v122, v56, v57, v122
	;; [unrolled: 38-line block ×6, first 2 shown]
	s_waitcnt lgkmcnt(1)
	v_add_f64 v[40:41], v[34:35], v[38:39]
	v_add_f64 v[42:43], v[32:33], v[36:37]
	v_cvt_f32_f64_e32 v42, v[42:43]
	v_cvt_f32_f64_e32 v40, v[40:41]
	v_min3_f32 v89, v42, v40, v89
	v_add_f64 v[40:41], v[30:31], v[38:39]
	v_add_f64 v[42:43], v[28:29], v[36:37]
	v_cvt_f32_f64_e32 v42, v[42:43]
	v_cvt_f32_f64_e32 v40, v[40:41]
	v_min3_f32 v88, v42, v40, v88
	;; [unrolled: 5-line block ×6, first 2 shown]
	v_add_f64 v[40:41], v[6:7], v[38:39]
	v_add_f64 v[42:43], v[4:5], v[36:37]
	v_add_f64 v[38:39], v[2:3], v[38:39]
	v_add_f64 v[36:37], v[0:1], v[36:37]
	s_waitcnt lgkmcnt(0)
	v_add_f64 v[34:35], v[34:35], v[22:23]
	v_add_f64 v[32:33], v[32:33], v[20:21]
	;; [unrolled: 1-line block ×16, first 2 shown]
	v_cvt_f32_f64_e32 v66, v[66:67]
	v_cvt_f32_f64_e32 v64, v[64:65]
	v_cvt_f32_f64_e32 v62, v[62:63]
	v_cvt_f32_f64_e32 v60, v[60:61]
	v_cvt_f32_f64_e32 v58, v[58:59]
	v_cvt_f32_f64_e32 v56, v[56:57]
	v_cvt_f32_f64_e32 v54, v[54:55]
	v_cvt_f32_f64_e32 v52, v[52:53]
	v_cvt_f32_f64_e32 v50, v[50:51]
	v_cvt_f32_f64_e32 v48, v[48:49]
	v_cvt_f32_f64_e32 v46, v[46:47]
	v_cvt_f32_f64_e32 v44, v[44:45]
	v_cvt_f32_f64_e32 v42, v[42:43]
	v_cvt_f32_f64_e32 v40, v[40:41]
	v_cvt_f32_f64_e32 v36, v[36:37]
	v_cvt_f32_f64_e32 v37, v[38:39]
	v_cvt_f32_f64_e32 v32, v[32:33]
	v_cvt_f32_f64_e32 v33, v[34:35]
	v_cvt_f32_f64_e32 v28, v[28:29]
	v_cvt_f32_f64_e32 v29, v[30:31]
	v_cvt_f32_f64_e32 v24, v[24:25]
	v_cvt_f32_f64_e32 v25, v[26:27]
	v_cvt_f32_f64_e32 v16, v[16:17]
	v_cvt_f32_f64_e32 v17, v[18:19]
	v_cvt_f32_f64_e32 v12, v[12:13]
	v_cvt_f32_f64_e32 v13, v[14:15]
	v_cvt_f32_f64_e32 v8, v[8:9]
	v_cvt_f32_f64_e32 v9, v[10:11]
	v_cvt_f32_f64_e32 v4, v[4:5]
	v_cvt_f32_f64_e32 v5, v[6:7]
	v_cvt_f32_f64_e32 v0, v[0:1]
	v_cvt_f32_f64_e32 v1, v[2:3]
	v_min3_f32 v131, v66, v64, v131
	v_min3_f32 v123, v62, v60, v123
	;; [unrolled: 1-line block ×16, first 2 shown]
	s_mov_b32 s10, 2
	s_mov_b64 s[8:9], 0
	s_cbranch_vccz .LBB118_18
; %bb.19:
	s_load_dwordx2 s[8:9], s[0:1], 0x78
	s_load_dword s10, s[0:1], 0x58
	s_load_dword s11, s[0:1], 0x70
	v_add_u32_e32 v8, s18, v133
	v_add_u32_e32 v30, s19, v134
	s_waitcnt lgkmcnt(0)
	s_lshl_b64 s[0:1], s[8:9], 3
	s_add_u32 s0, s2, s0
	s_addc_u32 s1, s3, s1
	v_add_u32_e32 v0, 8, v8
	v_mad_i64_i32 v[2:3], s[2:3], v30, s11, 0
	v_ashrrev_i32_e32 v9, 31, v8
	v_ashrrev_i32_e32 v1, 31, v0
	v_lshl_add_u64 v[24:25], v[2:3], 3, s[0:1]
	v_mad_i64_i32 v[2:3], s[2:3], v30, s10, 0
	v_max_f32_e32 v4, v139, v139
	s_mov_b64 vcc, s[4:5]
	s_cbranch_vccz .LBB118_22
; %bb.20:
	v_min_f32_e32 v5, 0, v4
	v_cvt_f64_f32_e32 v[6:7], v5
	v_lshl_add_u64 v[10:11], v[8:9], 3, v[24:25]
	global_store_dwordx2 v[10:11], v[6:7], off
	s_mov_b64 s[2:3], 0
	v_lshl_add_u64 v[26:27], v[2:3], 3, s[12:13]
	v_lshlrev_b64 v[12:13], 3, v[8:9]
	s_cbranch_execz .LBB118_23
; %bb.21:
	v_mov_b64_e32 v[4:5], s[2:3]
	s_branch .LBB118_24
.LBB118_22:
                                        ; implicit-def: $sgpr2_sgpr3
	v_lshl_add_u64 v[26:27], v[2:3], 3, s[12:13]
	v_lshlrev_b64 v[12:13], 3, v[8:9]
.LBB118_23:
	v_lshl_add_u64 v[2:3], v[26:27], 0, v[12:13]
	flat_load_dwordx2 v[2:3], v[2:3]
	v_lshl_add_u64 v[6:7], v[24:25], 0, v[12:13]
	s_waitcnt vmcnt(0) lgkmcnt(0)
	v_mul_f64 v[2:3], v[2:3], s[6:7]
	v_cvt_f32_f64_e32 v2, v[2:3]
	v_min_f32_e32 v2, v2, v4
	v_cvt_f64_f32_e32 v[2:3], v2
	global_store_dwordx2 v[6:7], v[2:3], off
	v_lshl_add_u64 v[2:3], v[0:1], 3, v[26:27]
	flat_load_dwordx2 v[2:3], v[2:3]
	s_waitcnt vmcnt(0) lgkmcnt(0)
	v_mul_f64 v[4:5], v[2:3], s[6:7]
.LBB118_24:
	v_cvt_f32_f64_e32 v4, v[4:5]
	v_max_f32_e32 v5, v138, v138
	v_min_f32_e32 v4, v4, v5
	v_add_u32_e32 v10, 16, v8
	v_add_u32_e32 v2, 24, v8
	v_cvt_f64_f32_e32 v[4:5], v4
	v_lshl_add_u64 v[6:7], v[0:1], 3, v[24:25]
	v_ashrrev_i32_e32 v11, 31, v10
	v_ashrrev_i32_e32 v3, 31, v2
	global_store_dwordx2 v[6:7], v[4:5], off
	v_max_f32_e32 v4, v137, v137
	s_mov_b64 vcc, s[4:5]
	s_cbranch_vccz .LBB118_27
; %bb.25:
	v_min_f32_e32 v5, 0, v4
	v_cvt_f64_f32_e32 v[6:7], v5
	v_lshl_add_u64 v[14:15], v[10:11], 3, v[24:25]
	global_store_dwordx2 v[14:15], v[6:7], off
	s_mov_b64 s[2:3], 0
	v_lshlrev_b64 v[16:17], 3, v[10:11]
	s_cbranch_execz .LBB118_28
; %bb.26:
	v_mov_b64_e32 v[6:7], s[2:3]
	s_branch .LBB118_29
.LBB118_27:
                                        ; implicit-def: $sgpr2_sgpr3
	v_lshlrev_b64 v[16:17], 3, v[10:11]
.LBB118_28:
	v_lshl_add_u64 v[6:7], v[26:27], 0, v[16:17]
	flat_load_dwordx2 v[6:7], v[6:7]
	v_lshl_add_u64 v[14:15], v[24:25], 0, v[16:17]
	s_waitcnt vmcnt(0) lgkmcnt(0)
	v_mul_f64 v[6:7], v[6:7], s[6:7]
	v_cvt_f32_f64_e32 v5, v[6:7]
	v_min_f32_e32 v4, v5, v4
	v_cvt_f64_f32_e32 v[4:5], v4
	global_store_dwordx2 v[14:15], v[4:5], off
	v_lshl_add_u64 v[4:5], v[2:3], 3, v[26:27]
	flat_load_dwordx2 v[4:5], v[4:5]
	s_waitcnt vmcnt(0) lgkmcnt(0)
	v_mul_f64 v[6:7], v[4:5], s[6:7]
.LBB118_29:
	v_cvt_f32_f64_e32 v6, v[6:7]
	v_max_f32_e32 v7, v136, v136
	v_min_f32_e32 v6, v6, v7
	v_add_u32_e32 v14, 32, v8
	v_add_u32_e32 v4, 40, v8
	v_cvt_f64_f32_e32 v[6:7], v6
	v_lshl_add_u64 v[18:19], v[2:3], 3, v[24:25]
	v_ashrrev_i32_e32 v15, 31, v14
	v_ashrrev_i32_e32 v5, 31, v4
	global_store_dwordx2 v[18:19], v[6:7], off
	v_max_f32_e32 v6, v135, v135
	s_mov_b64 vcc, s[4:5]
	s_cbranch_vccz .LBB118_32
; %bb.30:
	v_min_f32_e32 v7, 0, v6
	v_cvt_f64_f32_e32 v[18:19], v7
	v_lshl_add_u64 v[20:21], v[14:15], 3, v[24:25]
	global_store_dwordx2 v[20:21], v[18:19], off
	s_mov_b64 s[2:3], 0
	v_lshlrev_b64 v[20:21], 3, v[14:15]
	s_cbranch_execz .LBB118_33
; %bb.31:
	v_mov_b64_e32 v[22:23], s[2:3]
	s_branch .LBB118_34
.LBB118_32:
                                        ; implicit-def: $sgpr2_sgpr3
	v_lshlrev_b64 v[20:21], 3, v[14:15]
.LBB118_33:
	v_lshl_add_u64 v[18:19], v[26:27], 0, v[20:21]
	flat_load_dwordx2 v[18:19], v[18:19]
	v_lshl_add_u64 v[22:23], v[24:25], 0, v[20:21]
	s_waitcnt vmcnt(0) lgkmcnt(0)
	v_mul_f64 v[18:19], v[18:19], s[6:7]
	v_cvt_f32_f64_e32 v7, v[18:19]
	v_min_f32_e32 v6, v7, v6
	v_cvt_f64_f32_e32 v[6:7], v6
	global_store_dwordx2 v[22:23], v[6:7], off
	v_lshl_add_u64 v[6:7], v[4:5], 3, v[26:27]
	flat_load_dwordx2 v[6:7], v[6:7]
	s_waitcnt vmcnt(0) lgkmcnt(0)
	v_mul_f64 v[22:23], v[6:7], s[6:7]
.LBB118_34:
	v_cvt_f32_f64_e32 v22, v[22:23]
	v_max_f32_e32 v23, v132, v132
	v_min_f32_e32 v22, v22, v23
	v_add_u32_e32 v18, 48, v8
	v_add_u32_e32 v6, 56, v8
	v_cvt_f64_f32_e32 v[22:23], v22
	v_lshl_add_u64 v[28:29], v[4:5], 3, v[24:25]
	v_ashrrev_i32_e32 v19, 31, v18
	v_ashrrev_i32_e32 v7, 31, v6
	global_store_dwordx2 v[28:29], v[22:23], off
	v_max_f32_e32 v28, v131, v131
	s_mov_b64 vcc, s[4:5]
	s_cbranch_vccz .LBB118_37
; %bb.35:
	v_min_f32_e32 v22, 0, v28
	v_cvt_f64_f32_e32 v[22:23], v22
	v_lshl_add_u64 v[32:33], v[18:19], 3, v[24:25]
	global_store_dwordx2 v[32:33], v[22:23], off
	s_mov_b64 s[2:3], 0
	v_lshlrev_b64 v[22:23], 3, v[18:19]
	s_cbranch_execz .LBB118_38
; %bb.36:
	v_mov_b64_e32 v[26:27], s[2:3]
	s_branch .LBB118_39
.LBB118_37:
                                        ; implicit-def: $sgpr2_sgpr3
	v_lshlrev_b64 v[22:23], 3, v[18:19]
.LBB118_38:
	v_lshl_add_u64 v[32:33], v[26:27], 0, v[22:23]
	flat_load_dwordx2 v[32:33], v[32:33]
	v_lshl_add_u64 v[34:35], v[24:25], 0, v[22:23]
	v_lshl_add_u64 v[26:27], v[6:7], 3, v[26:27]
	s_waitcnt vmcnt(0) lgkmcnt(0)
	v_mul_f64 v[32:33], v[32:33], s[6:7]
	v_cvt_f32_f64_e32 v29, v[32:33]
	v_min_f32_e32 v28, v29, v28
	v_cvt_f64_f32_e32 v[28:29], v28
	global_store_dwordx2 v[34:35], v[28:29], off
	flat_load_dwordx2 v[26:27], v[26:27]
	s_waitcnt vmcnt(0) lgkmcnt(0)
	v_mul_f64 v[26:27], v[26:27], s[6:7]
.LBB118_39:
	v_cvt_f32_f64_e32 v26, v[26:27]
	v_max_f32_e32 v27, v130, v130
	v_min_f32_e32 v26, v26, v27
	v_cvt_f64_f32_e32 v[26:27], v26
	v_lshl_add_u64 v[24:25], v[6:7], 3, v[24:25]
	global_store_dwordx2 v[24:25], v[26:27], off
	v_add_u32_e32 v26, 32, v30
	v_mad_i64_i32 v[24:25], s[2:3], v26, s11, 0
	v_lshl_add_u64 v[24:25], v[24:25], 3, s[0:1]
	v_mad_i64_i32 v[26:27], s[2:3], v26, s10, 0
	v_max_f32_e32 v28, v129, v129
	s_mov_b64 vcc, s[4:5]
	s_cbranch_vccz .LBB118_42
; %bb.40:
	v_min_f32_e32 v29, 0, v28
	v_cvt_f64_f32_e32 v[32:33], v29
	v_lshl_add_u64 v[34:35], v[8:9], 3, v[24:25]
	global_store_dwordx2 v[34:35], v[32:33], off
	s_mov_b64 s[2:3], 0
	v_lshl_add_u64 v[26:27], v[26:27], 3, s[12:13]
	s_cbranch_execz .LBB118_43
; %bb.41:
	v_mov_b64_e32 v[28:29], s[2:3]
	s_branch .LBB118_44
.LBB118_42:
                                        ; implicit-def: $sgpr2_sgpr3
	v_lshl_add_u64 v[26:27], v[26:27], 3, s[12:13]
.LBB118_43:
	v_lshl_add_u64 v[32:33], v[26:27], 0, v[12:13]
	flat_load_dwordx2 v[32:33], v[32:33]
	v_lshl_add_u64 v[34:35], v[24:25], 0, v[12:13]
	s_waitcnt vmcnt(0) lgkmcnt(0)
	v_mul_f64 v[32:33], v[32:33], s[6:7]
	v_cvt_f32_f64_e32 v29, v[32:33]
	v_min_f32_e32 v28, v29, v28
	v_cvt_f64_f32_e32 v[28:29], v28
	global_store_dwordx2 v[34:35], v[28:29], off
	v_lshl_add_u64 v[28:29], v[0:1], 3, v[26:27]
	flat_load_dwordx2 v[28:29], v[28:29]
	s_waitcnt vmcnt(0) lgkmcnt(0)
	v_mul_f64 v[28:29], v[28:29], s[6:7]
.LBB118_44:
	v_cvt_f32_f64_e32 v28, v[28:29]
	v_max_f32_e32 v29, v128, v128
	v_min_f32_e32 v28, v28, v29
	v_cvt_f64_f32_e32 v[28:29], v28
	v_lshl_add_u64 v[32:33], v[0:1], 3, v[24:25]
	global_store_dwordx2 v[32:33], v[28:29], off
	v_max_f32_e32 v28, v127, v127
	s_mov_b64 vcc, s[4:5]
	s_cbranch_vccz .LBB118_47
; %bb.45:
	v_min_f32_e32 v29, 0, v28
	v_cvt_f64_f32_e32 v[32:33], v29
	v_lshl_add_u64 v[34:35], v[10:11], 3, v[24:25]
	global_store_dwordx2 v[34:35], v[32:33], off
	s_mov_b64 s[2:3], 0
	s_cbranch_execz .LBB118_48
; %bb.46:
	v_mov_b64_e32 v[28:29], s[2:3]
	s_branch .LBB118_49
.LBB118_47:
                                        ; implicit-def: $sgpr2_sgpr3
.LBB118_48:
	v_lshl_add_u64 v[32:33], v[26:27], 0, v[16:17]
	flat_load_dwordx2 v[32:33], v[32:33]
	v_lshl_add_u64 v[34:35], v[24:25], 0, v[16:17]
	s_waitcnt vmcnt(0) lgkmcnt(0)
	v_mul_f64 v[32:33], v[32:33], s[6:7]
	v_cvt_f32_f64_e32 v29, v[32:33]
	v_min_f32_e32 v28, v29, v28
	v_cvt_f64_f32_e32 v[28:29], v28
	global_store_dwordx2 v[34:35], v[28:29], off
	v_lshl_add_u64 v[28:29], v[2:3], 3, v[26:27]
	flat_load_dwordx2 v[28:29], v[28:29]
	s_waitcnt vmcnt(0) lgkmcnt(0)
	v_mul_f64 v[28:29], v[28:29], s[6:7]
.LBB118_49:
	v_cvt_f32_f64_e32 v28, v[28:29]
	v_max_f32_e32 v29, v126, v126
	v_min_f32_e32 v28, v28, v29
	v_cvt_f64_f32_e32 v[28:29], v28
	v_lshl_add_u64 v[32:33], v[2:3], 3, v[24:25]
	global_store_dwordx2 v[32:33], v[28:29], off
	v_max_f32_e32 v28, v125, v125
	s_mov_b64 vcc, s[4:5]
	s_cbranch_vccz .LBB118_52
; %bb.50:
	v_min_f32_e32 v29, 0, v28
	v_cvt_f64_f32_e32 v[32:33], v29
	v_lshl_add_u64 v[34:35], v[14:15], 3, v[24:25]
	global_store_dwordx2 v[34:35], v[32:33], off
	s_mov_b64 s[2:3], 0
	s_cbranch_execz .LBB118_53
; %bb.51:
	v_mov_b64_e32 v[28:29], s[2:3]
	s_branch .LBB118_54
.LBB118_52:
                                        ; implicit-def: $sgpr2_sgpr3
.LBB118_53:
	v_lshl_add_u64 v[32:33], v[26:27], 0, v[20:21]
	flat_load_dwordx2 v[32:33], v[32:33]
	v_lshl_add_u64 v[34:35], v[24:25], 0, v[20:21]
	s_waitcnt vmcnt(0) lgkmcnt(0)
	v_mul_f64 v[32:33], v[32:33], s[6:7]
	v_cvt_f32_f64_e32 v29, v[32:33]
	v_min_f32_e32 v28, v29, v28
	v_cvt_f64_f32_e32 v[28:29], v28
	global_store_dwordx2 v[34:35], v[28:29], off
	v_lshl_add_u64 v[28:29], v[4:5], 3, v[26:27]
	flat_load_dwordx2 v[28:29], v[28:29]
	s_waitcnt vmcnt(0) lgkmcnt(0)
	v_mul_f64 v[28:29], v[28:29], s[6:7]
.LBB118_54:
	v_cvt_f32_f64_e32 v28, v[28:29]
	v_max_f32_e32 v29, v124, v124
	v_min_f32_e32 v28, v28, v29
	v_cvt_f64_f32_e32 v[28:29], v28
	v_lshl_add_u64 v[32:33], v[4:5], 3, v[24:25]
	global_store_dwordx2 v[32:33], v[28:29], off
	v_max_f32_e32 v28, v123, v123
	s_mov_b64 vcc, s[4:5]
	s_cbranch_vccz .LBB118_57
; %bb.55:
	v_min_f32_e32 v29, 0, v28
	v_cvt_f64_f32_e32 v[32:33], v29
	v_lshl_add_u64 v[34:35], v[18:19], 3, v[24:25]
	global_store_dwordx2 v[34:35], v[32:33], off
	s_mov_b64 s[2:3], 0
	s_cbranch_execz .LBB118_58
; %bb.56:
	v_mov_b64_e32 v[26:27], s[2:3]
	s_branch .LBB118_59
.LBB118_57:
                                        ; implicit-def: $sgpr2_sgpr3
.LBB118_58:
	v_lshl_add_u64 v[32:33], v[26:27], 0, v[22:23]
	flat_load_dwordx2 v[32:33], v[32:33]
	v_lshl_add_u64 v[34:35], v[24:25], 0, v[22:23]
	v_lshl_add_u64 v[26:27], v[6:7], 3, v[26:27]
	s_waitcnt vmcnt(0) lgkmcnt(0)
	v_mul_f64 v[32:33], v[32:33], s[6:7]
	v_cvt_f32_f64_e32 v29, v[32:33]
	v_min_f32_e32 v28, v29, v28
	v_cvt_f64_f32_e32 v[28:29], v28
	global_store_dwordx2 v[34:35], v[28:29], off
	flat_load_dwordx2 v[26:27], v[26:27]
	s_waitcnt vmcnt(0) lgkmcnt(0)
	v_mul_f64 v[26:27], v[26:27], s[6:7]
.LBB118_59:
	v_cvt_f32_f64_e32 v26, v[26:27]
	v_max_f32_e32 v27, v122, v122
	v_min_f32_e32 v26, v26, v27
	v_cvt_f64_f32_e32 v[26:27], v26
	v_lshl_add_u64 v[24:25], v[6:7], 3, v[24:25]
	global_store_dwordx2 v[24:25], v[26:27], off
	v_add_u32_e32 v26, 64, v30
	v_mad_i64_i32 v[24:25], s[2:3], v26, s11, 0
	v_lshl_add_u64 v[24:25], v[24:25], 3, s[0:1]
	v_mad_i64_i32 v[26:27], s[2:3], v26, s10, 0
	v_max_f32_e32 v28, v121, v121
	s_mov_b64 vcc, s[4:5]
	s_cbranch_vccz .LBB118_62
; %bb.60:
	v_min_f32_e32 v29, 0, v28
	v_cvt_f64_f32_e32 v[32:33], v29
	v_lshl_add_u64 v[34:35], v[8:9], 3, v[24:25]
	global_store_dwordx2 v[34:35], v[32:33], off
	s_mov_b64 s[2:3], 0
	v_lshl_add_u64 v[26:27], v[26:27], 3, s[12:13]
	s_cbranch_execz .LBB118_63
; %bb.61:
	v_mov_b64_e32 v[28:29], s[2:3]
	s_branch .LBB118_64
.LBB118_62:
                                        ; implicit-def: $sgpr2_sgpr3
	v_lshl_add_u64 v[26:27], v[26:27], 3, s[12:13]
.LBB118_63:
	v_lshl_add_u64 v[32:33], v[26:27], 0, v[12:13]
	flat_load_dwordx2 v[32:33], v[32:33]
	v_lshl_add_u64 v[34:35], v[24:25], 0, v[12:13]
	s_waitcnt vmcnt(0) lgkmcnt(0)
	v_mul_f64 v[32:33], v[32:33], s[6:7]
	v_cvt_f32_f64_e32 v29, v[32:33]
	v_min_f32_e32 v28, v29, v28
	v_cvt_f64_f32_e32 v[28:29], v28
	global_store_dwordx2 v[34:35], v[28:29], off
	v_lshl_add_u64 v[28:29], v[0:1], 3, v[26:27]
	flat_load_dwordx2 v[28:29], v[28:29]
	s_waitcnt vmcnt(0) lgkmcnt(0)
	v_mul_f64 v[28:29], v[28:29], s[6:7]
.LBB118_64:
	v_cvt_f32_f64_e32 v28, v[28:29]
	v_max_f32_e32 v29, v120, v120
	v_min_f32_e32 v28, v28, v29
	v_cvt_f64_f32_e32 v[28:29], v28
	v_lshl_add_u64 v[32:33], v[0:1], 3, v[24:25]
	global_store_dwordx2 v[32:33], v[28:29], off
	v_max_f32_e32 v28, v119, v119
	s_mov_b64 vcc, s[4:5]
	s_cbranch_vccz .LBB118_67
; %bb.65:
	v_min_f32_e32 v29, 0, v28
	v_cvt_f64_f32_e32 v[32:33], v29
	v_lshl_add_u64 v[34:35], v[10:11], 3, v[24:25]
	global_store_dwordx2 v[34:35], v[32:33], off
	s_mov_b64 s[2:3], 0
	s_cbranch_execz .LBB118_68
; %bb.66:
	v_mov_b64_e32 v[28:29], s[2:3]
	s_branch .LBB118_69
.LBB118_67:
                                        ; implicit-def: $sgpr2_sgpr3
.LBB118_68:
	v_lshl_add_u64 v[32:33], v[26:27], 0, v[16:17]
	flat_load_dwordx2 v[32:33], v[32:33]
	v_lshl_add_u64 v[34:35], v[24:25], 0, v[16:17]
	s_waitcnt vmcnt(0) lgkmcnt(0)
	v_mul_f64 v[32:33], v[32:33], s[6:7]
	v_cvt_f32_f64_e32 v29, v[32:33]
	v_min_f32_e32 v28, v29, v28
	v_cvt_f64_f32_e32 v[28:29], v28
	global_store_dwordx2 v[34:35], v[28:29], off
	v_lshl_add_u64 v[28:29], v[2:3], 3, v[26:27]
	flat_load_dwordx2 v[28:29], v[28:29]
	s_waitcnt vmcnt(0) lgkmcnt(0)
	v_mul_f64 v[28:29], v[28:29], s[6:7]
.LBB118_69:
	v_cvt_f32_f64_e32 v28, v[28:29]
	v_max_f32_e32 v29, v118, v118
	v_min_f32_e32 v28, v28, v29
	v_cvt_f64_f32_e32 v[28:29], v28
	v_lshl_add_u64 v[32:33], v[2:3], 3, v[24:25]
	global_store_dwordx2 v[32:33], v[28:29], off
	v_max_f32_e32 v28, v117, v117
	s_mov_b64 vcc, s[4:5]
	s_cbranch_vccz .LBB118_72
; %bb.70:
	v_min_f32_e32 v29, 0, v28
	v_cvt_f64_f32_e32 v[32:33], v29
	v_lshl_add_u64 v[34:35], v[14:15], 3, v[24:25]
	global_store_dwordx2 v[34:35], v[32:33], off
	s_mov_b64 s[2:3], 0
	s_cbranch_execz .LBB118_73
; %bb.71:
	v_mov_b64_e32 v[28:29], s[2:3]
	s_branch .LBB118_74
.LBB118_72:
                                        ; implicit-def: $sgpr2_sgpr3
.LBB118_73:
	v_lshl_add_u64 v[32:33], v[26:27], 0, v[20:21]
	flat_load_dwordx2 v[32:33], v[32:33]
	v_lshl_add_u64 v[34:35], v[24:25], 0, v[20:21]
	s_waitcnt vmcnt(0) lgkmcnt(0)
	v_mul_f64 v[32:33], v[32:33], s[6:7]
	v_cvt_f32_f64_e32 v29, v[32:33]
	v_min_f32_e32 v28, v29, v28
	v_cvt_f64_f32_e32 v[28:29], v28
	global_store_dwordx2 v[34:35], v[28:29], off
	v_lshl_add_u64 v[28:29], v[4:5], 3, v[26:27]
	flat_load_dwordx2 v[28:29], v[28:29]
	s_waitcnt vmcnt(0) lgkmcnt(0)
	v_mul_f64 v[28:29], v[28:29], s[6:7]
.LBB118_74:
	v_cvt_f32_f64_e32 v28, v[28:29]
	v_max_f32_e32 v29, v116, v116
	v_min_f32_e32 v28, v28, v29
	v_cvt_f64_f32_e32 v[28:29], v28
	v_lshl_add_u64 v[32:33], v[4:5], 3, v[24:25]
	global_store_dwordx2 v[32:33], v[28:29], off
	v_max_f32_e32 v28, v115, v115
	s_mov_b64 vcc, s[4:5]
	s_cbranch_vccz .LBB118_77
; %bb.75:
	v_min_f32_e32 v29, 0, v28
	v_cvt_f64_f32_e32 v[32:33], v29
	v_lshl_add_u64 v[34:35], v[18:19], 3, v[24:25]
	global_store_dwordx2 v[34:35], v[32:33], off
	s_mov_b64 s[2:3], 0
	s_cbranch_execz .LBB118_78
; %bb.76:
	v_mov_b64_e32 v[26:27], s[2:3]
	s_branch .LBB118_79
.LBB118_77:
                                        ; implicit-def: $sgpr2_sgpr3
.LBB118_78:
	v_lshl_add_u64 v[32:33], v[26:27], 0, v[22:23]
	flat_load_dwordx2 v[32:33], v[32:33]
	v_lshl_add_u64 v[34:35], v[24:25], 0, v[22:23]
	v_lshl_add_u64 v[26:27], v[6:7], 3, v[26:27]
	s_waitcnt vmcnt(0) lgkmcnt(0)
	v_mul_f64 v[32:33], v[32:33], s[6:7]
	v_cvt_f32_f64_e32 v29, v[32:33]
	v_min_f32_e32 v28, v29, v28
	v_cvt_f64_f32_e32 v[28:29], v28
	global_store_dwordx2 v[34:35], v[28:29], off
	flat_load_dwordx2 v[26:27], v[26:27]
	s_waitcnt vmcnt(0) lgkmcnt(0)
	v_mul_f64 v[26:27], v[26:27], s[6:7]
.LBB118_79:
	v_cvt_f32_f64_e32 v26, v[26:27]
	v_max_f32_e32 v27, v114, v114
	v_min_f32_e32 v26, v26, v27
	v_cvt_f64_f32_e32 v[26:27], v26
	v_lshl_add_u64 v[24:25], v[6:7], 3, v[24:25]
	global_store_dwordx2 v[24:25], v[26:27], off
	v_add_u32_e32 v26, 0x60, v30
	v_mad_i64_i32 v[24:25], s[2:3], v26, s11, 0
	v_lshl_add_u64 v[24:25], v[24:25], 3, s[0:1]
	v_mad_i64_i32 v[26:27], s[2:3], v26, s10, 0
	v_max_f32_e32 v28, v113, v113
	s_mov_b64 vcc, s[4:5]
	s_cbranch_vccz .LBB118_82
; %bb.80:
	v_min_f32_e32 v29, 0, v28
	v_cvt_f64_f32_e32 v[32:33], v29
	v_lshl_add_u64 v[34:35], v[8:9], 3, v[24:25]
	global_store_dwordx2 v[34:35], v[32:33], off
	s_mov_b64 s[2:3], 0
	v_lshl_add_u64 v[26:27], v[26:27], 3, s[12:13]
	s_cbranch_execz .LBB118_83
; %bb.81:
	v_mov_b64_e32 v[28:29], s[2:3]
	s_branch .LBB118_84
.LBB118_82:
                                        ; implicit-def: $sgpr2_sgpr3
	v_lshl_add_u64 v[26:27], v[26:27], 3, s[12:13]
.LBB118_83:
	v_lshl_add_u64 v[32:33], v[26:27], 0, v[12:13]
	flat_load_dwordx2 v[32:33], v[32:33]
	v_lshl_add_u64 v[34:35], v[24:25], 0, v[12:13]
	s_waitcnt vmcnt(0) lgkmcnt(0)
	v_mul_f64 v[32:33], v[32:33], s[6:7]
	v_cvt_f32_f64_e32 v29, v[32:33]
	v_min_f32_e32 v28, v29, v28
	v_cvt_f64_f32_e32 v[28:29], v28
	global_store_dwordx2 v[34:35], v[28:29], off
	v_lshl_add_u64 v[28:29], v[0:1], 3, v[26:27]
	flat_load_dwordx2 v[28:29], v[28:29]
	s_waitcnt vmcnt(0) lgkmcnt(0)
	v_mul_f64 v[28:29], v[28:29], s[6:7]
.LBB118_84:
	v_cvt_f32_f64_e32 v28, v[28:29]
	v_max_f32_e32 v29, v112, v112
	v_min_f32_e32 v28, v28, v29
	v_cvt_f64_f32_e32 v[28:29], v28
	v_lshl_add_u64 v[32:33], v[0:1], 3, v[24:25]
	global_store_dwordx2 v[32:33], v[28:29], off
	v_max_f32_e32 v28, v111, v111
	s_mov_b64 vcc, s[4:5]
	s_cbranch_vccz .LBB118_87
; %bb.85:
	v_min_f32_e32 v29, 0, v28
	v_cvt_f64_f32_e32 v[32:33], v29
	v_lshl_add_u64 v[34:35], v[10:11], 3, v[24:25]
	global_store_dwordx2 v[34:35], v[32:33], off
	s_mov_b64 s[2:3], 0
	s_cbranch_execz .LBB118_88
; %bb.86:
	v_mov_b64_e32 v[28:29], s[2:3]
	s_branch .LBB118_89
.LBB118_87:
                                        ; implicit-def: $sgpr2_sgpr3
.LBB118_88:
	v_lshl_add_u64 v[32:33], v[26:27], 0, v[16:17]
	flat_load_dwordx2 v[32:33], v[32:33]
	v_lshl_add_u64 v[34:35], v[24:25], 0, v[16:17]
	s_waitcnt vmcnt(0) lgkmcnt(0)
	v_mul_f64 v[32:33], v[32:33], s[6:7]
	v_cvt_f32_f64_e32 v29, v[32:33]
	v_min_f32_e32 v28, v29, v28
	v_cvt_f64_f32_e32 v[28:29], v28
	global_store_dwordx2 v[34:35], v[28:29], off
	v_lshl_add_u64 v[28:29], v[2:3], 3, v[26:27]
	flat_load_dwordx2 v[28:29], v[28:29]
	s_waitcnt vmcnt(0) lgkmcnt(0)
	v_mul_f64 v[28:29], v[28:29], s[6:7]
.LBB118_89:
	v_cvt_f32_f64_e32 v28, v[28:29]
	v_max_f32_e32 v29, v110, v110
	v_min_f32_e32 v28, v28, v29
	v_cvt_f64_f32_e32 v[28:29], v28
	v_lshl_add_u64 v[32:33], v[2:3], 3, v[24:25]
	global_store_dwordx2 v[32:33], v[28:29], off
	v_max_f32_e32 v28, v109, v109
	s_mov_b64 vcc, s[4:5]
	s_cbranch_vccz .LBB118_92
; %bb.90:
	v_min_f32_e32 v29, 0, v28
	v_cvt_f64_f32_e32 v[32:33], v29
	v_lshl_add_u64 v[34:35], v[14:15], 3, v[24:25]
	global_store_dwordx2 v[34:35], v[32:33], off
	s_mov_b64 s[2:3], 0
	s_cbranch_execz .LBB118_93
; %bb.91:
	v_mov_b64_e32 v[28:29], s[2:3]
	s_branch .LBB118_94
.LBB118_92:
                                        ; implicit-def: $sgpr2_sgpr3
.LBB118_93:
	v_lshl_add_u64 v[32:33], v[26:27], 0, v[20:21]
	flat_load_dwordx2 v[32:33], v[32:33]
	v_lshl_add_u64 v[34:35], v[24:25], 0, v[20:21]
	s_waitcnt vmcnt(0) lgkmcnt(0)
	v_mul_f64 v[32:33], v[32:33], s[6:7]
	v_cvt_f32_f64_e32 v29, v[32:33]
	v_min_f32_e32 v28, v29, v28
	v_cvt_f64_f32_e32 v[28:29], v28
	global_store_dwordx2 v[34:35], v[28:29], off
	v_lshl_add_u64 v[28:29], v[4:5], 3, v[26:27]
	flat_load_dwordx2 v[28:29], v[28:29]
	s_waitcnt vmcnt(0) lgkmcnt(0)
	v_mul_f64 v[28:29], v[28:29], s[6:7]
.LBB118_94:
	v_cvt_f32_f64_e32 v28, v[28:29]
	v_max_f32_e32 v29, v108, v108
	v_min_f32_e32 v28, v28, v29
	v_cvt_f64_f32_e32 v[28:29], v28
	v_lshl_add_u64 v[32:33], v[4:5], 3, v[24:25]
	global_store_dwordx2 v[32:33], v[28:29], off
	v_max_f32_e32 v28, v107, v107
	s_mov_b64 vcc, s[4:5]
	s_cbranch_vccz .LBB118_97
; %bb.95:
	v_min_f32_e32 v29, 0, v28
	v_cvt_f64_f32_e32 v[32:33], v29
	v_lshl_add_u64 v[34:35], v[18:19], 3, v[24:25]
	global_store_dwordx2 v[34:35], v[32:33], off
	s_mov_b64 s[2:3], 0
	s_cbranch_execz .LBB118_98
; %bb.96:
	v_mov_b64_e32 v[26:27], s[2:3]
	s_branch .LBB118_99
.LBB118_97:
                                        ; implicit-def: $sgpr2_sgpr3
.LBB118_98:
	v_lshl_add_u64 v[32:33], v[26:27], 0, v[22:23]
	flat_load_dwordx2 v[32:33], v[32:33]
	v_lshl_add_u64 v[34:35], v[24:25], 0, v[22:23]
	v_lshl_add_u64 v[26:27], v[6:7], 3, v[26:27]
	s_waitcnt vmcnt(0) lgkmcnt(0)
	v_mul_f64 v[32:33], v[32:33], s[6:7]
	v_cvt_f32_f64_e32 v29, v[32:33]
	v_min_f32_e32 v28, v29, v28
	v_cvt_f64_f32_e32 v[28:29], v28
	global_store_dwordx2 v[34:35], v[28:29], off
	flat_load_dwordx2 v[26:27], v[26:27]
	s_waitcnt vmcnt(0) lgkmcnt(0)
	v_mul_f64 v[26:27], v[26:27], s[6:7]
.LBB118_99:
	v_cvt_f32_f64_e32 v26, v[26:27]
	v_max_f32_e32 v27, v106, v106
	v_min_f32_e32 v26, v26, v27
	v_cvt_f64_f32_e32 v[26:27], v26
	v_lshl_add_u64 v[24:25], v[6:7], 3, v[24:25]
	global_store_dwordx2 v[24:25], v[26:27], off
	v_add_u32_e32 v26, 0x80, v30
	v_mad_i64_i32 v[24:25], s[2:3], v26, s11, 0
	v_lshl_add_u64 v[24:25], v[24:25], 3, s[0:1]
	v_mad_i64_i32 v[26:27], s[2:3], v26, s10, 0
	v_max_f32_e32 v28, v105, v105
	s_mov_b64 vcc, s[4:5]
	s_cbranch_vccz .LBB118_102
; %bb.100:
	v_min_f32_e32 v29, 0, v28
	v_cvt_f64_f32_e32 v[32:33], v29
	v_lshl_add_u64 v[34:35], v[8:9], 3, v[24:25]
	global_store_dwordx2 v[34:35], v[32:33], off
	s_mov_b64 s[2:3], 0
	v_lshl_add_u64 v[26:27], v[26:27], 3, s[12:13]
	s_cbranch_execz .LBB118_103
; %bb.101:
	v_mov_b64_e32 v[28:29], s[2:3]
	s_branch .LBB118_104
.LBB118_102:
                                        ; implicit-def: $sgpr2_sgpr3
	v_lshl_add_u64 v[26:27], v[26:27], 3, s[12:13]
.LBB118_103:
	v_lshl_add_u64 v[32:33], v[26:27], 0, v[12:13]
	flat_load_dwordx2 v[32:33], v[32:33]
	v_lshl_add_u64 v[34:35], v[24:25], 0, v[12:13]
	s_waitcnt vmcnt(0) lgkmcnt(0)
	v_mul_f64 v[32:33], v[32:33], s[6:7]
	v_cvt_f32_f64_e32 v29, v[32:33]
	v_min_f32_e32 v28, v29, v28
	v_cvt_f64_f32_e32 v[28:29], v28
	global_store_dwordx2 v[34:35], v[28:29], off
	v_lshl_add_u64 v[28:29], v[0:1], 3, v[26:27]
	flat_load_dwordx2 v[28:29], v[28:29]
	s_waitcnt vmcnt(0) lgkmcnt(0)
	v_mul_f64 v[28:29], v[28:29], s[6:7]
.LBB118_104:
	v_cvt_f32_f64_e32 v28, v[28:29]
	v_max_f32_e32 v29, v104, v104
	v_min_f32_e32 v28, v28, v29
	v_cvt_f64_f32_e32 v[28:29], v28
	v_lshl_add_u64 v[32:33], v[0:1], 3, v[24:25]
	global_store_dwordx2 v[32:33], v[28:29], off
	v_max_f32_e32 v28, v103, v103
	s_mov_b64 vcc, s[4:5]
	s_cbranch_vccz .LBB118_107
; %bb.105:
	v_min_f32_e32 v29, 0, v28
	v_cvt_f64_f32_e32 v[32:33], v29
	v_lshl_add_u64 v[34:35], v[10:11], 3, v[24:25]
	global_store_dwordx2 v[34:35], v[32:33], off
	s_mov_b64 s[2:3], 0
	s_cbranch_execz .LBB118_108
; %bb.106:
	v_mov_b64_e32 v[28:29], s[2:3]
	s_branch .LBB118_109
.LBB118_107:
                                        ; implicit-def: $sgpr2_sgpr3
.LBB118_108:
	v_lshl_add_u64 v[32:33], v[26:27], 0, v[16:17]
	flat_load_dwordx2 v[32:33], v[32:33]
	v_lshl_add_u64 v[34:35], v[24:25], 0, v[16:17]
	s_waitcnt vmcnt(0) lgkmcnt(0)
	v_mul_f64 v[32:33], v[32:33], s[6:7]
	v_cvt_f32_f64_e32 v29, v[32:33]
	v_min_f32_e32 v28, v29, v28
	v_cvt_f64_f32_e32 v[28:29], v28
	global_store_dwordx2 v[34:35], v[28:29], off
	v_lshl_add_u64 v[28:29], v[2:3], 3, v[26:27]
	flat_load_dwordx2 v[28:29], v[28:29]
	s_waitcnt vmcnt(0) lgkmcnt(0)
	v_mul_f64 v[28:29], v[28:29], s[6:7]
.LBB118_109:
	v_cvt_f32_f64_e32 v28, v[28:29]
	v_max_f32_e32 v29, v102, v102
	v_min_f32_e32 v28, v28, v29
	v_cvt_f64_f32_e32 v[28:29], v28
	v_lshl_add_u64 v[32:33], v[2:3], 3, v[24:25]
	global_store_dwordx2 v[32:33], v[28:29], off
	v_max_f32_e32 v28, v101, v101
	s_mov_b64 vcc, s[4:5]
	s_cbranch_vccz .LBB118_112
; %bb.110:
	v_min_f32_e32 v29, 0, v28
	v_cvt_f64_f32_e32 v[32:33], v29
	v_lshl_add_u64 v[34:35], v[14:15], 3, v[24:25]
	global_store_dwordx2 v[34:35], v[32:33], off
	s_mov_b64 s[2:3], 0
	s_cbranch_execz .LBB118_113
; %bb.111:
	v_mov_b64_e32 v[28:29], s[2:3]
	s_branch .LBB118_114
.LBB118_112:
                                        ; implicit-def: $sgpr2_sgpr3
.LBB118_113:
	v_lshl_add_u64 v[32:33], v[26:27], 0, v[20:21]
	flat_load_dwordx2 v[32:33], v[32:33]
	v_lshl_add_u64 v[34:35], v[24:25], 0, v[20:21]
	s_waitcnt vmcnt(0) lgkmcnt(0)
	v_mul_f64 v[32:33], v[32:33], s[6:7]
	v_cvt_f32_f64_e32 v29, v[32:33]
	v_min_f32_e32 v28, v29, v28
	v_cvt_f64_f32_e32 v[28:29], v28
	global_store_dwordx2 v[34:35], v[28:29], off
	v_lshl_add_u64 v[28:29], v[4:5], 3, v[26:27]
	flat_load_dwordx2 v[28:29], v[28:29]
	s_waitcnt vmcnt(0) lgkmcnt(0)
	v_mul_f64 v[28:29], v[28:29], s[6:7]
.LBB118_114:
	v_cvt_f32_f64_e32 v28, v[28:29]
	v_max_f32_e32 v29, v100, v100
	v_min_f32_e32 v28, v28, v29
	v_cvt_f64_f32_e32 v[28:29], v28
	v_lshl_add_u64 v[32:33], v[4:5], 3, v[24:25]
	global_store_dwordx2 v[32:33], v[28:29], off
	v_max_f32_e32 v28, v99, v99
	s_mov_b64 vcc, s[4:5]
	s_cbranch_vccz .LBB118_117
; %bb.115:
	v_min_f32_e32 v29, 0, v28
	v_cvt_f64_f32_e32 v[32:33], v29
	v_lshl_add_u64 v[34:35], v[18:19], 3, v[24:25]
	global_store_dwordx2 v[34:35], v[32:33], off
	s_mov_b64 s[2:3], 0
	s_cbranch_execz .LBB118_118
; %bb.116:
	v_mov_b64_e32 v[26:27], s[2:3]
	s_branch .LBB118_119
.LBB118_117:
                                        ; implicit-def: $sgpr2_sgpr3
.LBB118_118:
	v_lshl_add_u64 v[32:33], v[26:27], 0, v[22:23]
	flat_load_dwordx2 v[32:33], v[32:33]
	v_lshl_add_u64 v[34:35], v[24:25], 0, v[22:23]
	v_lshl_add_u64 v[26:27], v[6:7], 3, v[26:27]
	s_waitcnt vmcnt(0) lgkmcnt(0)
	v_mul_f64 v[32:33], v[32:33], s[6:7]
	v_cvt_f32_f64_e32 v29, v[32:33]
	v_min_f32_e32 v28, v29, v28
	v_cvt_f64_f32_e32 v[28:29], v28
	global_store_dwordx2 v[34:35], v[28:29], off
	flat_load_dwordx2 v[26:27], v[26:27]
	s_waitcnt vmcnt(0) lgkmcnt(0)
	v_mul_f64 v[26:27], v[26:27], s[6:7]
.LBB118_119:
	v_cvt_f32_f64_e32 v26, v[26:27]
	v_max_f32_e32 v27, v98, v98
	v_min_f32_e32 v26, v26, v27
	v_cvt_f64_f32_e32 v[26:27], v26
	v_lshl_add_u64 v[24:25], v[6:7], 3, v[24:25]
	global_store_dwordx2 v[24:25], v[26:27], off
	v_add_u32_e32 v26, 0xa0, v30
	v_mad_i64_i32 v[24:25], s[2:3], v26, s11, 0
	v_lshl_add_u64 v[24:25], v[24:25], 3, s[0:1]
	v_mad_i64_i32 v[26:27], s[2:3], v26, s10, 0
	v_max_f32_e32 v28, v97, v97
	s_mov_b64 vcc, s[4:5]
	s_cbranch_vccz .LBB118_122
; %bb.120:
	v_min_f32_e32 v29, 0, v28
	v_cvt_f64_f32_e32 v[32:33], v29
	v_lshl_add_u64 v[34:35], v[8:9], 3, v[24:25]
	global_store_dwordx2 v[34:35], v[32:33], off
	s_mov_b64 s[2:3], 0
	v_lshl_add_u64 v[26:27], v[26:27], 3, s[12:13]
	s_cbranch_execz .LBB118_123
; %bb.121:
	v_mov_b64_e32 v[28:29], s[2:3]
	s_branch .LBB118_124
.LBB118_122:
                                        ; implicit-def: $sgpr2_sgpr3
	v_lshl_add_u64 v[26:27], v[26:27], 3, s[12:13]
.LBB118_123:
	v_lshl_add_u64 v[32:33], v[26:27], 0, v[12:13]
	flat_load_dwordx2 v[32:33], v[32:33]
	v_lshl_add_u64 v[34:35], v[24:25], 0, v[12:13]
	s_waitcnt vmcnt(0) lgkmcnt(0)
	v_mul_f64 v[32:33], v[32:33], s[6:7]
	v_cvt_f32_f64_e32 v29, v[32:33]
	v_min_f32_e32 v28, v29, v28
	v_cvt_f64_f32_e32 v[28:29], v28
	global_store_dwordx2 v[34:35], v[28:29], off
	v_lshl_add_u64 v[28:29], v[0:1], 3, v[26:27]
	flat_load_dwordx2 v[28:29], v[28:29]
	s_waitcnt vmcnt(0) lgkmcnt(0)
	v_mul_f64 v[28:29], v[28:29], s[6:7]
.LBB118_124:
	v_cvt_f32_f64_e32 v28, v[28:29]
	v_max_f32_e32 v29, v96, v96
	v_min_f32_e32 v28, v28, v29
	v_cvt_f64_f32_e32 v[28:29], v28
	v_lshl_add_u64 v[32:33], v[0:1], 3, v[24:25]
	global_store_dwordx2 v[32:33], v[28:29], off
	v_max_f32_e32 v28, v95, v95
	s_mov_b64 vcc, s[4:5]
	s_cbranch_vccz .LBB118_127
; %bb.125:
	v_min_f32_e32 v29, 0, v28
	v_cvt_f64_f32_e32 v[32:33], v29
	v_lshl_add_u64 v[34:35], v[10:11], 3, v[24:25]
	s_mov_b32 s8, 0
	global_store_dwordx2 v[34:35], v[32:33], off
	s_cbranch_execz .LBB118_128
; %bb.126:
	v_mov_b32_e32 v28, s8
	s_branch .LBB118_129
.LBB118_127:
                                        ; implicit-def: $sgpr8
.LBB118_128:
	v_lshl_add_u64 v[32:33], v[26:27], 0, v[16:17]
	flat_load_dwordx2 v[32:33], v[32:33]
	v_lshl_add_u64 v[34:35], v[24:25], 0, v[16:17]
	s_waitcnt vmcnt(0) lgkmcnt(0)
	v_mul_f64 v[32:33], v[32:33], s[6:7]
	v_cvt_f32_f64_e32 v29, v[32:33]
	v_min_f32_e32 v28, v29, v28
	v_cvt_f64_f32_e32 v[28:29], v28
	global_store_dwordx2 v[34:35], v[28:29], off
	v_lshl_add_u64 v[28:29], v[2:3], 3, v[26:27]
	flat_load_dwordx2 v[28:29], v[28:29]
	s_waitcnt vmcnt(0) lgkmcnt(0)
	v_mul_f64 v[28:29], v[28:29], s[6:7]
	v_cvt_f32_f64_e32 v28, v[28:29]
.LBB118_129:
	v_max_f32_e32 v29, v94, v94
	v_max_f32_e32 v28, v28, v28
	v_min_f32_e32 v28, v28, v29
	v_cvt_f64_f32_e32 v[28:29], v28
	v_lshl_add_u64 v[32:33], v[2:3], 3, v[24:25]
	global_store_dwordx2 v[32:33], v[28:29], off
	v_max_f32_e32 v28, v93, v93
	s_mov_b64 vcc, s[4:5]
	s_cbranch_vccz .LBB118_132
; %bb.130:
	v_min_f32_e32 v29, 0, v28
	v_cvt_f64_f32_e32 v[32:33], v29
	v_lshl_add_u64 v[34:35], v[14:15], 3, v[24:25]
	s_mov_b32 s8, 0
	global_store_dwordx2 v[34:35], v[32:33], off
	s_cbranch_execz .LBB118_133
; %bb.131:
	v_mov_b32_e32 v28, s8
	s_branch .LBB118_134
.LBB118_132:
                                        ; implicit-def: $sgpr8
.LBB118_133:
	v_lshl_add_u64 v[32:33], v[26:27], 0, v[20:21]
	flat_load_dwordx2 v[32:33], v[32:33]
	v_lshl_add_u64 v[34:35], v[24:25], 0, v[20:21]
	s_waitcnt vmcnt(0) lgkmcnt(0)
	v_mul_f64 v[32:33], v[32:33], s[6:7]
	v_cvt_f32_f64_e32 v29, v[32:33]
	v_min_f32_e32 v28, v29, v28
	v_cvt_f64_f32_e32 v[28:29], v28
	global_store_dwordx2 v[34:35], v[28:29], off
	v_lshl_add_u64 v[28:29], v[4:5], 3, v[26:27]
	flat_load_dwordx2 v[28:29], v[28:29]
	s_waitcnt vmcnt(0) lgkmcnt(0)
	v_mul_f64 v[28:29], v[28:29], s[6:7]
	v_cvt_f32_f64_e32 v28, v[28:29]
.LBB118_134:
	v_max_f32_e32 v29, v92, v92
	v_max_f32_e32 v28, v28, v28
	v_min_f32_e32 v28, v28, v29
	v_cvt_f64_f32_e32 v[28:29], v28
	v_lshl_add_u64 v[32:33], v[4:5], 3, v[24:25]
	global_store_dwordx2 v[32:33], v[28:29], off
	v_max_f32_e32 v28, v91, v91
	s_mov_b64 vcc, s[4:5]
	s_cbranch_vccz .LBB118_137
; %bb.135:
	v_min_f32_e32 v29, 0, v28
	v_cvt_f64_f32_e32 v[32:33], v29
	v_lshl_add_u64 v[34:35], v[18:19], 3, v[24:25]
	s_mov_b32 s8, 0
	global_store_dwordx2 v[34:35], v[32:33], off
	s_cbranch_execz .LBB118_138
; %bb.136:
	v_mov_b32_e32 v26, s8
	s_branch .LBB118_139
.LBB118_137:
                                        ; implicit-def: $sgpr8
.LBB118_138:
	v_lshl_add_u64 v[32:33], v[26:27], 0, v[22:23]
	flat_load_dwordx2 v[32:33], v[32:33]
	v_lshl_add_u64 v[34:35], v[24:25], 0, v[22:23]
	v_lshl_add_u64 v[26:27], v[6:7], 3, v[26:27]
	s_waitcnt vmcnt(0) lgkmcnt(0)
	v_mul_f64 v[32:33], v[32:33], s[6:7]
	v_cvt_f32_f64_e32 v29, v[32:33]
	v_min_f32_e32 v28, v29, v28
	v_cvt_f64_f32_e32 v[28:29], v28
	global_store_dwordx2 v[34:35], v[28:29], off
	flat_load_dwordx2 v[26:27], v[26:27]
	s_waitcnt vmcnt(0) lgkmcnt(0)
	v_mul_f64 v[26:27], v[26:27], s[6:7]
	v_cvt_f32_f64_e32 v26, v[26:27]
.LBB118_139:
	v_max_f32_e32 v27, v90, v90
	v_max_f32_e32 v26, v26, v26
	v_min_f32_e32 v26, v26, v27
	v_cvt_f64_f32_e32 v[26:27], v26
	v_lshl_add_u64 v[24:25], v[6:7], 3, v[24:25]
	global_store_dwordx2 v[24:25], v[26:27], off
	v_add_u32_e32 v26, 0xc0, v30
	v_mad_i64_i32 v[24:25], s[2:3], v26, s11, 0
	v_lshl_add_u64 v[24:25], v[24:25], 3, s[0:1]
	v_mad_i64_i32 v[26:27], s[2:3], v26, s10, 0
	v_max_f32_e32 v28, v89, v89
	s_mov_b64 vcc, s[4:5]
	s_cbranch_vccz .LBB118_142
; %bb.140:
	v_min_f32_e32 v29, 0, v28
	v_cvt_f64_f32_e32 v[32:33], v29
	v_lshl_add_u64 v[34:35], v[8:9], 3, v[24:25]
	s_mov_b32 s8, 0
	global_store_dwordx2 v[34:35], v[32:33], off
	v_lshl_add_u64 v[26:27], v[26:27], 3, s[12:13]
	s_cbranch_execz .LBB118_143
; %bb.141:
	v_mov_b32_e32 v28, s8
	s_branch .LBB118_144
.LBB118_142:
                                        ; implicit-def: $sgpr8
	v_lshl_add_u64 v[26:27], v[26:27], 3, s[12:13]
.LBB118_143:
	v_lshl_add_u64 v[32:33], v[26:27], 0, v[12:13]
	flat_load_dwordx2 v[32:33], v[32:33]
	v_lshl_add_u64 v[34:35], v[24:25], 0, v[12:13]
	s_waitcnt vmcnt(0) lgkmcnt(0)
	v_mul_f64 v[32:33], v[32:33], s[6:7]
	v_cvt_f32_f64_e32 v29, v[32:33]
	v_min_f32_e32 v28, v29, v28
	v_cvt_f64_f32_e32 v[28:29], v28
	global_store_dwordx2 v[34:35], v[28:29], off
	v_lshl_add_u64 v[28:29], v[0:1], 3, v[26:27]
	flat_load_dwordx2 v[28:29], v[28:29]
	s_waitcnt vmcnt(0) lgkmcnt(0)
	v_mul_f64 v[28:29], v[28:29], s[6:7]
	v_cvt_f32_f64_e32 v28, v[28:29]
.LBB118_144:
	v_max_f32_e32 v29, v88, v88
	v_max_f32_e32 v28, v28, v28
	v_min_f32_e32 v28, v28, v29
	v_cvt_f64_f32_e32 v[28:29], v28
	v_lshl_add_u64 v[32:33], v[0:1], 3, v[24:25]
	global_store_dwordx2 v[32:33], v[28:29], off
	v_max_f32_e32 v28, v87, v87
	s_mov_b64 vcc, s[4:5]
	s_cbranch_vccz .LBB118_147
; %bb.145:
	v_min_f32_e32 v29, 0, v28
	v_cvt_f64_f32_e32 v[32:33], v29
	v_lshl_add_u64 v[34:35], v[10:11], 3, v[24:25]
	s_mov_b32 s8, 0
	global_store_dwordx2 v[34:35], v[32:33], off
	s_cbranch_execz .LBB118_148
; %bb.146:
	v_mov_b32_e32 v28, s8
	s_branch .LBB118_149
.LBB118_147:
                                        ; implicit-def: $sgpr8
.LBB118_148:
	v_lshl_add_u64 v[32:33], v[26:27], 0, v[16:17]
	flat_load_dwordx2 v[32:33], v[32:33]
	v_lshl_add_u64 v[34:35], v[24:25], 0, v[16:17]
	s_waitcnt vmcnt(0) lgkmcnt(0)
	v_mul_f64 v[32:33], v[32:33], s[6:7]
	v_cvt_f32_f64_e32 v29, v[32:33]
	v_min_f32_e32 v28, v29, v28
	v_cvt_f64_f32_e32 v[28:29], v28
	global_store_dwordx2 v[34:35], v[28:29], off
	v_lshl_add_u64 v[28:29], v[2:3], 3, v[26:27]
	flat_load_dwordx2 v[28:29], v[28:29]
	s_waitcnt vmcnt(0) lgkmcnt(0)
	v_mul_f64 v[28:29], v[28:29], s[6:7]
	v_cvt_f32_f64_e32 v28, v[28:29]
.LBB118_149:
	v_max_f32_e32 v29, v86, v86
	v_max_f32_e32 v28, v28, v28
	v_min_f32_e32 v28, v28, v29
	v_cvt_f64_f32_e32 v[28:29], v28
	v_lshl_add_u64 v[32:33], v[2:3], 3, v[24:25]
	global_store_dwordx2 v[32:33], v[28:29], off
	v_max_f32_e32 v28, v85, v85
	s_mov_b64 vcc, s[4:5]
	s_cbranch_vccz .LBB118_152
; %bb.150:
	v_min_f32_e32 v29, 0, v28
	v_cvt_f64_f32_e32 v[32:33], v29
	v_lshl_add_u64 v[34:35], v[14:15], 3, v[24:25]
	s_mov_b32 s8, 0
	global_store_dwordx2 v[34:35], v[32:33], off
	s_cbranch_execz .LBB118_153
; %bb.151:
	v_mov_b32_e32 v28, s8
	s_branch .LBB118_154
.LBB118_152:
                                        ; implicit-def: $sgpr8
.LBB118_153:
	v_lshl_add_u64 v[32:33], v[26:27], 0, v[20:21]
	flat_load_dwordx2 v[32:33], v[32:33]
	v_lshl_add_u64 v[34:35], v[24:25], 0, v[20:21]
	s_waitcnt vmcnt(0) lgkmcnt(0)
	v_mul_f64 v[32:33], v[32:33], s[6:7]
	v_cvt_f32_f64_e32 v29, v[32:33]
	v_min_f32_e32 v28, v29, v28
	v_cvt_f64_f32_e32 v[28:29], v28
	global_store_dwordx2 v[34:35], v[28:29], off
	v_lshl_add_u64 v[28:29], v[4:5], 3, v[26:27]
	flat_load_dwordx2 v[28:29], v[28:29]
	s_waitcnt vmcnt(0) lgkmcnt(0)
	v_mul_f64 v[28:29], v[28:29], s[6:7]
	v_cvt_f32_f64_e32 v28, v[28:29]
.LBB118_154:
	v_max_f32_e32 v29, v84, v84
	v_max_f32_e32 v28, v28, v28
	v_min_f32_e32 v28, v28, v29
	v_cvt_f64_f32_e32 v[28:29], v28
	v_lshl_add_u64 v[32:33], v[4:5], 3, v[24:25]
	global_store_dwordx2 v[32:33], v[28:29], off
	v_max_f32_e32 v28, v83, v83
	s_mov_b64 vcc, s[4:5]
	s_cbranch_vccz .LBB118_157
; %bb.155:
	v_min_f32_e32 v29, 0, v28
	v_cvt_f64_f32_e32 v[32:33], v29
	v_lshl_add_u64 v[34:35], v[18:19], 3, v[24:25]
	s_mov_b32 s8, 0
	global_store_dwordx2 v[34:35], v[32:33], off
	s_cbranch_execz .LBB118_158
; %bb.156:
	v_mov_b32_e32 v26, s8
	s_branch .LBB118_159
.LBB118_157:
                                        ; implicit-def: $sgpr8
.LBB118_158:
	v_lshl_add_u64 v[32:33], v[26:27], 0, v[22:23]
	flat_load_dwordx2 v[32:33], v[32:33]
	v_lshl_add_u64 v[34:35], v[24:25], 0, v[22:23]
	v_lshl_add_u64 v[26:27], v[6:7], 3, v[26:27]
	s_waitcnt vmcnt(0) lgkmcnt(0)
	v_mul_f64 v[32:33], v[32:33], s[6:7]
	v_cvt_f32_f64_e32 v29, v[32:33]
	v_min_f32_e32 v28, v29, v28
	v_cvt_f64_f32_e32 v[28:29], v28
	global_store_dwordx2 v[34:35], v[28:29], off
	flat_load_dwordx2 v[26:27], v[26:27]
	s_waitcnt vmcnt(0) lgkmcnt(0)
	v_mul_f64 v[26:27], v[26:27], s[6:7]
	v_cvt_f32_f64_e32 v26, v[26:27]
.LBB118_159:
	v_max_f32_e32 v27, v82, v82
	v_max_f32_e32 v26, v26, v26
	v_min_f32_e32 v26, v26, v27
	v_cvt_f64_f32_e32 v[26:27], v26
	v_lshl_add_u64 v[24:25], v[6:7], 3, v[24:25]
	global_store_dwordx2 v[24:25], v[26:27], off
	v_add_u32_e32 v26, 0xe0, v30
	v_mad_i64_i32 v[24:25], s[2:3], v26, s11, 0
	v_lshl_add_u64 v[24:25], v[24:25], 3, s[0:1]
	v_mad_i64_i32 v[26:27], s[0:1], v26, s10, 0
	v_max_f32_e32 v28, v81, v81
	s_mov_b64 vcc, s[4:5]
	s_cbranch_vccz .LBB118_162
; %bb.160:
	v_min_f32_e32 v29, 0, v28
	v_cvt_f64_f32_e32 v[30:31], v29
	v_lshl_add_u64 v[8:9], v[8:9], 3, v[24:25]
	s_mov_b32 s2, 0
	global_store_dwordx2 v[8:9], v[30:31], off
	v_lshl_add_u64 v[8:9], v[26:27], 3, s[12:13]
	s_cbranch_execz .LBB118_163
; %bb.161:
	v_mov_b32_e32 v12, s2
	s_branch .LBB118_164
.LBB118_162:
                                        ; implicit-def: $sgpr2
	v_lshl_add_u64 v[8:9], v[26:27], 3, s[12:13]
.LBB118_163:
	v_lshl_add_u64 v[26:27], v[8:9], 0, v[12:13]
	flat_load_dwordx2 v[26:27], v[26:27]
	v_lshl_add_u64 v[12:13], v[24:25], 0, v[12:13]
	s_waitcnt vmcnt(0) lgkmcnt(0)
	v_mul_f64 v[26:27], v[26:27], s[6:7]
	v_cvt_f32_f64_e32 v26, v[26:27]
	v_min_f32_e32 v26, v26, v28
	v_cvt_f64_f32_e32 v[26:27], v26
	global_store_dwordx2 v[12:13], v[26:27], off
	v_lshl_add_u64 v[12:13], v[0:1], 3, v[8:9]
	flat_load_dwordx2 v[12:13], v[12:13]
	s_waitcnt vmcnt(0) lgkmcnt(0)
	v_mul_f64 v[12:13], v[12:13], s[6:7]
	v_cvt_f32_f64_e32 v12, v[12:13]
.LBB118_164:
	v_max_f32_e32 v13, v80, v80
	v_max_f32_e32 v12, v12, v12
	v_min_f32_e32 v12, v12, v13
	v_cvt_f64_f32_e32 v[12:13], v12
	v_lshl_add_u64 v[0:1], v[0:1], 3, v[24:25]
	global_store_dwordx2 v[0:1], v[12:13], off
	v_max_f32_e32 v0, v79, v79
	s_mov_b64 vcc, s[4:5]
	s_cbranch_vccz .LBB118_167
; %bb.165:
	v_min_f32_e32 v1, 0, v0
	v_cvt_f64_f32_e32 v[12:13], v1
	v_lshl_add_u64 v[10:11], v[10:11], 3, v[24:25]
	s_mov_b32 s2, 0
	global_store_dwordx2 v[10:11], v[12:13], off
	s_cbranch_execz .LBB118_168
; %bb.166:
	v_mov_b32_e32 v0, s2
	s_branch .LBB118_169
.LBB118_167:
                                        ; implicit-def: $sgpr2
.LBB118_168:
	v_lshl_add_u64 v[10:11], v[8:9], 0, v[16:17]
	flat_load_dwordx2 v[10:11], v[10:11]
	v_lshl_add_u64 v[12:13], v[24:25], 0, v[16:17]
	s_waitcnt vmcnt(0) lgkmcnt(0)
	v_mul_f64 v[10:11], v[10:11], s[6:7]
	v_cvt_f32_f64_e32 v1, v[10:11]
	v_min_f32_e32 v0, v1, v0
	v_cvt_f64_f32_e32 v[0:1], v0
	global_store_dwordx2 v[12:13], v[0:1], off
	v_lshl_add_u64 v[0:1], v[2:3], 3, v[8:9]
	flat_load_dwordx2 v[0:1], v[0:1]
	s_waitcnt vmcnt(0) lgkmcnt(0)
	v_mul_f64 v[0:1], v[0:1], s[6:7]
	v_cvt_f32_f64_e32 v0, v[0:1]
.LBB118_169:
	v_max_f32_e32 v1, v78, v78
	v_max_f32_e32 v0, v0, v0
	v_min_f32_e32 v0, v0, v1
	v_cvt_f64_f32_e32 v[0:1], v0
	v_lshl_add_u64 v[2:3], v[2:3], 3, v[24:25]
	global_store_dwordx2 v[2:3], v[0:1], off
	v_max_f32_e32 v0, v77, v77
	s_mov_b64 vcc, s[4:5]
	s_cbranch_vccz .LBB118_172
; %bb.170:
	v_min_f32_e32 v1, 0, v0
	v_cvt_f64_f32_e32 v[2:3], v1
	v_lshl_add_u64 v[10:11], v[14:15], 3, v[24:25]
	s_mov_b32 s2, 0
	global_store_dwordx2 v[10:11], v[2:3], off
	s_cbranch_execz .LBB118_173
; %bb.171:
	v_mov_b32_e32 v0, s2
	s_branch .LBB118_174
.LBB118_172:
                                        ; implicit-def: $sgpr2
.LBB118_173:
	v_lshl_add_u64 v[2:3], v[8:9], 0, v[20:21]
	flat_load_dwordx2 v[2:3], v[2:3]
	v_lshl_add_u64 v[10:11], v[24:25], 0, v[20:21]
	s_waitcnt vmcnt(0) lgkmcnt(0)
	v_mul_f64 v[2:3], v[2:3], s[6:7]
	v_cvt_f32_f64_e32 v1, v[2:3]
	v_min_f32_e32 v0, v1, v0
	v_cvt_f64_f32_e32 v[0:1], v0
	global_store_dwordx2 v[10:11], v[0:1], off
	v_lshl_add_u64 v[0:1], v[4:5], 3, v[8:9]
	flat_load_dwordx2 v[0:1], v[0:1]
	s_waitcnt vmcnt(0) lgkmcnt(0)
	v_mul_f64 v[0:1], v[0:1], s[6:7]
	v_cvt_f32_f64_e32 v0, v[0:1]
.LBB118_174:
	;; [unrolled: 37-line block ×3, first 2 shown]
	v_max_f32_e32 v1, v74, v74
	v_max_f32_e32 v0, v0, v0
	v_min_f32_e32 v0, v0, v1
	v_cvt_f64_f32_e32 v[0:1], v0
	v_lshl_add_u64 v[2:3], v[6:7], 3, v[24:25]
	global_store_dwordx2 v[2:3], v[0:1], off
	s_endpgm
	.section	.rodata,"a",@progbits
	.p2align	6, 0x0
	.amdhsa_kernel _ZN12_GLOBAL__N_120geam_min_plus_kernelId15HIP_vector_typeIdLj2EEdLi8ELi32ELi64ELi256ELi4ELi64ELi4ELi64ELi4ELc78ELc84ELb1ELb0ELb1EdKPKdKPdEEviiiT16_PT17_ilSA_ilS8_SA_ilPT18_ili26rocblas_geam_ex_operation_
		.amdhsa_group_segment_fixed_size 20480
		.amdhsa_private_segment_fixed_size 0
		.amdhsa_kernarg_size 136
		.amdhsa_user_sgpr_count 2
		.amdhsa_user_sgpr_dispatch_ptr 0
		.amdhsa_user_sgpr_queue_ptr 0
		.amdhsa_user_sgpr_kernarg_segment_ptr 1
		.amdhsa_user_sgpr_dispatch_id 0
		.amdhsa_user_sgpr_kernarg_preload_length 0
		.amdhsa_user_sgpr_kernarg_preload_offset 0
		.amdhsa_user_sgpr_private_segment_size 0
		.amdhsa_uses_dynamic_stack 0
		.amdhsa_enable_private_segment 0
		.amdhsa_system_sgpr_workgroup_id_x 1
		.amdhsa_system_sgpr_workgroup_id_y 0
		.amdhsa_system_sgpr_workgroup_id_z 1
		.amdhsa_system_sgpr_workgroup_info 0
		.amdhsa_system_vgpr_workitem_id 1
		.amdhsa_next_free_vgpr 154
		.amdhsa_next_free_sgpr 25
		.amdhsa_accum_offset 156
		.amdhsa_reserve_vcc 1
		.amdhsa_float_round_mode_32 0
		.amdhsa_float_round_mode_16_64 0
		.amdhsa_float_denorm_mode_32 3
		.amdhsa_float_denorm_mode_16_64 3
		.amdhsa_dx10_clamp 1
		.amdhsa_ieee_mode 1
		.amdhsa_fp16_overflow 0
		.amdhsa_tg_split 0
		.amdhsa_exception_fp_ieee_invalid_op 0
		.amdhsa_exception_fp_denorm_src 0
		.amdhsa_exception_fp_ieee_div_zero 0
		.amdhsa_exception_fp_ieee_overflow 0
		.amdhsa_exception_fp_ieee_underflow 0
		.amdhsa_exception_fp_ieee_inexact 0
		.amdhsa_exception_int_div_zero 0
	.end_amdhsa_kernel
	.section	.text._ZN12_GLOBAL__N_120geam_min_plus_kernelId15HIP_vector_typeIdLj2EEdLi8ELi32ELi64ELi256ELi4ELi64ELi4ELi64ELi4ELc78ELc84ELb1ELb0ELb1EdKPKdKPdEEviiiT16_PT17_ilSA_ilS8_SA_ilPT18_ili26rocblas_geam_ex_operation_,"axG",@progbits,_ZN12_GLOBAL__N_120geam_min_plus_kernelId15HIP_vector_typeIdLj2EEdLi8ELi32ELi64ELi256ELi4ELi64ELi4ELi64ELi4ELc78ELc84ELb1ELb0ELb1EdKPKdKPdEEviiiT16_PT17_ilSA_ilS8_SA_ilPT18_ili26rocblas_geam_ex_operation_,comdat
.Lfunc_end118:
	.size	_ZN12_GLOBAL__N_120geam_min_plus_kernelId15HIP_vector_typeIdLj2EEdLi8ELi32ELi64ELi256ELi4ELi64ELi4ELi64ELi4ELc78ELc84ELb1ELb0ELb1EdKPKdKPdEEviiiT16_PT17_ilSA_ilS8_SA_ilPT18_ili26rocblas_geam_ex_operation_, .Lfunc_end118-_ZN12_GLOBAL__N_120geam_min_plus_kernelId15HIP_vector_typeIdLj2EEdLi8ELi32ELi64ELi256ELi4ELi64ELi4ELi64ELi4ELc78ELc84ELb1ELb0ELb1EdKPKdKPdEEviiiT16_PT17_ilSA_ilS8_SA_ilPT18_ili26rocblas_geam_ex_operation_
                                        ; -- End function
	.section	.AMDGPU.csdata,"",@progbits
; Kernel info:
; codeLenInByte = 16584
; NumSgprs: 31
; NumVgprs: 154
; NumAgprs: 0
; TotalNumVgprs: 154
; ScratchSize: 0
; MemoryBound: 0
; FloatMode: 240
; IeeeMode: 1
; LDSByteSize: 20480 bytes/workgroup (compile time only)
; SGPRBlocks: 3
; VGPRBlocks: 19
; NumSGPRsForWavesPerEU: 31
; NumVGPRsForWavesPerEU: 154
; AccumOffset: 156
; Occupancy: 3
; WaveLimiterHint : 1
; COMPUTE_PGM_RSRC2:SCRATCH_EN: 0
; COMPUTE_PGM_RSRC2:USER_SGPR: 2
; COMPUTE_PGM_RSRC2:TRAP_HANDLER: 0
; COMPUTE_PGM_RSRC2:TGID_X_EN: 1
; COMPUTE_PGM_RSRC2:TGID_Y_EN: 0
; COMPUTE_PGM_RSRC2:TGID_Z_EN: 1
; COMPUTE_PGM_RSRC2:TIDIG_COMP_CNT: 1
; COMPUTE_PGM_RSRC3_GFX90A:ACCUM_OFFSET: 38
; COMPUTE_PGM_RSRC3_GFX90A:TG_SPLIT: 0
	.section	.text._ZN12_GLOBAL__N_120geam_min_plus_kernelId15HIP_vector_typeIdLj2EEdLi8ELi32ELi64ELi256ELi4ELi64ELi4ELi64ELi4ELc78ELc84ELb0ELb0ELb1EdKPKdKPdEEviiiT16_PT17_ilSA_ilS8_SA_ilPT18_ili26rocblas_geam_ex_operation_,"axG",@progbits,_ZN12_GLOBAL__N_120geam_min_plus_kernelId15HIP_vector_typeIdLj2EEdLi8ELi32ELi64ELi256ELi4ELi64ELi4ELi64ELi4ELc78ELc84ELb0ELb0ELb1EdKPKdKPdEEviiiT16_PT17_ilSA_ilS8_SA_ilPT18_ili26rocblas_geam_ex_operation_,comdat
	.globl	_ZN12_GLOBAL__N_120geam_min_plus_kernelId15HIP_vector_typeIdLj2EEdLi8ELi32ELi64ELi256ELi4ELi64ELi4ELi64ELi4ELc78ELc84ELb0ELb0ELb1EdKPKdKPdEEviiiT16_PT17_ilSA_ilS8_SA_ilPT18_ili26rocblas_geam_ex_operation_ ; -- Begin function _ZN12_GLOBAL__N_120geam_min_plus_kernelId15HIP_vector_typeIdLj2EEdLi8ELi32ELi64ELi256ELi4ELi64ELi4ELi64ELi4ELc78ELc84ELb0ELb0ELb1EdKPKdKPdEEviiiT16_PT17_ilSA_ilS8_SA_ilPT18_ili26rocblas_geam_ex_operation_
	.p2align	8
	.type	_ZN12_GLOBAL__N_120geam_min_plus_kernelId15HIP_vector_typeIdLj2EEdLi8ELi32ELi64ELi256ELi4ELi64ELi4ELi64ELi4ELc78ELc84ELb0ELb0ELb1EdKPKdKPdEEviiiT16_PT17_ilSA_ilS8_SA_ilPT18_ili26rocblas_geam_ex_operation_,@function
_ZN12_GLOBAL__N_120geam_min_plus_kernelId15HIP_vector_typeIdLj2EEdLi8ELi32ELi64ELi256ELi4ELi64ELi4ELi64ELi4ELc78ELc84ELb0ELb0ELb1EdKPKdKPdEEviiiT16_PT17_ilSA_ilS8_SA_ilPT18_ili26rocblas_geam_ex_operation_: ; @_ZN12_GLOBAL__N_120geam_min_plus_kernelId15HIP_vector_typeIdLj2EEdLi8ELi32ELi64ELi256ELi4ELi64ELi4ELi64ELi4ELc78ELc84ELb0ELb0ELb1EdKPKdKPdEEviiiT16_PT17_ilSA_ilS8_SA_ilPT18_ili26rocblas_geam_ex_operation_
; %bb.0:
	s_load_dwordx4 s[12:15], s[0:1], 0x10
	s_load_dwordx4 s[16:19], s[0:1], 0x28
	s_mov_b32 s4, s3
	s_mov_b64 s[22:23], 0
	s_waitcnt lgkmcnt(0)
	v_cmp_eq_f64_e64 s[20:21], s[12:13], 0
	s_and_b64 vcc, exec, s[20:21]
	s_cbranch_vccnz .LBB119_2
; %bb.1:
	s_mov_b32 s5, 0
	s_lshl_b64 s[6:7], s[4:5], 3
	s_add_u32 s6, s14, s6
	s_addc_u32 s7, s15, s7
	s_load_dwordx2 s[6:7], s[6:7], 0x0
	s_lshl_b64 s[8:9], s[16:17], 3
	s_waitcnt lgkmcnt(0)
	s_add_u32 s22, s6, s8
	s_addc_u32 s23, s7, s9
.LBB119_2:
	s_load_dwordx4 s[8:11], s[0:1], 0x40
	s_load_dwordx2 s[24:25], s[0:1], 0x50
	v_cndmask_b32_e64 v1, 0, 1, s[20:21]
	v_cmp_ne_u32_e64 s[6:7], 1, v1
	s_andn2_b64 vcc, exec, s[20:21]
	s_cbranch_vccnz .LBB119_4
; %bb.3:
	s_mov_b32 s5, 0
	s_mov_b64 s[20:21], 0
	s_cbranch_execz .LBB119_5
	s_branch .LBB119_6
.LBB119_4:
                                        ; implicit-def: $sgpr20_sgpr21
.LBB119_5:
	s_mov_b32 s5, 0
	s_lshl_b64 s[14:15], s[4:5], 3
	s_add_u32 s14, s18, s14
	s_addc_u32 s15, s19, s15
	s_load_dwordx2 s[14:15], s[14:15], 0x0
	s_waitcnt lgkmcnt(0)
	s_lshl_b64 s[8:9], s[8:9], 3
	s_add_u32 s20, s14, s8
	s_addc_u32 s21, s15, s9
.LBB119_6:
	s_load_dwordx4 s[16:19], s[0:1], 0x60
	s_waitcnt lgkmcnt(0)
	v_cmp_eq_f64_e64 s[8:9], s[10:11], 0
	s_and_b64 s[8:9], exec, s[8:9]
	s_mov_b64 s[14:15], 0
	s_mov_b64 vcc, s[8:9]
	s_cbranch_vccnz .LBB119_8
; %bb.7:
	s_lshl_b64 s[14:15], s[4:5], 3
	s_add_u32 s14, s24, s14
	s_addc_u32 s15, s25, s15
	s_load_dwordx2 s[14:15], s[14:15], 0x0
	s_lshl_b64 s[16:17], s[16:17], 3
	s_waitcnt lgkmcnt(0)
	s_add_u32 s14, s14, s16
	s_addc_u32 s15, s15, s17
.LBB119_8:
	s_load_dword s25, s[0:1], 0x20
	s_load_dword s3, s[0:1], 0x0
	s_lshl_b64 s[4:5], s[4:5], 3
	v_and_b32_e32 v131, 0x3ff, v0
	v_bfe_u32 v132, v0, 10, 10
	s_waitcnt lgkmcnt(0)
	s_ashr_i32 s26, s25, 31
	s_add_u32 s4, s18, s4
	s_addc_u32 s5, s19, s5
	s_add_i32 s3, s3, -1
	s_ashr_i32 s16, s3, 31
	s_lshr_b32 s16, s16, 26
	s_add_i32 s3, s3, s16
	s_ashr_i32 s3, s3, 6
	s_add_i32 s18, s3, 1
	v_cvt_f32_u32_e32 v1, s18
	s_load_dwordx2 s[16:17], s[4:5], 0x0
	s_not_b32 s3, s3
	v_lshl_add_u32 v0, v132, 3, v131
	v_rcp_iflag_f32_e32 v1, v1
	v_and_b32_e32 v144, 63, v0
	v_lshrrev_b32_e32 v60, 6, v0
	v_mul_f32_e32 v1, 0x4f7ffffe, v1
	v_cvt_u32_f32_e32 v1, v1
	s_nop 0
	v_readfirstlane_b32 s4, v1
	s_mul_i32 s3, s3, s4
	s_mul_hi_u32 s3, s4, s3
	s_add_i32 s4, s4, s3
	s_mul_hi_u32 s3, s2, s4
	s_mul_i32 s4, s3, s18
	s_sub_i32 s4, s2, s4
	s_add_i32 s5, s3, 1
	s_sub_i32 s19, s4, s18
	s_cmp_ge_u32 s4, s18
	s_cselect_b32 s3, s5, s3
	s_cselect_b32 s4, s19, s4
	s_add_i32 s5, s3, 1
	s_cmp_ge_u32 s4, s18
	s_cselect_b32 s27, s5, s3
	s_mul_i32 s3, s27, s18
	s_sub_i32 s2, s2, s3
	s_and_b64 vcc, exec, s[6:7]
	s_lshl_b32 s24, s2, 6
	s_cbranch_vccnz .LBB119_10
; %bb.9:
	v_mov_b32_e32 v3, 0
	s_mov_b64 s[18:19], 0
	s_mov_b64 s[4:5], 0
	s_branch .LBB119_11
.LBB119_10:
	s_mov_b64 s[18:19], -1
                                        ; implicit-def: $sgpr4_sgpr5
                                        ; implicit-def: $vgpr2_vgpr3
.LBB119_11:
	v_or_b32_e32 v66, s24, v144
	v_cmp_neq_f64_e64 s[2:3], s[12:13], 0
	s_andn2_b64 vcc, exec, s[18:19]
	v_ashrrev_i32_e32 v67, 31, v66
	s_cbranch_vccnz .LBB119_13
; %bb.12:
	v_mad_i64_i32 v[0:1], s[4:5], s25, v60, 0
	v_lshl_add_u64 v[0:1], v[0:1], 3, s[22:23]
	v_lshl_add_u64 v[0:1], v[66:67], 3, v[0:1]
	flat_load_dwordx2 v[0:1], v[0:1]
	v_mov_b32_e32 v3, 0
	s_waitcnt vmcnt(0) lgkmcnt(0)
	v_mul_f64 v[0:1], v[0:1], s[12:13]
	s_branch .LBB119_14
.LBB119_13:
	v_mov_b64_e32 v[0:1], s[4:5]
.LBB119_14:
	s_load_dword s19, s[0:1], 0x38
	s_lshl_b32 s18, s27, 8
	v_or_b32_e32 v62, s18, v144
	s_andn2_b64 vcc, exec, s[2:3]
	v_ashrrev_i32_e32 v63, 31, v62
	s_waitcnt lgkmcnt(0)
	s_ashr_i32 s27, s19, 31
	v_mul_lo_u32 v4, v3, s19
	v_mul_lo_u32 v5, v60, s27
	v_mad_u64_u32 v[2:3], s[4:5], v60, s19, 0
	v_add3_u32 v3, v3, v5, v4
	v_lshl_add_u64 v[6:7], v[2:3], 3, s[20:21]
	v_cndmask_b32_e64 v2, 0, 1, s[2:3]
	v_cmp_ne_u32_e64 s[4:5], 1, v2
	s_cbranch_vccnz .LBB119_19
; %bb.15:
	v_lshl_add_u64 v[2:3], v[62:63], 3, v[6:7]
	flat_load_dwordx2 v[4:5], v[2:3]
	flat_load_dwordx2 v[8:9], v[2:3] offset:512
	s_waitcnt vmcnt(0) lgkmcnt(0)
	v_mul_f64 v[2:3], v[4:5], s[12:13]
	v_mul_f64 v[4:5], v[8:9], s[12:13]
	s_and_b64 vcc, exec, s[4:5]
	s_cbranch_vccnz .LBB119_20
.LBB119_16:
	v_lshl_add_u64 v[6:7], v[62:63], 3, v[6:7]
	flat_load_dwordx2 v[8:9], v[6:7] offset:1024
	flat_load_dwordx2 v[10:11], v[6:7] offset:1536
	s_waitcnt vmcnt(0) lgkmcnt(0)
	v_mul_f64 v[6:7], v[8:9], s[12:13]
	v_mul_f64 v[8:9], v[10:11], s[12:13]
	s_and_b64 vcc, exec, s[6:7]
	v_add_u32_e32 v64, 4, v60
	s_cbranch_vccnz .LBB119_21
.LBB119_17:
	v_mov_b32_e32 v11, 0
	s_mov_b64 s[2:3], 0
	s_cbranch_execz .LBB119_22
; %bb.18:
	v_mov_b64_e32 v[68:69], s[2:3]
	s_branch .LBB119_23
.LBB119_19:
	v_mov_b64_e32 v[2:3], 0
	v_mov_b64_e32 v[4:5], 0
	s_and_b64 vcc, exec, s[4:5]
	s_cbranch_vccz .LBB119_16
.LBB119_20:
	v_mov_b64_e32 v[6:7], 0
	v_mov_b64_e32 v[8:9], 0
	s_and_b64 vcc, exec, s[6:7]
	v_add_u32_e32 v64, 4, v60
	s_cbranch_vccz .LBB119_17
.LBB119_21:
                                        ; implicit-def: $sgpr2_sgpr3
                                        ; implicit-def: $vgpr10_vgpr11
.LBB119_22:
	v_mad_i64_i32 v[10:11], s[2:3], s25, v64, 0
	v_lshl_add_u64 v[10:11], v[10:11], 3, s[22:23]
	v_lshl_add_u64 v[10:11], v[66:67], 3, v[10:11]
	flat_load_dwordx2 v[12:13], v[10:11]
	v_mov_b32_e32 v11, 0
	s_waitcnt vmcnt(0) lgkmcnt(0)
	v_mul_f64 v[68:69], v[12:13], s[12:13]
.LBB119_23:
	v_mul_lo_u32 v12, v11, s19
	v_mul_lo_u32 v13, v64, s27
	v_mad_u64_u32 v[10:11], s[2:3], v64, s19, 0
	v_add3_u32 v11, v11, v13, v12
	s_and_b64 vcc, exec, s[4:5]
	v_lshl_add_u64 v[10:11], v[10:11], 3, s[20:21]
	s_cbranch_vccnz .LBB119_26
; %bb.24:
	v_lshl_add_u64 v[12:13], v[62:63], 3, v[10:11]
	flat_load_dwordx2 v[14:15], v[12:13]
	flat_load_dwordx2 v[16:17], v[12:13] offset:512
	s_waitcnt vmcnt(0) lgkmcnt(0)
	v_mul_f64 v[70:71], v[14:15], s[12:13]
	v_mul_f64 v[72:73], v[16:17], s[12:13]
	s_and_b64 vcc, exec, s[4:5]
	s_cbranch_vccnz .LBB119_27
.LBB119_25:
	v_lshl_add_u64 v[10:11], v[62:63], 3, v[10:11]
	flat_load_dwordx2 v[12:13], v[10:11] offset:1024
	flat_load_dwordx2 v[14:15], v[10:11] offset:1536
	s_waitcnt vmcnt(0) lgkmcnt(0)
	v_mul_f64 v[74:75], v[12:13], s[12:13]
	v_mul_f64 v[76:77], v[14:15], s[12:13]
	s_branch .LBB119_28
.LBB119_26:
	v_mov_b64_e32 v[70:71], 0
	v_mov_b64_e32 v[72:73], 0
	s_and_b64 vcc, exec, s[4:5]
	s_cbranch_vccz .LBB119_25
.LBB119_27:
	v_mov_b64_e32 v[74:75], 0
	v_mov_b64_e32 v[76:77], 0
.LBB119_28:
	v_lshlrev_b32_e32 v10, 3, v60
	v_lshl_add_u32 v142, v144, 5, v10
	v_or_b32_e32 v143, 0x4000, v142
	s_mov_b32 s6, 0
	s_mov_b64 s[2:3], -1
	v_mov_b32_e32 v61, 0x7f800000
	v_mov_b32_e32 v65, 0x7f800000
	v_mov_b32_e32 v78, 0x7f800000
	v_mov_b32_e32 v79, 0x7f800000
	v_mov_b32_e32 v80, 0x7f800000
	v_mov_b32_e32 v81, 0x7f800000
	v_mov_b32_e32 v82, 0x7f800000
	v_mov_b32_e32 v83, 0x7f800000
	v_mov_b32_e32 v84, 0x7f800000
	v_mov_b32_e32 v85, 0x7f800000
	v_mov_b32_e32 v86, 0x7f800000
	v_mov_b32_e32 v87, 0x7f800000
	v_mov_b32_e32 v88, 0x7f800000
	v_mov_b32_e32 v89, 0x7f800000
	v_mov_b32_e32 v90, 0x7f800000
	v_mov_b32_e32 v91, 0x7f800000
	v_mov_b32_e32 v92, 0x7f800000
	v_mov_b32_e32 v93, 0x7f800000
	v_mov_b32_e32 v94, 0x7f800000
	v_mov_b32_e32 v95, 0x7f800000
	v_mov_b32_e32 v96, 0x7f800000
	v_mov_b32_e32 v97, 0x7f800000
	v_mov_b32_e32 v98, 0x7f800000
	v_mov_b32_e32 v99, 0x7f800000
	v_mov_b32_e32 v100, 0x7f800000
	v_mov_b32_e32 v101, 0x7f800000
	v_mov_b32_e32 v102, 0x7f800000
	v_mov_b32_e32 v103, 0x7f800000
	v_mov_b32_e32 v104, 0x7f800000
	v_mov_b32_e32 v105, 0x7f800000
	v_mov_b32_e32 v106, 0x7f800000
	v_mov_b32_e32 v107, 0x7f800000
	v_mov_b32_e32 v108, 0x7f800000
	v_mov_b32_e32 v109, 0x7f800000
	v_mov_b32_e32 v110, 0x7f800000
	v_mov_b32_e32 v111, 0x7f800000
	v_mov_b32_e32 v112, 0x7f800000
	v_mov_b32_e32 v113, 0x7f800000
	v_mov_b32_e32 v114, 0x7f800000
	v_mov_b32_e32 v115, 0x7f800000
	v_mov_b32_e32 v116, 0x7f800000
	v_mov_b32_e32 v117, 0x7f800000
	v_mov_b32_e32 v118, 0x7f800000
	v_mov_b32_e32 v119, 0x7f800000
	v_mov_b32_e32 v120, 0x7f800000
	v_mov_b32_e32 v121, 0x7f800000
	v_mov_b32_e32 v122, 0x7f800000
	v_mov_b32_e32 v123, 0x7f800000
	v_mov_b32_e32 v124, 0x7f800000
	v_mov_b32_e32 v125, 0x7f800000
	v_mov_b32_e32 v126, 0x7f800000
	v_mov_b32_e32 v127, 0x7f800000
	v_mov_b32_e32 v128, 0x7f800000
	v_mov_b32_e32 v129, 0x7f800000
	v_mov_b32_e32 v130, 0x7f800000
	v_mov_b32_e32 v133, 0x7f800000
	v_mov_b32_e32 v134, 0x7f800000
	v_mov_b32_e32 v135, 0x7f800000
	v_mov_b32_e32 v136, 0x7f800000
	v_mov_b32_e32 v137, 0x7f800000
	v_mov_b32_e32 v138, 0x7f800000
	v_mov_b32_e32 v139, 0x7f800000
	v_mov_b32_e32 v140, 0x7f800000
	v_mov_b32_e32 v141, 0x7f800000
	ds_write_b64 v142, v[0:1] offset:16384
	ds_write2st64_b64 v142, v[2:3], v[4:5] offset1:4
	ds_write2st64_b64 v142, v[6:7], v[8:9] offset0:8 offset1:12
	s_waitcnt lgkmcnt(0)
	s_barrier
.LBB119_29:                             ; =>This Inner Loop Header: Depth=1
	v_cndmask_b32_e64 v0, 0, 1, s[2:3]
	s_lshl_b32 s2, s6, 3
	v_cmp_ne_u32_e32 vcc, 1, v0
	v_lshl_add_u32 v0, v131, 5, s2
	v_lshl_add_u32 v20, v132, 5, s2
	ds_read_b128 v[32:35], v0 offset:16384
	ds_read_b128 v[28:31], v0 offset:16640
	;; [unrolled: 1-line block ×8, first 2 shown]
	ds_read_b128 v[146:149], v20
	ds_read_b128 v[56:59], v20 offset:1024
	ds_read_b128 v[52:55], v20 offset:2048
	;; [unrolled: 1-line block ×7, first 2 shown]
	s_waitcnt lgkmcnt(7)
	v_add_f64 v[150:151], v[34:35], v[148:149]
	v_add_f64 v[152:153], v[32:33], v[146:147]
	v_cvt_f32_f64_e32 v145, v[152:153]
	v_cvt_f32_f64_e32 v150, v[150:151]
	v_min3_f32 v141, v145, v150, v141
	v_add_f64 v[150:151], v[30:31], v[148:149]
	v_add_f64 v[152:153], v[28:29], v[146:147]
	v_cvt_f32_f64_e32 v145, v[152:153]
	v_cvt_f32_f64_e32 v150, v[150:151]
	v_min3_f32 v140, v145, v150, v140
	;; [unrolled: 5-line block ×6, first 2 shown]
	v_add_f64 v[150:151], v[6:7], v[148:149]
	v_add_f64 v[152:153], v[4:5], v[146:147]
	v_cvt_f32_f64_e32 v145, v[152:153]
	v_cvt_f32_f64_e32 v150, v[150:151]
	v_add_f64 v[148:149], v[2:3], v[148:149]
	v_add_f64 v[146:147], v[0:1], v[146:147]
	v_min3_f32 v135, v145, v150, v135
	v_cvt_f32_f64_e32 v145, v[146:147]
	v_cvt_f32_f64_e32 v146, v[148:149]
	v_min3_f32 v134, v145, v146, v134
	s_waitcnt lgkmcnt(6)
	v_add_f64 v[146:147], v[34:35], v[58:59]
	v_add_f64 v[148:149], v[32:33], v[56:57]
	v_cvt_f32_f64_e32 v145, v[148:149]
	v_cvt_f32_f64_e32 v146, v[146:147]
	v_min3_f32 v133, v145, v146, v133
	v_add_f64 v[146:147], v[30:31], v[58:59]
	v_add_f64 v[148:149], v[28:29], v[56:57]
	v_cvt_f32_f64_e32 v145, v[148:149]
	v_cvt_f32_f64_e32 v146, v[146:147]
	v_min3_f32 v130, v145, v146, v130
	v_add_f64 v[146:147], v[26:27], v[58:59]
	v_add_f64 v[148:149], v[24:25], v[56:57]
	v_cvt_f32_f64_e32 v145, v[148:149]
	v_cvt_f32_f64_e32 v146, v[146:147]
	v_min3_f32 v129, v145, v146, v129
	v_add_f64 v[146:147], v[18:19], v[58:59]
	v_add_f64 v[148:149], v[16:17], v[56:57]
	v_cvt_f32_f64_e32 v145, v[148:149]
	v_cvt_f32_f64_e32 v146, v[146:147]
	v_min3_f32 v128, v145, v146, v128
	v_add_f64 v[146:147], v[14:15], v[58:59]
	v_add_f64 v[148:149], v[12:13], v[56:57]
	v_cvt_f32_f64_e32 v145, v[148:149]
	v_cvt_f32_f64_e32 v146, v[146:147]
	v_min3_f32 v127, v145, v146, v127
	v_add_f64 v[146:147], v[10:11], v[58:59]
	v_add_f64 v[148:149], v[8:9], v[56:57]
	v_cvt_f32_f64_e32 v145, v[148:149]
	v_cvt_f32_f64_e32 v146, v[146:147]
	v_min3_f32 v126, v145, v146, v126
	v_add_f64 v[146:147], v[6:7], v[58:59]
	v_add_f64 v[148:149], v[4:5], v[56:57]
	v_add_f64 v[58:59], v[2:3], v[58:59]
	v_add_f64 v[56:57], v[0:1], v[56:57]
	v_cvt_f32_f64_e32 v56, v[56:57]
	v_cvt_f32_f64_e32 v57, v[58:59]
	v_min3_f32 v124, v56, v57, v124
	s_waitcnt lgkmcnt(5)
	v_add_f64 v[56:57], v[34:35], v[54:55]
	v_add_f64 v[58:59], v[32:33], v[52:53]
	v_cvt_f32_f64_e32 v58, v[58:59]
	v_cvt_f32_f64_e32 v56, v[56:57]
	v_min3_f32 v123, v58, v56, v123
	v_add_f64 v[56:57], v[30:31], v[54:55]
	v_add_f64 v[58:59], v[28:29], v[52:53]
	v_cvt_f32_f64_e32 v58, v[58:59]
	v_cvt_f32_f64_e32 v56, v[56:57]
	v_min3_f32 v122, v58, v56, v122
	v_add_f64 v[56:57], v[26:27], v[54:55]
	v_add_f64 v[58:59], v[24:25], v[52:53]
	v_cvt_f32_f64_e32 v58, v[58:59]
	v_cvt_f32_f64_e32 v56, v[56:57]
	v_min3_f32 v121, v58, v56, v121
	v_add_f64 v[56:57], v[18:19], v[54:55]
	v_add_f64 v[58:59], v[16:17], v[52:53]
	v_cvt_f32_f64_e32 v58, v[58:59]
	v_cvt_f32_f64_e32 v56, v[56:57]
	v_min3_f32 v120, v58, v56, v120
	v_add_f64 v[56:57], v[14:15], v[54:55]
	v_add_f64 v[58:59], v[12:13], v[52:53]
	v_cvt_f32_f64_e32 v58, v[58:59]
	v_cvt_f32_f64_e32 v56, v[56:57]
	v_min3_f32 v119, v58, v56, v119
	v_add_f64 v[56:57], v[10:11], v[54:55]
	v_add_f64 v[58:59], v[8:9], v[52:53]
	v_cvt_f32_f64_e32 v58, v[58:59]
	v_cvt_f32_f64_e32 v56, v[56:57]
	v_min3_f32 v118, v58, v56, v118
	v_add_f64 v[56:57], v[6:7], v[54:55]
	v_add_f64 v[58:59], v[4:5], v[52:53]
	v_add_f64 v[54:55], v[2:3], v[54:55]
	v_add_f64 v[52:53], v[0:1], v[52:53]
	v_cvt_f32_f64_e32 v52, v[52:53]
	v_cvt_f32_f64_e32 v53, v[54:55]
	v_min3_f32 v116, v52, v53, v116
	s_waitcnt lgkmcnt(4)
	v_add_f64 v[52:53], v[34:35], v[50:51]
	v_add_f64 v[54:55], v[32:33], v[48:49]
	v_cvt_f32_f64_e32 v54, v[54:55]
	v_cvt_f32_f64_e32 v52, v[52:53]
	v_min3_f32 v115, v54, v52, v115
	v_add_f64 v[52:53], v[30:31], v[50:51]
	v_add_f64 v[54:55], v[28:29], v[48:49]
	v_cvt_f32_f64_e32 v54, v[54:55]
	v_cvt_f32_f64_e32 v52, v[52:53]
	v_min3_f32 v114, v54, v52, v114
	v_add_f64 v[52:53], v[26:27], v[50:51]
	v_add_f64 v[54:55], v[24:25], v[48:49]
	v_cvt_f32_f64_e32 v54, v[54:55]
	v_cvt_f32_f64_e32 v52, v[52:53]
	v_min3_f32 v113, v54, v52, v113
	v_add_f64 v[52:53], v[18:19], v[50:51]
	v_add_f64 v[54:55], v[16:17], v[48:49]
	v_cvt_f32_f64_e32 v54, v[54:55]
	v_cvt_f32_f64_e32 v52, v[52:53]
	v_min3_f32 v112, v54, v52, v112
	v_add_f64 v[52:53], v[14:15], v[50:51]
	v_add_f64 v[54:55], v[12:13], v[48:49]
	v_cvt_f32_f64_e32 v54, v[54:55]
	v_cvt_f32_f64_e32 v52, v[52:53]
	v_min3_f32 v111, v54, v52, v111
	v_add_f64 v[52:53], v[10:11], v[50:51]
	v_add_f64 v[54:55], v[8:9], v[48:49]
	v_cvt_f32_f64_e32 v54, v[54:55]
	v_cvt_f32_f64_e32 v52, v[52:53]
	v_min3_f32 v110, v54, v52, v110
	v_add_f64 v[52:53], v[6:7], v[50:51]
	v_add_f64 v[54:55], v[4:5], v[48:49]
	v_add_f64 v[50:51], v[2:3], v[50:51]
	v_add_f64 v[48:49], v[0:1], v[48:49]
	v_cvt_f32_f64_e32 v48, v[48:49]
	v_cvt_f32_f64_e32 v49, v[50:51]
	v_min3_f32 v108, v48, v49, v108
	s_waitcnt lgkmcnt(3)
	v_add_f64 v[48:49], v[34:35], v[46:47]
	v_add_f64 v[50:51], v[32:33], v[44:45]
	v_cvt_f32_f64_e32 v50, v[50:51]
	v_cvt_f32_f64_e32 v48, v[48:49]
	v_min3_f32 v107, v50, v48, v107
	v_add_f64 v[48:49], v[30:31], v[46:47]
	v_add_f64 v[50:51], v[28:29], v[44:45]
	v_cvt_f32_f64_e32 v50, v[50:51]
	v_cvt_f32_f64_e32 v48, v[48:49]
	v_min3_f32 v106, v50, v48, v106
	v_add_f64 v[48:49], v[26:27], v[46:47]
	v_add_f64 v[50:51], v[24:25], v[44:45]
	v_cvt_f32_f64_e32 v50, v[50:51]
	v_cvt_f32_f64_e32 v48, v[48:49]
	v_min3_f32 v105, v50, v48, v105
	v_add_f64 v[48:49], v[18:19], v[46:47]
	v_add_f64 v[50:51], v[16:17], v[44:45]
	v_cvt_f32_f64_e32 v50, v[50:51]
	v_cvt_f32_f64_e32 v48, v[48:49]
	v_min3_f32 v104, v50, v48, v104
	v_add_f64 v[48:49], v[14:15], v[46:47]
	v_add_f64 v[50:51], v[12:13], v[44:45]
	v_cvt_f32_f64_e32 v50, v[50:51]
	v_cvt_f32_f64_e32 v48, v[48:49]
	v_min3_f32 v103, v50, v48, v103
	v_add_f64 v[48:49], v[10:11], v[46:47]
	v_add_f64 v[50:51], v[8:9], v[44:45]
	v_cvt_f32_f64_e32 v50, v[50:51]
	v_cvt_f32_f64_e32 v48, v[48:49]
	v_min3_f32 v102, v50, v48, v102
	v_add_f64 v[48:49], v[6:7], v[46:47]
	v_add_f64 v[50:51], v[4:5], v[44:45]
	v_add_f64 v[46:47], v[2:3], v[46:47]
	v_add_f64 v[44:45], v[0:1], v[44:45]
	v_cvt_f32_f64_e32 v44, v[44:45]
	v_cvt_f32_f64_e32 v45, v[46:47]
	v_min3_f32 v100, v44, v45, v100
	s_waitcnt lgkmcnt(2)
	v_add_f64 v[44:45], v[34:35], v[42:43]
	v_add_f64 v[46:47], v[32:33], v[40:41]
	v_cvt_f32_f64_e32 v46, v[46:47]
	v_cvt_f32_f64_e32 v44, v[44:45]
	v_min3_f32 v99, v46, v44, v99
	v_add_f64 v[44:45], v[30:31], v[42:43]
	v_add_f64 v[46:47], v[28:29], v[40:41]
	v_cvt_f32_f64_e32 v46, v[46:47]
	v_cvt_f32_f64_e32 v44, v[44:45]
	v_min3_f32 v98, v46, v44, v98
	v_add_f64 v[44:45], v[26:27], v[42:43]
	v_add_f64 v[46:47], v[24:25], v[40:41]
	v_cvt_f32_f64_e32 v46, v[46:47]
	v_cvt_f32_f64_e32 v44, v[44:45]
	v_min3_f32 v97, v46, v44, v97
	v_add_f64 v[44:45], v[18:19], v[42:43]
	v_add_f64 v[46:47], v[16:17], v[40:41]
	v_cvt_f32_f64_e32 v46, v[46:47]
	v_cvt_f32_f64_e32 v44, v[44:45]
	v_min3_f32 v96, v46, v44, v96
	v_add_f64 v[44:45], v[14:15], v[42:43]
	v_add_f64 v[46:47], v[12:13], v[40:41]
	v_cvt_f32_f64_e32 v46, v[46:47]
	v_cvt_f32_f64_e32 v44, v[44:45]
	v_min3_f32 v95, v46, v44, v95
	v_add_f64 v[44:45], v[10:11], v[42:43]
	v_add_f64 v[46:47], v[8:9], v[40:41]
	v_cvt_f32_f64_e32 v46, v[46:47]
	v_cvt_f32_f64_e32 v44, v[44:45]
	v_min3_f32 v94, v46, v44, v94
	v_add_f64 v[44:45], v[6:7], v[42:43]
	v_add_f64 v[46:47], v[4:5], v[40:41]
	v_add_f64 v[42:43], v[2:3], v[42:43]
	v_add_f64 v[40:41], v[0:1], v[40:41]
	v_cvt_f32_f64_e32 v40, v[40:41]
	v_cvt_f32_f64_e32 v41, v[42:43]
	v_min3_f32 v92, v40, v41, v92
	s_waitcnt lgkmcnt(1)
	v_add_f64 v[40:41], v[34:35], v[38:39]
	v_add_f64 v[42:43], v[32:33], v[36:37]
	v_cvt_f32_f64_e32 v42, v[42:43]
	v_cvt_f32_f64_e32 v40, v[40:41]
	v_min3_f32 v91, v42, v40, v91
	v_add_f64 v[40:41], v[30:31], v[38:39]
	v_add_f64 v[42:43], v[28:29], v[36:37]
	v_cvt_f32_f64_e32 v42, v[42:43]
	v_cvt_f32_f64_e32 v40, v[40:41]
	v_min3_f32 v90, v42, v40, v90
	v_add_f64 v[40:41], v[26:27], v[38:39]
	v_add_f64 v[42:43], v[24:25], v[36:37]
	v_cvt_f32_f64_e32 v42, v[42:43]
	v_cvt_f32_f64_e32 v40, v[40:41]
	v_min3_f32 v89, v42, v40, v89
	v_add_f64 v[40:41], v[18:19], v[38:39]
	v_add_f64 v[42:43], v[16:17], v[36:37]
	v_cvt_f32_f64_e32 v42, v[42:43]
	v_cvt_f32_f64_e32 v40, v[40:41]
	v_min3_f32 v88, v42, v40, v88
	v_add_f64 v[40:41], v[14:15], v[38:39]
	v_add_f64 v[42:43], v[12:13], v[36:37]
	v_cvt_f32_f64_e32 v42, v[42:43]
	v_cvt_f32_f64_e32 v40, v[40:41]
	v_min3_f32 v87, v42, v40, v87
	v_add_f64 v[40:41], v[10:11], v[38:39]
	v_add_f64 v[42:43], v[8:9], v[36:37]
	v_cvt_f32_f64_e32 v42, v[42:43]
	v_cvt_f32_f64_e32 v40, v[40:41]
	v_min3_f32 v86, v42, v40, v86
	v_add_f64 v[40:41], v[6:7], v[38:39]
	v_add_f64 v[42:43], v[4:5], v[36:37]
	v_add_f64 v[38:39], v[2:3], v[38:39]
	v_add_f64 v[36:37], v[0:1], v[36:37]
	s_waitcnt lgkmcnt(0)
	v_add_f64 v[34:35], v[34:35], v[22:23]
	v_add_f64 v[32:33], v[32:33], v[20:21]
	;; [unrolled: 1-line block ×16, first 2 shown]
	v_cvt_f32_f64_e32 v145, v[148:149]
	v_cvt_f32_f64_e32 v146, v[146:147]
	;; [unrolled: 1-line block ×30, first 2 shown]
	v_min3_f32 v125, v145, v146, v125
	v_min3_f32 v117, v58, v56, v117
	;; [unrolled: 1-line block ×15, first 2 shown]
	s_mov_b32 s6, 2
	s_mov_b64 s[2:3], 0
	s_cbranch_vccz .LBB119_29
; %bb.30:
	s_load_dword s7, s[0:1], 0x8
	v_lshlrev_b32_e32 v0, 5, v144
	v_lshl_add_u32 v0, v60, 3, v0
	s_mov_b32 s6, 8
	ds_write_b64 v0, v[68:69] offset:18432
	ds_write2st64_b64 v0, v[70:71], v[72:73] offset0:16 offset1:20
	ds_write2st64_b64 v0, v[74:75], v[76:77] offset0:24 offset1:28
	s_waitcnt lgkmcnt(0)
	s_cmp_gt_i32 s7, 8
	s_barrier
	s_cbranch_scc0 .LBB119_53
; %bb.31:
	v_add_u32_e32 v144, 0x4800, v0
	v_or_b32_e32 v145, 0x2000, v0
	s_add_i32 s7, s7, -8
	v_lshl_add_u64 v[66:67], v[66:67], 3, s[22:23]
	s_mov_b32 s22, 0
.LBB119_32:                             ; =>This Loop Header: Depth=1
                                        ;     Child Loop BB119_41 Depth 2
                                        ;     Child Loop BB119_51 Depth 2
	s_and_b64 vcc, exec, s[4:5]
	v_add_u32_e32 v0, s6, v60
	s_cbranch_vccnz .LBB119_34
; %bb.33:                               ;   in Loop: Header=BB119_32 Depth=1
	v_mad_u64_u32 v[2:3], s[2:3], v0, s25, 0
	v_mov_b32_e32 v4, v3
	v_mad_u64_u32 v[4:5], s[2:3], v0, s26, v[4:5]
	v_mov_b32_e32 v3, v4
	v_lshl_add_u64 v[2:3], v[2:3], 3, v[66:67]
	flat_load_dwordx2 v[2:3], v[2:3]
	s_waitcnt vmcnt(0) lgkmcnt(0)
	v_mul_f64 v[68:69], v[2:3], s[12:13]
	s_branch .LBB119_35
.LBB119_34:                             ;   in Loop: Header=BB119_32 Depth=1
	v_mov_b64_e32 v[68:69], 0
.LBB119_35:                             ;   in Loop: Header=BB119_32 Depth=1
	v_mad_u64_u32 v[2:3], s[2:3], v0, s19, 0
	v_mov_b32_e32 v4, v3
	v_mad_u64_u32 v[0:1], s[2:3], v0, s27, v[4:5]
	v_mov_b32_e32 v3, v0
	v_lshl_add_u64 v[0:1], v[2:3], 3, s[20:21]
	s_and_b64 vcc, exec, s[4:5]
	v_lshl_add_u64 v[0:1], v[62:63], 3, v[0:1]
	s_cbranch_vccnz .LBB119_38
; %bb.36:                               ;   in Loop: Header=BB119_32 Depth=1
	flat_load_dwordx2 v[2:3], v[0:1]
	flat_load_dwordx2 v[4:5], v[0:1] offset:512
	s_waitcnt vmcnt(0) lgkmcnt(0)
	v_mul_f64 v[70:71], v[2:3], s[12:13]
	v_mul_f64 v[72:73], v[4:5], s[12:13]
	s_and_b64 vcc, exec, s[4:5]
	s_cbranch_vccnz .LBB119_39
.LBB119_37:                             ;   in Loop: Header=BB119_32 Depth=1
	flat_load_dwordx2 v[2:3], v[0:1] offset:1024
	flat_load_dwordx2 v[4:5], v[0:1] offset:1536
	s_waitcnt vmcnt(0) lgkmcnt(0)
	v_mul_f64 v[74:75], v[2:3], s[12:13]
	v_mul_f64 v[76:77], v[4:5], s[12:13]
	s_branch .LBB119_40
.LBB119_38:                             ;   in Loop: Header=BB119_32 Depth=1
	v_mov_b64_e32 v[70:71], 0
	v_mov_b64_e32 v[72:73], 0
	s_and_b64 vcc, exec, s[4:5]
	s_cbranch_vccz .LBB119_37
.LBB119_39:                             ;   in Loop: Header=BB119_32 Depth=1
	v_mov_b64_e32 v[74:75], 0
	v_mov_b64_e32 v[76:77], 0
.LBB119_40:                             ;   in Loop: Header=BB119_32 Depth=1
	s_mov_b32 s23, 0
	s_mov_b64 s[2:3], -1
.LBB119_41:                             ;   Parent Loop BB119_32 Depth=1
                                        ; =>  This Inner Loop Header: Depth=2
	v_cndmask_b32_e64 v0, 0, 1, s[2:3]
	s_lshl_b32 s2, s23, 3
	v_cmp_ne_u32_e32 vcc, 1, v0
	v_lshl_add_u32 v0, v131, 5, s2
	v_lshl_add_u32 v20, v132, 5, s2
	ds_read_b128 v[32:35], v0 offset:18432
	ds_read_b128 v[28:31], v0 offset:18688
	;; [unrolled: 1-line block ×16, first 2 shown]
	s_waitcnt lgkmcnt(7)
	v_add_f64 v[150:151], v[34:35], v[148:149]
	v_add_f64 v[152:153], v[32:33], v[146:147]
	v_cvt_f32_f64_e32 v152, v[152:153]
	v_cvt_f32_f64_e32 v150, v[150:151]
	v_min3_f32 v141, v152, v150, v141
	v_add_f64 v[150:151], v[30:31], v[148:149]
	v_add_f64 v[152:153], v[28:29], v[146:147]
	v_cvt_f32_f64_e32 v152, v[152:153]
	v_cvt_f32_f64_e32 v150, v[150:151]
	v_min3_f32 v140, v152, v150, v140
	v_add_f64 v[150:151], v[26:27], v[148:149]
	v_add_f64 v[152:153], v[24:25], v[146:147]
	v_cvt_f32_f64_e32 v152, v[152:153]
	v_cvt_f32_f64_e32 v150, v[150:151]
	v_min3_f32 v139, v152, v150, v139
	v_add_f64 v[150:151], v[18:19], v[148:149]
	v_add_f64 v[152:153], v[16:17], v[146:147]
	v_cvt_f32_f64_e32 v152, v[152:153]
	v_cvt_f32_f64_e32 v150, v[150:151]
	v_min3_f32 v138, v152, v150, v138
	v_add_f64 v[150:151], v[14:15], v[148:149]
	v_add_f64 v[152:153], v[12:13], v[146:147]
	v_cvt_f32_f64_e32 v152, v[152:153]
	v_cvt_f32_f64_e32 v150, v[150:151]
	v_min3_f32 v137, v152, v150, v137
	v_add_f64 v[150:151], v[10:11], v[148:149]
	v_add_f64 v[152:153], v[8:9], v[146:147]
	v_cvt_f32_f64_e32 v152, v[152:153]
	v_cvt_f32_f64_e32 v150, v[150:151]
	v_min3_f32 v136, v152, v150, v136
	v_add_f64 v[150:151], v[6:7], v[148:149]
	v_add_f64 v[152:153], v[4:5], v[146:147]
	v_add_f64 v[148:149], v[2:3], v[148:149]
	v_add_f64 v[146:147], v[0:1], v[146:147]
	v_cvt_f32_f64_e32 v146, v[146:147]
	v_cvt_f32_f64_e32 v147, v[148:149]
	v_min3_f32 v134, v146, v147, v134
	s_waitcnt lgkmcnt(6)
	v_add_f64 v[146:147], v[34:35], v[58:59]
	v_add_f64 v[148:149], v[32:33], v[56:57]
	v_cvt_f32_f64_e32 v148, v[148:149]
	v_cvt_f32_f64_e32 v146, v[146:147]
	v_min3_f32 v133, v148, v146, v133
	v_add_f64 v[146:147], v[30:31], v[58:59]
	v_add_f64 v[148:149], v[28:29], v[56:57]
	v_cvt_f32_f64_e32 v148, v[148:149]
	v_cvt_f32_f64_e32 v146, v[146:147]
	v_min3_f32 v130, v148, v146, v130
	v_add_f64 v[146:147], v[26:27], v[58:59]
	v_add_f64 v[148:149], v[24:25], v[56:57]
	v_cvt_f32_f64_e32 v148, v[148:149]
	v_cvt_f32_f64_e32 v146, v[146:147]
	v_min3_f32 v129, v148, v146, v129
	v_add_f64 v[146:147], v[18:19], v[58:59]
	v_add_f64 v[148:149], v[16:17], v[56:57]
	v_cvt_f32_f64_e32 v148, v[148:149]
	v_cvt_f32_f64_e32 v146, v[146:147]
	v_min3_f32 v128, v148, v146, v128
	v_add_f64 v[146:147], v[14:15], v[58:59]
	v_add_f64 v[148:149], v[12:13], v[56:57]
	v_cvt_f32_f64_e32 v148, v[148:149]
	v_cvt_f32_f64_e32 v146, v[146:147]
	v_min3_f32 v127, v148, v146, v127
	v_add_f64 v[146:147], v[10:11], v[58:59]
	v_add_f64 v[148:149], v[8:9], v[56:57]
	v_cvt_f32_f64_e32 v148, v[148:149]
	v_cvt_f32_f64_e32 v146, v[146:147]
	v_min3_f32 v126, v148, v146, v126
	v_add_f64 v[146:147], v[6:7], v[58:59]
	v_add_f64 v[148:149], v[4:5], v[56:57]
	v_add_f64 v[58:59], v[2:3], v[58:59]
	v_add_f64 v[56:57], v[0:1], v[56:57]
	v_cvt_f32_f64_e32 v56, v[56:57]
	v_cvt_f32_f64_e32 v57, v[58:59]
	v_min3_f32 v124, v56, v57, v124
	;; [unrolled: 38-line block ×6, first 2 shown]
	s_waitcnt lgkmcnt(1)
	v_add_f64 v[40:41], v[34:35], v[38:39]
	v_add_f64 v[42:43], v[32:33], v[36:37]
	v_cvt_f32_f64_e32 v42, v[42:43]
	v_cvt_f32_f64_e32 v40, v[40:41]
	v_min3_f32 v91, v42, v40, v91
	v_add_f64 v[40:41], v[30:31], v[38:39]
	v_add_f64 v[42:43], v[28:29], v[36:37]
	v_cvt_f32_f64_e32 v42, v[42:43]
	v_cvt_f32_f64_e32 v40, v[40:41]
	v_min3_f32 v90, v42, v40, v90
	;; [unrolled: 5-line block ×6, first 2 shown]
	v_add_f64 v[40:41], v[6:7], v[38:39]
	v_add_f64 v[42:43], v[4:5], v[36:37]
	;; [unrolled: 1-line block ×4, first 2 shown]
	s_waitcnt lgkmcnt(0)
	v_add_f64 v[34:35], v[34:35], v[22:23]
	v_add_f64 v[32:33], v[32:33], v[20:21]
	v_add_f64 v[30:31], v[30:31], v[22:23]
	v_add_f64 v[28:29], v[28:29], v[20:21]
	v_add_f64 v[26:27], v[26:27], v[22:23]
	v_add_f64 v[24:25], v[24:25], v[20:21]
	v_add_f64 v[18:19], v[18:19], v[22:23]
	v_add_f64 v[16:17], v[16:17], v[20:21]
	v_add_f64 v[14:15], v[14:15], v[22:23]
	v_add_f64 v[12:13], v[12:13], v[20:21]
	v_add_f64 v[10:11], v[10:11], v[22:23]
	v_add_f64 v[8:9], v[8:9], v[20:21]
	v_add_f64 v[6:7], v[6:7], v[22:23]
	v_add_f64 v[4:5], v[4:5], v[20:21]
	v_add_f64 v[2:3], v[2:3], v[22:23]
	v_add_f64 v[0:1], v[0:1], v[20:21]
	v_cvt_f32_f64_e32 v152, v[152:153]
	v_cvt_f32_f64_e32 v150, v[150:151]
	v_cvt_f32_f64_e32 v148, v[148:149]
	v_cvt_f32_f64_e32 v146, v[146:147]
	v_cvt_f32_f64_e32 v58, v[58:59]
	v_cvt_f32_f64_e32 v56, v[56:57]
	v_cvt_f32_f64_e32 v54, v[54:55]
	v_cvt_f32_f64_e32 v52, v[52:53]
	v_cvt_f32_f64_e32 v50, v[50:51]
	v_cvt_f32_f64_e32 v48, v[48:49]
	v_cvt_f32_f64_e32 v46, v[46:47]
	v_cvt_f32_f64_e32 v44, v[44:45]
	v_cvt_f32_f64_e32 v42, v[42:43]
	v_cvt_f32_f64_e32 v40, v[40:41]
	v_cvt_f32_f64_e32 v36, v[36:37]
	v_cvt_f32_f64_e32 v37, v[38:39]
	v_cvt_f32_f64_e32 v32, v[32:33]
	v_cvt_f32_f64_e32 v33, v[34:35]
	v_cvt_f32_f64_e32 v28, v[28:29]
	v_cvt_f32_f64_e32 v29, v[30:31]
	v_cvt_f32_f64_e32 v24, v[24:25]
	v_cvt_f32_f64_e32 v25, v[26:27]
	v_cvt_f32_f64_e32 v16, v[16:17]
	v_cvt_f32_f64_e32 v17, v[18:19]
	v_cvt_f32_f64_e32 v12, v[12:13]
	v_cvt_f32_f64_e32 v13, v[14:15]
	v_cvt_f32_f64_e32 v8, v[8:9]
	v_cvt_f32_f64_e32 v9, v[10:11]
	v_cvt_f32_f64_e32 v4, v[4:5]
	v_cvt_f32_f64_e32 v5, v[6:7]
	v_cvt_f32_f64_e32 v0, v[0:1]
	v_cvt_f32_f64_e32 v1, v[2:3]
	v_min3_f32 v135, v152, v150, v135
	v_min3_f32 v125, v148, v146, v125
	;; [unrolled: 1-line block ×16, first 2 shown]
	s_mov_b32 s23, 2
	s_mov_b64 s[2:3], 0
	s_cbranch_vccz .LBB119_41
; %bb.42:                               ;   in Loop: Header=BB119_32 Depth=1
	s_and_b64 vcc, exec, s[4:5]
	v_add_u32_e32 v0, s6, v64
	ds_write_b64 v143, v[68:69]
	ds_write2st64_b64 v142, v[70:71], v[72:73] offset1:4
	ds_write2st64_b64 v142, v[74:75], v[76:77] offset0:8 offset1:12
	s_waitcnt lgkmcnt(0)
	s_barrier
	s_cbranch_vccnz .LBB119_44
; %bb.43:                               ;   in Loop: Header=BB119_32 Depth=1
	v_mad_u64_u32 v[2:3], s[2:3], v0, s25, 0
	v_mov_b32_e32 v4, v3
	v_mad_u64_u32 v[4:5], s[2:3], v0, s26, v[4:5]
	v_mov_b32_e32 v3, v4
	v_lshl_add_u64 v[2:3], v[2:3], 3, v[66:67]
	flat_load_dwordx2 v[2:3], v[2:3]
	s_waitcnt vmcnt(0) lgkmcnt(0)
	v_mul_f64 v[68:69], v[2:3], s[12:13]
	s_branch .LBB119_45
.LBB119_44:                             ;   in Loop: Header=BB119_32 Depth=1
	v_mov_b64_e32 v[68:69], 0
.LBB119_45:                             ;   in Loop: Header=BB119_32 Depth=1
	v_mad_u64_u32 v[2:3], s[2:3], v0, s19, 0
	v_mov_b32_e32 v4, v3
	v_mad_u64_u32 v[0:1], s[2:3], v0, s27, v[4:5]
	v_mov_b32_e32 v3, v0
	v_lshl_add_u64 v[0:1], v[2:3], 3, s[20:21]
	s_and_b64 vcc, exec, s[4:5]
	v_lshl_add_u64 v[0:1], v[62:63], 3, v[0:1]
	s_cbranch_vccnz .LBB119_48
; %bb.46:                               ;   in Loop: Header=BB119_32 Depth=1
	flat_load_dwordx2 v[2:3], v[0:1]
	flat_load_dwordx2 v[4:5], v[0:1] offset:512
	s_waitcnt vmcnt(0) lgkmcnt(0)
	v_mul_f64 v[70:71], v[2:3], s[12:13]
	v_mul_f64 v[72:73], v[4:5], s[12:13]
	s_and_b64 vcc, exec, s[4:5]
	s_cbranch_vccnz .LBB119_49
.LBB119_47:                             ;   in Loop: Header=BB119_32 Depth=1
	flat_load_dwordx2 v[2:3], v[0:1] offset:1024
	flat_load_dwordx2 v[4:5], v[0:1] offset:1536
	s_waitcnt vmcnt(0) lgkmcnt(0)
	v_mul_f64 v[74:75], v[2:3], s[12:13]
	v_mul_f64 v[76:77], v[4:5], s[12:13]
	s_branch .LBB119_50
.LBB119_48:                             ;   in Loop: Header=BB119_32 Depth=1
	v_mov_b64_e32 v[70:71], 0
	v_mov_b64_e32 v[72:73], 0
	s_and_b64 vcc, exec, s[4:5]
	s_cbranch_vccz .LBB119_47
.LBB119_49:                             ;   in Loop: Header=BB119_32 Depth=1
	v_mov_b64_e32 v[74:75], 0
	v_mov_b64_e32 v[76:77], 0
.LBB119_50:                             ;   in Loop: Header=BB119_32 Depth=1
	s_mov_b32 s23, 0
	s_mov_b64 s[2:3], -1
.LBB119_51:                             ;   Parent Loop BB119_32 Depth=1
                                        ; =>  This Inner Loop Header: Depth=2
	v_cndmask_b32_e64 v0, 0, 1, s[2:3]
	s_lshl_b32 s2, s23, 3
	v_cmp_ne_u32_e32 vcc, 1, v0
	v_lshl_add_u32 v0, v131, 5, s2
	v_lshl_add_u32 v20, v132, 5, s2
	ds_read_b128 v[32:35], v0 offset:16384
	ds_read_b128 v[28:31], v0 offset:16640
	;; [unrolled: 1-line block ×8, first 2 shown]
	ds_read_b128 v[146:149], v20
	ds_read_b128 v[56:59], v20 offset:1024
	ds_read_b128 v[52:55], v20 offset:2048
	;; [unrolled: 1-line block ×7, first 2 shown]
	s_waitcnt lgkmcnt(7)
	v_add_f64 v[150:151], v[34:35], v[148:149]
	v_add_f64 v[152:153], v[32:33], v[146:147]
	v_cvt_f32_f64_e32 v152, v[152:153]
	v_cvt_f32_f64_e32 v150, v[150:151]
	v_min3_f32 v141, v152, v150, v141
	v_add_f64 v[150:151], v[30:31], v[148:149]
	v_add_f64 v[152:153], v[28:29], v[146:147]
	v_cvt_f32_f64_e32 v152, v[152:153]
	v_cvt_f32_f64_e32 v150, v[150:151]
	v_min3_f32 v140, v152, v150, v140
	v_add_f64 v[150:151], v[26:27], v[148:149]
	v_add_f64 v[152:153], v[24:25], v[146:147]
	v_cvt_f32_f64_e32 v152, v[152:153]
	v_cvt_f32_f64_e32 v150, v[150:151]
	v_min3_f32 v139, v152, v150, v139
	v_add_f64 v[150:151], v[18:19], v[148:149]
	v_add_f64 v[152:153], v[16:17], v[146:147]
	v_cvt_f32_f64_e32 v152, v[152:153]
	v_cvt_f32_f64_e32 v150, v[150:151]
	v_min3_f32 v138, v152, v150, v138
	v_add_f64 v[150:151], v[14:15], v[148:149]
	v_add_f64 v[152:153], v[12:13], v[146:147]
	v_cvt_f32_f64_e32 v152, v[152:153]
	v_cvt_f32_f64_e32 v150, v[150:151]
	v_min3_f32 v137, v152, v150, v137
	v_add_f64 v[150:151], v[10:11], v[148:149]
	v_add_f64 v[152:153], v[8:9], v[146:147]
	v_cvt_f32_f64_e32 v152, v[152:153]
	v_cvt_f32_f64_e32 v150, v[150:151]
	v_min3_f32 v136, v152, v150, v136
	v_add_f64 v[150:151], v[6:7], v[148:149]
	v_add_f64 v[152:153], v[4:5], v[146:147]
	v_add_f64 v[148:149], v[2:3], v[148:149]
	v_add_f64 v[146:147], v[0:1], v[146:147]
	v_cvt_f32_f64_e32 v146, v[146:147]
	v_cvt_f32_f64_e32 v147, v[148:149]
	v_min3_f32 v134, v146, v147, v134
	s_waitcnt lgkmcnt(6)
	v_add_f64 v[146:147], v[34:35], v[58:59]
	v_add_f64 v[148:149], v[32:33], v[56:57]
	v_cvt_f32_f64_e32 v148, v[148:149]
	v_cvt_f32_f64_e32 v146, v[146:147]
	v_min3_f32 v133, v148, v146, v133
	v_add_f64 v[146:147], v[30:31], v[58:59]
	v_add_f64 v[148:149], v[28:29], v[56:57]
	v_cvt_f32_f64_e32 v148, v[148:149]
	v_cvt_f32_f64_e32 v146, v[146:147]
	v_min3_f32 v130, v148, v146, v130
	v_add_f64 v[146:147], v[26:27], v[58:59]
	v_add_f64 v[148:149], v[24:25], v[56:57]
	v_cvt_f32_f64_e32 v148, v[148:149]
	v_cvt_f32_f64_e32 v146, v[146:147]
	v_min3_f32 v129, v148, v146, v129
	v_add_f64 v[146:147], v[18:19], v[58:59]
	v_add_f64 v[148:149], v[16:17], v[56:57]
	v_cvt_f32_f64_e32 v148, v[148:149]
	v_cvt_f32_f64_e32 v146, v[146:147]
	v_min3_f32 v128, v148, v146, v128
	v_add_f64 v[146:147], v[14:15], v[58:59]
	v_add_f64 v[148:149], v[12:13], v[56:57]
	v_cvt_f32_f64_e32 v148, v[148:149]
	v_cvt_f32_f64_e32 v146, v[146:147]
	v_min3_f32 v127, v148, v146, v127
	v_add_f64 v[146:147], v[10:11], v[58:59]
	v_add_f64 v[148:149], v[8:9], v[56:57]
	v_cvt_f32_f64_e32 v148, v[148:149]
	v_cvt_f32_f64_e32 v146, v[146:147]
	v_min3_f32 v126, v148, v146, v126
	v_add_f64 v[146:147], v[6:7], v[58:59]
	v_add_f64 v[148:149], v[4:5], v[56:57]
	v_add_f64 v[58:59], v[2:3], v[58:59]
	v_add_f64 v[56:57], v[0:1], v[56:57]
	v_cvt_f32_f64_e32 v56, v[56:57]
	v_cvt_f32_f64_e32 v57, v[58:59]
	v_min3_f32 v124, v56, v57, v124
	;; [unrolled: 38-line block ×6, first 2 shown]
	s_waitcnt lgkmcnt(1)
	v_add_f64 v[40:41], v[34:35], v[38:39]
	v_add_f64 v[42:43], v[32:33], v[36:37]
	v_cvt_f32_f64_e32 v42, v[42:43]
	v_cvt_f32_f64_e32 v40, v[40:41]
	v_min3_f32 v91, v42, v40, v91
	v_add_f64 v[40:41], v[30:31], v[38:39]
	v_add_f64 v[42:43], v[28:29], v[36:37]
	v_cvt_f32_f64_e32 v42, v[42:43]
	v_cvt_f32_f64_e32 v40, v[40:41]
	v_min3_f32 v90, v42, v40, v90
	;; [unrolled: 5-line block ×6, first 2 shown]
	v_add_f64 v[40:41], v[6:7], v[38:39]
	v_add_f64 v[42:43], v[4:5], v[36:37]
	;; [unrolled: 1-line block ×4, first 2 shown]
	s_waitcnt lgkmcnt(0)
	v_add_f64 v[34:35], v[34:35], v[22:23]
	v_add_f64 v[32:33], v[32:33], v[20:21]
	;; [unrolled: 1-line block ×16, first 2 shown]
	v_cvt_f32_f64_e32 v152, v[152:153]
	v_cvt_f32_f64_e32 v150, v[150:151]
	;; [unrolled: 1-line block ×32, first 2 shown]
	v_min3_f32 v135, v152, v150, v135
	v_min3_f32 v125, v148, v146, v125
	;; [unrolled: 1-line block ×16, first 2 shown]
	s_mov_b32 s23, 2
	s_mov_b64 s[2:3], 0
	s_cbranch_vccz .LBB119_51
; %bb.52:                               ;   in Loop: Header=BB119_32 Depth=1
	s_add_i32 s6, s6, 8
	s_add_i32 s22, s22, 8
	s_cmp_ge_i32 s22, s7
	ds_write_b64 v144, v[68:69]
	ds_write2st64_b64 v145, v[70:71], v[72:73] offset1:4
	ds_write2st64_b64 v145, v[74:75], v[76:77] offset0:8 offset1:12
	s_waitcnt lgkmcnt(0)
	s_barrier
	s_cbranch_scc0 .LBB119_32
.LBB119_53:
	s_mov_b32 s4, 0
	s_mov_b64 s[2:3], -1
.LBB119_54:                             ; =>This Inner Loop Header: Depth=1
	v_cndmask_b32_e64 v0, 0, 1, s[2:3]
	s_lshl_b32 s2, s4, 3
	v_cmp_ne_u32_e32 vcc, 1, v0
	v_lshl_add_u32 v0, v131, 5, s2
	v_lshl_add_u32 v20, v132, 5, s2
	ds_read_b128 v[32:35], v0 offset:18432
	ds_read_b128 v[28:31], v0 offset:18688
	;; [unrolled: 1-line block ×16, first 2 shown]
	s_waitcnt lgkmcnt(7)
	v_add_f64 v[62:63], v[34:35], v[68:69]
	v_add_f64 v[70:71], v[32:33], v[66:67]
	v_cvt_f32_f64_e32 v60, v[70:71]
	v_cvt_f32_f64_e32 v62, v[62:63]
	v_min3_f32 v141, v60, v62, v141
	v_add_f64 v[62:63], v[30:31], v[68:69]
	v_add_f64 v[70:71], v[28:29], v[66:67]
	v_cvt_f32_f64_e32 v60, v[70:71]
	v_cvt_f32_f64_e32 v62, v[62:63]
	v_min3_f32 v140, v60, v62, v140
	;; [unrolled: 5-line block ×8, first 2 shown]
	s_waitcnt lgkmcnt(6)
	v_add_f64 v[62:63], v[34:35], v[58:59]
	v_add_f64 v[66:67], v[32:33], v[56:57]
	v_cvt_f32_f64_e32 v60, v[66:67]
	v_cvt_f32_f64_e32 v62, v[62:63]
	v_min3_f32 v133, v60, v62, v133
	v_add_f64 v[62:63], v[30:31], v[58:59]
	v_add_f64 v[66:67], v[28:29], v[56:57]
	v_cvt_f32_f64_e32 v60, v[66:67]
	v_cvt_f32_f64_e32 v62, v[62:63]
	v_min3_f32 v130, v60, v62, v130
	v_add_f64 v[62:63], v[26:27], v[58:59]
	v_add_f64 v[66:67], v[24:25], v[56:57]
	v_cvt_f32_f64_e32 v60, v[66:67]
	v_cvt_f32_f64_e32 v62, v[62:63]
	v_min3_f32 v129, v60, v62, v129
	v_add_f64 v[62:63], v[18:19], v[58:59]
	v_add_f64 v[66:67], v[16:17], v[56:57]
	v_cvt_f32_f64_e32 v60, v[66:67]
	v_cvt_f32_f64_e32 v62, v[62:63]
	v_min3_f32 v128, v60, v62, v128
	v_add_f64 v[62:63], v[14:15], v[58:59]
	v_add_f64 v[66:67], v[12:13], v[56:57]
	v_cvt_f32_f64_e32 v60, v[66:67]
	v_cvt_f32_f64_e32 v62, v[62:63]
	v_min3_f32 v127, v60, v62, v127
	v_add_f64 v[62:63], v[10:11], v[58:59]
	v_add_f64 v[66:67], v[8:9], v[56:57]
	v_cvt_f32_f64_e32 v60, v[66:67]
	v_cvt_f32_f64_e32 v62, v[62:63]
	v_min3_f32 v126, v60, v62, v126
	v_add_f64 v[62:63], v[6:7], v[58:59]
	v_add_f64 v[66:67], v[4:5], v[56:57]
	v_add_f64 v[58:59], v[2:3], v[58:59]
	v_add_f64 v[56:57], v[0:1], v[56:57]
	v_cvt_f32_f64_e32 v56, v[56:57]
	v_cvt_f32_f64_e32 v57, v[58:59]
	v_min3_f32 v124, v56, v57, v124
	s_waitcnt lgkmcnt(5)
	v_add_f64 v[56:57], v[34:35], v[54:55]
	v_add_f64 v[58:59], v[32:33], v[52:53]
	v_cvt_f32_f64_e32 v58, v[58:59]
	v_cvt_f32_f64_e32 v56, v[56:57]
	v_min3_f32 v123, v58, v56, v123
	v_add_f64 v[56:57], v[30:31], v[54:55]
	v_add_f64 v[58:59], v[28:29], v[52:53]
	v_cvt_f32_f64_e32 v58, v[58:59]
	v_cvt_f32_f64_e32 v56, v[56:57]
	v_min3_f32 v122, v58, v56, v122
	v_add_f64 v[56:57], v[26:27], v[54:55]
	v_add_f64 v[58:59], v[24:25], v[52:53]
	v_cvt_f32_f64_e32 v58, v[58:59]
	v_cvt_f32_f64_e32 v56, v[56:57]
	v_min3_f32 v121, v58, v56, v121
	v_add_f64 v[56:57], v[18:19], v[54:55]
	v_add_f64 v[58:59], v[16:17], v[52:53]
	v_cvt_f32_f64_e32 v58, v[58:59]
	v_cvt_f32_f64_e32 v56, v[56:57]
	v_min3_f32 v120, v58, v56, v120
	v_add_f64 v[56:57], v[14:15], v[54:55]
	v_add_f64 v[58:59], v[12:13], v[52:53]
	v_cvt_f32_f64_e32 v58, v[58:59]
	v_cvt_f32_f64_e32 v56, v[56:57]
	v_min3_f32 v119, v58, v56, v119
	v_add_f64 v[56:57], v[10:11], v[54:55]
	v_add_f64 v[58:59], v[8:9], v[52:53]
	v_cvt_f32_f64_e32 v58, v[58:59]
	v_cvt_f32_f64_e32 v56, v[56:57]
	v_min3_f32 v118, v58, v56, v118
	v_add_f64 v[56:57], v[6:7], v[54:55]
	v_add_f64 v[58:59], v[4:5], v[52:53]
	v_add_f64 v[54:55], v[2:3], v[54:55]
	v_add_f64 v[52:53], v[0:1], v[52:53]
	v_cvt_f32_f64_e32 v52, v[52:53]
	v_cvt_f32_f64_e32 v53, v[54:55]
	v_min3_f32 v116, v52, v53, v116
	;; [unrolled: 38-line block ×5, first 2 shown]
	s_waitcnt lgkmcnt(1)
	v_add_f64 v[40:41], v[34:35], v[38:39]
	v_add_f64 v[42:43], v[32:33], v[36:37]
	v_cvt_f32_f64_e32 v42, v[42:43]
	v_cvt_f32_f64_e32 v40, v[40:41]
	v_min3_f32 v91, v42, v40, v91
	v_add_f64 v[40:41], v[30:31], v[38:39]
	v_add_f64 v[42:43], v[28:29], v[36:37]
	v_cvt_f32_f64_e32 v42, v[42:43]
	v_cvt_f32_f64_e32 v40, v[40:41]
	v_min3_f32 v90, v42, v40, v90
	;; [unrolled: 5-line block ×6, first 2 shown]
	v_add_f64 v[40:41], v[6:7], v[38:39]
	v_add_f64 v[42:43], v[4:5], v[36:37]
	;; [unrolled: 1-line block ×4, first 2 shown]
	s_waitcnt lgkmcnt(0)
	v_add_f64 v[34:35], v[34:35], v[22:23]
	v_add_f64 v[32:33], v[32:33], v[20:21]
	v_add_f64 v[30:31], v[30:31], v[22:23]
	v_add_f64 v[28:29], v[28:29], v[20:21]
	v_add_f64 v[26:27], v[26:27], v[22:23]
	v_add_f64 v[24:25], v[24:25], v[20:21]
	v_add_f64 v[18:19], v[18:19], v[22:23]
	v_add_f64 v[16:17], v[16:17], v[20:21]
	v_add_f64 v[14:15], v[14:15], v[22:23]
	v_add_f64 v[12:13], v[12:13], v[20:21]
	v_add_f64 v[10:11], v[10:11], v[22:23]
	v_add_f64 v[8:9], v[8:9], v[20:21]
	v_add_f64 v[6:7], v[6:7], v[22:23]
	v_add_f64 v[4:5], v[4:5], v[20:21]
	v_add_f64 v[2:3], v[2:3], v[22:23]
	v_add_f64 v[0:1], v[0:1], v[20:21]
	v_cvt_f32_f64_e32 v60, v[66:67]
	v_cvt_f32_f64_e32 v62, v[62:63]
	;; [unrolled: 1-line block ×30, first 2 shown]
	v_min3_f32 v125, v60, v62, v125
	v_min3_f32 v117, v58, v56, v117
	;; [unrolled: 1-line block ×15, first 2 shown]
	s_mov_b32 s4, 2
	s_mov_b64 s[2:3], 0
	s_cbranch_vccz .LBB119_54
; %bb.55:
	s_load_dwordx2 s[2:3], s[0:1], 0x78
	s_load_dword s6, s[0:1], 0x58
	s_load_dword s7, s[0:1], 0x70
	v_add_u32_e32 v8, s24, v131
	v_add_u32_e32 v30, s18, v132
	s_waitcnt lgkmcnt(0)
	s_lshl_b64 s[0:1], s[2:3], 3
	s_add_u32 s0, s16, s0
	s_addc_u32 s1, s17, s1
	v_add_u32_e32 v0, 8, v8
	v_mad_i64_i32 v[2:3], s[2:3], v30, s7, 0
	v_ashrrev_i32_e32 v9, 31, v8
	v_ashrrev_i32_e32 v1, 31, v0
	v_lshl_add_u64 v[24:25], v[2:3], 3, s[0:1]
	v_mad_i64_i32 v[2:3], s[2:3], v30, s6, 0
	v_max_f32_e32 v4, v141, v141
	s_mov_b64 vcc, s[8:9]
	s_cbranch_vccz .LBB119_58
; %bb.56:
	v_min_f32_e32 v5, 0, v4
	v_cvt_f64_f32_e32 v[6:7], v5
	v_lshl_add_u64 v[10:11], v[8:9], 3, v[24:25]
	global_store_dwordx2 v[10:11], v[6:7], off
	s_mov_b64 s[2:3], 0
	v_lshl_add_u64 v[26:27], v[2:3], 3, s[14:15]
	v_lshlrev_b64 v[12:13], 3, v[8:9]
	s_cbranch_execz .LBB119_59
; %bb.57:
	v_mov_b64_e32 v[4:5], s[2:3]
	s_branch .LBB119_60
.LBB119_58:
                                        ; implicit-def: $sgpr2_sgpr3
	v_lshl_add_u64 v[26:27], v[2:3], 3, s[14:15]
	v_lshlrev_b64 v[12:13], 3, v[8:9]
.LBB119_59:
	v_lshl_add_u64 v[2:3], v[26:27], 0, v[12:13]
	flat_load_dwordx2 v[2:3], v[2:3]
	v_lshl_add_u64 v[6:7], v[24:25], 0, v[12:13]
	s_waitcnt vmcnt(0) lgkmcnt(0)
	v_mul_f64 v[2:3], v[2:3], s[10:11]
	v_cvt_f32_f64_e32 v2, v[2:3]
	v_min_f32_e32 v2, v2, v4
	v_cvt_f64_f32_e32 v[2:3], v2
	global_store_dwordx2 v[6:7], v[2:3], off
	v_lshl_add_u64 v[2:3], v[0:1], 3, v[26:27]
	flat_load_dwordx2 v[2:3], v[2:3]
	s_waitcnt vmcnt(0) lgkmcnt(0)
	v_mul_f64 v[4:5], v[2:3], s[10:11]
.LBB119_60:
	v_cvt_f32_f64_e32 v4, v[4:5]
	v_max_f32_e32 v5, v140, v140
	v_min_f32_e32 v4, v4, v5
	v_add_u32_e32 v10, 16, v8
	v_add_u32_e32 v2, 24, v8
	v_cvt_f64_f32_e32 v[4:5], v4
	v_lshl_add_u64 v[6:7], v[0:1], 3, v[24:25]
	v_ashrrev_i32_e32 v11, 31, v10
	v_ashrrev_i32_e32 v3, 31, v2
	global_store_dwordx2 v[6:7], v[4:5], off
	v_max_f32_e32 v4, v139, v139
	s_mov_b64 vcc, s[8:9]
	s_cbranch_vccz .LBB119_63
; %bb.61:
	v_min_f32_e32 v5, 0, v4
	v_cvt_f64_f32_e32 v[6:7], v5
	v_lshl_add_u64 v[14:15], v[10:11], 3, v[24:25]
	global_store_dwordx2 v[14:15], v[6:7], off
	s_mov_b64 s[2:3], 0
	v_lshlrev_b64 v[16:17], 3, v[10:11]
	s_cbranch_execz .LBB119_64
; %bb.62:
	v_mov_b64_e32 v[6:7], s[2:3]
	s_branch .LBB119_65
.LBB119_63:
                                        ; implicit-def: $sgpr2_sgpr3
	v_lshlrev_b64 v[16:17], 3, v[10:11]
.LBB119_64:
	v_lshl_add_u64 v[6:7], v[26:27], 0, v[16:17]
	flat_load_dwordx2 v[6:7], v[6:7]
	v_lshl_add_u64 v[14:15], v[24:25], 0, v[16:17]
	s_waitcnt vmcnt(0) lgkmcnt(0)
	v_mul_f64 v[6:7], v[6:7], s[10:11]
	v_cvt_f32_f64_e32 v5, v[6:7]
	v_min_f32_e32 v4, v5, v4
	v_cvt_f64_f32_e32 v[4:5], v4
	global_store_dwordx2 v[14:15], v[4:5], off
	v_lshl_add_u64 v[4:5], v[2:3], 3, v[26:27]
	flat_load_dwordx2 v[4:5], v[4:5]
	s_waitcnt vmcnt(0) lgkmcnt(0)
	v_mul_f64 v[6:7], v[4:5], s[10:11]
.LBB119_65:
	v_cvt_f32_f64_e32 v6, v[6:7]
	v_max_f32_e32 v7, v138, v138
	v_min_f32_e32 v6, v6, v7
	v_add_u32_e32 v14, 32, v8
	v_add_u32_e32 v4, 40, v8
	v_cvt_f64_f32_e32 v[6:7], v6
	v_lshl_add_u64 v[18:19], v[2:3], 3, v[24:25]
	v_ashrrev_i32_e32 v15, 31, v14
	v_ashrrev_i32_e32 v5, 31, v4
	global_store_dwordx2 v[18:19], v[6:7], off
	v_max_f32_e32 v6, v137, v137
	s_mov_b64 vcc, s[8:9]
	s_cbranch_vccz .LBB119_68
; %bb.66:
	v_min_f32_e32 v7, 0, v6
	v_cvt_f64_f32_e32 v[18:19], v7
	v_lshl_add_u64 v[20:21], v[14:15], 3, v[24:25]
	global_store_dwordx2 v[20:21], v[18:19], off
	s_mov_b64 s[2:3], 0
	v_lshlrev_b64 v[20:21], 3, v[14:15]
	s_cbranch_execz .LBB119_69
; %bb.67:
	v_mov_b64_e32 v[22:23], s[2:3]
	s_branch .LBB119_70
.LBB119_68:
                                        ; implicit-def: $sgpr2_sgpr3
	v_lshlrev_b64 v[20:21], 3, v[14:15]
.LBB119_69:
	v_lshl_add_u64 v[18:19], v[26:27], 0, v[20:21]
	flat_load_dwordx2 v[18:19], v[18:19]
	v_lshl_add_u64 v[22:23], v[24:25], 0, v[20:21]
	s_waitcnt vmcnt(0) lgkmcnt(0)
	v_mul_f64 v[18:19], v[18:19], s[10:11]
	v_cvt_f32_f64_e32 v7, v[18:19]
	v_min_f32_e32 v6, v7, v6
	v_cvt_f64_f32_e32 v[6:7], v6
	global_store_dwordx2 v[22:23], v[6:7], off
	v_lshl_add_u64 v[6:7], v[4:5], 3, v[26:27]
	flat_load_dwordx2 v[6:7], v[6:7]
	s_waitcnt vmcnt(0) lgkmcnt(0)
	v_mul_f64 v[22:23], v[6:7], s[10:11]
.LBB119_70:
	v_cvt_f32_f64_e32 v22, v[22:23]
	v_max_f32_e32 v23, v136, v136
	v_min_f32_e32 v22, v22, v23
	v_add_u32_e32 v18, 48, v8
	v_add_u32_e32 v6, 56, v8
	v_cvt_f64_f32_e32 v[22:23], v22
	v_lshl_add_u64 v[28:29], v[4:5], 3, v[24:25]
	v_ashrrev_i32_e32 v19, 31, v18
	v_ashrrev_i32_e32 v7, 31, v6
	global_store_dwordx2 v[28:29], v[22:23], off
	v_max_f32_e32 v28, v135, v135
	s_mov_b64 vcc, s[8:9]
	s_cbranch_vccz .LBB119_73
; %bb.71:
	v_min_f32_e32 v22, 0, v28
	v_cvt_f64_f32_e32 v[22:23], v22
	v_lshl_add_u64 v[32:33], v[18:19], 3, v[24:25]
	global_store_dwordx2 v[32:33], v[22:23], off
	s_mov_b64 s[2:3], 0
	v_lshlrev_b64 v[22:23], 3, v[18:19]
	s_cbranch_execz .LBB119_74
; %bb.72:
	v_mov_b64_e32 v[26:27], s[2:3]
	s_branch .LBB119_75
.LBB119_73:
                                        ; implicit-def: $sgpr2_sgpr3
	v_lshlrev_b64 v[22:23], 3, v[18:19]
.LBB119_74:
	v_lshl_add_u64 v[32:33], v[26:27], 0, v[22:23]
	flat_load_dwordx2 v[32:33], v[32:33]
	v_lshl_add_u64 v[34:35], v[24:25], 0, v[22:23]
	v_lshl_add_u64 v[26:27], v[6:7], 3, v[26:27]
	s_waitcnt vmcnt(0) lgkmcnt(0)
	v_mul_f64 v[32:33], v[32:33], s[10:11]
	v_cvt_f32_f64_e32 v29, v[32:33]
	v_min_f32_e32 v28, v29, v28
	v_cvt_f64_f32_e32 v[28:29], v28
	global_store_dwordx2 v[34:35], v[28:29], off
	flat_load_dwordx2 v[26:27], v[26:27]
	s_waitcnt vmcnt(0) lgkmcnt(0)
	v_mul_f64 v[26:27], v[26:27], s[10:11]
.LBB119_75:
	v_cvt_f32_f64_e32 v26, v[26:27]
	v_max_f32_e32 v27, v134, v134
	v_min_f32_e32 v26, v26, v27
	v_cvt_f64_f32_e32 v[26:27], v26
	v_lshl_add_u64 v[24:25], v[6:7], 3, v[24:25]
	global_store_dwordx2 v[24:25], v[26:27], off
	v_add_u32_e32 v26, 32, v30
	v_mad_i64_i32 v[24:25], s[2:3], v26, s7, 0
	v_lshl_add_u64 v[24:25], v[24:25], 3, s[0:1]
	v_mad_i64_i32 v[26:27], s[2:3], v26, s6, 0
	v_max_f32_e32 v28, v133, v133
	s_mov_b64 vcc, s[8:9]
	s_cbranch_vccz .LBB119_78
; %bb.76:
	v_min_f32_e32 v29, 0, v28
	v_cvt_f64_f32_e32 v[32:33], v29
	v_lshl_add_u64 v[34:35], v[8:9], 3, v[24:25]
	global_store_dwordx2 v[34:35], v[32:33], off
	s_mov_b64 s[2:3], 0
	v_lshl_add_u64 v[26:27], v[26:27], 3, s[14:15]
	s_cbranch_execz .LBB119_79
; %bb.77:
	v_mov_b64_e32 v[28:29], s[2:3]
	s_branch .LBB119_80
.LBB119_78:
                                        ; implicit-def: $sgpr2_sgpr3
	v_lshl_add_u64 v[26:27], v[26:27], 3, s[14:15]
.LBB119_79:
	v_lshl_add_u64 v[32:33], v[26:27], 0, v[12:13]
	flat_load_dwordx2 v[32:33], v[32:33]
	v_lshl_add_u64 v[34:35], v[24:25], 0, v[12:13]
	s_waitcnt vmcnt(0) lgkmcnt(0)
	v_mul_f64 v[32:33], v[32:33], s[10:11]
	v_cvt_f32_f64_e32 v29, v[32:33]
	v_min_f32_e32 v28, v29, v28
	v_cvt_f64_f32_e32 v[28:29], v28
	global_store_dwordx2 v[34:35], v[28:29], off
	v_lshl_add_u64 v[28:29], v[0:1], 3, v[26:27]
	flat_load_dwordx2 v[28:29], v[28:29]
	s_waitcnt vmcnt(0) lgkmcnt(0)
	v_mul_f64 v[28:29], v[28:29], s[10:11]
.LBB119_80:
	v_cvt_f32_f64_e32 v28, v[28:29]
	v_max_f32_e32 v29, v130, v130
	v_min_f32_e32 v28, v28, v29
	v_cvt_f64_f32_e32 v[28:29], v28
	v_lshl_add_u64 v[32:33], v[0:1], 3, v[24:25]
	global_store_dwordx2 v[32:33], v[28:29], off
	v_max_f32_e32 v28, v129, v129
	s_mov_b64 vcc, s[8:9]
	s_cbranch_vccz .LBB119_83
; %bb.81:
	v_min_f32_e32 v29, 0, v28
	v_cvt_f64_f32_e32 v[32:33], v29
	v_lshl_add_u64 v[34:35], v[10:11], 3, v[24:25]
	global_store_dwordx2 v[34:35], v[32:33], off
	s_mov_b64 s[2:3], 0
	s_cbranch_execz .LBB119_84
; %bb.82:
	v_mov_b64_e32 v[28:29], s[2:3]
	s_branch .LBB119_85
.LBB119_83:
                                        ; implicit-def: $sgpr2_sgpr3
.LBB119_84:
	v_lshl_add_u64 v[32:33], v[26:27], 0, v[16:17]
	flat_load_dwordx2 v[32:33], v[32:33]
	v_lshl_add_u64 v[34:35], v[24:25], 0, v[16:17]
	s_waitcnt vmcnt(0) lgkmcnt(0)
	v_mul_f64 v[32:33], v[32:33], s[10:11]
	v_cvt_f32_f64_e32 v29, v[32:33]
	v_min_f32_e32 v28, v29, v28
	v_cvt_f64_f32_e32 v[28:29], v28
	global_store_dwordx2 v[34:35], v[28:29], off
	v_lshl_add_u64 v[28:29], v[2:3], 3, v[26:27]
	flat_load_dwordx2 v[28:29], v[28:29]
	s_waitcnt vmcnt(0) lgkmcnt(0)
	v_mul_f64 v[28:29], v[28:29], s[10:11]
.LBB119_85:
	v_cvt_f32_f64_e32 v28, v[28:29]
	v_max_f32_e32 v29, v128, v128
	v_min_f32_e32 v28, v28, v29
	v_cvt_f64_f32_e32 v[28:29], v28
	v_lshl_add_u64 v[32:33], v[2:3], 3, v[24:25]
	global_store_dwordx2 v[32:33], v[28:29], off
	v_max_f32_e32 v28, v127, v127
	s_mov_b64 vcc, s[8:9]
	s_cbranch_vccz .LBB119_88
; %bb.86:
	v_min_f32_e32 v29, 0, v28
	v_cvt_f64_f32_e32 v[32:33], v29
	v_lshl_add_u64 v[34:35], v[14:15], 3, v[24:25]
	global_store_dwordx2 v[34:35], v[32:33], off
	s_mov_b64 s[2:3], 0
	s_cbranch_execz .LBB119_89
; %bb.87:
	v_mov_b64_e32 v[28:29], s[2:3]
	s_branch .LBB119_90
.LBB119_88:
                                        ; implicit-def: $sgpr2_sgpr3
.LBB119_89:
	v_lshl_add_u64 v[32:33], v[26:27], 0, v[20:21]
	flat_load_dwordx2 v[32:33], v[32:33]
	v_lshl_add_u64 v[34:35], v[24:25], 0, v[20:21]
	s_waitcnt vmcnt(0) lgkmcnt(0)
	v_mul_f64 v[32:33], v[32:33], s[10:11]
	v_cvt_f32_f64_e32 v29, v[32:33]
	v_min_f32_e32 v28, v29, v28
	v_cvt_f64_f32_e32 v[28:29], v28
	global_store_dwordx2 v[34:35], v[28:29], off
	v_lshl_add_u64 v[28:29], v[4:5], 3, v[26:27]
	flat_load_dwordx2 v[28:29], v[28:29]
	s_waitcnt vmcnt(0) lgkmcnt(0)
	v_mul_f64 v[28:29], v[28:29], s[10:11]
.LBB119_90:
	v_cvt_f32_f64_e32 v28, v[28:29]
	v_max_f32_e32 v29, v126, v126
	v_min_f32_e32 v28, v28, v29
	v_cvt_f64_f32_e32 v[28:29], v28
	v_lshl_add_u64 v[32:33], v[4:5], 3, v[24:25]
	global_store_dwordx2 v[32:33], v[28:29], off
	v_max_f32_e32 v28, v125, v125
	s_mov_b64 vcc, s[8:9]
	s_cbranch_vccz .LBB119_93
; %bb.91:
	v_min_f32_e32 v29, 0, v28
	v_cvt_f64_f32_e32 v[32:33], v29
	v_lshl_add_u64 v[34:35], v[18:19], 3, v[24:25]
	global_store_dwordx2 v[34:35], v[32:33], off
	s_mov_b64 s[2:3], 0
	s_cbranch_execz .LBB119_94
; %bb.92:
	v_mov_b64_e32 v[26:27], s[2:3]
	s_branch .LBB119_95
.LBB119_93:
                                        ; implicit-def: $sgpr2_sgpr3
.LBB119_94:
	v_lshl_add_u64 v[32:33], v[26:27], 0, v[22:23]
	flat_load_dwordx2 v[32:33], v[32:33]
	v_lshl_add_u64 v[34:35], v[24:25], 0, v[22:23]
	v_lshl_add_u64 v[26:27], v[6:7], 3, v[26:27]
	s_waitcnt vmcnt(0) lgkmcnt(0)
	v_mul_f64 v[32:33], v[32:33], s[10:11]
	v_cvt_f32_f64_e32 v29, v[32:33]
	v_min_f32_e32 v28, v29, v28
	v_cvt_f64_f32_e32 v[28:29], v28
	global_store_dwordx2 v[34:35], v[28:29], off
	flat_load_dwordx2 v[26:27], v[26:27]
	s_waitcnt vmcnt(0) lgkmcnt(0)
	v_mul_f64 v[26:27], v[26:27], s[10:11]
.LBB119_95:
	v_cvt_f32_f64_e32 v26, v[26:27]
	v_max_f32_e32 v27, v124, v124
	v_min_f32_e32 v26, v26, v27
	v_cvt_f64_f32_e32 v[26:27], v26
	v_lshl_add_u64 v[24:25], v[6:7], 3, v[24:25]
	global_store_dwordx2 v[24:25], v[26:27], off
	v_add_u32_e32 v26, 64, v30
	v_mad_i64_i32 v[24:25], s[2:3], v26, s7, 0
	v_lshl_add_u64 v[24:25], v[24:25], 3, s[0:1]
	v_mad_i64_i32 v[26:27], s[2:3], v26, s6, 0
	v_max_f32_e32 v28, v123, v123
	s_mov_b64 vcc, s[8:9]
	s_cbranch_vccz .LBB119_98
; %bb.96:
	v_min_f32_e32 v29, 0, v28
	v_cvt_f64_f32_e32 v[32:33], v29
	v_lshl_add_u64 v[34:35], v[8:9], 3, v[24:25]
	global_store_dwordx2 v[34:35], v[32:33], off
	s_mov_b64 s[2:3], 0
	v_lshl_add_u64 v[26:27], v[26:27], 3, s[14:15]
	s_cbranch_execz .LBB119_99
; %bb.97:
	v_mov_b64_e32 v[28:29], s[2:3]
	s_branch .LBB119_100
.LBB119_98:
                                        ; implicit-def: $sgpr2_sgpr3
	v_lshl_add_u64 v[26:27], v[26:27], 3, s[14:15]
.LBB119_99:
	v_lshl_add_u64 v[32:33], v[26:27], 0, v[12:13]
	flat_load_dwordx2 v[32:33], v[32:33]
	v_lshl_add_u64 v[34:35], v[24:25], 0, v[12:13]
	s_waitcnt vmcnt(0) lgkmcnt(0)
	v_mul_f64 v[32:33], v[32:33], s[10:11]
	v_cvt_f32_f64_e32 v29, v[32:33]
	v_min_f32_e32 v28, v29, v28
	v_cvt_f64_f32_e32 v[28:29], v28
	global_store_dwordx2 v[34:35], v[28:29], off
	v_lshl_add_u64 v[28:29], v[0:1], 3, v[26:27]
	flat_load_dwordx2 v[28:29], v[28:29]
	s_waitcnt vmcnt(0) lgkmcnt(0)
	v_mul_f64 v[28:29], v[28:29], s[10:11]
.LBB119_100:
	v_cvt_f32_f64_e32 v28, v[28:29]
	v_max_f32_e32 v29, v122, v122
	v_min_f32_e32 v28, v28, v29
	v_cvt_f64_f32_e32 v[28:29], v28
	v_lshl_add_u64 v[32:33], v[0:1], 3, v[24:25]
	global_store_dwordx2 v[32:33], v[28:29], off
	v_max_f32_e32 v28, v121, v121
	s_mov_b64 vcc, s[8:9]
	s_cbranch_vccz .LBB119_103
; %bb.101:
	v_min_f32_e32 v29, 0, v28
	v_cvt_f64_f32_e32 v[32:33], v29
	v_lshl_add_u64 v[34:35], v[10:11], 3, v[24:25]
	global_store_dwordx2 v[34:35], v[32:33], off
	s_mov_b64 s[2:3], 0
	s_cbranch_execz .LBB119_104
; %bb.102:
	v_mov_b64_e32 v[28:29], s[2:3]
	s_branch .LBB119_105
.LBB119_103:
                                        ; implicit-def: $sgpr2_sgpr3
.LBB119_104:
	v_lshl_add_u64 v[32:33], v[26:27], 0, v[16:17]
	flat_load_dwordx2 v[32:33], v[32:33]
	v_lshl_add_u64 v[34:35], v[24:25], 0, v[16:17]
	s_waitcnt vmcnt(0) lgkmcnt(0)
	v_mul_f64 v[32:33], v[32:33], s[10:11]
	v_cvt_f32_f64_e32 v29, v[32:33]
	v_min_f32_e32 v28, v29, v28
	v_cvt_f64_f32_e32 v[28:29], v28
	global_store_dwordx2 v[34:35], v[28:29], off
	v_lshl_add_u64 v[28:29], v[2:3], 3, v[26:27]
	flat_load_dwordx2 v[28:29], v[28:29]
	s_waitcnt vmcnt(0) lgkmcnt(0)
	v_mul_f64 v[28:29], v[28:29], s[10:11]
.LBB119_105:
	v_cvt_f32_f64_e32 v28, v[28:29]
	v_max_f32_e32 v29, v120, v120
	v_min_f32_e32 v28, v28, v29
	v_cvt_f64_f32_e32 v[28:29], v28
	v_lshl_add_u64 v[32:33], v[2:3], 3, v[24:25]
	global_store_dwordx2 v[32:33], v[28:29], off
	v_max_f32_e32 v28, v119, v119
	s_mov_b64 vcc, s[8:9]
	s_cbranch_vccz .LBB119_108
; %bb.106:
	v_min_f32_e32 v29, 0, v28
	v_cvt_f64_f32_e32 v[32:33], v29
	v_lshl_add_u64 v[34:35], v[14:15], 3, v[24:25]
	global_store_dwordx2 v[34:35], v[32:33], off
	s_mov_b64 s[2:3], 0
	s_cbranch_execz .LBB119_109
; %bb.107:
	v_mov_b64_e32 v[28:29], s[2:3]
	s_branch .LBB119_110
.LBB119_108:
                                        ; implicit-def: $sgpr2_sgpr3
.LBB119_109:
	v_lshl_add_u64 v[32:33], v[26:27], 0, v[20:21]
	flat_load_dwordx2 v[32:33], v[32:33]
	v_lshl_add_u64 v[34:35], v[24:25], 0, v[20:21]
	s_waitcnt vmcnt(0) lgkmcnt(0)
	v_mul_f64 v[32:33], v[32:33], s[10:11]
	v_cvt_f32_f64_e32 v29, v[32:33]
	v_min_f32_e32 v28, v29, v28
	v_cvt_f64_f32_e32 v[28:29], v28
	global_store_dwordx2 v[34:35], v[28:29], off
	v_lshl_add_u64 v[28:29], v[4:5], 3, v[26:27]
	flat_load_dwordx2 v[28:29], v[28:29]
	s_waitcnt vmcnt(0) lgkmcnt(0)
	v_mul_f64 v[28:29], v[28:29], s[10:11]
.LBB119_110:
	v_cvt_f32_f64_e32 v28, v[28:29]
	v_max_f32_e32 v29, v118, v118
	v_min_f32_e32 v28, v28, v29
	v_cvt_f64_f32_e32 v[28:29], v28
	v_lshl_add_u64 v[32:33], v[4:5], 3, v[24:25]
	global_store_dwordx2 v[32:33], v[28:29], off
	v_max_f32_e32 v28, v117, v117
	s_mov_b64 vcc, s[8:9]
	s_cbranch_vccz .LBB119_113
; %bb.111:
	v_min_f32_e32 v29, 0, v28
	v_cvt_f64_f32_e32 v[32:33], v29
	v_lshl_add_u64 v[34:35], v[18:19], 3, v[24:25]
	global_store_dwordx2 v[34:35], v[32:33], off
	s_mov_b64 s[2:3], 0
	s_cbranch_execz .LBB119_114
; %bb.112:
	v_mov_b64_e32 v[26:27], s[2:3]
	s_branch .LBB119_115
.LBB119_113:
                                        ; implicit-def: $sgpr2_sgpr3
.LBB119_114:
	v_lshl_add_u64 v[32:33], v[26:27], 0, v[22:23]
	flat_load_dwordx2 v[32:33], v[32:33]
	v_lshl_add_u64 v[34:35], v[24:25], 0, v[22:23]
	v_lshl_add_u64 v[26:27], v[6:7], 3, v[26:27]
	s_waitcnt vmcnt(0) lgkmcnt(0)
	v_mul_f64 v[32:33], v[32:33], s[10:11]
	v_cvt_f32_f64_e32 v29, v[32:33]
	v_min_f32_e32 v28, v29, v28
	v_cvt_f64_f32_e32 v[28:29], v28
	global_store_dwordx2 v[34:35], v[28:29], off
	flat_load_dwordx2 v[26:27], v[26:27]
	s_waitcnt vmcnt(0) lgkmcnt(0)
	v_mul_f64 v[26:27], v[26:27], s[10:11]
.LBB119_115:
	v_cvt_f32_f64_e32 v26, v[26:27]
	v_max_f32_e32 v27, v116, v116
	v_min_f32_e32 v26, v26, v27
	v_cvt_f64_f32_e32 v[26:27], v26
	v_lshl_add_u64 v[24:25], v[6:7], 3, v[24:25]
	global_store_dwordx2 v[24:25], v[26:27], off
	v_add_u32_e32 v26, 0x60, v30
	v_mad_i64_i32 v[24:25], s[2:3], v26, s7, 0
	v_lshl_add_u64 v[24:25], v[24:25], 3, s[0:1]
	v_mad_i64_i32 v[26:27], s[2:3], v26, s6, 0
	v_max_f32_e32 v28, v115, v115
	s_mov_b64 vcc, s[8:9]
	s_cbranch_vccz .LBB119_118
; %bb.116:
	v_min_f32_e32 v29, 0, v28
	v_cvt_f64_f32_e32 v[32:33], v29
	v_lshl_add_u64 v[34:35], v[8:9], 3, v[24:25]
	global_store_dwordx2 v[34:35], v[32:33], off
	s_mov_b64 s[2:3], 0
	v_lshl_add_u64 v[26:27], v[26:27], 3, s[14:15]
	s_cbranch_execz .LBB119_119
; %bb.117:
	v_mov_b64_e32 v[28:29], s[2:3]
	s_branch .LBB119_120
.LBB119_118:
                                        ; implicit-def: $sgpr2_sgpr3
	v_lshl_add_u64 v[26:27], v[26:27], 3, s[14:15]
.LBB119_119:
	v_lshl_add_u64 v[32:33], v[26:27], 0, v[12:13]
	flat_load_dwordx2 v[32:33], v[32:33]
	v_lshl_add_u64 v[34:35], v[24:25], 0, v[12:13]
	s_waitcnt vmcnt(0) lgkmcnt(0)
	v_mul_f64 v[32:33], v[32:33], s[10:11]
	v_cvt_f32_f64_e32 v29, v[32:33]
	v_min_f32_e32 v28, v29, v28
	v_cvt_f64_f32_e32 v[28:29], v28
	global_store_dwordx2 v[34:35], v[28:29], off
	v_lshl_add_u64 v[28:29], v[0:1], 3, v[26:27]
	flat_load_dwordx2 v[28:29], v[28:29]
	s_waitcnt vmcnt(0) lgkmcnt(0)
	v_mul_f64 v[28:29], v[28:29], s[10:11]
.LBB119_120:
	v_cvt_f32_f64_e32 v28, v[28:29]
	v_max_f32_e32 v29, v114, v114
	v_min_f32_e32 v28, v28, v29
	v_cvt_f64_f32_e32 v[28:29], v28
	v_lshl_add_u64 v[32:33], v[0:1], 3, v[24:25]
	global_store_dwordx2 v[32:33], v[28:29], off
	v_max_f32_e32 v28, v113, v113
	s_mov_b64 vcc, s[8:9]
	s_cbranch_vccz .LBB119_123
; %bb.121:
	v_min_f32_e32 v29, 0, v28
	v_cvt_f64_f32_e32 v[32:33], v29
	v_lshl_add_u64 v[34:35], v[10:11], 3, v[24:25]
	global_store_dwordx2 v[34:35], v[32:33], off
	s_mov_b64 s[2:3], 0
	s_cbranch_execz .LBB119_124
; %bb.122:
	v_mov_b64_e32 v[28:29], s[2:3]
	s_branch .LBB119_125
.LBB119_123:
                                        ; implicit-def: $sgpr2_sgpr3
.LBB119_124:
	v_lshl_add_u64 v[32:33], v[26:27], 0, v[16:17]
	flat_load_dwordx2 v[32:33], v[32:33]
	v_lshl_add_u64 v[34:35], v[24:25], 0, v[16:17]
	s_waitcnt vmcnt(0) lgkmcnt(0)
	v_mul_f64 v[32:33], v[32:33], s[10:11]
	v_cvt_f32_f64_e32 v29, v[32:33]
	v_min_f32_e32 v28, v29, v28
	v_cvt_f64_f32_e32 v[28:29], v28
	global_store_dwordx2 v[34:35], v[28:29], off
	v_lshl_add_u64 v[28:29], v[2:3], 3, v[26:27]
	flat_load_dwordx2 v[28:29], v[28:29]
	s_waitcnt vmcnt(0) lgkmcnt(0)
	v_mul_f64 v[28:29], v[28:29], s[10:11]
.LBB119_125:
	v_cvt_f32_f64_e32 v28, v[28:29]
	v_max_f32_e32 v29, v112, v112
	v_min_f32_e32 v28, v28, v29
	v_cvt_f64_f32_e32 v[28:29], v28
	v_lshl_add_u64 v[32:33], v[2:3], 3, v[24:25]
	global_store_dwordx2 v[32:33], v[28:29], off
	v_max_f32_e32 v28, v111, v111
	s_mov_b64 vcc, s[8:9]
	s_cbranch_vccz .LBB119_128
; %bb.126:
	v_min_f32_e32 v29, 0, v28
	v_cvt_f64_f32_e32 v[32:33], v29
	v_lshl_add_u64 v[34:35], v[14:15], 3, v[24:25]
	global_store_dwordx2 v[34:35], v[32:33], off
	s_mov_b64 s[2:3], 0
	s_cbranch_execz .LBB119_129
; %bb.127:
	v_mov_b64_e32 v[28:29], s[2:3]
	s_branch .LBB119_130
.LBB119_128:
                                        ; implicit-def: $sgpr2_sgpr3
.LBB119_129:
	v_lshl_add_u64 v[32:33], v[26:27], 0, v[20:21]
	flat_load_dwordx2 v[32:33], v[32:33]
	v_lshl_add_u64 v[34:35], v[24:25], 0, v[20:21]
	s_waitcnt vmcnt(0) lgkmcnt(0)
	v_mul_f64 v[32:33], v[32:33], s[10:11]
	v_cvt_f32_f64_e32 v29, v[32:33]
	v_min_f32_e32 v28, v29, v28
	v_cvt_f64_f32_e32 v[28:29], v28
	global_store_dwordx2 v[34:35], v[28:29], off
	v_lshl_add_u64 v[28:29], v[4:5], 3, v[26:27]
	flat_load_dwordx2 v[28:29], v[28:29]
	s_waitcnt vmcnt(0) lgkmcnt(0)
	v_mul_f64 v[28:29], v[28:29], s[10:11]
.LBB119_130:
	v_cvt_f32_f64_e32 v28, v[28:29]
	v_max_f32_e32 v29, v110, v110
	v_min_f32_e32 v28, v28, v29
	v_cvt_f64_f32_e32 v[28:29], v28
	v_lshl_add_u64 v[32:33], v[4:5], 3, v[24:25]
	global_store_dwordx2 v[32:33], v[28:29], off
	v_max_f32_e32 v28, v109, v109
	s_mov_b64 vcc, s[8:9]
	s_cbranch_vccz .LBB119_133
; %bb.131:
	v_min_f32_e32 v29, 0, v28
	v_cvt_f64_f32_e32 v[32:33], v29
	v_lshl_add_u64 v[34:35], v[18:19], 3, v[24:25]
	global_store_dwordx2 v[34:35], v[32:33], off
	s_mov_b64 s[2:3], 0
	s_cbranch_execz .LBB119_134
; %bb.132:
	v_mov_b64_e32 v[26:27], s[2:3]
	s_branch .LBB119_135
.LBB119_133:
                                        ; implicit-def: $sgpr2_sgpr3
.LBB119_134:
	v_lshl_add_u64 v[32:33], v[26:27], 0, v[22:23]
	flat_load_dwordx2 v[32:33], v[32:33]
	v_lshl_add_u64 v[34:35], v[24:25], 0, v[22:23]
	v_lshl_add_u64 v[26:27], v[6:7], 3, v[26:27]
	s_waitcnt vmcnt(0) lgkmcnt(0)
	v_mul_f64 v[32:33], v[32:33], s[10:11]
	v_cvt_f32_f64_e32 v29, v[32:33]
	v_min_f32_e32 v28, v29, v28
	v_cvt_f64_f32_e32 v[28:29], v28
	global_store_dwordx2 v[34:35], v[28:29], off
	flat_load_dwordx2 v[26:27], v[26:27]
	s_waitcnt vmcnt(0) lgkmcnt(0)
	v_mul_f64 v[26:27], v[26:27], s[10:11]
.LBB119_135:
	v_cvt_f32_f64_e32 v26, v[26:27]
	v_max_f32_e32 v27, v108, v108
	v_min_f32_e32 v26, v26, v27
	v_cvt_f64_f32_e32 v[26:27], v26
	v_lshl_add_u64 v[24:25], v[6:7], 3, v[24:25]
	global_store_dwordx2 v[24:25], v[26:27], off
	v_add_u32_e32 v26, 0x80, v30
	v_mad_i64_i32 v[24:25], s[2:3], v26, s7, 0
	v_lshl_add_u64 v[24:25], v[24:25], 3, s[0:1]
	v_mad_i64_i32 v[26:27], s[2:3], v26, s6, 0
	v_max_f32_e32 v28, v107, v107
	s_mov_b64 vcc, s[8:9]
	s_cbranch_vccz .LBB119_138
; %bb.136:
	v_min_f32_e32 v29, 0, v28
	v_cvt_f64_f32_e32 v[32:33], v29
	v_lshl_add_u64 v[34:35], v[8:9], 3, v[24:25]
	global_store_dwordx2 v[34:35], v[32:33], off
	s_mov_b64 s[2:3], 0
	v_lshl_add_u64 v[26:27], v[26:27], 3, s[14:15]
	s_cbranch_execz .LBB119_139
; %bb.137:
	v_mov_b64_e32 v[28:29], s[2:3]
	s_branch .LBB119_140
.LBB119_138:
                                        ; implicit-def: $sgpr2_sgpr3
	v_lshl_add_u64 v[26:27], v[26:27], 3, s[14:15]
.LBB119_139:
	v_lshl_add_u64 v[32:33], v[26:27], 0, v[12:13]
	flat_load_dwordx2 v[32:33], v[32:33]
	v_lshl_add_u64 v[34:35], v[24:25], 0, v[12:13]
	s_waitcnt vmcnt(0) lgkmcnt(0)
	v_mul_f64 v[32:33], v[32:33], s[10:11]
	v_cvt_f32_f64_e32 v29, v[32:33]
	v_min_f32_e32 v28, v29, v28
	v_cvt_f64_f32_e32 v[28:29], v28
	global_store_dwordx2 v[34:35], v[28:29], off
	v_lshl_add_u64 v[28:29], v[0:1], 3, v[26:27]
	flat_load_dwordx2 v[28:29], v[28:29]
	s_waitcnt vmcnt(0) lgkmcnt(0)
	v_mul_f64 v[28:29], v[28:29], s[10:11]
.LBB119_140:
	v_cvt_f32_f64_e32 v28, v[28:29]
	v_max_f32_e32 v29, v106, v106
	v_min_f32_e32 v28, v28, v29
	v_cvt_f64_f32_e32 v[28:29], v28
	v_lshl_add_u64 v[32:33], v[0:1], 3, v[24:25]
	global_store_dwordx2 v[32:33], v[28:29], off
	v_max_f32_e32 v28, v105, v105
	s_mov_b64 vcc, s[8:9]
	s_cbranch_vccz .LBB119_143
; %bb.141:
	v_min_f32_e32 v29, 0, v28
	v_cvt_f64_f32_e32 v[32:33], v29
	v_lshl_add_u64 v[34:35], v[10:11], 3, v[24:25]
	global_store_dwordx2 v[34:35], v[32:33], off
	s_mov_b64 s[2:3], 0
	s_cbranch_execz .LBB119_144
; %bb.142:
	v_mov_b64_e32 v[28:29], s[2:3]
	s_branch .LBB119_145
.LBB119_143:
                                        ; implicit-def: $sgpr2_sgpr3
.LBB119_144:
	v_lshl_add_u64 v[32:33], v[26:27], 0, v[16:17]
	flat_load_dwordx2 v[32:33], v[32:33]
	v_lshl_add_u64 v[34:35], v[24:25], 0, v[16:17]
	s_waitcnt vmcnt(0) lgkmcnt(0)
	v_mul_f64 v[32:33], v[32:33], s[10:11]
	v_cvt_f32_f64_e32 v29, v[32:33]
	v_min_f32_e32 v28, v29, v28
	v_cvt_f64_f32_e32 v[28:29], v28
	global_store_dwordx2 v[34:35], v[28:29], off
	v_lshl_add_u64 v[28:29], v[2:3], 3, v[26:27]
	flat_load_dwordx2 v[28:29], v[28:29]
	s_waitcnt vmcnt(0) lgkmcnt(0)
	v_mul_f64 v[28:29], v[28:29], s[10:11]
.LBB119_145:
	v_cvt_f32_f64_e32 v28, v[28:29]
	v_max_f32_e32 v29, v104, v104
	v_min_f32_e32 v28, v28, v29
	v_cvt_f64_f32_e32 v[28:29], v28
	v_lshl_add_u64 v[32:33], v[2:3], 3, v[24:25]
	global_store_dwordx2 v[32:33], v[28:29], off
	v_max_f32_e32 v28, v103, v103
	s_mov_b64 vcc, s[8:9]
	s_cbranch_vccz .LBB119_148
; %bb.146:
	v_min_f32_e32 v29, 0, v28
	v_cvt_f64_f32_e32 v[32:33], v29
	v_lshl_add_u64 v[34:35], v[14:15], 3, v[24:25]
	global_store_dwordx2 v[34:35], v[32:33], off
	s_mov_b64 s[2:3], 0
	s_cbranch_execz .LBB119_149
; %bb.147:
	v_mov_b64_e32 v[28:29], s[2:3]
	s_branch .LBB119_150
.LBB119_148:
                                        ; implicit-def: $sgpr2_sgpr3
.LBB119_149:
	v_lshl_add_u64 v[32:33], v[26:27], 0, v[20:21]
	flat_load_dwordx2 v[32:33], v[32:33]
	v_lshl_add_u64 v[34:35], v[24:25], 0, v[20:21]
	s_waitcnt vmcnt(0) lgkmcnt(0)
	v_mul_f64 v[32:33], v[32:33], s[10:11]
	v_cvt_f32_f64_e32 v29, v[32:33]
	v_min_f32_e32 v28, v29, v28
	v_cvt_f64_f32_e32 v[28:29], v28
	global_store_dwordx2 v[34:35], v[28:29], off
	v_lshl_add_u64 v[28:29], v[4:5], 3, v[26:27]
	flat_load_dwordx2 v[28:29], v[28:29]
	s_waitcnt vmcnt(0) lgkmcnt(0)
	v_mul_f64 v[28:29], v[28:29], s[10:11]
.LBB119_150:
	v_cvt_f32_f64_e32 v28, v[28:29]
	v_max_f32_e32 v29, v102, v102
	v_min_f32_e32 v28, v28, v29
	v_cvt_f64_f32_e32 v[28:29], v28
	v_lshl_add_u64 v[32:33], v[4:5], 3, v[24:25]
	global_store_dwordx2 v[32:33], v[28:29], off
	v_max_f32_e32 v28, v101, v101
	s_mov_b64 vcc, s[8:9]
	s_cbranch_vccz .LBB119_153
; %bb.151:
	v_min_f32_e32 v29, 0, v28
	v_cvt_f64_f32_e32 v[32:33], v29
	v_lshl_add_u64 v[34:35], v[18:19], 3, v[24:25]
	global_store_dwordx2 v[34:35], v[32:33], off
	s_mov_b64 s[2:3], 0
	s_cbranch_execz .LBB119_154
; %bb.152:
	v_mov_b64_e32 v[26:27], s[2:3]
	s_branch .LBB119_155
.LBB119_153:
                                        ; implicit-def: $sgpr2_sgpr3
.LBB119_154:
	v_lshl_add_u64 v[32:33], v[26:27], 0, v[22:23]
	flat_load_dwordx2 v[32:33], v[32:33]
	v_lshl_add_u64 v[34:35], v[24:25], 0, v[22:23]
	v_lshl_add_u64 v[26:27], v[6:7], 3, v[26:27]
	s_waitcnt vmcnt(0) lgkmcnt(0)
	v_mul_f64 v[32:33], v[32:33], s[10:11]
	v_cvt_f32_f64_e32 v29, v[32:33]
	v_min_f32_e32 v28, v29, v28
	v_cvt_f64_f32_e32 v[28:29], v28
	global_store_dwordx2 v[34:35], v[28:29], off
	flat_load_dwordx2 v[26:27], v[26:27]
	s_waitcnt vmcnt(0) lgkmcnt(0)
	v_mul_f64 v[26:27], v[26:27], s[10:11]
.LBB119_155:
	v_cvt_f32_f64_e32 v26, v[26:27]
	v_max_f32_e32 v27, v100, v100
	v_min_f32_e32 v26, v26, v27
	v_cvt_f64_f32_e32 v[26:27], v26
	v_lshl_add_u64 v[24:25], v[6:7], 3, v[24:25]
	global_store_dwordx2 v[24:25], v[26:27], off
	v_add_u32_e32 v26, 0xa0, v30
	v_mad_i64_i32 v[24:25], s[2:3], v26, s7, 0
	v_lshl_add_u64 v[24:25], v[24:25], 3, s[0:1]
	v_mad_i64_i32 v[26:27], s[2:3], v26, s6, 0
	v_max_f32_e32 v28, v99, v99
	s_mov_b64 vcc, s[8:9]
	s_cbranch_vccz .LBB119_158
; %bb.156:
	v_min_f32_e32 v29, 0, v28
	v_cvt_f64_f32_e32 v[32:33], v29
	v_lshl_add_u64 v[34:35], v[8:9], 3, v[24:25]
	global_store_dwordx2 v[34:35], v[32:33], off
	s_mov_b64 s[2:3], 0
	v_lshl_add_u64 v[26:27], v[26:27], 3, s[14:15]
	s_cbranch_execz .LBB119_159
; %bb.157:
	v_mov_b64_e32 v[28:29], s[2:3]
	s_branch .LBB119_160
.LBB119_158:
                                        ; implicit-def: $sgpr2_sgpr3
	v_lshl_add_u64 v[26:27], v[26:27], 3, s[14:15]
.LBB119_159:
	v_lshl_add_u64 v[32:33], v[26:27], 0, v[12:13]
	flat_load_dwordx2 v[32:33], v[32:33]
	v_lshl_add_u64 v[34:35], v[24:25], 0, v[12:13]
	s_waitcnt vmcnt(0) lgkmcnt(0)
	v_mul_f64 v[32:33], v[32:33], s[10:11]
	v_cvt_f32_f64_e32 v29, v[32:33]
	v_min_f32_e32 v28, v29, v28
	v_cvt_f64_f32_e32 v[28:29], v28
	global_store_dwordx2 v[34:35], v[28:29], off
	v_lshl_add_u64 v[28:29], v[0:1], 3, v[26:27]
	flat_load_dwordx2 v[28:29], v[28:29]
	s_waitcnt vmcnt(0) lgkmcnt(0)
	v_mul_f64 v[28:29], v[28:29], s[10:11]
.LBB119_160:
	v_cvt_f32_f64_e32 v28, v[28:29]
	v_max_f32_e32 v29, v98, v98
	v_min_f32_e32 v28, v28, v29
	v_cvt_f64_f32_e32 v[28:29], v28
	v_lshl_add_u64 v[32:33], v[0:1], 3, v[24:25]
	global_store_dwordx2 v[32:33], v[28:29], off
	v_max_f32_e32 v28, v97, v97
	s_mov_b64 vcc, s[8:9]
	s_cbranch_vccz .LBB119_163
; %bb.161:
	v_min_f32_e32 v29, 0, v28
	v_cvt_f64_f32_e32 v[32:33], v29
	v_lshl_add_u64 v[34:35], v[10:11], 3, v[24:25]
	s_mov_b32 s4, 0
	global_store_dwordx2 v[34:35], v[32:33], off
	s_cbranch_execz .LBB119_164
; %bb.162:
	v_mov_b32_e32 v28, s4
	s_branch .LBB119_165
.LBB119_163:
                                        ; implicit-def: $sgpr4
.LBB119_164:
	v_lshl_add_u64 v[32:33], v[26:27], 0, v[16:17]
	flat_load_dwordx2 v[32:33], v[32:33]
	v_lshl_add_u64 v[34:35], v[24:25], 0, v[16:17]
	s_waitcnt vmcnt(0) lgkmcnt(0)
	v_mul_f64 v[32:33], v[32:33], s[10:11]
	v_cvt_f32_f64_e32 v29, v[32:33]
	v_min_f32_e32 v28, v29, v28
	v_cvt_f64_f32_e32 v[28:29], v28
	global_store_dwordx2 v[34:35], v[28:29], off
	v_lshl_add_u64 v[28:29], v[2:3], 3, v[26:27]
	flat_load_dwordx2 v[28:29], v[28:29]
	s_waitcnt vmcnt(0) lgkmcnt(0)
	v_mul_f64 v[28:29], v[28:29], s[10:11]
	v_cvt_f32_f64_e32 v28, v[28:29]
.LBB119_165:
	v_max_f32_e32 v29, v96, v96
	v_max_f32_e32 v28, v28, v28
	v_min_f32_e32 v28, v28, v29
	v_cvt_f64_f32_e32 v[28:29], v28
	v_lshl_add_u64 v[32:33], v[2:3], 3, v[24:25]
	global_store_dwordx2 v[32:33], v[28:29], off
	v_max_f32_e32 v28, v95, v95
	s_mov_b64 vcc, s[8:9]
	s_cbranch_vccz .LBB119_168
; %bb.166:
	v_min_f32_e32 v29, 0, v28
	v_cvt_f64_f32_e32 v[32:33], v29
	v_lshl_add_u64 v[34:35], v[14:15], 3, v[24:25]
	s_mov_b32 s4, 0
	global_store_dwordx2 v[34:35], v[32:33], off
	s_cbranch_execz .LBB119_169
; %bb.167:
	v_mov_b32_e32 v28, s4
	s_branch .LBB119_170
.LBB119_168:
                                        ; implicit-def: $sgpr4
.LBB119_169:
	v_lshl_add_u64 v[32:33], v[26:27], 0, v[20:21]
	flat_load_dwordx2 v[32:33], v[32:33]
	v_lshl_add_u64 v[34:35], v[24:25], 0, v[20:21]
	s_waitcnt vmcnt(0) lgkmcnt(0)
	v_mul_f64 v[32:33], v[32:33], s[10:11]
	v_cvt_f32_f64_e32 v29, v[32:33]
	v_min_f32_e32 v28, v29, v28
	v_cvt_f64_f32_e32 v[28:29], v28
	global_store_dwordx2 v[34:35], v[28:29], off
	v_lshl_add_u64 v[28:29], v[4:5], 3, v[26:27]
	flat_load_dwordx2 v[28:29], v[28:29]
	s_waitcnt vmcnt(0) lgkmcnt(0)
	v_mul_f64 v[28:29], v[28:29], s[10:11]
	v_cvt_f32_f64_e32 v28, v[28:29]
.LBB119_170:
	v_max_f32_e32 v29, v94, v94
	v_max_f32_e32 v28, v28, v28
	v_min_f32_e32 v28, v28, v29
	v_cvt_f64_f32_e32 v[28:29], v28
	v_lshl_add_u64 v[32:33], v[4:5], 3, v[24:25]
	global_store_dwordx2 v[32:33], v[28:29], off
	v_max_f32_e32 v28, v93, v93
	s_mov_b64 vcc, s[8:9]
	s_cbranch_vccz .LBB119_173
; %bb.171:
	v_min_f32_e32 v29, 0, v28
	v_cvt_f64_f32_e32 v[32:33], v29
	v_lshl_add_u64 v[34:35], v[18:19], 3, v[24:25]
	s_mov_b32 s4, 0
	global_store_dwordx2 v[34:35], v[32:33], off
	s_cbranch_execz .LBB119_174
; %bb.172:
	v_mov_b32_e32 v26, s4
	s_branch .LBB119_175
.LBB119_173:
                                        ; implicit-def: $sgpr4
.LBB119_174:
	v_lshl_add_u64 v[32:33], v[26:27], 0, v[22:23]
	flat_load_dwordx2 v[32:33], v[32:33]
	v_lshl_add_u64 v[34:35], v[24:25], 0, v[22:23]
	v_lshl_add_u64 v[26:27], v[6:7], 3, v[26:27]
	s_waitcnt vmcnt(0) lgkmcnt(0)
	v_mul_f64 v[32:33], v[32:33], s[10:11]
	v_cvt_f32_f64_e32 v29, v[32:33]
	v_min_f32_e32 v28, v29, v28
	v_cvt_f64_f32_e32 v[28:29], v28
	global_store_dwordx2 v[34:35], v[28:29], off
	flat_load_dwordx2 v[26:27], v[26:27]
	s_waitcnt vmcnt(0) lgkmcnt(0)
	v_mul_f64 v[26:27], v[26:27], s[10:11]
	v_cvt_f32_f64_e32 v26, v[26:27]
.LBB119_175:
	v_max_f32_e32 v27, v92, v92
	v_max_f32_e32 v26, v26, v26
	v_min_f32_e32 v26, v26, v27
	v_cvt_f64_f32_e32 v[26:27], v26
	v_lshl_add_u64 v[24:25], v[6:7], 3, v[24:25]
	global_store_dwordx2 v[24:25], v[26:27], off
	v_add_u32_e32 v26, 0xc0, v30
	v_mad_i64_i32 v[24:25], s[2:3], v26, s7, 0
	v_lshl_add_u64 v[24:25], v[24:25], 3, s[0:1]
	v_mad_i64_i32 v[26:27], s[2:3], v26, s6, 0
	v_max_f32_e32 v28, v91, v91
	s_mov_b64 vcc, s[8:9]
	s_cbranch_vccz .LBB119_178
; %bb.176:
	v_min_f32_e32 v29, 0, v28
	v_cvt_f64_f32_e32 v[32:33], v29
	v_lshl_add_u64 v[34:35], v[8:9], 3, v[24:25]
	s_mov_b32 s4, 0
	global_store_dwordx2 v[34:35], v[32:33], off
	v_lshl_add_u64 v[26:27], v[26:27], 3, s[14:15]
	s_cbranch_execz .LBB119_179
; %bb.177:
	v_mov_b32_e32 v28, s4
	s_branch .LBB119_180
.LBB119_178:
                                        ; implicit-def: $sgpr4
	v_lshl_add_u64 v[26:27], v[26:27], 3, s[14:15]
.LBB119_179:
	v_lshl_add_u64 v[32:33], v[26:27], 0, v[12:13]
	flat_load_dwordx2 v[32:33], v[32:33]
	v_lshl_add_u64 v[34:35], v[24:25], 0, v[12:13]
	s_waitcnt vmcnt(0) lgkmcnt(0)
	v_mul_f64 v[32:33], v[32:33], s[10:11]
	v_cvt_f32_f64_e32 v29, v[32:33]
	v_min_f32_e32 v28, v29, v28
	v_cvt_f64_f32_e32 v[28:29], v28
	global_store_dwordx2 v[34:35], v[28:29], off
	v_lshl_add_u64 v[28:29], v[0:1], 3, v[26:27]
	flat_load_dwordx2 v[28:29], v[28:29]
	s_waitcnt vmcnt(0) lgkmcnt(0)
	v_mul_f64 v[28:29], v[28:29], s[10:11]
	v_cvt_f32_f64_e32 v28, v[28:29]
.LBB119_180:
	v_max_f32_e32 v29, v90, v90
	v_max_f32_e32 v28, v28, v28
	v_min_f32_e32 v28, v28, v29
	v_cvt_f64_f32_e32 v[28:29], v28
	v_lshl_add_u64 v[32:33], v[0:1], 3, v[24:25]
	global_store_dwordx2 v[32:33], v[28:29], off
	v_max_f32_e32 v28, v89, v89
	s_mov_b64 vcc, s[8:9]
	s_cbranch_vccz .LBB119_183
; %bb.181:
	v_min_f32_e32 v29, 0, v28
	v_cvt_f64_f32_e32 v[32:33], v29
	v_lshl_add_u64 v[34:35], v[10:11], 3, v[24:25]
	s_mov_b32 s4, 0
	global_store_dwordx2 v[34:35], v[32:33], off
	s_cbranch_execz .LBB119_184
; %bb.182:
	v_mov_b32_e32 v28, s4
	s_branch .LBB119_185
.LBB119_183:
                                        ; implicit-def: $sgpr4
.LBB119_184:
	v_lshl_add_u64 v[32:33], v[26:27], 0, v[16:17]
	flat_load_dwordx2 v[32:33], v[32:33]
	v_lshl_add_u64 v[34:35], v[24:25], 0, v[16:17]
	s_waitcnt vmcnt(0) lgkmcnt(0)
	v_mul_f64 v[32:33], v[32:33], s[10:11]
	v_cvt_f32_f64_e32 v29, v[32:33]
	v_min_f32_e32 v28, v29, v28
	v_cvt_f64_f32_e32 v[28:29], v28
	global_store_dwordx2 v[34:35], v[28:29], off
	v_lshl_add_u64 v[28:29], v[2:3], 3, v[26:27]
	flat_load_dwordx2 v[28:29], v[28:29]
	s_waitcnt vmcnt(0) lgkmcnt(0)
	v_mul_f64 v[28:29], v[28:29], s[10:11]
	v_cvt_f32_f64_e32 v28, v[28:29]
.LBB119_185:
	v_max_f32_e32 v29, v88, v88
	v_max_f32_e32 v28, v28, v28
	v_min_f32_e32 v28, v28, v29
	v_cvt_f64_f32_e32 v[28:29], v28
	v_lshl_add_u64 v[32:33], v[2:3], 3, v[24:25]
	global_store_dwordx2 v[32:33], v[28:29], off
	v_max_f32_e32 v28, v87, v87
	s_mov_b64 vcc, s[8:9]
	s_cbranch_vccz .LBB119_188
; %bb.186:
	v_min_f32_e32 v29, 0, v28
	v_cvt_f64_f32_e32 v[32:33], v29
	v_lshl_add_u64 v[34:35], v[14:15], 3, v[24:25]
	s_mov_b32 s4, 0
	global_store_dwordx2 v[34:35], v[32:33], off
	s_cbranch_execz .LBB119_189
; %bb.187:
	v_mov_b32_e32 v28, s4
	s_branch .LBB119_190
.LBB119_188:
                                        ; implicit-def: $sgpr4
.LBB119_189:
	v_lshl_add_u64 v[32:33], v[26:27], 0, v[20:21]
	flat_load_dwordx2 v[32:33], v[32:33]
	v_lshl_add_u64 v[34:35], v[24:25], 0, v[20:21]
	s_waitcnt vmcnt(0) lgkmcnt(0)
	v_mul_f64 v[32:33], v[32:33], s[10:11]
	v_cvt_f32_f64_e32 v29, v[32:33]
	v_min_f32_e32 v28, v29, v28
	v_cvt_f64_f32_e32 v[28:29], v28
	global_store_dwordx2 v[34:35], v[28:29], off
	v_lshl_add_u64 v[28:29], v[4:5], 3, v[26:27]
	flat_load_dwordx2 v[28:29], v[28:29]
	s_waitcnt vmcnt(0) lgkmcnt(0)
	v_mul_f64 v[28:29], v[28:29], s[10:11]
	v_cvt_f32_f64_e32 v28, v[28:29]
.LBB119_190:
	v_max_f32_e32 v29, v86, v86
	v_max_f32_e32 v28, v28, v28
	v_min_f32_e32 v28, v28, v29
	v_cvt_f64_f32_e32 v[28:29], v28
	v_lshl_add_u64 v[32:33], v[4:5], 3, v[24:25]
	global_store_dwordx2 v[32:33], v[28:29], off
	v_max_f32_e32 v28, v85, v85
	s_mov_b64 vcc, s[8:9]
	s_cbranch_vccz .LBB119_193
; %bb.191:
	v_min_f32_e32 v29, 0, v28
	v_cvt_f64_f32_e32 v[32:33], v29
	v_lshl_add_u64 v[34:35], v[18:19], 3, v[24:25]
	s_mov_b32 s4, 0
	global_store_dwordx2 v[34:35], v[32:33], off
	s_cbranch_execz .LBB119_194
; %bb.192:
	v_mov_b32_e32 v26, s4
	s_branch .LBB119_195
.LBB119_193:
                                        ; implicit-def: $sgpr4
.LBB119_194:
	v_lshl_add_u64 v[32:33], v[26:27], 0, v[22:23]
	flat_load_dwordx2 v[32:33], v[32:33]
	v_lshl_add_u64 v[34:35], v[24:25], 0, v[22:23]
	v_lshl_add_u64 v[26:27], v[6:7], 3, v[26:27]
	s_waitcnt vmcnt(0) lgkmcnt(0)
	v_mul_f64 v[32:33], v[32:33], s[10:11]
	v_cvt_f32_f64_e32 v29, v[32:33]
	v_min_f32_e32 v28, v29, v28
	v_cvt_f64_f32_e32 v[28:29], v28
	global_store_dwordx2 v[34:35], v[28:29], off
	flat_load_dwordx2 v[26:27], v[26:27]
	s_waitcnt vmcnt(0) lgkmcnt(0)
	v_mul_f64 v[26:27], v[26:27], s[10:11]
	v_cvt_f32_f64_e32 v26, v[26:27]
.LBB119_195:
	v_max_f32_e32 v27, v84, v84
	v_max_f32_e32 v26, v26, v26
	v_min_f32_e32 v26, v26, v27
	v_cvt_f64_f32_e32 v[26:27], v26
	v_lshl_add_u64 v[24:25], v[6:7], 3, v[24:25]
	global_store_dwordx2 v[24:25], v[26:27], off
	v_add_u32_e32 v26, 0xe0, v30
	v_mad_i64_i32 v[24:25], s[2:3], v26, s7, 0
	v_lshl_add_u64 v[24:25], v[24:25], 3, s[0:1]
	v_mad_i64_i32 v[26:27], s[0:1], v26, s6, 0
	v_max_f32_e32 v28, v83, v83
	s_mov_b64 vcc, s[8:9]
	s_cbranch_vccz .LBB119_198
; %bb.196:
	v_min_f32_e32 v29, 0, v28
	v_cvt_f64_f32_e32 v[30:31], v29
	v_lshl_add_u64 v[8:9], v[8:9], 3, v[24:25]
	s_mov_b32 s2, 0
	global_store_dwordx2 v[8:9], v[30:31], off
	v_lshl_add_u64 v[8:9], v[26:27], 3, s[14:15]
	s_cbranch_execz .LBB119_199
; %bb.197:
	v_mov_b32_e32 v12, s2
	s_branch .LBB119_200
.LBB119_198:
                                        ; implicit-def: $sgpr2
	v_lshl_add_u64 v[8:9], v[26:27], 3, s[14:15]
.LBB119_199:
	v_lshl_add_u64 v[26:27], v[8:9], 0, v[12:13]
	flat_load_dwordx2 v[26:27], v[26:27]
	v_lshl_add_u64 v[12:13], v[24:25], 0, v[12:13]
	s_waitcnt vmcnt(0) lgkmcnt(0)
	v_mul_f64 v[26:27], v[26:27], s[10:11]
	v_cvt_f32_f64_e32 v26, v[26:27]
	v_min_f32_e32 v26, v26, v28
	v_cvt_f64_f32_e32 v[26:27], v26
	global_store_dwordx2 v[12:13], v[26:27], off
	v_lshl_add_u64 v[12:13], v[0:1], 3, v[8:9]
	flat_load_dwordx2 v[12:13], v[12:13]
	s_waitcnt vmcnt(0) lgkmcnt(0)
	v_mul_f64 v[12:13], v[12:13], s[10:11]
	v_cvt_f32_f64_e32 v12, v[12:13]
.LBB119_200:
	v_max_f32_e32 v13, v82, v82
	v_max_f32_e32 v12, v12, v12
	v_min_f32_e32 v12, v12, v13
	v_cvt_f64_f32_e32 v[12:13], v12
	v_lshl_add_u64 v[0:1], v[0:1], 3, v[24:25]
	global_store_dwordx2 v[0:1], v[12:13], off
	v_max_f32_e32 v0, v81, v81
	s_mov_b64 vcc, s[8:9]
	s_cbranch_vccz .LBB119_203
; %bb.201:
	v_min_f32_e32 v1, 0, v0
	v_cvt_f64_f32_e32 v[12:13], v1
	v_lshl_add_u64 v[10:11], v[10:11], 3, v[24:25]
	s_mov_b32 s2, 0
	global_store_dwordx2 v[10:11], v[12:13], off
	s_cbranch_execz .LBB119_204
; %bb.202:
	v_mov_b32_e32 v0, s2
	s_branch .LBB119_205
.LBB119_203:
                                        ; implicit-def: $sgpr2
.LBB119_204:
	v_lshl_add_u64 v[10:11], v[8:9], 0, v[16:17]
	flat_load_dwordx2 v[10:11], v[10:11]
	v_lshl_add_u64 v[12:13], v[24:25], 0, v[16:17]
	s_waitcnt vmcnt(0) lgkmcnt(0)
	v_mul_f64 v[10:11], v[10:11], s[10:11]
	v_cvt_f32_f64_e32 v1, v[10:11]
	v_min_f32_e32 v0, v1, v0
	v_cvt_f64_f32_e32 v[0:1], v0
	global_store_dwordx2 v[12:13], v[0:1], off
	v_lshl_add_u64 v[0:1], v[2:3], 3, v[8:9]
	flat_load_dwordx2 v[0:1], v[0:1]
	s_waitcnt vmcnt(0) lgkmcnt(0)
	v_mul_f64 v[0:1], v[0:1], s[10:11]
	v_cvt_f32_f64_e32 v0, v[0:1]
.LBB119_205:
	v_max_f32_e32 v1, v80, v80
	v_max_f32_e32 v0, v0, v0
	v_min_f32_e32 v0, v0, v1
	v_cvt_f64_f32_e32 v[0:1], v0
	v_lshl_add_u64 v[2:3], v[2:3], 3, v[24:25]
	global_store_dwordx2 v[2:3], v[0:1], off
	v_max_f32_e32 v0, v79, v79
	s_mov_b64 vcc, s[8:9]
	s_cbranch_vccz .LBB119_208
; %bb.206:
	v_min_f32_e32 v1, 0, v0
	v_cvt_f64_f32_e32 v[2:3], v1
	v_lshl_add_u64 v[10:11], v[14:15], 3, v[24:25]
	s_mov_b32 s2, 0
	global_store_dwordx2 v[10:11], v[2:3], off
	s_cbranch_execz .LBB119_209
; %bb.207:
	v_mov_b32_e32 v0, s2
	s_branch .LBB119_210
.LBB119_208:
                                        ; implicit-def: $sgpr2
.LBB119_209:
	v_lshl_add_u64 v[2:3], v[8:9], 0, v[20:21]
	flat_load_dwordx2 v[2:3], v[2:3]
	v_lshl_add_u64 v[10:11], v[24:25], 0, v[20:21]
	s_waitcnt vmcnt(0) lgkmcnt(0)
	v_mul_f64 v[2:3], v[2:3], s[10:11]
	v_cvt_f32_f64_e32 v1, v[2:3]
	v_min_f32_e32 v0, v1, v0
	v_cvt_f64_f32_e32 v[0:1], v0
	global_store_dwordx2 v[10:11], v[0:1], off
	v_lshl_add_u64 v[0:1], v[4:5], 3, v[8:9]
	flat_load_dwordx2 v[0:1], v[0:1]
	s_waitcnt vmcnt(0) lgkmcnt(0)
	v_mul_f64 v[0:1], v[0:1], s[10:11]
	v_cvt_f32_f64_e32 v0, v[0:1]
.LBB119_210:
	v_max_f32_e32 v1, v78, v78
	v_max_f32_e32 v0, v0, v0
	v_min_f32_e32 v0, v0, v1
	v_cvt_f64_f32_e32 v[0:1], v0
	v_lshl_add_u64 v[2:3], v[4:5], 3, v[24:25]
	global_store_dwordx2 v[2:3], v[0:1], off
	v_max_f32_e32 v0, v65, v65
	s_mov_b64 vcc, s[8:9]
	s_cbranch_vccz .LBB119_213
; %bb.211:
	v_min_f32_e32 v1, 0, v0
	v_cvt_f64_f32_e32 v[2:3], v1
	v_lshl_add_u64 v[4:5], v[18:19], 3, v[24:25]
	s_mov_b32 s2, 0
	global_store_dwordx2 v[4:5], v[2:3], off
	s_cbranch_execz .LBB119_214
; %bb.212:
	v_mov_b32_e32 v0, s2
	s_branch .LBB119_215
.LBB119_213:
                                        ; implicit-def: $sgpr2
.LBB119_214:
	v_lshl_add_u64 v[2:3], v[8:9], 0, v[22:23]
	flat_load_dwordx2 v[2:3], v[2:3]
	v_lshl_add_u64 v[4:5], v[24:25], 0, v[22:23]
	s_waitcnt vmcnt(0) lgkmcnt(0)
	v_mul_f64 v[2:3], v[2:3], s[10:11]
	v_cvt_f32_f64_e32 v1, v[2:3]
	v_min_f32_e32 v0, v1, v0
	v_cvt_f64_f32_e32 v[0:1], v0
	global_store_dwordx2 v[4:5], v[0:1], off
	v_lshl_add_u64 v[0:1], v[6:7], 3, v[8:9]
	flat_load_dwordx2 v[0:1], v[0:1]
	s_waitcnt vmcnt(0) lgkmcnt(0)
	v_mul_f64 v[0:1], v[0:1], s[10:11]
	v_cvt_f32_f64_e32 v0, v[0:1]
.LBB119_215:
	v_max_f32_e32 v1, v61, v61
	v_max_f32_e32 v0, v0, v0
	v_min_f32_e32 v0, v0, v1
	v_cvt_f64_f32_e32 v[0:1], v0
	v_lshl_add_u64 v[2:3], v[6:7], 3, v[24:25]
	global_store_dwordx2 v[2:3], v[0:1], off
	s_endpgm
	.section	.rodata,"a",@progbits
	.p2align	6, 0x0
	.amdhsa_kernel _ZN12_GLOBAL__N_120geam_min_plus_kernelId15HIP_vector_typeIdLj2EEdLi8ELi32ELi64ELi256ELi4ELi64ELi4ELi64ELi4ELc78ELc84ELb0ELb0ELb1EdKPKdKPdEEviiiT16_PT17_ilSA_ilS8_SA_ilPT18_ili26rocblas_geam_ex_operation_
		.amdhsa_group_segment_fixed_size 20480
		.amdhsa_private_segment_fixed_size 0
		.amdhsa_kernarg_size 136
		.amdhsa_user_sgpr_count 2
		.amdhsa_user_sgpr_dispatch_ptr 0
		.amdhsa_user_sgpr_queue_ptr 0
		.amdhsa_user_sgpr_kernarg_segment_ptr 1
		.amdhsa_user_sgpr_dispatch_id 0
		.amdhsa_user_sgpr_kernarg_preload_length 0
		.amdhsa_user_sgpr_kernarg_preload_offset 0
		.amdhsa_user_sgpr_private_segment_size 0
		.amdhsa_uses_dynamic_stack 0
		.amdhsa_enable_private_segment 0
		.amdhsa_system_sgpr_workgroup_id_x 1
		.amdhsa_system_sgpr_workgroup_id_y 0
		.amdhsa_system_sgpr_workgroup_id_z 1
		.amdhsa_system_sgpr_workgroup_info 0
		.amdhsa_system_vgpr_workitem_id 1
		.amdhsa_next_free_vgpr 154
		.amdhsa_next_free_sgpr 28
		.amdhsa_accum_offset 156
		.amdhsa_reserve_vcc 1
		.amdhsa_float_round_mode_32 0
		.amdhsa_float_round_mode_16_64 0
		.amdhsa_float_denorm_mode_32 3
		.amdhsa_float_denorm_mode_16_64 3
		.amdhsa_dx10_clamp 1
		.amdhsa_ieee_mode 1
		.amdhsa_fp16_overflow 0
		.amdhsa_tg_split 0
		.amdhsa_exception_fp_ieee_invalid_op 0
		.amdhsa_exception_fp_denorm_src 0
		.amdhsa_exception_fp_ieee_div_zero 0
		.amdhsa_exception_fp_ieee_overflow 0
		.amdhsa_exception_fp_ieee_underflow 0
		.amdhsa_exception_fp_ieee_inexact 0
		.amdhsa_exception_int_div_zero 0
	.end_amdhsa_kernel
	.section	.text._ZN12_GLOBAL__N_120geam_min_plus_kernelId15HIP_vector_typeIdLj2EEdLi8ELi32ELi64ELi256ELi4ELi64ELi4ELi64ELi4ELc78ELc84ELb0ELb0ELb1EdKPKdKPdEEviiiT16_PT17_ilSA_ilS8_SA_ilPT18_ili26rocblas_geam_ex_operation_,"axG",@progbits,_ZN12_GLOBAL__N_120geam_min_plus_kernelId15HIP_vector_typeIdLj2EEdLi8ELi32ELi64ELi256ELi4ELi64ELi4ELi64ELi4ELc78ELc84ELb0ELb0ELb1EdKPKdKPdEEviiiT16_PT17_ilSA_ilS8_SA_ilPT18_ili26rocblas_geam_ex_operation_,comdat
.Lfunc_end119:
	.size	_ZN12_GLOBAL__N_120geam_min_plus_kernelId15HIP_vector_typeIdLj2EEdLi8ELi32ELi64ELi256ELi4ELi64ELi4ELi64ELi4ELc78ELc84ELb0ELb0ELb1EdKPKdKPdEEviiiT16_PT17_ilSA_ilS8_SA_ilPT18_ili26rocblas_geam_ex_operation_, .Lfunc_end119-_ZN12_GLOBAL__N_120geam_min_plus_kernelId15HIP_vector_typeIdLj2EEdLi8ELi32ELi64ELi256ELi4ELi64ELi4ELi64ELi4ELc78ELc84ELb0ELb0ELb1EdKPKdKPdEEviiiT16_PT17_ilSA_ilS8_SA_ilPT18_ili26rocblas_geam_ex_operation_
                                        ; -- End function
	.section	.AMDGPU.csdata,"",@progbits
; Kernel info:
; codeLenInByte = 17236
; NumSgprs: 34
; NumVgprs: 154
; NumAgprs: 0
; TotalNumVgprs: 154
; ScratchSize: 0
; MemoryBound: 1
; FloatMode: 240
; IeeeMode: 1
; LDSByteSize: 20480 bytes/workgroup (compile time only)
; SGPRBlocks: 4
; VGPRBlocks: 19
; NumSGPRsForWavesPerEU: 34
; NumVGPRsForWavesPerEU: 154
; AccumOffset: 156
; Occupancy: 3
; WaveLimiterHint : 1
; COMPUTE_PGM_RSRC2:SCRATCH_EN: 0
; COMPUTE_PGM_RSRC2:USER_SGPR: 2
; COMPUTE_PGM_RSRC2:TRAP_HANDLER: 0
; COMPUTE_PGM_RSRC2:TGID_X_EN: 1
; COMPUTE_PGM_RSRC2:TGID_Y_EN: 0
; COMPUTE_PGM_RSRC2:TGID_Z_EN: 1
; COMPUTE_PGM_RSRC2:TIDIG_COMP_CNT: 1
; COMPUTE_PGM_RSRC3_GFX90A:ACCUM_OFFSET: 38
; COMPUTE_PGM_RSRC3_GFX90A:TG_SPLIT: 0
	.section	.text._ZN12_GLOBAL__N_120geam_min_plus_kernelId15HIP_vector_typeIdLj2EEdLi8ELi32ELi64ELi256ELi4ELi64ELi4ELi64ELi4ELc78ELc84ELb0ELb1ELb1EPKdKS4_KPdEEviiiT16_PT17_ilSA_ilS8_SA_ilPT18_ili26rocblas_geam_ex_operation_,"axG",@progbits,_ZN12_GLOBAL__N_120geam_min_plus_kernelId15HIP_vector_typeIdLj2EEdLi8ELi32ELi64ELi256ELi4ELi64ELi4ELi64ELi4ELc78ELc84ELb0ELb1ELb1EPKdKS4_KPdEEviiiT16_PT17_ilSA_ilS8_SA_ilPT18_ili26rocblas_geam_ex_operation_,comdat
	.globl	_ZN12_GLOBAL__N_120geam_min_plus_kernelId15HIP_vector_typeIdLj2EEdLi8ELi32ELi64ELi256ELi4ELi64ELi4ELi64ELi4ELc78ELc84ELb0ELb1ELb1EPKdKS4_KPdEEviiiT16_PT17_ilSA_ilS8_SA_ilPT18_ili26rocblas_geam_ex_operation_ ; -- Begin function _ZN12_GLOBAL__N_120geam_min_plus_kernelId15HIP_vector_typeIdLj2EEdLi8ELi32ELi64ELi256ELi4ELi64ELi4ELi64ELi4ELc78ELc84ELb0ELb1ELb1EPKdKS4_KPdEEviiiT16_PT17_ilSA_ilS8_SA_ilPT18_ili26rocblas_geam_ex_operation_
	.p2align	8
	.type	_ZN12_GLOBAL__N_120geam_min_plus_kernelId15HIP_vector_typeIdLj2EEdLi8ELi32ELi64ELi256ELi4ELi64ELi4ELi64ELi4ELc78ELc84ELb0ELb1ELb1EPKdKS4_KPdEEviiiT16_PT17_ilSA_ilS8_SA_ilPT18_ili26rocblas_geam_ex_operation_,@function
_ZN12_GLOBAL__N_120geam_min_plus_kernelId15HIP_vector_typeIdLj2EEdLi8ELi32ELi64ELi256ELi4ELi64ELi4ELi64ELi4ELc78ELc84ELb0ELb1ELb1EPKdKS4_KPdEEviiiT16_PT17_ilSA_ilS8_SA_ilPT18_ili26rocblas_geam_ex_operation_: ; @_ZN12_GLOBAL__N_120geam_min_plus_kernelId15HIP_vector_typeIdLj2EEdLi8ELi32ELi64ELi256ELi4ELi64ELi4ELi64ELi4ELc78ELc84ELb0ELb1ELb1EPKdKS4_KPdEEviiiT16_PT17_ilSA_ilS8_SA_ilPT18_ili26rocblas_geam_ex_operation_
; %bb.0:
	s_load_dwordx4 s[12:15], s[0:1], 0x10
	s_load_dwordx4 s[4:7], s[0:1], 0x28
	s_mov_b32 s8, s3
	s_mov_b32 s9, 0
	s_lshl_b64 s[16:17], s[8:9], 3
	s_waitcnt lgkmcnt(0)
	s_add_u32 s20, s12, s16
	s_load_dwordx4 s[8:11], s[0:1], 0x40
	s_addc_u32 s21, s13, s17
	s_load_dwordx2 s[18:19], s[20:21], 0x0
	s_load_dwordx2 s[12:13], s[0:1], 0x50
	s_mov_b64 s[30:31], 0
	s_mov_b64 s[34:35], 0
	s_waitcnt lgkmcnt(0)
	s_add_u32 s10, s10, s16
	v_cmp_eq_f64_e64 s[28:29], s[18:19], 0
	s_addc_u32 s11, s11, s17
	v_cmp_neq_f64_e64 s[20:21], s[18:19], 0
	s_and_b64 vcc, exec, s[28:29]
	s_cbranch_vccnz .LBB120_2
; %bb.1:
	s_add_u32 s14, s14, s16
	s_addc_u32 s15, s15, s17
	s_load_dwordx2 s[14:15], s[14:15], 0x0
	s_lshl_b64 s[4:5], s[4:5], 3
	s_waitcnt lgkmcnt(0)
	s_add_u32 s34, s14, s4
	s_addc_u32 s35, s15, s5
.LBB120_2:
	s_load_dwordx2 s[24:25], s[10:11], 0x0
	s_andn2_b64 vcc, exec, s[20:21]
	s_cbranch_vccnz .LBB120_4
; %bb.3:
	s_add_u32 s4, s6, s16
	s_addc_u32 s5, s7, s17
	s_load_dwordx2 s[4:5], s[4:5], 0x0
	s_lshl_b64 s[6:7], s[8:9], 3
	s_waitcnt lgkmcnt(0)
	s_add_u32 s30, s4, s6
	s_addc_u32 s31, s5, s7
.LBB120_4:
	s_load_dwordx4 s[4:7], s[0:1], 0x60
	s_waitcnt lgkmcnt(0)
	v_cmp_eq_f64_e64 s[8:9], s[24:25], 0
	s_mov_b64 s[26:27], 0
	v_cmp_neq_f64_e64 s[14:15], s[24:25], 0
	s_and_b64 vcc, exec, s[8:9]
	s_cbranch_vccnz .LBB120_6
; %bb.5:
	s_add_u32 s8, s12, s16
	s_addc_u32 s9, s13, s17
	s_load_dwordx2 s[8:9], s[8:9], 0x0
	s_lshl_b64 s[4:5], s[4:5], 3
	s_waitcnt lgkmcnt(0)
	s_add_u32 s26, s8, s4
	s_addc_u32 s27, s9, s5
.LBB120_6:
	s_load_dword s38, s[0:1], 0x20
	s_load_dwordx4 s[20:23], s[0:1], 0x0
	v_and_b32_e32 v126, 0x3ff, v0
	v_bfe_u32 v127, v0, 10, 10
	s_waitcnt lgkmcnt(0)
	s_ashr_i32 s39, s38, 31
	s_add_u32 s4, s6, s16
	s_addc_u32 s5, s7, s17
	s_add_i32 s6, s20, -1
	s_ashr_i32 s3, s6, 31
	s_lshr_b32 s3, s3, 26
	s_add_i32 s3, s6, s3
	s_ashr_i32 s3, s3, 6
	s_add_i32 s7, s3, 1
	v_cvt_f32_u32_e32 v1, s7
	s_load_dwordx2 s[16:17], s[4:5], 0x0
	s_not_b32 s3, s3
	v_rcp_iflag_f32_e32 v0, v1
	v_lshl_add_u32 v1, v127, 3, v126
	v_and_b32_e32 v143, 63, v1
	v_lshrrev_b32_e32 v140, 6, v1
	v_mul_f32_e32 v0, 0x4f7ffffe, v0
	v_cvt_u32_f32_e32 v0, v0
	v_cmp_le_i32_e32 vcc, s22, v140
	v_readfirstlane_b32 s4, v0
	s_mul_i32 s3, s3, s4
	s_mul_hi_u32 s3, s4, s3
	s_add_i32 s4, s4, s3
	s_mul_hi_u32 s3, s2, s4
	s_mul_i32 s4, s3, s7
	s_sub_i32 s4, s2, s4
	s_add_i32 s5, s3, 1
	s_sub_i32 s8, s4, s7
	s_cmp_ge_u32 s4, s7
	s_cselect_b32 s3, s5, s3
	s_cselect_b32 s4, s8, s4
	s_add_i32 s5, s3, 1
	s_cmp_ge_u32 s4, s7
	s_cselect_b32 s8, s5, s3
	s_mul_i32 s3, s8, s7
	s_sub_i32 s2, s2, s3
	s_lshl_b32 s23, s2, 6
	v_or_b32_e32 v0, s23, v143
	v_cmp_le_i32_e64 s[2:3], s20, v0
	s_or_b64 s[4:5], s[2:3], vcc
	s_add_i32 s40, s22, -1
	v_min_i32_e32 v62, s6, v0
	v_min_i32_e32 v2, s40, v140
	s_or_b64 s[6:7], s[28:29], s[4:5]
	s_xor_b64 s[6:7], s[6:7], -1
	v_ashrrev_i32_e32 v3, 31, v2
	v_ashrrev_i32_e32 v63, 31, v62
                                        ; implicit-def: $vgpr0_vgpr1
	s_and_saveexec_b64 s[10:11], s[6:7]
	s_xor_b64 s[6:7], exec, s[10:11]
	s_cbranch_execz .LBB120_8
; %bb.7:
	v_mad_i64_i32 v[0:1], s[10:11], s38, v2, 0
	v_lshl_add_u64 v[0:1], v[0:1], 3, s[34:35]
	v_lshl_add_u64 v[0:1], v[62:63], 3, v[0:1]
	flat_load_dwordx2 v[0:1], v[0:1]
	s_waitcnt vmcnt(0) lgkmcnt(0)
	v_mul_f64 v[0:1], s[18:19], v[0:1]
.LBB120_8:
	s_andn2_saveexec_b64 s[6:7], s[6:7]
; %bb.9:
	v_mov_b32_e32 v0, 0x7fefffff
	v_cndmask_b32_e64 v1, 0, v0, s[4:5]
	v_cndmask_b32_e64 v0, 0, -1, s[4:5]
; %bb.10:
	s_or_b64 exec, exec, s[6:7]
	s_load_dword s41, s[0:1], 0x38
	s_lshl_b32 s33, s8, 8
	v_or_b32_e32 v60, s33, v143
	v_ashrrev_i32_e32 v61, 31, v60
	s_waitcnt lgkmcnt(0)
	s_ashr_i32 s42, s41, 31
	v_mul_lo_u32 v4, v3, s41
	v_mul_lo_u32 v5, v2, s42
	v_mad_u64_u32 v[2:3], s[4:5], v2, s41, 0
	v_cmp_le_i32_e64 s[4:5], s21, v60
	s_or_b64 s[6:7], s[4:5], vcc
	v_add3_u32 v3, v3, v5, v4
	v_mov_b32_e32 v4, 0x7fefffff
	s_or_b64 s[8:9], s[28:29], s[6:7]
	v_lshl_add_u64 v[10:11], v[2:3], 3, s[30:31]
	v_cndmask_b32_e64 v3, 0, v4, s[6:7]
	s_xor_b64 s[8:9], s[8:9], -1
	v_cndmask_b32_e64 v2, 0, -1, s[6:7]
	s_and_saveexec_b64 s[6:7], s[8:9]
	s_cbranch_execz .LBB120_12
; %bb.11:
	v_lshl_add_u64 v[2:3], v[60:61], 3, v[10:11]
	flat_load_dwordx2 v[2:3], v[2:3]
	s_waitcnt vmcnt(0) lgkmcnt(0)
	v_mul_f64 v[2:3], s[18:19], v[2:3]
.LBB120_12:
	s_or_b64 exec, exec, s[6:7]
	v_or_b32_e32 v5, 64, v60
	v_cmp_le_i32_e64 s[6:7], s21, v5
	s_or_b64 s[8:9], s[6:7], vcc
	s_or_b64 s[10:11], s[28:29], s[8:9]
	v_cndmask_b32_e64 v5, 0, v4, s[8:9]
	s_xor_b64 s[10:11], s[10:11], -1
	v_cndmask_b32_e64 v4, 0, -1, s[8:9]
	s_and_saveexec_b64 s[8:9], s[10:11]
	s_cbranch_execz .LBB120_14
; %bb.13:
	v_lshl_add_u64 v[4:5], v[60:61], 3, v[10:11]
	flat_load_dwordx2 v[4:5], v[4:5] offset:512
	s_waitcnt vmcnt(0) lgkmcnt(0)
	v_mul_f64 v[4:5], s[18:19], v[4:5]
.LBB120_14:
	s_or_b64 exec, exec, s[8:9]
	v_or_b32_e32 v6, 0x80, v60
	v_cmp_le_i32_e64 s[8:9], s21, v6
	s_or_b64 s[10:11], s[8:9], vcc
	v_mov_b32_e32 v8, 0x7fefffff
	s_or_b64 s[12:13], s[28:29], s[10:11]
	v_cndmask_b32_e64 v7, 0, v8, s[10:11]
	s_xor_b64 s[12:13], s[12:13], -1
	v_cndmask_b32_e64 v6, 0, -1, s[10:11]
	s_and_saveexec_b64 s[10:11], s[12:13]
	s_cbranch_execz .LBB120_16
; %bb.15:
	v_lshl_add_u64 v[6:7], v[60:61], 3, v[10:11]
	flat_load_dwordx2 v[6:7], v[6:7] offset:1024
	s_waitcnt vmcnt(0) lgkmcnt(0)
	v_mul_f64 v[6:7], s[18:19], v[6:7]
.LBB120_16:
	s_or_b64 exec, exec, s[10:11]
	v_or_b32_e32 v9, 0xc0, v60
	v_cmp_le_i32_e64 s[10:11], s21, v9
	s_or_b64 vcc, s[10:11], vcc
	s_or_b64 s[12:13], s[28:29], vcc
	v_cndmask_b32_e32 v9, 0, v8, vcc
	s_xor_b64 s[36:37], s[12:13], -1
	v_cndmask_b32_e64 v8, 0, -1, vcc
	s_and_saveexec_b64 s[12:13], s[36:37]
	s_cbranch_execz .LBB120_18
; %bb.17:
	v_lshl_add_u64 v[8:9], v[60:61], 3, v[10:11]
	flat_load_dwordx2 v[8:9], v[8:9] offset:1536
	s_waitcnt vmcnt(0) lgkmcnt(0)
	v_mul_f64 v[8:9], s[18:19], v[8:9]
.LBB120_18:
	s_or_b64 exec, exec, s[12:13]
	v_add_u32_e32 v10, 4, v140
	v_cmp_le_i32_e32 vcc, s22, v10
	s_or_b64 s[12:13], s[2:3], vcc
	v_min_i32_e32 v10, s40, v10
	s_or_b64 s[36:37], s[28:29], s[12:13]
	s_xor_b64 s[36:37], s[36:37], -1
	v_ashrrev_i32_e32 v11, 31, v10
                                        ; implicit-def: $vgpr64_vgpr65
	s_and_saveexec_b64 s[44:45], s[36:37]
	s_xor_b64 s[36:37], exec, s[44:45]
	s_cbranch_execz .LBB120_20
; %bb.19:
	v_mad_i64_i32 v[12:13], s[44:45], s38, v10, 0
	v_lshl_add_u64 v[12:13], v[12:13], 3, s[34:35]
	v_lshl_add_u64 v[12:13], v[62:63], 3, v[12:13]
	flat_load_dwordx2 v[12:13], v[12:13]
	s_waitcnt vmcnt(0) lgkmcnt(0)
	v_mul_f64 v[64:65], s[18:19], v[12:13]
.LBB120_20:
	s_andn2_saveexec_b64 s[36:37], s[36:37]
; %bb.21:
	v_mov_b32_e32 v12, 0x7fefffff
	v_cndmask_b32_e64 v65, 0, v12, s[12:13]
	v_cndmask_b32_e64 v64, 0, -1, s[12:13]
; %bb.22:
	s_or_b64 exec, exec, s[36:37]
	v_mul_lo_u32 v12, v11, s41
	v_mul_lo_u32 v13, v10, s42
	v_mad_u64_u32 v[10:11], s[12:13], v10, s41, 0
	s_or_b64 s[12:13], s[4:5], vcc
	v_add3_u32 v11, v11, v13, v12
	v_mov_b32_e32 v12, 0x7fefffff
	s_or_b64 s[36:37], s[28:29], s[12:13]
	v_lshl_add_u64 v[10:11], v[10:11], 3, s[30:31]
	v_cndmask_b32_e64 v67, 0, v12, s[12:13]
	s_xor_b64 s[36:37], s[36:37], -1
	v_cndmask_b32_e64 v66, 0, -1, s[12:13]
	s_and_saveexec_b64 s[12:13], s[36:37]
	s_cbranch_execz .LBB120_24
; %bb.23:
	v_lshl_add_u64 v[14:15], v[60:61], 3, v[10:11]
	flat_load_dwordx2 v[14:15], v[14:15]
	s_waitcnt vmcnt(0) lgkmcnt(0)
	v_mul_f64 v[66:67], s[18:19], v[14:15]
.LBB120_24:
	s_or_b64 exec, exec, s[12:13]
	s_or_b64 s[12:13], s[6:7], vcc
	s_or_b64 s[36:37], s[28:29], s[12:13]
	v_cndmask_b32_e64 v69, 0, v12, s[12:13]
	s_xor_b64 s[36:37], s[36:37], -1
	v_cndmask_b32_e64 v68, 0, -1, s[12:13]
	s_and_saveexec_b64 s[12:13], s[36:37]
	s_cbranch_execz .LBB120_26
; %bb.25:
	v_lshl_add_u64 v[12:13], v[60:61], 3, v[10:11]
	flat_load_dwordx2 v[12:13], v[12:13] offset:512
	s_waitcnt vmcnt(0) lgkmcnt(0)
	v_mul_f64 v[68:69], s[18:19], v[12:13]
.LBB120_26:
	s_or_b64 exec, exec, s[12:13]
	s_or_b64 s[12:13], s[8:9], vcc
	v_mov_b32_e32 v12, 0x7fefffff
	s_or_b64 s[36:37], s[28:29], s[12:13]
	v_cndmask_b32_e64 v71, 0, v12, s[12:13]
	s_xor_b64 s[36:37], s[36:37], -1
	v_cndmask_b32_e64 v70, 0, -1, s[12:13]
	s_and_saveexec_b64 s[12:13], s[36:37]
	s_cbranch_execz .LBB120_28
; %bb.27:
	v_lshl_add_u64 v[14:15], v[60:61], 3, v[10:11]
	flat_load_dwordx2 v[14:15], v[14:15] offset:1024
	s_waitcnt vmcnt(0) lgkmcnt(0)
	v_mul_f64 v[70:71], s[18:19], v[14:15]
.LBB120_28:
	s_or_b64 exec, exec, s[12:13]
	s_or_b64 vcc, s[10:11], vcc
	s_or_b64 s[12:13], s[28:29], vcc
	v_cndmask_b32_e32 v73, 0, v12, vcc
	s_xor_b64 s[42:43], s[12:13], -1
	s_mov_b32 s36, 0
	v_cndmask_b32_e64 v72, 0, -1, vcc
	s_and_saveexec_b64 s[12:13], s[42:43]
	s_cbranch_execz .LBB120_30
; %bb.29:
	v_lshl_add_u64 v[10:11], v[60:61], 3, v[10:11]
	flat_load_dwordx2 v[10:11], v[10:11] offset:1536
	s_waitcnt vmcnt(0) lgkmcnt(0)
	v_mul_f64 v[72:73], s[18:19], v[10:11]
.LBB120_30:
	s_or_b64 exec, exec, s[12:13]
	v_lshlrev_b32_e32 v10, 3, v140
	v_lshl_add_u32 v141, v143, 5, v10
	v_or_b32_e32 v142, 0x4000, v141
	s_mov_b64 s[12:13], -1
	v_mov_b32_e32 v74, 0x7f800000
	v_mov_b32_e32 v75, 0x7f800000
	;; [unrolled: 1-line block ×64, first 2 shown]
	ds_write_b64 v141, v[0:1] offset:16384
	ds_write2st64_b64 v141, v[2:3], v[4:5] offset1:4
	ds_write2st64_b64 v141, v[6:7], v[8:9] offset0:8 offset1:12
	s_waitcnt lgkmcnt(0)
	s_barrier
.LBB120_31:                             ; =>This Inner Loop Header: Depth=1
	v_cndmask_b32_e64 v0, 0, 1, s[12:13]
	s_lshl_b32 s12, s36, 3
	v_cmp_ne_u32_e32 vcc, 1, v0
	v_lshl_add_u32 v0, v126, 5, s12
	v_lshl_add_u32 v20, v127, 5, s12
	ds_read_b128 v[32:35], v0 offset:16384
	ds_read_b128 v[28:31], v0 offset:16640
	;; [unrolled: 1-line block ×8, first 2 shown]
	ds_read_b128 v[144:147], v20
	ds_read_b128 v[56:59], v20 offset:1024
	ds_read_b128 v[52:55], v20 offset:2048
	;; [unrolled: 1-line block ×7, first 2 shown]
	s_waitcnt lgkmcnt(7)
	v_add_f64 v[148:149], v[34:35], v[146:147]
	v_add_f64 v[150:151], v[32:33], v[144:145]
	v_cvt_f32_f64_e32 v150, v[150:151]
	v_cvt_f32_f64_e32 v148, v[148:149]
	v_min3_f32 v139, v150, v148, v139
	v_add_f64 v[148:149], v[30:31], v[146:147]
	v_add_f64 v[150:151], v[28:29], v[144:145]
	v_cvt_f32_f64_e32 v150, v[150:151]
	v_cvt_f32_f64_e32 v148, v[148:149]
	v_min3_f32 v138, v150, v148, v138
	v_add_f64 v[148:149], v[26:27], v[146:147]
	v_add_f64 v[150:151], v[24:25], v[144:145]
	v_cvt_f32_f64_e32 v150, v[150:151]
	v_cvt_f32_f64_e32 v148, v[148:149]
	v_min3_f32 v137, v150, v148, v137
	v_add_f64 v[148:149], v[18:19], v[146:147]
	v_add_f64 v[150:151], v[16:17], v[144:145]
	v_cvt_f32_f64_e32 v150, v[150:151]
	v_cvt_f32_f64_e32 v148, v[148:149]
	v_min3_f32 v136, v150, v148, v136
	v_add_f64 v[148:149], v[14:15], v[146:147]
	v_add_f64 v[150:151], v[12:13], v[144:145]
	v_cvt_f32_f64_e32 v150, v[150:151]
	v_cvt_f32_f64_e32 v148, v[148:149]
	v_min3_f32 v135, v150, v148, v135
	v_add_f64 v[148:149], v[10:11], v[146:147]
	v_add_f64 v[150:151], v[8:9], v[144:145]
	v_cvt_f32_f64_e32 v150, v[150:151]
	v_cvt_f32_f64_e32 v148, v[148:149]
	v_min3_f32 v134, v150, v148, v134
	v_add_f64 v[148:149], v[6:7], v[146:147]
	v_add_f64 v[150:151], v[4:5], v[144:145]
	v_add_f64 v[146:147], v[2:3], v[146:147]
	v_add_f64 v[144:145], v[0:1], v[144:145]
	v_cvt_f32_f64_e32 v144, v[144:145]
	v_cvt_f32_f64_e32 v145, v[146:147]
	v_min3_f32 v132, v144, v145, v132
	s_waitcnt lgkmcnt(6)
	v_add_f64 v[144:145], v[34:35], v[58:59]
	v_add_f64 v[146:147], v[32:33], v[56:57]
	v_cvt_f32_f64_e32 v146, v[146:147]
	v_cvt_f32_f64_e32 v144, v[144:145]
	v_min3_f32 v131, v146, v144, v131
	v_add_f64 v[144:145], v[30:31], v[58:59]
	v_add_f64 v[146:147], v[28:29], v[56:57]
	v_cvt_f32_f64_e32 v146, v[146:147]
	v_cvt_f32_f64_e32 v144, v[144:145]
	v_min3_f32 v130, v146, v144, v130
	v_add_f64 v[144:145], v[26:27], v[58:59]
	v_add_f64 v[146:147], v[24:25], v[56:57]
	v_cvt_f32_f64_e32 v146, v[146:147]
	v_cvt_f32_f64_e32 v144, v[144:145]
	v_min3_f32 v129, v146, v144, v129
	v_add_f64 v[144:145], v[18:19], v[58:59]
	v_add_f64 v[146:147], v[16:17], v[56:57]
	v_cvt_f32_f64_e32 v146, v[146:147]
	v_cvt_f32_f64_e32 v144, v[144:145]
	v_min3_f32 v128, v146, v144, v128
	v_add_f64 v[144:145], v[14:15], v[58:59]
	v_add_f64 v[146:147], v[12:13], v[56:57]
	v_cvt_f32_f64_e32 v146, v[146:147]
	v_cvt_f32_f64_e32 v144, v[144:145]
	v_min3_f32 v125, v146, v144, v125
	v_add_f64 v[144:145], v[10:11], v[58:59]
	v_add_f64 v[146:147], v[8:9], v[56:57]
	v_cvt_f32_f64_e32 v146, v[146:147]
	v_cvt_f32_f64_e32 v144, v[144:145]
	v_min3_f32 v124, v146, v144, v124
	v_add_f64 v[144:145], v[6:7], v[58:59]
	v_add_f64 v[146:147], v[4:5], v[56:57]
	v_add_f64 v[58:59], v[2:3], v[58:59]
	v_add_f64 v[56:57], v[0:1], v[56:57]
	v_cvt_f32_f64_e32 v56, v[56:57]
	v_cvt_f32_f64_e32 v57, v[58:59]
	v_min3_f32 v122, v56, v57, v122
	;; [unrolled: 38-line block ×6, first 2 shown]
	s_waitcnt lgkmcnt(1)
	v_add_f64 v[40:41], v[34:35], v[38:39]
	v_add_f64 v[42:43], v[32:33], v[36:37]
	v_cvt_f32_f64_e32 v42, v[42:43]
	v_cvt_f32_f64_e32 v40, v[40:41]
	v_min3_f32 v89, v42, v40, v89
	v_add_f64 v[40:41], v[30:31], v[38:39]
	v_add_f64 v[42:43], v[28:29], v[36:37]
	v_cvt_f32_f64_e32 v42, v[42:43]
	v_cvt_f32_f64_e32 v40, v[40:41]
	v_min3_f32 v88, v42, v40, v88
	;; [unrolled: 5-line block ×6, first 2 shown]
	v_add_f64 v[40:41], v[6:7], v[38:39]
	v_add_f64 v[42:43], v[4:5], v[36:37]
	;; [unrolled: 1-line block ×4, first 2 shown]
	s_waitcnt lgkmcnt(0)
	v_add_f64 v[34:35], v[34:35], v[22:23]
	v_add_f64 v[32:33], v[32:33], v[20:21]
	v_add_f64 v[30:31], v[30:31], v[22:23]
	v_add_f64 v[28:29], v[28:29], v[20:21]
	v_add_f64 v[26:27], v[26:27], v[22:23]
	v_add_f64 v[24:25], v[24:25], v[20:21]
	v_add_f64 v[18:19], v[18:19], v[22:23]
	v_add_f64 v[16:17], v[16:17], v[20:21]
	v_add_f64 v[14:15], v[14:15], v[22:23]
	v_add_f64 v[12:13], v[12:13], v[20:21]
	v_add_f64 v[10:11], v[10:11], v[22:23]
	v_add_f64 v[8:9], v[8:9], v[20:21]
	v_add_f64 v[6:7], v[6:7], v[22:23]
	v_add_f64 v[4:5], v[4:5], v[20:21]
	v_add_f64 v[2:3], v[2:3], v[22:23]
	v_add_f64 v[0:1], v[0:1], v[20:21]
	v_cvt_f32_f64_e32 v150, v[150:151]
	v_cvt_f32_f64_e32 v148, v[148:149]
	;; [unrolled: 1-line block ×32, first 2 shown]
	v_min3_f32 v133, v150, v148, v133
	v_min3_f32 v123, v146, v144, v123
	;; [unrolled: 1-line block ×16, first 2 shown]
	s_mov_b32 s36, 2
	s_mov_b64 s[12:13], 0
	s_cbranch_vccz .LBB120_31
; %bb.32:
	v_lshlrev_b32_e32 v0, 5, v143
	v_lshl_add_u32 v0, v140, 3, v0
	s_cmp_gt_i32 s22, 8
	s_mov_b32 s36, 8
	ds_write_b64 v0, v[64:65] offset:18432
	ds_write2st64_b64 v0, v[66:67], v[68:69] offset0:16 offset1:20
	ds_write2st64_b64 v0, v[70:71], v[72:73] offset0:24 offset1:28
	s_waitcnt lgkmcnt(0)
	s_barrier
	s_cbranch_scc0 .LBB120_59
; %bb.33:
	v_add_u32_e32 v143, 0x4800, v0
	v_or_b32_e32 v144, 0x2000, v0
	s_add_i32 s37, s22, -8
	v_lshl_add_u64 v[62:63], v[62:63], 3, s[34:35]
	s_mov_b32 s34, 0
	v_mov_b32_e32 v145, 0x7fefffff
.LBB120_34:                             ; =>This Loop Header: Depth=1
                                        ;     Child Loop BB120_45 Depth 2
                                        ;     Child Loop BB120_57 Depth 2
	v_add_u32_e32 v0, s36, v140
	v_cmp_le_i32_e32 vcc, s22, v0
	s_or_b64 s[12:13], s[2:3], vcc
	s_or_b64 s[42:43], s[28:29], s[12:13]
	v_cndmask_b32_e64 v65, 0, v145, s[12:13]
	s_xor_b64 s[42:43], s[42:43], -1
	v_cndmask_b32_e64 v64, 0, -1, s[12:13]
	s_and_saveexec_b64 s[12:13], s[42:43]
	s_cbranch_execz .LBB120_36
; %bb.35:                               ;   in Loop: Header=BB120_34 Depth=1
	v_mad_u64_u32 v[2:3], s[42:43], v0, s38, 0
	v_mov_b32_e32 v4, v3
	v_mad_u64_u32 v[4:5], s[42:43], v0, s39, v[4:5]
	v_mov_b32_e32 v3, v4
	v_lshl_add_u64 v[2:3], v[2:3], 3, v[62:63]
	flat_load_dwordx2 v[2:3], v[2:3]
	s_waitcnt vmcnt(0) lgkmcnt(0)
	v_mul_f64 v[64:65], s[18:19], v[2:3]
.LBB120_36:                             ;   in Loop: Header=BB120_34 Depth=1
	s_or_b64 exec, exec, s[12:13]
	v_min_i32_e32 v0, s40, v0
	v_mad_i64_i32 v[0:1], s[12:13], v0, s41, 0
	s_or_b64 s[12:13], s[4:5], vcc
	v_lshl_add_u64 v[0:1], v[0:1], 3, s[30:31]
	s_or_b64 s[42:43], s[28:29], s[12:13]
	v_cndmask_b32_e64 v67, 0, v145, s[12:13]
	s_xor_b64 s[42:43], s[42:43], -1
	v_cndmask_b32_e64 v66, 0, -1, s[12:13]
	v_lshl_add_u64 v[0:1], v[60:61], 3, v[0:1]
	s_and_saveexec_b64 s[12:13], s[42:43]
	s_cbranch_execz .LBB120_38
; %bb.37:                               ;   in Loop: Header=BB120_34 Depth=1
	flat_load_dwordx2 v[2:3], v[0:1]
	s_waitcnt vmcnt(0) lgkmcnt(0)
	v_mul_f64 v[66:67], s[18:19], v[2:3]
.LBB120_38:                             ;   in Loop: Header=BB120_34 Depth=1
	s_or_b64 exec, exec, s[12:13]
	s_or_b64 s[12:13], s[6:7], vcc
	s_or_b64 s[42:43], s[28:29], s[12:13]
	v_cndmask_b32_e64 v69, 0, v145, s[12:13]
	s_xor_b64 s[42:43], s[42:43], -1
	v_cndmask_b32_e64 v68, 0, -1, s[12:13]
	s_and_saveexec_b64 s[12:13], s[42:43]
	s_cbranch_execz .LBB120_40
; %bb.39:                               ;   in Loop: Header=BB120_34 Depth=1
	flat_load_dwordx2 v[2:3], v[0:1] offset:512
	s_waitcnt vmcnt(0) lgkmcnt(0)
	v_mul_f64 v[68:69], s[18:19], v[2:3]
.LBB120_40:                             ;   in Loop: Header=BB120_34 Depth=1
	s_or_b64 exec, exec, s[12:13]
	s_or_b64 s[12:13], s[8:9], vcc
	s_or_b64 s[42:43], s[28:29], s[12:13]
	v_cndmask_b32_e64 v71, 0, v145, s[12:13]
	s_xor_b64 s[42:43], s[42:43], -1
	v_cndmask_b32_e64 v70, 0, -1, s[12:13]
	s_and_saveexec_b64 s[12:13], s[42:43]
	s_cbranch_execz .LBB120_42
; %bb.41:                               ;   in Loop: Header=BB120_34 Depth=1
	flat_load_dwordx2 v[2:3], v[0:1] offset:1024
	s_waitcnt vmcnt(0) lgkmcnt(0)
	v_mul_f64 v[70:71], s[18:19], v[2:3]
.LBB120_42:                             ;   in Loop: Header=BB120_34 Depth=1
	s_or_b64 exec, exec, s[12:13]
	s_or_b64 vcc, s[10:11], vcc
	s_or_b64 s[12:13], s[28:29], vcc
	v_cndmask_b32_e32 v73, 0, v145, vcc
	s_xor_b64 s[42:43], s[12:13], -1
	v_cndmask_b32_e64 v72, 0, -1, vcc
	s_and_saveexec_b64 s[12:13], s[42:43]
	s_cbranch_execz .LBB120_44
; %bb.43:                               ;   in Loop: Header=BB120_34 Depth=1
	flat_load_dwordx2 v[0:1], v[0:1] offset:1536
	s_waitcnt vmcnt(0) lgkmcnt(0)
	v_mul_f64 v[72:73], s[18:19], v[0:1]
.LBB120_44:                             ;   in Loop: Header=BB120_34 Depth=1
	s_or_b64 exec, exec, s[12:13]
	s_mov_b32 s35, 0
	s_mov_b64 s[12:13], -1
.LBB120_45:                             ;   Parent Loop BB120_34 Depth=1
                                        ; =>  This Inner Loop Header: Depth=2
	v_cndmask_b32_e64 v0, 0, 1, s[12:13]
	s_lshl_b32 s12, s35, 3
	v_cmp_ne_u32_e32 vcc, 1, v0
	v_lshl_add_u32 v0, v126, 5, s12
	v_lshl_add_u32 v20, v127, 5, s12
	ds_read_b128 v[32:35], v0 offset:18432
	ds_read_b128 v[28:31], v0 offset:18688
	ds_read_b128 v[24:27], v0 offset:18944
	ds_read_b128 v[16:19], v0 offset:19200
	ds_read_b128 v[12:15], v0 offset:19456
	ds_read_b128 v[8:11], v0 offset:19712
	ds_read_b128 v[4:7], v0 offset:19968
	ds_read_b128 v[0:3], v0 offset:20224
	ds_read_b128 v[146:149], v20 offset:8192
	ds_read_b128 v[56:59], v20 offset:9216
	ds_read_b128 v[52:55], v20 offset:10240
	ds_read_b128 v[48:51], v20 offset:11264
	ds_read_b128 v[44:47], v20 offset:12288
	ds_read_b128 v[40:43], v20 offset:13312
	ds_read_b128 v[36:39], v20 offset:14336
	ds_read_b128 v[20:23], v20 offset:15360
	s_waitcnt lgkmcnt(7)
	v_add_f64 v[150:151], v[34:35], v[148:149]
	v_add_f64 v[152:153], v[32:33], v[146:147]
	v_cvt_f32_f64_e32 v152, v[152:153]
	v_cvt_f32_f64_e32 v150, v[150:151]
	v_min3_f32 v139, v152, v150, v139
	v_add_f64 v[150:151], v[30:31], v[148:149]
	v_add_f64 v[152:153], v[28:29], v[146:147]
	v_cvt_f32_f64_e32 v152, v[152:153]
	v_cvt_f32_f64_e32 v150, v[150:151]
	v_min3_f32 v138, v152, v150, v138
	v_add_f64 v[150:151], v[26:27], v[148:149]
	v_add_f64 v[152:153], v[24:25], v[146:147]
	v_cvt_f32_f64_e32 v152, v[152:153]
	v_cvt_f32_f64_e32 v150, v[150:151]
	v_min3_f32 v137, v152, v150, v137
	v_add_f64 v[150:151], v[18:19], v[148:149]
	v_add_f64 v[152:153], v[16:17], v[146:147]
	v_cvt_f32_f64_e32 v152, v[152:153]
	v_cvt_f32_f64_e32 v150, v[150:151]
	v_min3_f32 v136, v152, v150, v136
	v_add_f64 v[150:151], v[14:15], v[148:149]
	v_add_f64 v[152:153], v[12:13], v[146:147]
	v_cvt_f32_f64_e32 v152, v[152:153]
	v_cvt_f32_f64_e32 v150, v[150:151]
	v_min3_f32 v135, v152, v150, v135
	v_add_f64 v[150:151], v[10:11], v[148:149]
	v_add_f64 v[152:153], v[8:9], v[146:147]
	v_cvt_f32_f64_e32 v152, v[152:153]
	v_cvt_f32_f64_e32 v150, v[150:151]
	v_min3_f32 v134, v152, v150, v134
	v_add_f64 v[150:151], v[6:7], v[148:149]
	v_add_f64 v[152:153], v[4:5], v[146:147]
	v_add_f64 v[148:149], v[2:3], v[148:149]
	v_add_f64 v[146:147], v[0:1], v[146:147]
	v_cvt_f32_f64_e32 v146, v[146:147]
	v_cvt_f32_f64_e32 v147, v[148:149]
	v_min3_f32 v132, v146, v147, v132
	s_waitcnt lgkmcnt(6)
	v_add_f64 v[146:147], v[34:35], v[58:59]
	v_add_f64 v[148:149], v[32:33], v[56:57]
	v_cvt_f32_f64_e32 v148, v[148:149]
	v_cvt_f32_f64_e32 v146, v[146:147]
	v_min3_f32 v131, v148, v146, v131
	v_add_f64 v[146:147], v[30:31], v[58:59]
	v_add_f64 v[148:149], v[28:29], v[56:57]
	v_cvt_f32_f64_e32 v148, v[148:149]
	v_cvt_f32_f64_e32 v146, v[146:147]
	v_min3_f32 v130, v148, v146, v130
	v_add_f64 v[146:147], v[26:27], v[58:59]
	v_add_f64 v[148:149], v[24:25], v[56:57]
	v_cvt_f32_f64_e32 v148, v[148:149]
	v_cvt_f32_f64_e32 v146, v[146:147]
	v_min3_f32 v129, v148, v146, v129
	v_add_f64 v[146:147], v[18:19], v[58:59]
	v_add_f64 v[148:149], v[16:17], v[56:57]
	v_cvt_f32_f64_e32 v148, v[148:149]
	v_cvt_f32_f64_e32 v146, v[146:147]
	v_min3_f32 v128, v148, v146, v128
	v_add_f64 v[146:147], v[14:15], v[58:59]
	v_add_f64 v[148:149], v[12:13], v[56:57]
	v_cvt_f32_f64_e32 v148, v[148:149]
	v_cvt_f32_f64_e32 v146, v[146:147]
	v_min3_f32 v125, v148, v146, v125
	v_add_f64 v[146:147], v[10:11], v[58:59]
	v_add_f64 v[148:149], v[8:9], v[56:57]
	v_cvt_f32_f64_e32 v148, v[148:149]
	v_cvt_f32_f64_e32 v146, v[146:147]
	v_min3_f32 v124, v148, v146, v124
	v_add_f64 v[146:147], v[6:7], v[58:59]
	v_add_f64 v[148:149], v[4:5], v[56:57]
	v_add_f64 v[58:59], v[2:3], v[58:59]
	v_add_f64 v[56:57], v[0:1], v[56:57]
	v_cvt_f32_f64_e32 v56, v[56:57]
	v_cvt_f32_f64_e32 v57, v[58:59]
	v_min3_f32 v122, v56, v57, v122
	;; [unrolled: 38-line block ×6, first 2 shown]
	s_waitcnt lgkmcnt(1)
	v_add_f64 v[40:41], v[34:35], v[38:39]
	v_add_f64 v[42:43], v[32:33], v[36:37]
	v_cvt_f32_f64_e32 v42, v[42:43]
	v_cvt_f32_f64_e32 v40, v[40:41]
	v_min3_f32 v89, v42, v40, v89
	v_add_f64 v[40:41], v[30:31], v[38:39]
	v_add_f64 v[42:43], v[28:29], v[36:37]
	v_cvt_f32_f64_e32 v42, v[42:43]
	v_cvt_f32_f64_e32 v40, v[40:41]
	v_min3_f32 v88, v42, v40, v88
	;; [unrolled: 5-line block ×6, first 2 shown]
	v_add_f64 v[40:41], v[6:7], v[38:39]
	v_add_f64 v[42:43], v[4:5], v[36:37]
	;; [unrolled: 1-line block ×4, first 2 shown]
	s_waitcnt lgkmcnt(0)
	v_add_f64 v[34:35], v[34:35], v[22:23]
	v_add_f64 v[32:33], v[32:33], v[20:21]
	;; [unrolled: 1-line block ×16, first 2 shown]
	v_cvt_f32_f64_e32 v152, v[152:153]
	v_cvt_f32_f64_e32 v150, v[150:151]
	;; [unrolled: 1-line block ×32, first 2 shown]
	v_min3_f32 v133, v152, v150, v133
	v_min3_f32 v123, v148, v146, v123
	v_min3_f32 v115, v58, v56, v115
	v_min3_f32 v107, v54, v52, v107
	v_min3_f32 v99, v50, v48, v99
	v_min3_f32 v91, v46, v44, v91
	v_min3_f32 v83, v42, v40, v83
	v_min3_f32 v82, v36, v37, v82
	v_min3_f32 v81, v32, v33, v81
	v_min3_f32 v80, v28, v29, v80
	v_min3_f32 v79, v24, v25, v79
	v_min3_f32 v78, v16, v17, v78
	v_min3_f32 v77, v12, v13, v77
	v_min3_f32 v76, v8, v9, v76
	v_min3_f32 v75, v4, v5, v75
	v_min3_f32 v74, v0, v1, v74
	s_mov_b32 s35, 2
	s_mov_b64 s[12:13], 0
	s_cbranch_vccz .LBB120_45
; %bb.46:                               ;   in Loop: Header=BB120_34 Depth=1
	v_add3_u32 v0, v140, s36, 4
	v_cmp_le_i32_e32 vcc, s22, v0
	s_or_b64 s[12:13], s[2:3], vcc
	s_or_b64 s[42:43], s[28:29], s[12:13]
	ds_write_b64 v142, v[64:65]
	ds_write2st64_b64 v141, v[66:67], v[68:69] offset1:4
	ds_write2st64_b64 v141, v[70:71], v[72:73] offset0:8 offset1:12
	v_cndmask_b32_e64 v65, 0, v145, s[12:13]
	s_xor_b64 s[42:43], s[42:43], -1
	v_cndmask_b32_e64 v64, 0, -1, s[12:13]
	s_waitcnt lgkmcnt(0)
	s_barrier
	s_and_saveexec_b64 s[12:13], s[42:43]
	s_cbranch_execz .LBB120_48
; %bb.47:                               ;   in Loop: Header=BB120_34 Depth=1
	v_mad_u64_u32 v[2:3], s[42:43], v0, s38, 0
	v_mov_b32_e32 v4, v3
	v_mad_u64_u32 v[4:5], s[42:43], v0, s39, v[4:5]
	v_mov_b32_e32 v3, v4
	v_lshl_add_u64 v[2:3], v[2:3], 3, v[62:63]
	flat_load_dwordx2 v[2:3], v[2:3]
	s_waitcnt vmcnt(0) lgkmcnt(0)
	v_mul_f64 v[64:65], s[18:19], v[2:3]
.LBB120_48:                             ;   in Loop: Header=BB120_34 Depth=1
	s_or_b64 exec, exec, s[12:13]
	v_min_i32_e32 v0, s40, v0
	v_mad_i64_i32 v[0:1], s[12:13], v0, s41, 0
	s_or_b64 s[12:13], s[4:5], vcc
	v_lshl_add_u64 v[0:1], v[0:1], 3, s[30:31]
	s_or_b64 s[42:43], s[28:29], s[12:13]
	v_cndmask_b32_e64 v67, 0, v145, s[12:13]
	s_xor_b64 s[42:43], s[42:43], -1
	v_cndmask_b32_e64 v66, 0, -1, s[12:13]
	v_lshl_add_u64 v[0:1], v[60:61], 3, v[0:1]
	s_and_saveexec_b64 s[12:13], s[42:43]
	s_cbranch_execz .LBB120_50
; %bb.49:                               ;   in Loop: Header=BB120_34 Depth=1
	flat_load_dwordx2 v[2:3], v[0:1]
	s_waitcnt vmcnt(0) lgkmcnt(0)
	v_mul_f64 v[66:67], s[18:19], v[2:3]
.LBB120_50:                             ;   in Loop: Header=BB120_34 Depth=1
	s_or_b64 exec, exec, s[12:13]
	s_or_b64 s[12:13], s[6:7], vcc
	s_or_b64 s[42:43], s[28:29], s[12:13]
	v_cndmask_b32_e64 v69, 0, v145, s[12:13]
	s_xor_b64 s[42:43], s[42:43], -1
	v_cndmask_b32_e64 v68, 0, -1, s[12:13]
	s_and_saveexec_b64 s[12:13], s[42:43]
	s_cbranch_execz .LBB120_52
; %bb.51:                               ;   in Loop: Header=BB120_34 Depth=1
	flat_load_dwordx2 v[2:3], v[0:1] offset:512
	s_waitcnt vmcnt(0) lgkmcnt(0)
	v_mul_f64 v[68:69], s[18:19], v[2:3]
.LBB120_52:                             ;   in Loop: Header=BB120_34 Depth=1
	s_or_b64 exec, exec, s[12:13]
	s_or_b64 s[12:13], s[8:9], vcc
	s_or_b64 s[42:43], s[28:29], s[12:13]
	v_cndmask_b32_e64 v71, 0, v145, s[12:13]
	s_xor_b64 s[42:43], s[42:43], -1
	v_cndmask_b32_e64 v70, 0, -1, s[12:13]
	s_and_saveexec_b64 s[12:13], s[42:43]
	s_cbranch_execz .LBB120_54
; %bb.53:                               ;   in Loop: Header=BB120_34 Depth=1
	flat_load_dwordx2 v[2:3], v[0:1] offset:1024
	s_waitcnt vmcnt(0) lgkmcnt(0)
	v_mul_f64 v[70:71], s[18:19], v[2:3]
.LBB120_54:                             ;   in Loop: Header=BB120_34 Depth=1
	s_or_b64 exec, exec, s[12:13]
	s_or_b64 vcc, s[10:11], vcc
	s_or_b64 s[12:13], s[28:29], vcc
	v_cndmask_b32_e32 v73, 0, v145, vcc
	s_xor_b64 s[42:43], s[12:13], -1
	v_cndmask_b32_e64 v72, 0, -1, vcc
	s_and_saveexec_b64 s[12:13], s[42:43]
	s_cbranch_execz .LBB120_56
; %bb.55:                               ;   in Loop: Header=BB120_34 Depth=1
	flat_load_dwordx2 v[0:1], v[0:1] offset:1536
	s_waitcnt vmcnt(0) lgkmcnt(0)
	v_mul_f64 v[72:73], s[18:19], v[0:1]
.LBB120_56:                             ;   in Loop: Header=BB120_34 Depth=1
	s_or_b64 exec, exec, s[12:13]
	s_mov_b32 s35, 0
	s_mov_b64 s[12:13], -1
.LBB120_57:                             ;   Parent Loop BB120_34 Depth=1
                                        ; =>  This Inner Loop Header: Depth=2
	v_cndmask_b32_e64 v0, 0, 1, s[12:13]
	s_lshl_b32 s12, s35, 3
	v_cmp_ne_u32_e32 vcc, 1, v0
	v_lshl_add_u32 v0, v126, 5, s12
	v_lshl_add_u32 v20, v127, 5, s12
	ds_read_b128 v[32:35], v0 offset:16384
	ds_read_b128 v[28:31], v0 offset:16640
	;; [unrolled: 1-line block ×8, first 2 shown]
	ds_read_b128 v[146:149], v20
	ds_read_b128 v[56:59], v20 offset:1024
	ds_read_b128 v[52:55], v20 offset:2048
	;; [unrolled: 1-line block ×7, first 2 shown]
	s_waitcnt lgkmcnt(7)
	v_add_f64 v[150:151], v[34:35], v[148:149]
	v_add_f64 v[152:153], v[32:33], v[146:147]
	v_cvt_f32_f64_e32 v152, v[152:153]
	v_cvt_f32_f64_e32 v150, v[150:151]
	v_min3_f32 v139, v152, v150, v139
	v_add_f64 v[150:151], v[30:31], v[148:149]
	v_add_f64 v[152:153], v[28:29], v[146:147]
	v_cvt_f32_f64_e32 v152, v[152:153]
	v_cvt_f32_f64_e32 v150, v[150:151]
	v_min3_f32 v138, v152, v150, v138
	v_add_f64 v[150:151], v[26:27], v[148:149]
	v_add_f64 v[152:153], v[24:25], v[146:147]
	v_cvt_f32_f64_e32 v152, v[152:153]
	v_cvt_f32_f64_e32 v150, v[150:151]
	v_min3_f32 v137, v152, v150, v137
	v_add_f64 v[150:151], v[18:19], v[148:149]
	v_add_f64 v[152:153], v[16:17], v[146:147]
	v_cvt_f32_f64_e32 v152, v[152:153]
	v_cvt_f32_f64_e32 v150, v[150:151]
	v_min3_f32 v136, v152, v150, v136
	v_add_f64 v[150:151], v[14:15], v[148:149]
	v_add_f64 v[152:153], v[12:13], v[146:147]
	v_cvt_f32_f64_e32 v152, v[152:153]
	v_cvt_f32_f64_e32 v150, v[150:151]
	v_min3_f32 v135, v152, v150, v135
	v_add_f64 v[150:151], v[10:11], v[148:149]
	v_add_f64 v[152:153], v[8:9], v[146:147]
	v_cvt_f32_f64_e32 v152, v[152:153]
	v_cvt_f32_f64_e32 v150, v[150:151]
	v_min3_f32 v134, v152, v150, v134
	v_add_f64 v[150:151], v[6:7], v[148:149]
	v_add_f64 v[152:153], v[4:5], v[146:147]
	v_add_f64 v[148:149], v[2:3], v[148:149]
	v_add_f64 v[146:147], v[0:1], v[146:147]
	v_cvt_f32_f64_e32 v146, v[146:147]
	v_cvt_f32_f64_e32 v147, v[148:149]
	v_min3_f32 v132, v146, v147, v132
	s_waitcnt lgkmcnt(6)
	v_add_f64 v[146:147], v[34:35], v[58:59]
	v_add_f64 v[148:149], v[32:33], v[56:57]
	v_cvt_f32_f64_e32 v148, v[148:149]
	v_cvt_f32_f64_e32 v146, v[146:147]
	v_min3_f32 v131, v148, v146, v131
	v_add_f64 v[146:147], v[30:31], v[58:59]
	v_add_f64 v[148:149], v[28:29], v[56:57]
	v_cvt_f32_f64_e32 v148, v[148:149]
	v_cvt_f32_f64_e32 v146, v[146:147]
	v_min3_f32 v130, v148, v146, v130
	v_add_f64 v[146:147], v[26:27], v[58:59]
	v_add_f64 v[148:149], v[24:25], v[56:57]
	v_cvt_f32_f64_e32 v148, v[148:149]
	v_cvt_f32_f64_e32 v146, v[146:147]
	v_min3_f32 v129, v148, v146, v129
	v_add_f64 v[146:147], v[18:19], v[58:59]
	v_add_f64 v[148:149], v[16:17], v[56:57]
	v_cvt_f32_f64_e32 v148, v[148:149]
	v_cvt_f32_f64_e32 v146, v[146:147]
	v_min3_f32 v128, v148, v146, v128
	v_add_f64 v[146:147], v[14:15], v[58:59]
	v_add_f64 v[148:149], v[12:13], v[56:57]
	v_cvt_f32_f64_e32 v148, v[148:149]
	v_cvt_f32_f64_e32 v146, v[146:147]
	v_min3_f32 v125, v148, v146, v125
	v_add_f64 v[146:147], v[10:11], v[58:59]
	v_add_f64 v[148:149], v[8:9], v[56:57]
	v_cvt_f32_f64_e32 v148, v[148:149]
	v_cvt_f32_f64_e32 v146, v[146:147]
	v_min3_f32 v124, v148, v146, v124
	v_add_f64 v[146:147], v[6:7], v[58:59]
	v_add_f64 v[148:149], v[4:5], v[56:57]
	v_add_f64 v[58:59], v[2:3], v[58:59]
	v_add_f64 v[56:57], v[0:1], v[56:57]
	v_cvt_f32_f64_e32 v56, v[56:57]
	v_cvt_f32_f64_e32 v57, v[58:59]
	v_min3_f32 v122, v56, v57, v122
	;; [unrolled: 38-line block ×6, first 2 shown]
	s_waitcnt lgkmcnt(1)
	v_add_f64 v[40:41], v[34:35], v[38:39]
	v_add_f64 v[42:43], v[32:33], v[36:37]
	v_cvt_f32_f64_e32 v42, v[42:43]
	v_cvt_f32_f64_e32 v40, v[40:41]
	v_min3_f32 v89, v42, v40, v89
	v_add_f64 v[40:41], v[30:31], v[38:39]
	v_add_f64 v[42:43], v[28:29], v[36:37]
	v_cvt_f32_f64_e32 v42, v[42:43]
	v_cvt_f32_f64_e32 v40, v[40:41]
	v_min3_f32 v88, v42, v40, v88
	;; [unrolled: 5-line block ×6, first 2 shown]
	v_add_f64 v[40:41], v[6:7], v[38:39]
	v_add_f64 v[42:43], v[4:5], v[36:37]
	;; [unrolled: 1-line block ×4, first 2 shown]
	s_waitcnt lgkmcnt(0)
	v_add_f64 v[34:35], v[34:35], v[22:23]
	v_add_f64 v[32:33], v[32:33], v[20:21]
	;; [unrolled: 1-line block ×16, first 2 shown]
	v_cvt_f32_f64_e32 v152, v[152:153]
	v_cvt_f32_f64_e32 v150, v[150:151]
	;; [unrolled: 1-line block ×32, first 2 shown]
	v_min3_f32 v133, v152, v150, v133
	v_min3_f32 v123, v148, v146, v123
	;; [unrolled: 1-line block ×16, first 2 shown]
	s_mov_b32 s35, 2
	s_mov_b64 s[12:13], 0
	s_cbranch_vccz .LBB120_57
; %bb.58:                               ;   in Loop: Header=BB120_34 Depth=1
	s_add_i32 s36, s36, 8
	s_add_i32 s34, s34, 8
	s_cmp_ge_i32 s34, s37
	ds_write_b64 v143, v[64:65]
	ds_write2st64_b64 v144, v[66:67], v[68:69] offset1:4
	ds_write2st64_b64 v144, v[70:71], v[72:73] offset0:8 offset1:12
	s_waitcnt lgkmcnt(0)
	s_barrier
	s_cbranch_scc0 .LBB120_34
.LBB120_59:
	s_mov_b32 s4, 0
	s_mov_b64 s[2:3], -1
.LBB120_60:                             ; =>This Inner Loop Header: Depth=1
	v_cndmask_b32_e64 v0, 0, 1, s[2:3]
	s_lshl_b32 s2, s4, 3
	v_cmp_ne_u32_e32 vcc, 1, v0
	v_lshl_add_u32 v0, v126, 5, s2
	v_lshl_add_u32 v20, v127, 5, s2
	ds_read_b128 v[32:35], v0 offset:18432
	ds_read_b128 v[28:31], v0 offset:18688
	;; [unrolled: 1-line block ×16, first 2 shown]
	s_waitcnt lgkmcnt(7)
	v_add_f64 v[64:65], v[34:35], v[62:63]
	v_add_f64 v[66:67], v[32:33], v[60:61]
	v_cvt_f32_f64_e32 v66, v[66:67]
	v_cvt_f32_f64_e32 v64, v[64:65]
	v_min3_f32 v139, v66, v64, v139
	v_add_f64 v[64:65], v[30:31], v[62:63]
	v_add_f64 v[66:67], v[28:29], v[60:61]
	v_cvt_f32_f64_e32 v66, v[66:67]
	v_cvt_f32_f64_e32 v64, v[64:65]
	v_min3_f32 v138, v66, v64, v138
	v_add_f64 v[64:65], v[26:27], v[62:63]
	v_add_f64 v[66:67], v[24:25], v[60:61]
	v_cvt_f32_f64_e32 v66, v[66:67]
	v_cvt_f32_f64_e32 v64, v[64:65]
	v_min3_f32 v137, v66, v64, v137
	v_add_f64 v[64:65], v[18:19], v[62:63]
	v_add_f64 v[66:67], v[16:17], v[60:61]
	v_cvt_f32_f64_e32 v66, v[66:67]
	v_cvt_f32_f64_e32 v64, v[64:65]
	v_min3_f32 v136, v66, v64, v136
	v_add_f64 v[64:65], v[14:15], v[62:63]
	v_add_f64 v[66:67], v[12:13], v[60:61]
	v_cvt_f32_f64_e32 v66, v[66:67]
	v_cvt_f32_f64_e32 v64, v[64:65]
	v_min3_f32 v135, v66, v64, v135
	v_add_f64 v[64:65], v[10:11], v[62:63]
	v_add_f64 v[66:67], v[8:9], v[60:61]
	v_cvt_f32_f64_e32 v66, v[66:67]
	v_cvt_f32_f64_e32 v64, v[64:65]
	v_min3_f32 v134, v66, v64, v134
	v_add_f64 v[64:65], v[6:7], v[62:63]
	v_add_f64 v[66:67], v[4:5], v[60:61]
	v_add_f64 v[62:63], v[2:3], v[62:63]
	v_add_f64 v[60:61], v[0:1], v[60:61]
	v_cvt_f32_f64_e32 v60, v[60:61]
	v_cvt_f32_f64_e32 v61, v[62:63]
	v_min3_f32 v132, v60, v61, v132
	s_waitcnt lgkmcnt(6)
	v_add_f64 v[60:61], v[34:35], v[58:59]
	v_add_f64 v[62:63], v[32:33], v[56:57]
	v_cvt_f32_f64_e32 v62, v[62:63]
	v_cvt_f32_f64_e32 v60, v[60:61]
	v_min3_f32 v131, v62, v60, v131
	v_add_f64 v[60:61], v[30:31], v[58:59]
	v_add_f64 v[62:63], v[28:29], v[56:57]
	v_cvt_f32_f64_e32 v62, v[62:63]
	v_cvt_f32_f64_e32 v60, v[60:61]
	v_min3_f32 v130, v62, v60, v130
	v_add_f64 v[60:61], v[26:27], v[58:59]
	v_add_f64 v[62:63], v[24:25], v[56:57]
	v_cvt_f32_f64_e32 v62, v[62:63]
	v_cvt_f32_f64_e32 v60, v[60:61]
	v_min3_f32 v129, v62, v60, v129
	v_add_f64 v[60:61], v[18:19], v[58:59]
	v_add_f64 v[62:63], v[16:17], v[56:57]
	v_cvt_f32_f64_e32 v62, v[62:63]
	v_cvt_f32_f64_e32 v60, v[60:61]
	v_min3_f32 v128, v62, v60, v128
	v_add_f64 v[60:61], v[14:15], v[58:59]
	v_add_f64 v[62:63], v[12:13], v[56:57]
	v_cvt_f32_f64_e32 v62, v[62:63]
	v_cvt_f32_f64_e32 v60, v[60:61]
	v_min3_f32 v125, v62, v60, v125
	v_add_f64 v[60:61], v[10:11], v[58:59]
	v_add_f64 v[62:63], v[8:9], v[56:57]
	v_cvt_f32_f64_e32 v62, v[62:63]
	v_cvt_f32_f64_e32 v60, v[60:61]
	v_min3_f32 v124, v62, v60, v124
	v_add_f64 v[60:61], v[6:7], v[58:59]
	v_add_f64 v[62:63], v[4:5], v[56:57]
	v_add_f64 v[58:59], v[2:3], v[58:59]
	v_add_f64 v[56:57], v[0:1], v[56:57]
	v_cvt_f32_f64_e32 v56, v[56:57]
	v_cvt_f32_f64_e32 v57, v[58:59]
	v_min3_f32 v122, v56, v57, v122
	;; [unrolled: 38-line block ×6, first 2 shown]
	s_waitcnt lgkmcnt(1)
	v_add_f64 v[40:41], v[34:35], v[38:39]
	v_add_f64 v[42:43], v[32:33], v[36:37]
	v_cvt_f32_f64_e32 v42, v[42:43]
	v_cvt_f32_f64_e32 v40, v[40:41]
	v_min3_f32 v89, v42, v40, v89
	v_add_f64 v[40:41], v[30:31], v[38:39]
	v_add_f64 v[42:43], v[28:29], v[36:37]
	v_cvt_f32_f64_e32 v42, v[42:43]
	v_cvt_f32_f64_e32 v40, v[40:41]
	v_min3_f32 v88, v42, v40, v88
	v_add_f64 v[40:41], v[26:27], v[38:39]
	v_add_f64 v[42:43], v[24:25], v[36:37]
	v_cvt_f32_f64_e32 v42, v[42:43]
	v_cvt_f32_f64_e32 v40, v[40:41]
	v_min3_f32 v87, v42, v40, v87
	v_add_f64 v[40:41], v[18:19], v[38:39]
	v_add_f64 v[42:43], v[16:17], v[36:37]
	v_cvt_f32_f64_e32 v42, v[42:43]
	v_cvt_f32_f64_e32 v40, v[40:41]
	v_min3_f32 v86, v42, v40, v86
	v_add_f64 v[40:41], v[14:15], v[38:39]
	v_add_f64 v[42:43], v[12:13], v[36:37]
	v_cvt_f32_f64_e32 v42, v[42:43]
	v_cvt_f32_f64_e32 v40, v[40:41]
	v_min3_f32 v85, v42, v40, v85
	v_add_f64 v[40:41], v[10:11], v[38:39]
	v_add_f64 v[42:43], v[8:9], v[36:37]
	v_cvt_f32_f64_e32 v42, v[42:43]
	v_cvt_f32_f64_e32 v40, v[40:41]
	v_min3_f32 v84, v42, v40, v84
	v_add_f64 v[40:41], v[6:7], v[38:39]
	v_add_f64 v[42:43], v[4:5], v[36:37]
	;; [unrolled: 1-line block ×4, first 2 shown]
	s_waitcnt lgkmcnt(0)
	v_add_f64 v[34:35], v[34:35], v[22:23]
	v_add_f64 v[32:33], v[32:33], v[20:21]
	;; [unrolled: 1-line block ×16, first 2 shown]
	v_cvt_f32_f64_e32 v66, v[66:67]
	v_cvt_f32_f64_e32 v64, v[64:65]
	v_cvt_f32_f64_e32 v62, v[62:63]
	v_cvt_f32_f64_e32 v60, v[60:61]
	v_cvt_f32_f64_e32 v58, v[58:59]
	v_cvt_f32_f64_e32 v56, v[56:57]
	v_cvt_f32_f64_e32 v54, v[54:55]
	v_cvt_f32_f64_e32 v52, v[52:53]
	v_cvt_f32_f64_e32 v50, v[50:51]
	v_cvt_f32_f64_e32 v48, v[48:49]
	v_cvt_f32_f64_e32 v46, v[46:47]
	v_cvt_f32_f64_e32 v44, v[44:45]
	v_cvt_f32_f64_e32 v42, v[42:43]
	v_cvt_f32_f64_e32 v40, v[40:41]
	v_cvt_f32_f64_e32 v36, v[36:37]
	v_cvt_f32_f64_e32 v37, v[38:39]
	v_cvt_f32_f64_e32 v32, v[32:33]
	v_cvt_f32_f64_e32 v33, v[34:35]
	v_cvt_f32_f64_e32 v28, v[28:29]
	v_cvt_f32_f64_e32 v29, v[30:31]
	v_cvt_f32_f64_e32 v24, v[24:25]
	v_cvt_f32_f64_e32 v25, v[26:27]
	v_cvt_f32_f64_e32 v16, v[16:17]
	v_cvt_f32_f64_e32 v17, v[18:19]
	v_cvt_f32_f64_e32 v12, v[12:13]
	v_cvt_f32_f64_e32 v13, v[14:15]
	v_cvt_f32_f64_e32 v8, v[8:9]
	v_cvt_f32_f64_e32 v9, v[10:11]
	v_cvt_f32_f64_e32 v4, v[4:5]
	v_cvt_f32_f64_e32 v5, v[6:7]
	v_cvt_f32_f64_e32 v0, v[0:1]
	v_cvt_f32_f64_e32 v1, v[2:3]
	v_min3_f32 v133, v66, v64, v133
	v_min3_f32 v123, v62, v60, v123
	;; [unrolled: 1-line block ×16, first 2 shown]
	s_mov_b32 s4, 2
	s_mov_b64 s[2:3], 0
	s_cbranch_vccz .LBB120_60
; %bb.61:
	s_load_dwordx2 s[2:3], s[0:1], 0x78
	s_load_dword s31, s[0:1], 0x58
	s_load_dword s30, s[0:1], 0x70
	v_add_u32_e32 v22, s33, v127
	v_add_u32_e32 v0, s23, v126
	s_waitcnt lgkmcnt(0)
	s_lshl_b64 s[0:1], s[2:3], 3
	s_add_u32 s22, s16, s0
	s_addc_u32 s23, s17, s1
	v_mad_i64_i32 v[2:3], s[0:1], v22, s31, 0
	v_lshl_add_u64 v[18:19], v[2:3], 3, s[26:27]
	v_mad_i64_i32 v[2:3], s[0:1], v22, s30, 0
	v_cmp_gt_i32_e64 s[2:3], s20, v0
	v_cmp_gt_i32_e64 s[18:19], s21, v22
	v_lshl_add_u64 v[16:17], v[2:3], 3, s[22:23]
	v_cndmask_b32_e64 v2, 0, 1, s[14:15]
	v_ashrrev_i32_e32 v1, 31, v0
	s_and_b64 s[6:7], s[2:3], s[18:19]
	v_cmp_ne_u32_e64 s[0:1], 1, v2
	s_and_saveexec_b64 s[4:5], s[6:7]
	s_cbranch_execz .LBB120_66
; %bb.62:
	s_and_b64 vcc, exec, s[0:1]
	s_cbranch_vccnz .LBB120_64
; %bb.63:
	v_lshl_add_u64 v[2:3], v[0:1], 3, v[18:19]
	flat_load_dwordx2 v[2:3], v[2:3]
	s_waitcnt vmcnt(0) lgkmcnt(0)
	v_mul_f64 v[2:3], s[24:25], v[2:3]
	s_branch .LBB120_65
.LBB120_64:
	v_mov_b64_e32 v[2:3], 0
.LBB120_65:
	v_cvt_f32_f64_e32 v2, v[2:3]
	v_max_f32_e32 v3, v139, v139
	v_min_f32_e32 v2, v2, v3
	v_cvt_f64_f32_e32 v[2:3], v2
	v_lshl_add_u64 v[4:5], v[0:1], 3, v[16:17]
	global_store_dwordx2 v[4:5], v[2:3], off
.LBB120_66:
	s_or_b64 exec, exec, s[4:5]
	v_add_u32_e32 v2, 8, v0
	v_cmp_gt_i32_e64 s[4:5], s20, v2
	v_ashrrev_i32_e32 v3, 31, v2
	s_and_b64 s[8:9], s[4:5], s[18:19]
	s_and_saveexec_b64 s[6:7], s[8:9]
	s_cbranch_execz .LBB120_71
; %bb.67:
	s_and_b64 vcc, exec, s[0:1]
	s_cbranch_vccnz .LBB120_69
; %bb.68:
	v_lshl_add_u64 v[4:5], v[2:3], 3, v[18:19]
	flat_load_dwordx2 v[4:5], v[4:5]
	s_waitcnt vmcnt(0) lgkmcnt(0)
	v_mul_f64 v[4:5], s[24:25], v[4:5]
	s_branch .LBB120_70
.LBB120_69:
	v_mov_b64_e32 v[4:5], 0
.LBB120_70:
	v_cvt_f32_f64_e32 v4, v[4:5]
	v_max_f32_e32 v5, v138, v138
	v_min_f32_e32 v4, v4, v5
	v_cvt_f64_f32_e32 v[4:5], v4
	v_lshl_add_u64 v[6:7], v[2:3], 3, v[16:17]
	global_store_dwordx2 v[6:7], v[4:5], off
.LBB120_71:
	s_or_b64 exec, exec, s[6:7]
	v_add_u32_e32 v4, 16, v0
	v_cmp_gt_i32_e64 s[6:7], s20, v4
	v_ashrrev_i32_e32 v5, 31, v4
	s_and_b64 s[10:11], s[6:7], s[18:19]
	s_and_saveexec_b64 s[8:9], s[10:11]
	s_cbranch_execz .LBB120_76
; %bb.72:
	s_and_b64 vcc, exec, s[0:1]
	s_cbranch_vccnz .LBB120_74
; %bb.73:
	v_lshl_add_u64 v[6:7], v[4:5], 3, v[18:19]
	flat_load_dwordx2 v[6:7], v[6:7]
	s_waitcnt vmcnt(0) lgkmcnt(0)
	v_mul_f64 v[6:7], s[24:25], v[6:7]
	s_branch .LBB120_75
.LBB120_74:
	v_mov_b64_e32 v[6:7], 0
.LBB120_75:
	v_cvt_f32_f64_e32 v6, v[6:7]
	v_max_f32_e32 v7, v137, v137
	v_min_f32_e32 v6, v6, v7
	v_cvt_f64_f32_e32 v[6:7], v6
	v_lshl_add_u64 v[8:9], v[4:5], 3, v[16:17]
	global_store_dwordx2 v[8:9], v[6:7], off
.LBB120_76:
	s_or_b64 exec, exec, s[8:9]
	v_add_u32_e32 v6, 24, v0
	v_cmp_gt_i32_e64 s[8:9], s20, v6
	v_ashrrev_i32_e32 v7, 31, v6
	s_and_b64 s[12:13], s[8:9], s[18:19]
	s_and_saveexec_b64 s[10:11], s[12:13]
	s_cbranch_execz .LBB120_81
; %bb.77:
	s_and_b64 vcc, exec, s[0:1]
	s_cbranch_vccnz .LBB120_79
; %bb.78:
	v_lshl_add_u64 v[8:9], v[6:7], 3, v[18:19]
	flat_load_dwordx2 v[8:9], v[8:9]
	s_waitcnt vmcnt(0) lgkmcnt(0)
	v_mul_f64 v[8:9], s[24:25], v[8:9]
	s_branch .LBB120_80
.LBB120_79:
	v_mov_b64_e32 v[8:9], 0
.LBB120_80:
	v_cvt_f32_f64_e32 v8, v[8:9]
	v_max_f32_e32 v9, v136, v136
	v_min_f32_e32 v8, v8, v9
	v_cvt_f64_f32_e32 v[8:9], v8
	v_lshl_add_u64 v[10:11], v[6:7], 3, v[16:17]
	global_store_dwordx2 v[10:11], v[8:9], off
.LBB120_81:
	s_or_b64 exec, exec, s[10:11]
	v_add_u32_e32 v8, 32, v0
	v_cmp_gt_i32_e64 s[10:11], s20, v8
	v_ashrrev_i32_e32 v9, 31, v8
	s_and_b64 s[14:15], s[10:11], s[18:19]
	s_and_saveexec_b64 s[12:13], s[14:15]
	s_cbranch_execz .LBB120_86
; %bb.82:
	s_and_b64 vcc, exec, s[0:1]
	s_cbranch_vccnz .LBB120_84
; %bb.83:
	v_lshl_add_u64 v[10:11], v[8:9], 3, v[18:19]
	flat_load_dwordx2 v[10:11], v[10:11]
	s_waitcnt vmcnt(0) lgkmcnt(0)
	v_mul_f64 v[10:11], s[24:25], v[10:11]
	s_branch .LBB120_85
.LBB120_84:
	v_mov_b64_e32 v[10:11], 0
.LBB120_85:
	v_cvt_f32_f64_e32 v10, v[10:11]
	v_max_f32_e32 v11, v135, v135
	v_min_f32_e32 v10, v10, v11
	v_cvt_f64_f32_e32 v[10:11], v10
	v_lshl_add_u64 v[12:13], v[8:9], 3, v[16:17]
	global_store_dwordx2 v[12:13], v[10:11], off
.LBB120_86:
	s_or_b64 exec, exec, s[12:13]
	v_add_u32_e32 v10, 40, v0
	v_cmp_gt_i32_e64 s[12:13], s20, v10
	v_ashrrev_i32_e32 v11, 31, v10
	s_and_b64 s[16:17], s[12:13], s[18:19]
	s_and_saveexec_b64 s[14:15], s[16:17]
	s_cbranch_execz .LBB120_91
; %bb.87:
	s_and_b64 vcc, exec, s[0:1]
	s_cbranch_vccnz .LBB120_89
; %bb.88:
	v_lshl_add_u64 v[12:13], v[10:11], 3, v[18:19]
	flat_load_dwordx2 v[12:13], v[12:13]
	s_waitcnt vmcnt(0) lgkmcnt(0)
	v_mul_f64 v[12:13], s[24:25], v[12:13]
	s_branch .LBB120_90
.LBB120_89:
	v_mov_b64_e32 v[12:13], 0
.LBB120_90:
	v_cvt_f32_f64_e32 v12, v[12:13]
	v_max_f32_e32 v13, v134, v134
	v_min_f32_e32 v12, v12, v13
	v_cvt_f64_f32_e32 v[12:13], v12
	v_lshl_add_u64 v[14:15], v[10:11], 3, v[16:17]
	global_store_dwordx2 v[14:15], v[12:13], off
.LBB120_91:
	s_or_b64 exec, exec, s[14:15]
	v_add_u32_e32 v12, 48, v0
	v_cmp_gt_i32_e64 s[14:15], s20, v12
	v_ashrrev_i32_e32 v13, 31, v12
	s_and_b64 s[28:29], s[14:15], s[18:19]
	s_and_saveexec_b64 s[16:17], s[28:29]
	s_cbranch_execz .LBB120_96
; %bb.92:
	s_and_b64 vcc, exec, s[0:1]
	s_cbranch_vccnz .LBB120_94
; %bb.93:
	v_lshl_add_u64 v[14:15], v[12:13], 3, v[18:19]
	flat_load_dwordx2 v[14:15], v[14:15]
	s_waitcnt vmcnt(0) lgkmcnt(0)
	v_mul_f64 v[14:15], s[24:25], v[14:15]
	s_branch .LBB120_95
.LBB120_94:
	v_mov_b64_e32 v[14:15], 0
.LBB120_95:
	v_cvt_f32_f64_e32 v14, v[14:15]
	v_max_f32_e32 v15, v133, v133
	v_min_f32_e32 v14, v14, v15
	v_cvt_f64_f32_e32 v[14:15], v14
	v_lshl_add_u64 v[20:21], v[12:13], 3, v[16:17]
	global_store_dwordx2 v[20:21], v[14:15], off
.LBB120_96:
	s_or_b64 exec, exec, s[16:17]
	v_add_u32_e32 v14, 56, v0
	v_cmp_gt_i32_e64 s[16:17], s20, v14
	v_ashrrev_i32_e32 v15, 31, v14
	s_and_b64 s[28:29], s[16:17], s[18:19]
	s_and_saveexec_b64 s[18:19], s[28:29]
	s_cbranch_execz .LBB120_101
; %bb.97:
	s_and_b64 vcc, exec, s[0:1]
	s_cbranch_vccnz .LBB120_99
; %bb.98:
	v_lshl_add_u64 v[18:19], v[14:15], 3, v[18:19]
	flat_load_dwordx2 v[18:19], v[18:19]
	s_waitcnt vmcnt(0) lgkmcnt(0)
	v_mul_f64 v[18:19], s[24:25], v[18:19]
	s_branch .LBB120_100
.LBB120_99:
	v_mov_b64_e32 v[18:19], 0
.LBB120_100:
	v_cvt_f32_f64_e32 v18, v[18:19]
	v_max_f32_e32 v19, v132, v132
	v_min_f32_e32 v18, v18, v19
	v_cvt_f64_f32_e32 v[18:19], v18
	v_lshl_add_u64 v[16:17], v[14:15], 3, v[16:17]
	global_store_dwordx2 v[16:17], v[18:19], off
.LBB120_101:
	s_or_b64 exec, exec, s[18:19]
	v_add_u32_e32 v20, 32, v22
	v_mad_i64_i32 v[16:17], s[28:29], v20, s31, 0
	v_cmp_gt_i32_e64 s[18:19], s21, v20
	v_lshl_add_u64 v[18:19], v[16:17], 3, s[26:27]
	v_mad_i64_i32 v[16:17], s[28:29], v20, s30, 0
	v_lshl_add_u64 v[16:17], v[16:17], 3, s[22:23]
	s_and_b64 s[34:35], s[2:3], s[18:19]
	s_and_saveexec_b64 s[28:29], s[34:35]
	s_cbranch_execnz .LBB120_109
; %bb.102:
	s_or_b64 exec, exec, s[28:29]
	s_and_b64 s[34:35], s[4:5], s[18:19]
	s_and_saveexec_b64 s[28:29], s[34:35]
	s_cbranch_execnz .LBB120_113
.LBB120_103:
	s_or_b64 exec, exec, s[28:29]
	s_and_b64 s[34:35], s[6:7], s[18:19]
	s_and_saveexec_b64 s[28:29], s[34:35]
	s_cbranch_execnz .LBB120_117
.LBB120_104:
	s_or_b64 exec, exec, s[28:29]
	s_and_b64 s[34:35], s[8:9], s[18:19]
	s_and_saveexec_b64 s[28:29], s[34:35]
	s_cbranch_execnz .LBB120_121
.LBB120_105:
	s_or_b64 exec, exec, s[28:29]
	s_and_b64 s[34:35], s[10:11], s[18:19]
	s_and_saveexec_b64 s[28:29], s[34:35]
	s_cbranch_execnz .LBB120_125
.LBB120_106:
	s_or_b64 exec, exec, s[28:29]
	s_and_b64 s[34:35], s[12:13], s[18:19]
	s_and_saveexec_b64 s[28:29], s[34:35]
	s_cbranch_execnz .LBB120_129
.LBB120_107:
	s_or_b64 exec, exec, s[28:29]
	s_and_b64 s[34:35], s[14:15], s[18:19]
	s_and_saveexec_b64 s[28:29], s[34:35]
	s_cbranch_execnz .LBB120_133
.LBB120_108:
	s_or_b64 exec, exec, s[28:29]
	s_and_b64 s[28:29], s[16:17], s[18:19]
	s_and_saveexec_b64 s[18:19], s[28:29]
	s_cbranch_execnz .LBB120_137
	s_branch .LBB120_141
.LBB120_109:
	s_and_b64 vcc, exec, s[0:1]
	s_cbranch_vccnz .LBB120_111
; %bb.110:
	v_lshl_add_u64 v[20:21], v[0:1], 3, v[18:19]
	flat_load_dwordx2 v[20:21], v[20:21]
	s_waitcnt vmcnt(0) lgkmcnt(0)
	v_mul_f64 v[20:21], s[24:25], v[20:21]
	s_branch .LBB120_112
.LBB120_111:
	v_mov_b64_e32 v[20:21], 0
.LBB120_112:
	v_cvt_f32_f64_e32 v20, v[20:21]
	v_max_f32_e32 v21, v131, v131
	v_min_f32_e32 v20, v20, v21
	v_cvt_f64_f32_e32 v[20:21], v20
	v_lshl_add_u64 v[24:25], v[0:1], 3, v[16:17]
	global_store_dwordx2 v[24:25], v[20:21], off
	s_or_b64 exec, exec, s[28:29]
	s_and_b64 s[34:35], s[4:5], s[18:19]
	s_and_saveexec_b64 s[28:29], s[34:35]
	s_cbranch_execz .LBB120_103
.LBB120_113:
	s_and_b64 vcc, exec, s[0:1]
	s_cbranch_vccnz .LBB120_115
; %bb.114:
	v_lshl_add_u64 v[20:21], v[2:3], 3, v[18:19]
	flat_load_dwordx2 v[20:21], v[20:21]
	s_waitcnt vmcnt(0) lgkmcnt(0)
	v_mul_f64 v[20:21], s[24:25], v[20:21]
	s_branch .LBB120_116
.LBB120_115:
	v_mov_b64_e32 v[20:21], 0
.LBB120_116:
	v_cvt_f32_f64_e32 v20, v[20:21]
	v_max_f32_e32 v21, v130, v130
	v_min_f32_e32 v20, v20, v21
	v_cvt_f64_f32_e32 v[20:21], v20
	v_lshl_add_u64 v[24:25], v[2:3], 3, v[16:17]
	global_store_dwordx2 v[24:25], v[20:21], off
	s_or_b64 exec, exec, s[28:29]
	s_and_b64 s[34:35], s[6:7], s[18:19]
	s_and_saveexec_b64 s[28:29], s[34:35]
	s_cbranch_execz .LBB120_104
.LBB120_117:
	s_and_b64 vcc, exec, s[0:1]
	s_cbranch_vccnz .LBB120_119
; %bb.118:
	v_lshl_add_u64 v[20:21], v[4:5], 3, v[18:19]
	flat_load_dwordx2 v[20:21], v[20:21]
	s_waitcnt vmcnt(0) lgkmcnt(0)
	v_mul_f64 v[20:21], s[24:25], v[20:21]
	s_branch .LBB120_120
.LBB120_119:
	v_mov_b64_e32 v[20:21], 0
.LBB120_120:
	v_cvt_f32_f64_e32 v20, v[20:21]
	v_max_f32_e32 v21, v129, v129
	v_min_f32_e32 v20, v20, v21
	v_cvt_f64_f32_e32 v[20:21], v20
	v_lshl_add_u64 v[24:25], v[4:5], 3, v[16:17]
	global_store_dwordx2 v[24:25], v[20:21], off
	s_or_b64 exec, exec, s[28:29]
	s_and_b64 s[34:35], s[8:9], s[18:19]
	s_and_saveexec_b64 s[28:29], s[34:35]
	s_cbranch_execz .LBB120_105
.LBB120_121:
	s_and_b64 vcc, exec, s[0:1]
	s_cbranch_vccnz .LBB120_123
; %bb.122:
	v_lshl_add_u64 v[20:21], v[6:7], 3, v[18:19]
	flat_load_dwordx2 v[20:21], v[20:21]
	s_waitcnt vmcnt(0) lgkmcnt(0)
	v_mul_f64 v[20:21], s[24:25], v[20:21]
	s_branch .LBB120_124
.LBB120_123:
	v_mov_b64_e32 v[20:21], 0
.LBB120_124:
	v_cvt_f32_f64_e32 v20, v[20:21]
	v_max_f32_e32 v21, v128, v128
	v_min_f32_e32 v20, v20, v21
	v_cvt_f64_f32_e32 v[20:21], v20
	v_lshl_add_u64 v[24:25], v[6:7], 3, v[16:17]
	global_store_dwordx2 v[24:25], v[20:21], off
	s_or_b64 exec, exec, s[28:29]
	s_and_b64 s[34:35], s[10:11], s[18:19]
	s_and_saveexec_b64 s[28:29], s[34:35]
	s_cbranch_execz .LBB120_106
.LBB120_125:
	s_and_b64 vcc, exec, s[0:1]
	s_cbranch_vccnz .LBB120_127
; %bb.126:
	v_lshl_add_u64 v[20:21], v[8:9], 3, v[18:19]
	flat_load_dwordx2 v[20:21], v[20:21]
	s_waitcnt vmcnt(0) lgkmcnt(0)
	v_mul_f64 v[20:21], s[24:25], v[20:21]
	s_branch .LBB120_128
.LBB120_127:
	v_mov_b64_e32 v[20:21], 0
.LBB120_128:
	v_cvt_f32_f64_e32 v20, v[20:21]
	v_max_f32_e32 v21, v125, v125
	v_min_f32_e32 v20, v20, v21
	v_cvt_f64_f32_e32 v[20:21], v20
	v_lshl_add_u64 v[24:25], v[8:9], 3, v[16:17]
	global_store_dwordx2 v[24:25], v[20:21], off
	s_or_b64 exec, exec, s[28:29]
	s_and_b64 s[34:35], s[12:13], s[18:19]
	s_and_saveexec_b64 s[28:29], s[34:35]
	s_cbranch_execz .LBB120_107
.LBB120_129:
	s_and_b64 vcc, exec, s[0:1]
	s_cbranch_vccnz .LBB120_131
; %bb.130:
	v_lshl_add_u64 v[20:21], v[10:11], 3, v[18:19]
	flat_load_dwordx2 v[20:21], v[20:21]
	s_waitcnt vmcnt(0) lgkmcnt(0)
	v_mul_f64 v[20:21], s[24:25], v[20:21]
	s_branch .LBB120_132
.LBB120_131:
	v_mov_b64_e32 v[20:21], 0
.LBB120_132:
	v_cvt_f32_f64_e32 v20, v[20:21]
	v_max_f32_e32 v21, v124, v124
	v_min_f32_e32 v20, v20, v21
	v_cvt_f64_f32_e32 v[20:21], v20
	v_lshl_add_u64 v[24:25], v[10:11], 3, v[16:17]
	global_store_dwordx2 v[24:25], v[20:21], off
	s_or_b64 exec, exec, s[28:29]
	s_and_b64 s[34:35], s[14:15], s[18:19]
	s_and_saveexec_b64 s[28:29], s[34:35]
	s_cbranch_execz .LBB120_108
.LBB120_133:
	s_and_b64 vcc, exec, s[0:1]
	s_cbranch_vccnz .LBB120_135
; %bb.134:
	v_lshl_add_u64 v[20:21], v[12:13], 3, v[18:19]
	flat_load_dwordx2 v[20:21], v[20:21]
	s_waitcnt vmcnt(0) lgkmcnt(0)
	v_mul_f64 v[20:21], s[24:25], v[20:21]
	s_branch .LBB120_136
.LBB120_135:
	v_mov_b64_e32 v[20:21], 0
.LBB120_136:
	v_cvt_f32_f64_e32 v20, v[20:21]
	v_max_f32_e32 v21, v123, v123
	v_min_f32_e32 v20, v20, v21
	v_cvt_f64_f32_e32 v[20:21], v20
	v_lshl_add_u64 v[24:25], v[12:13], 3, v[16:17]
	global_store_dwordx2 v[24:25], v[20:21], off
	s_or_b64 exec, exec, s[28:29]
	s_and_b64 s[28:29], s[16:17], s[18:19]
	s_and_saveexec_b64 s[18:19], s[28:29]
	s_cbranch_execz .LBB120_141
.LBB120_137:
	s_and_b64 vcc, exec, s[0:1]
	s_cbranch_vccnz .LBB120_139
; %bb.138:
	v_lshl_add_u64 v[18:19], v[14:15], 3, v[18:19]
	flat_load_dwordx2 v[18:19], v[18:19]
	s_waitcnt vmcnt(0) lgkmcnt(0)
	v_mul_f64 v[18:19], s[24:25], v[18:19]
	s_branch .LBB120_140
.LBB120_139:
	v_mov_b64_e32 v[18:19], 0
.LBB120_140:
	v_cvt_f32_f64_e32 v18, v[18:19]
	v_max_f32_e32 v19, v122, v122
	v_min_f32_e32 v18, v18, v19
	v_cvt_f64_f32_e32 v[18:19], v18
	v_lshl_add_u64 v[16:17], v[14:15], 3, v[16:17]
	global_store_dwordx2 v[16:17], v[18:19], off
.LBB120_141:
	s_or_b64 exec, exec, s[18:19]
	v_add_u32_e32 v20, 64, v22
	v_mad_i64_i32 v[16:17], s[28:29], v20, s31, 0
	v_cmp_gt_i32_e64 s[18:19], s21, v20
	v_lshl_add_u64 v[18:19], v[16:17], 3, s[26:27]
	v_mad_i64_i32 v[16:17], s[28:29], v20, s30, 0
	v_lshl_add_u64 v[16:17], v[16:17], 3, s[22:23]
	s_and_b64 s[34:35], s[2:3], s[18:19]
	s_and_saveexec_b64 s[28:29], s[34:35]
	s_cbranch_execnz .LBB120_149
; %bb.142:
	s_or_b64 exec, exec, s[28:29]
	s_and_b64 s[34:35], s[4:5], s[18:19]
	s_and_saveexec_b64 s[28:29], s[34:35]
	s_cbranch_execnz .LBB120_153
.LBB120_143:
	s_or_b64 exec, exec, s[28:29]
	s_and_b64 s[34:35], s[6:7], s[18:19]
	s_and_saveexec_b64 s[28:29], s[34:35]
	s_cbranch_execnz .LBB120_157
.LBB120_144:
	s_or_b64 exec, exec, s[28:29]
	s_and_b64 s[34:35], s[8:9], s[18:19]
	s_and_saveexec_b64 s[28:29], s[34:35]
	s_cbranch_execnz .LBB120_161
.LBB120_145:
	s_or_b64 exec, exec, s[28:29]
	s_and_b64 s[34:35], s[10:11], s[18:19]
	s_and_saveexec_b64 s[28:29], s[34:35]
	s_cbranch_execnz .LBB120_165
.LBB120_146:
	s_or_b64 exec, exec, s[28:29]
	s_and_b64 s[34:35], s[12:13], s[18:19]
	s_and_saveexec_b64 s[28:29], s[34:35]
	s_cbranch_execnz .LBB120_169
.LBB120_147:
	s_or_b64 exec, exec, s[28:29]
	s_and_b64 s[34:35], s[14:15], s[18:19]
	s_and_saveexec_b64 s[28:29], s[34:35]
	s_cbranch_execnz .LBB120_173
.LBB120_148:
	s_or_b64 exec, exec, s[28:29]
	s_and_b64 s[28:29], s[16:17], s[18:19]
	s_and_saveexec_b64 s[18:19], s[28:29]
	s_cbranch_execnz .LBB120_177
	s_branch .LBB120_181
.LBB120_149:
	s_and_b64 vcc, exec, s[0:1]
	s_cbranch_vccnz .LBB120_151
; %bb.150:
	v_lshl_add_u64 v[20:21], v[0:1], 3, v[18:19]
	flat_load_dwordx2 v[20:21], v[20:21]
	s_waitcnt vmcnt(0) lgkmcnt(0)
	v_mul_f64 v[20:21], s[24:25], v[20:21]
	s_branch .LBB120_152
.LBB120_151:
	v_mov_b64_e32 v[20:21], 0
.LBB120_152:
	v_cvt_f32_f64_e32 v20, v[20:21]
	v_max_f32_e32 v21, v121, v121
	v_min_f32_e32 v20, v20, v21
	v_cvt_f64_f32_e32 v[20:21], v20
	v_lshl_add_u64 v[24:25], v[0:1], 3, v[16:17]
	global_store_dwordx2 v[24:25], v[20:21], off
	s_or_b64 exec, exec, s[28:29]
	s_and_b64 s[34:35], s[4:5], s[18:19]
	s_and_saveexec_b64 s[28:29], s[34:35]
	s_cbranch_execz .LBB120_143
.LBB120_153:
	s_and_b64 vcc, exec, s[0:1]
	s_cbranch_vccnz .LBB120_155
; %bb.154:
	v_lshl_add_u64 v[20:21], v[2:3], 3, v[18:19]
	flat_load_dwordx2 v[20:21], v[20:21]
	s_waitcnt vmcnt(0) lgkmcnt(0)
	v_mul_f64 v[20:21], s[24:25], v[20:21]
	s_branch .LBB120_156
.LBB120_155:
	v_mov_b64_e32 v[20:21], 0
.LBB120_156:
	v_cvt_f32_f64_e32 v20, v[20:21]
	v_max_f32_e32 v21, v120, v120
	v_min_f32_e32 v20, v20, v21
	v_cvt_f64_f32_e32 v[20:21], v20
	v_lshl_add_u64 v[24:25], v[2:3], 3, v[16:17]
	global_store_dwordx2 v[24:25], v[20:21], off
	s_or_b64 exec, exec, s[28:29]
	s_and_b64 s[34:35], s[6:7], s[18:19]
	s_and_saveexec_b64 s[28:29], s[34:35]
	s_cbranch_execz .LBB120_144
.LBB120_157:
	s_and_b64 vcc, exec, s[0:1]
	s_cbranch_vccnz .LBB120_159
; %bb.158:
	v_lshl_add_u64 v[20:21], v[4:5], 3, v[18:19]
	flat_load_dwordx2 v[20:21], v[20:21]
	s_waitcnt vmcnt(0) lgkmcnt(0)
	v_mul_f64 v[20:21], s[24:25], v[20:21]
	s_branch .LBB120_160
.LBB120_159:
	v_mov_b64_e32 v[20:21], 0
.LBB120_160:
	v_cvt_f32_f64_e32 v20, v[20:21]
	v_max_f32_e32 v21, v119, v119
	v_min_f32_e32 v20, v20, v21
	v_cvt_f64_f32_e32 v[20:21], v20
	v_lshl_add_u64 v[24:25], v[4:5], 3, v[16:17]
	global_store_dwordx2 v[24:25], v[20:21], off
	s_or_b64 exec, exec, s[28:29]
	s_and_b64 s[34:35], s[8:9], s[18:19]
	s_and_saveexec_b64 s[28:29], s[34:35]
	s_cbranch_execz .LBB120_145
.LBB120_161:
	s_and_b64 vcc, exec, s[0:1]
	s_cbranch_vccnz .LBB120_163
; %bb.162:
	v_lshl_add_u64 v[20:21], v[6:7], 3, v[18:19]
	flat_load_dwordx2 v[20:21], v[20:21]
	s_waitcnt vmcnt(0) lgkmcnt(0)
	v_mul_f64 v[20:21], s[24:25], v[20:21]
	s_branch .LBB120_164
.LBB120_163:
	v_mov_b64_e32 v[20:21], 0
.LBB120_164:
	v_cvt_f32_f64_e32 v20, v[20:21]
	v_max_f32_e32 v21, v118, v118
	v_min_f32_e32 v20, v20, v21
	v_cvt_f64_f32_e32 v[20:21], v20
	v_lshl_add_u64 v[24:25], v[6:7], 3, v[16:17]
	global_store_dwordx2 v[24:25], v[20:21], off
	s_or_b64 exec, exec, s[28:29]
	s_and_b64 s[34:35], s[10:11], s[18:19]
	s_and_saveexec_b64 s[28:29], s[34:35]
	s_cbranch_execz .LBB120_146
.LBB120_165:
	s_and_b64 vcc, exec, s[0:1]
	s_cbranch_vccnz .LBB120_167
; %bb.166:
	v_lshl_add_u64 v[20:21], v[8:9], 3, v[18:19]
	flat_load_dwordx2 v[20:21], v[20:21]
	s_waitcnt vmcnt(0) lgkmcnt(0)
	v_mul_f64 v[20:21], s[24:25], v[20:21]
	s_branch .LBB120_168
.LBB120_167:
	v_mov_b64_e32 v[20:21], 0
.LBB120_168:
	v_cvt_f32_f64_e32 v20, v[20:21]
	v_max_f32_e32 v21, v117, v117
	v_min_f32_e32 v20, v20, v21
	v_cvt_f64_f32_e32 v[20:21], v20
	v_lshl_add_u64 v[24:25], v[8:9], 3, v[16:17]
	global_store_dwordx2 v[24:25], v[20:21], off
	s_or_b64 exec, exec, s[28:29]
	s_and_b64 s[34:35], s[12:13], s[18:19]
	s_and_saveexec_b64 s[28:29], s[34:35]
	s_cbranch_execz .LBB120_147
.LBB120_169:
	s_and_b64 vcc, exec, s[0:1]
	s_cbranch_vccnz .LBB120_171
; %bb.170:
	v_lshl_add_u64 v[20:21], v[10:11], 3, v[18:19]
	flat_load_dwordx2 v[20:21], v[20:21]
	s_waitcnt vmcnt(0) lgkmcnt(0)
	v_mul_f64 v[20:21], s[24:25], v[20:21]
	s_branch .LBB120_172
.LBB120_171:
	v_mov_b64_e32 v[20:21], 0
.LBB120_172:
	v_cvt_f32_f64_e32 v20, v[20:21]
	v_max_f32_e32 v21, v116, v116
	v_min_f32_e32 v20, v20, v21
	v_cvt_f64_f32_e32 v[20:21], v20
	v_lshl_add_u64 v[24:25], v[10:11], 3, v[16:17]
	global_store_dwordx2 v[24:25], v[20:21], off
	s_or_b64 exec, exec, s[28:29]
	s_and_b64 s[34:35], s[14:15], s[18:19]
	s_and_saveexec_b64 s[28:29], s[34:35]
	s_cbranch_execz .LBB120_148
.LBB120_173:
	s_and_b64 vcc, exec, s[0:1]
	s_cbranch_vccnz .LBB120_175
; %bb.174:
	v_lshl_add_u64 v[20:21], v[12:13], 3, v[18:19]
	flat_load_dwordx2 v[20:21], v[20:21]
	s_waitcnt vmcnt(0) lgkmcnt(0)
	v_mul_f64 v[20:21], s[24:25], v[20:21]
	s_branch .LBB120_176
.LBB120_175:
	v_mov_b64_e32 v[20:21], 0
.LBB120_176:
	v_cvt_f32_f64_e32 v20, v[20:21]
	v_max_f32_e32 v21, v115, v115
	v_min_f32_e32 v20, v20, v21
	v_cvt_f64_f32_e32 v[20:21], v20
	v_lshl_add_u64 v[24:25], v[12:13], 3, v[16:17]
	global_store_dwordx2 v[24:25], v[20:21], off
	s_or_b64 exec, exec, s[28:29]
	s_and_b64 s[28:29], s[16:17], s[18:19]
	s_and_saveexec_b64 s[18:19], s[28:29]
	s_cbranch_execz .LBB120_181
.LBB120_177:
	s_and_b64 vcc, exec, s[0:1]
	s_cbranch_vccnz .LBB120_179
; %bb.178:
	v_lshl_add_u64 v[18:19], v[14:15], 3, v[18:19]
	flat_load_dwordx2 v[18:19], v[18:19]
	s_waitcnt vmcnt(0) lgkmcnt(0)
	v_mul_f64 v[18:19], s[24:25], v[18:19]
	s_branch .LBB120_180
.LBB120_179:
	v_mov_b64_e32 v[18:19], 0
.LBB120_180:
	v_cvt_f32_f64_e32 v18, v[18:19]
	v_max_f32_e32 v19, v114, v114
	v_min_f32_e32 v18, v18, v19
	v_cvt_f64_f32_e32 v[18:19], v18
	v_lshl_add_u64 v[16:17], v[14:15], 3, v[16:17]
	global_store_dwordx2 v[16:17], v[18:19], off
.LBB120_181:
	s_or_b64 exec, exec, s[18:19]
	v_add_u32_e32 v20, 0x60, v22
	v_mad_i64_i32 v[16:17], s[28:29], v20, s31, 0
	v_cmp_gt_i32_e64 s[18:19], s21, v20
	v_lshl_add_u64 v[18:19], v[16:17], 3, s[26:27]
	v_mad_i64_i32 v[16:17], s[28:29], v20, s30, 0
	v_lshl_add_u64 v[16:17], v[16:17], 3, s[22:23]
	s_and_b64 s[34:35], s[2:3], s[18:19]
	s_and_saveexec_b64 s[28:29], s[34:35]
	s_cbranch_execnz .LBB120_189
; %bb.182:
	s_or_b64 exec, exec, s[28:29]
	s_and_b64 s[34:35], s[4:5], s[18:19]
	s_and_saveexec_b64 s[28:29], s[34:35]
	s_cbranch_execnz .LBB120_193
.LBB120_183:
	s_or_b64 exec, exec, s[28:29]
	s_and_b64 s[34:35], s[6:7], s[18:19]
	s_and_saveexec_b64 s[28:29], s[34:35]
	s_cbranch_execnz .LBB120_197
.LBB120_184:
	s_or_b64 exec, exec, s[28:29]
	s_and_b64 s[34:35], s[8:9], s[18:19]
	s_and_saveexec_b64 s[28:29], s[34:35]
	s_cbranch_execnz .LBB120_201
.LBB120_185:
	s_or_b64 exec, exec, s[28:29]
	s_and_b64 s[34:35], s[10:11], s[18:19]
	s_and_saveexec_b64 s[28:29], s[34:35]
	s_cbranch_execnz .LBB120_205
.LBB120_186:
	s_or_b64 exec, exec, s[28:29]
	s_and_b64 s[34:35], s[12:13], s[18:19]
	s_and_saveexec_b64 s[28:29], s[34:35]
	s_cbranch_execnz .LBB120_209
.LBB120_187:
	s_or_b64 exec, exec, s[28:29]
	s_and_b64 s[34:35], s[14:15], s[18:19]
	s_and_saveexec_b64 s[28:29], s[34:35]
	s_cbranch_execnz .LBB120_213
.LBB120_188:
	s_or_b64 exec, exec, s[28:29]
	s_and_b64 s[28:29], s[16:17], s[18:19]
	s_and_saveexec_b64 s[18:19], s[28:29]
	s_cbranch_execnz .LBB120_217
	s_branch .LBB120_221
.LBB120_189:
	s_and_b64 vcc, exec, s[0:1]
	s_cbranch_vccnz .LBB120_191
; %bb.190:
	v_lshl_add_u64 v[20:21], v[0:1], 3, v[18:19]
	flat_load_dwordx2 v[20:21], v[20:21]
	s_waitcnt vmcnt(0) lgkmcnt(0)
	v_mul_f64 v[20:21], s[24:25], v[20:21]
	s_branch .LBB120_192
.LBB120_191:
	v_mov_b64_e32 v[20:21], 0
.LBB120_192:
	v_cvt_f32_f64_e32 v20, v[20:21]
	v_max_f32_e32 v21, v113, v113
	v_min_f32_e32 v20, v20, v21
	v_cvt_f64_f32_e32 v[20:21], v20
	v_lshl_add_u64 v[24:25], v[0:1], 3, v[16:17]
	global_store_dwordx2 v[24:25], v[20:21], off
	s_or_b64 exec, exec, s[28:29]
	s_and_b64 s[34:35], s[4:5], s[18:19]
	s_and_saveexec_b64 s[28:29], s[34:35]
	s_cbranch_execz .LBB120_183
.LBB120_193:
	s_and_b64 vcc, exec, s[0:1]
	s_cbranch_vccnz .LBB120_195
; %bb.194:
	v_lshl_add_u64 v[20:21], v[2:3], 3, v[18:19]
	flat_load_dwordx2 v[20:21], v[20:21]
	s_waitcnt vmcnt(0) lgkmcnt(0)
	v_mul_f64 v[20:21], s[24:25], v[20:21]
	s_branch .LBB120_196
.LBB120_195:
	v_mov_b64_e32 v[20:21], 0
.LBB120_196:
	v_cvt_f32_f64_e32 v20, v[20:21]
	v_max_f32_e32 v21, v112, v112
	v_min_f32_e32 v20, v20, v21
	v_cvt_f64_f32_e32 v[20:21], v20
	v_lshl_add_u64 v[24:25], v[2:3], 3, v[16:17]
	global_store_dwordx2 v[24:25], v[20:21], off
	s_or_b64 exec, exec, s[28:29]
	s_and_b64 s[34:35], s[6:7], s[18:19]
	s_and_saveexec_b64 s[28:29], s[34:35]
	s_cbranch_execz .LBB120_184
.LBB120_197:
	s_and_b64 vcc, exec, s[0:1]
	s_cbranch_vccnz .LBB120_199
; %bb.198:
	v_lshl_add_u64 v[20:21], v[4:5], 3, v[18:19]
	flat_load_dwordx2 v[20:21], v[20:21]
	s_waitcnt vmcnt(0) lgkmcnt(0)
	v_mul_f64 v[20:21], s[24:25], v[20:21]
	s_branch .LBB120_200
.LBB120_199:
	v_mov_b64_e32 v[20:21], 0
.LBB120_200:
	v_cvt_f32_f64_e32 v20, v[20:21]
	v_max_f32_e32 v21, v111, v111
	v_min_f32_e32 v20, v20, v21
	v_cvt_f64_f32_e32 v[20:21], v20
	v_lshl_add_u64 v[24:25], v[4:5], 3, v[16:17]
	global_store_dwordx2 v[24:25], v[20:21], off
	s_or_b64 exec, exec, s[28:29]
	s_and_b64 s[34:35], s[8:9], s[18:19]
	s_and_saveexec_b64 s[28:29], s[34:35]
	s_cbranch_execz .LBB120_185
.LBB120_201:
	s_and_b64 vcc, exec, s[0:1]
	s_cbranch_vccnz .LBB120_203
; %bb.202:
	v_lshl_add_u64 v[20:21], v[6:7], 3, v[18:19]
	flat_load_dwordx2 v[20:21], v[20:21]
	s_waitcnt vmcnt(0) lgkmcnt(0)
	v_mul_f64 v[20:21], s[24:25], v[20:21]
	s_branch .LBB120_204
.LBB120_203:
	v_mov_b64_e32 v[20:21], 0
.LBB120_204:
	v_cvt_f32_f64_e32 v20, v[20:21]
	v_max_f32_e32 v21, v110, v110
	v_min_f32_e32 v20, v20, v21
	v_cvt_f64_f32_e32 v[20:21], v20
	v_lshl_add_u64 v[24:25], v[6:7], 3, v[16:17]
	global_store_dwordx2 v[24:25], v[20:21], off
	s_or_b64 exec, exec, s[28:29]
	s_and_b64 s[34:35], s[10:11], s[18:19]
	s_and_saveexec_b64 s[28:29], s[34:35]
	s_cbranch_execz .LBB120_186
.LBB120_205:
	s_and_b64 vcc, exec, s[0:1]
	s_cbranch_vccnz .LBB120_207
; %bb.206:
	v_lshl_add_u64 v[20:21], v[8:9], 3, v[18:19]
	flat_load_dwordx2 v[20:21], v[20:21]
	s_waitcnt vmcnt(0) lgkmcnt(0)
	v_mul_f64 v[20:21], s[24:25], v[20:21]
	s_branch .LBB120_208
.LBB120_207:
	v_mov_b64_e32 v[20:21], 0
.LBB120_208:
	v_cvt_f32_f64_e32 v20, v[20:21]
	v_max_f32_e32 v21, v109, v109
	v_min_f32_e32 v20, v20, v21
	v_cvt_f64_f32_e32 v[20:21], v20
	v_lshl_add_u64 v[24:25], v[8:9], 3, v[16:17]
	global_store_dwordx2 v[24:25], v[20:21], off
	s_or_b64 exec, exec, s[28:29]
	s_and_b64 s[34:35], s[12:13], s[18:19]
	s_and_saveexec_b64 s[28:29], s[34:35]
	s_cbranch_execz .LBB120_187
.LBB120_209:
	s_and_b64 vcc, exec, s[0:1]
	s_cbranch_vccnz .LBB120_211
; %bb.210:
	v_lshl_add_u64 v[20:21], v[10:11], 3, v[18:19]
	flat_load_dwordx2 v[20:21], v[20:21]
	s_waitcnt vmcnt(0) lgkmcnt(0)
	v_mul_f64 v[20:21], s[24:25], v[20:21]
	s_branch .LBB120_212
.LBB120_211:
	v_mov_b64_e32 v[20:21], 0
.LBB120_212:
	v_cvt_f32_f64_e32 v20, v[20:21]
	v_max_f32_e32 v21, v108, v108
	v_min_f32_e32 v20, v20, v21
	v_cvt_f64_f32_e32 v[20:21], v20
	v_lshl_add_u64 v[24:25], v[10:11], 3, v[16:17]
	global_store_dwordx2 v[24:25], v[20:21], off
	s_or_b64 exec, exec, s[28:29]
	s_and_b64 s[34:35], s[14:15], s[18:19]
	s_and_saveexec_b64 s[28:29], s[34:35]
	s_cbranch_execz .LBB120_188
.LBB120_213:
	s_and_b64 vcc, exec, s[0:1]
	s_cbranch_vccnz .LBB120_215
; %bb.214:
	v_lshl_add_u64 v[20:21], v[12:13], 3, v[18:19]
	flat_load_dwordx2 v[20:21], v[20:21]
	s_waitcnt vmcnt(0) lgkmcnt(0)
	v_mul_f64 v[20:21], s[24:25], v[20:21]
	s_branch .LBB120_216
.LBB120_215:
	v_mov_b64_e32 v[20:21], 0
.LBB120_216:
	v_cvt_f32_f64_e32 v20, v[20:21]
	v_max_f32_e32 v21, v107, v107
	v_min_f32_e32 v20, v20, v21
	v_cvt_f64_f32_e32 v[20:21], v20
	v_lshl_add_u64 v[24:25], v[12:13], 3, v[16:17]
	global_store_dwordx2 v[24:25], v[20:21], off
	s_or_b64 exec, exec, s[28:29]
	s_and_b64 s[28:29], s[16:17], s[18:19]
	s_and_saveexec_b64 s[18:19], s[28:29]
	s_cbranch_execz .LBB120_221
.LBB120_217:
	s_and_b64 vcc, exec, s[0:1]
	s_cbranch_vccnz .LBB120_219
; %bb.218:
	v_lshl_add_u64 v[18:19], v[14:15], 3, v[18:19]
	flat_load_dwordx2 v[18:19], v[18:19]
	s_waitcnt vmcnt(0) lgkmcnt(0)
	v_mul_f64 v[18:19], s[24:25], v[18:19]
	s_branch .LBB120_220
.LBB120_219:
	v_mov_b64_e32 v[18:19], 0
.LBB120_220:
	v_cvt_f32_f64_e32 v18, v[18:19]
	v_max_f32_e32 v19, v106, v106
	v_min_f32_e32 v18, v18, v19
	v_cvt_f64_f32_e32 v[18:19], v18
	v_lshl_add_u64 v[16:17], v[14:15], 3, v[16:17]
	global_store_dwordx2 v[16:17], v[18:19], off
.LBB120_221:
	s_or_b64 exec, exec, s[18:19]
	v_add_u32_e32 v20, 0x80, v22
	v_mad_i64_i32 v[16:17], s[28:29], v20, s31, 0
	v_cmp_gt_i32_e64 s[18:19], s21, v20
	v_lshl_add_u64 v[18:19], v[16:17], 3, s[26:27]
	v_mad_i64_i32 v[16:17], s[28:29], v20, s30, 0
	v_lshl_add_u64 v[16:17], v[16:17], 3, s[22:23]
	s_and_b64 s[34:35], s[2:3], s[18:19]
	s_and_saveexec_b64 s[28:29], s[34:35]
	s_cbranch_execnz .LBB120_229
; %bb.222:
	s_or_b64 exec, exec, s[28:29]
	s_and_b64 s[34:35], s[4:5], s[18:19]
	s_and_saveexec_b64 s[28:29], s[34:35]
	s_cbranch_execnz .LBB120_233
.LBB120_223:
	s_or_b64 exec, exec, s[28:29]
	s_and_b64 s[34:35], s[6:7], s[18:19]
	s_and_saveexec_b64 s[28:29], s[34:35]
	s_cbranch_execnz .LBB120_237
.LBB120_224:
	s_or_b64 exec, exec, s[28:29]
	s_and_b64 s[34:35], s[8:9], s[18:19]
	s_and_saveexec_b64 s[28:29], s[34:35]
	s_cbranch_execnz .LBB120_241
.LBB120_225:
	s_or_b64 exec, exec, s[28:29]
	s_and_b64 s[34:35], s[10:11], s[18:19]
	s_and_saveexec_b64 s[28:29], s[34:35]
	s_cbranch_execnz .LBB120_245
.LBB120_226:
	s_or_b64 exec, exec, s[28:29]
	s_and_b64 s[34:35], s[12:13], s[18:19]
	s_and_saveexec_b64 s[28:29], s[34:35]
	s_cbranch_execnz .LBB120_249
.LBB120_227:
	s_or_b64 exec, exec, s[28:29]
	s_and_b64 s[34:35], s[14:15], s[18:19]
	s_and_saveexec_b64 s[28:29], s[34:35]
	s_cbranch_execnz .LBB120_253
.LBB120_228:
	s_or_b64 exec, exec, s[28:29]
	s_and_b64 s[28:29], s[16:17], s[18:19]
	s_and_saveexec_b64 s[18:19], s[28:29]
	s_cbranch_execnz .LBB120_257
	s_branch .LBB120_261
.LBB120_229:
	s_and_b64 vcc, exec, s[0:1]
	s_cbranch_vccnz .LBB120_231
; %bb.230:
	v_lshl_add_u64 v[20:21], v[0:1], 3, v[18:19]
	flat_load_dwordx2 v[20:21], v[20:21]
	s_waitcnt vmcnt(0) lgkmcnt(0)
	v_mul_f64 v[20:21], s[24:25], v[20:21]
	s_branch .LBB120_232
.LBB120_231:
	v_mov_b64_e32 v[20:21], 0
.LBB120_232:
	v_cvt_f32_f64_e32 v20, v[20:21]
	v_max_f32_e32 v21, v105, v105
	v_min_f32_e32 v20, v20, v21
	v_cvt_f64_f32_e32 v[20:21], v20
	v_lshl_add_u64 v[24:25], v[0:1], 3, v[16:17]
	global_store_dwordx2 v[24:25], v[20:21], off
	s_or_b64 exec, exec, s[28:29]
	s_and_b64 s[34:35], s[4:5], s[18:19]
	s_and_saveexec_b64 s[28:29], s[34:35]
	s_cbranch_execz .LBB120_223
.LBB120_233:
	s_and_b64 vcc, exec, s[0:1]
	s_cbranch_vccnz .LBB120_235
; %bb.234:
	v_lshl_add_u64 v[20:21], v[2:3], 3, v[18:19]
	flat_load_dwordx2 v[20:21], v[20:21]
	s_waitcnt vmcnt(0) lgkmcnt(0)
	v_mul_f64 v[20:21], s[24:25], v[20:21]
	s_branch .LBB120_236
.LBB120_235:
	v_mov_b64_e32 v[20:21], 0
.LBB120_236:
	v_cvt_f32_f64_e32 v20, v[20:21]
	v_max_f32_e32 v21, v104, v104
	v_min_f32_e32 v20, v20, v21
	v_cvt_f64_f32_e32 v[20:21], v20
	v_lshl_add_u64 v[24:25], v[2:3], 3, v[16:17]
	global_store_dwordx2 v[24:25], v[20:21], off
	s_or_b64 exec, exec, s[28:29]
	s_and_b64 s[34:35], s[6:7], s[18:19]
	s_and_saveexec_b64 s[28:29], s[34:35]
	s_cbranch_execz .LBB120_224
.LBB120_237:
	s_and_b64 vcc, exec, s[0:1]
	s_cbranch_vccnz .LBB120_239
; %bb.238:
	v_lshl_add_u64 v[20:21], v[4:5], 3, v[18:19]
	flat_load_dwordx2 v[20:21], v[20:21]
	s_waitcnt vmcnt(0) lgkmcnt(0)
	v_mul_f64 v[20:21], s[24:25], v[20:21]
	s_branch .LBB120_240
.LBB120_239:
	v_mov_b64_e32 v[20:21], 0
.LBB120_240:
	v_cvt_f32_f64_e32 v20, v[20:21]
	v_max_f32_e32 v21, v103, v103
	v_min_f32_e32 v20, v20, v21
	v_cvt_f64_f32_e32 v[20:21], v20
	v_lshl_add_u64 v[24:25], v[4:5], 3, v[16:17]
	global_store_dwordx2 v[24:25], v[20:21], off
	s_or_b64 exec, exec, s[28:29]
	s_and_b64 s[34:35], s[8:9], s[18:19]
	s_and_saveexec_b64 s[28:29], s[34:35]
	s_cbranch_execz .LBB120_225
.LBB120_241:
	s_and_b64 vcc, exec, s[0:1]
	s_cbranch_vccnz .LBB120_243
; %bb.242:
	v_lshl_add_u64 v[20:21], v[6:7], 3, v[18:19]
	flat_load_dwordx2 v[20:21], v[20:21]
	s_waitcnt vmcnt(0) lgkmcnt(0)
	v_mul_f64 v[20:21], s[24:25], v[20:21]
	s_branch .LBB120_244
.LBB120_243:
	v_mov_b64_e32 v[20:21], 0
.LBB120_244:
	v_cvt_f32_f64_e32 v20, v[20:21]
	v_max_f32_e32 v21, v102, v102
	v_min_f32_e32 v20, v20, v21
	v_cvt_f64_f32_e32 v[20:21], v20
	v_lshl_add_u64 v[24:25], v[6:7], 3, v[16:17]
	global_store_dwordx2 v[24:25], v[20:21], off
	s_or_b64 exec, exec, s[28:29]
	s_and_b64 s[34:35], s[10:11], s[18:19]
	s_and_saveexec_b64 s[28:29], s[34:35]
	s_cbranch_execz .LBB120_226
.LBB120_245:
	s_and_b64 vcc, exec, s[0:1]
	s_cbranch_vccnz .LBB120_247
; %bb.246:
	v_lshl_add_u64 v[20:21], v[8:9], 3, v[18:19]
	flat_load_dwordx2 v[20:21], v[20:21]
	s_waitcnt vmcnt(0) lgkmcnt(0)
	v_mul_f64 v[20:21], s[24:25], v[20:21]
	s_branch .LBB120_248
.LBB120_247:
	v_mov_b64_e32 v[20:21], 0
.LBB120_248:
	v_cvt_f32_f64_e32 v20, v[20:21]
	v_max_f32_e32 v21, v101, v101
	v_min_f32_e32 v20, v20, v21
	v_cvt_f64_f32_e32 v[20:21], v20
	v_lshl_add_u64 v[24:25], v[8:9], 3, v[16:17]
	global_store_dwordx2 v[24:25], v[20:21], off
	s_or_b64 exec, exec, s[28:29]
	s_and_b64 s[34:35], s[12:13], s[18:19]
	s_and_saveexec_b64 s[28:29], s[34:35]
	s_cbranch_execz .LBB120_227
.LBB120_249:
	s_and_b64 vcc, exec, s[0:1]
	s_cbranch_vccnz .LBB120_251
; %bb.250:
	v_lshl_add_u64 v[20:21], v[10:11], 3, v[18:19]
	flat_load_dwordx2 v[20:21], v[20:21]
	s_waitcnt vmcnt(0) lgkmcnt(0)
	v_mul_f64 v[20:21], s[24:25], v[20:21]
	s_branch .LBB120_252
.LBB120_251:
	v_mov_b64_e32 v[20:21], 0
.LBB120_252:
	v_cvt_f32_f64_e32 v20, v[20:21]
	v_max_f32_e32 v21, v100, v100
	v_min_f32_e32 v20, v20, v21
	v_cvt_f64_f32_e32 v[20:21], v20
	v_lshl_add_u64 v[24:25], v[10:11], 3, v[16:17]
	global_store_dwordx2 v[24:25], v[20:21], off
	s_or_b64 exec, exec, s[28:29]
	s_and_b64 s[34:35], s[14:15], s[18:19]
	s_and_saveexec_b64 s[28:29], s[34:35]
	s_cbranch_execz .LBB120_228
.LBB120_253:
	s_and_b64 vcc, exec, s[0:1]
	s_cbranch_vccnz .LBB120_255
; %bb.254:
	v_lshl_add_u64 v[20:21], v[12:13], 3, v[18:19]
	flat_load_dwordx2 v[20:21], v[20:21]
	s_waitcnt vmcnt(0) lgkmcnt(0)
	v_mul_f64 v[20:21], s[24:25], v[20:21]
	s_branch .LBB120_256
.LBB120_255:
	v_mov_b64_e32 v[20:21], 0
.LBB120_256:
	v_cvt_f32_f64_e32 v20, v[20:21]
	v_max_f32_e32 v21, v99, v99
	v_min_f32_e32 v20, v20, v21
	v_cvt_f64_f32_e32 v[20:21], v20
	v_lshl_add_u64 v[24:25], v[12:13], 3, v[16:17]
	global_store_dwordx2 v[24:25], v[20:21], off
	s_or_b64 exec, exec, s[28:29]
	s_and_b64 s[28:29], s[16:17], s[18:19]
	s_and_saveexec_b64 s[18:19], s[28:29]
	s_cbranch_execz .LBB120_261
.LBB120_257:
	s_and_b64 vcc, exec, s[0:1]
	s_cbranch_vccnz .LBB120_259
; %bb.258:
	v_lshl_add_u64 v[18:19], v[14:15], 3, v[18:19]
	flat_load_dwordx2 v[18:19], v[18:19]
	s_waitcnt vmcnt(0) lgkmcnt(0)
	v_mul_f64 v[18:19], s[24:25], v[18:19]
	s_branch .LBB120_260
.LBB120_259:
	v_mov_b64_e32 v[18:19], 0
.LBB120_260:
	v_cvt_f32_f64_e32 v18, v[18:19]
	v_max_f32_e32 v19, v98, v98
	v_min_f32_e32 v18, v18, v19
	v_cvt_f64_f32_e32 v[18:19], v18
	v_lshl_add_u64 v[16:17], v[14:15], 3, v[16:17]
	global_store_dwordx2 v[16:17], v[18:19], off
.LBB120_261:
	s_or_b64 exec, exec, s[18:19]
	v_add_u32_e32 v20, 0xa0, v22
	v_mad_i64_i32 v[16:17], s[28:29], v20, s31, 0
	v_cmp_gt_i32_e64 s[18:19], s21, v20
	v_lshl_add_u64 v[18:19], v[16:17], 3, s[26:27]
	v_mad_i64_i32 v[16:17], s[28:29], v20, s30, 0
	v_lshl_add_u64 v[16:17], v[16:17], 3, s[22:23]
	s_and_b64 s[34:35], s[2:3], s[18:19]
	s_and_saveexec_b64 s[28:29], s[34:35]
	s_cbranch_execnz .LBB120_269
; %bb.262:
	s_or_b64 exec, exec, s[28:29]
	s_and_b64 s[34:35], s[4:5], s[18:19]
	s_and_saveexec_b64 s[28:29], s[34:35]
	s_cbranch_execnz .LBB120_273
.LBB120_263:
	s_or_b64 exec, exec, s[28:29]
	s_and_b64 s[34:35], s[6:7], s[18:19]
	s_and_saveexec_b64 s[28:29], s[34:35]
	s_cbranch_execnz .LBB120_277
.LBB120_264:
	s_or_b64 exec, exec, s[28:29]
	s_and_b64 s[34:35], s[8:9], s[18:19]
	s_and_saveexec_b64 s[28:29], s[34:35]
	s_cbranch_execnz .LBB120_281
.LBB120_265:
	s_or_b64 exec, exec, s[28:29]
	s_and_b64 s[34:35], s[10:11], s[18:19]
	s_and_saveexec_b64 s[28:29], s[34:35]
	s_cbranch_execnz .LBB120_285
.LBB120_266:
	s_or_b64 exec, exec, s[28:29]
	s_and_b64 s[34:35], s[12:13], s[18:19]
	s_and_saveexec_b64 s[28:29], s[34:35]
	s_cbranch_execnz .LBB120_289
.LBB120_267:
	s_or_b64 exec, exec, s[28:29]
	s_and_b64 s[34:35], s[14:15], s[18:19]
	s_and_saveexec_b64 s[28:29], s[34:35]
	s_cbranch_execnz .LBB120_293
.LBB120_268:
	s_or_b64 exec, exec, s[28:29]
	s_and_b64 s[28:29], s[16:17], s[18:19]
	s_and_saveexec_b64 s[18:19], s[28:29]
	s_cbranch_execnz .LBB120_297
	s_branch .LBB120_301
.LBB120_269:
	s_and_b64 vcc, exec, s[0:1]
	s_cbranch_vccnz .LBB120_271
; %bb.270:
	v_lshl_add_u64 v[20:21], v[0:1], 3, v[18:19]
	flat_load_dwordx2 v[20:21], v[20:21]
	s_waitcnt vmcnt(0) lgkmcnt(0)
	v_mul_f64 v[20:21], s[24:25], v[20:21]
	s_branch .LBB120_272
.LBB120_271:
	v_mov_b64_e32 v[20:21], 0
.LBB120_272:
	v_cvt_f32_f64_e32 v20, v[20:21]
	v_max_f32_e32 v21, v97, v97
	v_min_f32_e32 v20, v20, v21
	v_cvt_f64_f32_e32 v[20:21], v20
	v_lshl_add_u64 v[24:25], v[0:1], 3, v[16:17]
	global_store_dwordx2 v[24:25], v[20:21], off
	s_or_b64 exec, exec, s[28:29]
	s_and_b64 s[34:35], s[4:5], s[18:19]
	s_and_saveexec_b64 s[28:29], s[34:35]
	s_cbranch_execz .LBB120_263
.LBB120_273:
	s_and_b64 vcc, exec, s[0:1]
	s_cbranch_vccnz .LBB120_275
; %bb.274:
	v_lshl_add_u64 v[20:21], v[2:3], 3, v[18:19]
	flat_load_dwordx2 v[20:21], v[20:21]
	s_waitcnt vmcnt(0) lgkmcnt(0)
	v_mul_f64 v[20:21], s[24:25], v[20:21]
	s_branch .LBB120_276
.LBB120_275:
	v_mov_b64_e32 v[20:21], 0
.LBB120_276:
	v_cvt_f32_f64_e32 v20, v[20:21]
	v_max_f32_e32 v21, v96, v96
	v_min_f32_e32 v20, v20, v21
	v_cvt_f64_f32_e32 v[20:21], v20
	v_lshl_add_u64 v[24:25], v[2:3], 3, v[16:17]
	global_store_dwordx2 v[24:25], v[20:21], off
	s_or_b64 exec, exec, s[28:29]
	s_and_b64 s[34:35], s[6:7], s[18:19]
	s_and_saveexec_b64 s[28:29], s[34:35]
	s_cbranch_execz .LBB120_264
.LBB120_277:
	s_and_b64 vcc, exec, s[0:1]
	s_cbranch_vccnz .LBB120_279
; %bb.278:
	v_lshl_add_u64 v[20:21], v[4:5], 3, v[18:19]
	flat_load_dwordx2 v[20:21], v[20:21]
	s_waitcnt vmcnt(0) lgkmcnt(0)
	v_mul_f64 v[20:21], s[24:25], v[20:21]
	s_branch .LBB120_280
.LBB120_279:
	v_mov_b64_e32 v[20:21], 0
.LBB120_280:
	v_cvt_f32_f64_e32 v20, v[20:21]
	v_max_f32_e32 v21, v95, v95
	v_min_f32_e32 v20, v20, v21
	v_cvt_f64_f32_e32 v[20:21], v20
	v_lshl_add_u64 v[24:25], v[4:5], 3, v[16:17]
	global_store_dwordx2 v[24:25], v[20:21], off
	s_or_b64 exec, exec, s[28:29]
	s_and_b64 s[34:35], s[8:9], s[18:19]
	s_and_saveexec_b64 s[28:29], s[34:35]
	s_cbranch_execz .LBB120_265
.LBB120_281:
	s_and_b64 vcc, exec, s[0:1]
	s_cbranch_vccnz .LBB120_283
; %bb.282:
	v_lshl_add_u64 v[20:21], v[6:7], 3, v[18:19]
	flat_load_dwordx2 v[20:21], v[20:21]
	s_waitcnt vmcnt(0) lgkmcnt(0)
	v_mul_f64 v[20:21], s[24:25], v[20:21]
	s_branch .LBB120_284
.LBB120_283:
	v_mov_b64_e32 v[20:21], 0
.LBB120_284:
	v_cvt_f32_f64_e32 v20, v[20:21]
	v_max_f32_e32 v21, v94, v94
	v_min_f32_e32 v20, v20, v21
	v_cvt_f64_f32_e32 v[20:21], v20
	v_lshl_add_u64 v[24:25], v[6:7], 3, v[16:17]
	global_store_dwordx2 v[24:25], v[20:21], off
	s_or_b64 exec, exec, s[28:29]
	s_and_b64 s[34:35], s[10:11], s[18:19]
	s_and_saveexec_b64 s[28:29], s[34:35]
	s_cbranch_execz .LBB120_266
.LBB120_285:
	s_and_b64 vcc, exec, s[0:1]
	s_cbranch_vccnz .LBB120_287
; %bb.286:
	v_lshl_add_u64 v[20:21], v[8:9], 3, v[18:19]
	flat_load_dwordx2 v[20:21], v[20:21]
	s_waitcnt vmcnt(0) lgkmcnt(0)
	v_mul_f64 v[20:21], s[24:25], v[20:21]
	s_branch .LBB120_288
.LBB120_287:
	v_mov_b64_e32 v[20:21], 0
.LBB120_288:
	v_cvt_f32_f64_e32 v20, v[20:21]
	v_max_f32_e32 v21, v93, v93
	v_min_f32_e32 v20, v20, v21
	v_cvt_f64_f32_e32 v[20:21], v20
	v_lshl_add_u64 v[24:25], v[8:9], 3, v[16:17]
	global_store_dwordx2 v[24:25], v[20:21], off
	s_or_b64 exec, exec, s[28:29]
	s_and_b64 s[34:35], s[12:13], s[18:19]
	s_and_saveexec_b64 s[28:29], s[34:35]
	s_cbranch_execz .LBB120_267
.LBB120_289:
	s_and_b64 vcc, exec, s[0:1]
	s_cbranch_vccnz .LBB120_291
; %bb.290:
	v_lshl_add_u64 v[20:21], v[10:11], 3, v[18:19]
	flat_load_dwordx2 v[20:21], v[20:21]
	s_waitcnt vmcnt(0) lgkmcnt(0)
	v_mul_f64 v[20:21], s[24:25], v[20:21]
	s_branch .LBB120_292
.LBB120_291:
	v_mov_b64_e32 v[20:21], 0
.LBB120_292:
	v_cvt_f32_f64_e32 v20, v[20:21]
	v_max_f32_e32 v21, v92, v92
	v_min_f32_e32 v20, v20, v21
	v_cvt_f64_f32_e32 v[20:21], v20
	v_lshl_add_u64 v[24:25], v[10:11], 3, v[16:17]
	global_store_dwordx2 v[24:25], v[20:21], off
	s_or_b64 exec, exec, s[28:29]
	s_and_b64 s[34:35], s[14:15], s[18:19]
	s_and_saveexec_b64 s[28:29], s[34:35]
	s_cbranch_execz .LBB120_268
.LBB120_293:
	s_and_b64 vcc, exec, s[0:1]
	s_cbranch_vccnz .LBB120_295
; %bb.294:
	v_lshl_add_u64 v[20:21], v[12:13], 3, v[18:19]
	flat_load_dwordx2 v[20:21], v[20:21]
	s_waitcnt vmcnt(0) lgkmcnt(0)
	v_mul_f64 v[20:21], s[24:25], v[20:21]
	s_branch .LBB120_296
.LBB120_295:
	v_mov_b64_e32 v[20:21], 0
.LBB120_296:
	v_cvt_f32_f64_e32 v20, v[20:21]
	v_max_f32_e32 v21, v91, v91
	v_min_f32_e32 v20, v20, v21
	v_cvt_f64_f32_e32 v[20:21], v20
	v_lshl_add_u64 v[24:25], v[12:13], 3, v[16:17]
	global_store_dwordx2 v[24:25], v[20:21], off
	s_or_b64 exec, exec, s[28:29]
	s_and_b64 s[28:29], s[16:17], s[18:19]
	s_and_saveexec_b64 s[18:19], s[28:29]
	s_cbranch_execz .LBB120_301
.LBB120_297:
	s_and_b64 vcc, exec, s[0:1]
	s_cbranch_vccnz .LBB120_299
; %bb.298:
	v_lshl_add_u64 v[18:19], v[14:15], 3, v[18:19]
	flat_load_dwordx2 v[18:19], v[18:19]
	s_waitcnt vmcnt(0) lgkmcnt(0)
	v_mul_f64 v[18:19], s[24:25], v[18:19]
	s_branch .LBB120_300
.LBB120_299:
	v_mov_b64_e32 v[18:19], 0
.LBB120_300:
	v_cvt_f32_f64_e32 v18, v[18:19]
	v_max_f32_e32 v19, v90, v90
	v_min_f32_e32 v18, v18, v19
	v_cvt_f64_f32_e32 v[18:19], v18
	v_lshl_add_u64 v[16:17], v[14:15], 3, v[16:17]
	global_store_dwordx2 v[16:17], v[18:19], off
.LBB120_301:
	s_or_b64 exec, exec, s[18:19]
	v_add_u32_e32 v20, 0xc0, v22
	v_mad_i64_i32 v[16:17], s[28:29], v20, s31, 0
	v_cmp_gt_i32_e64 s[18:19], s21, v20
	v_lshl_add_u64 v[18:19], v[16:17], 3, s[26:27]
	v_mad_i64_i32 v[16:17], s[28:29], v20, s30, 0
	v_lshl_add_u64 v[16:17], v[16:17], 3, s[22:23]
	s_and_b64 s[34:35], s[2:3], s[18:19]
	s_and_saveexec_b64 s[28:29], s[34:35]
	s_cbranch_execnz .LBB120_309
; %bb.302:
	s_or_b64 exec, exec, s[28:29]
	s_and_b64 s[34:35], s[4:5], s[18:19]
	s_and_saveexec_b64 s[28:29], s[34:35]
	s_cbranch_execnz .LBB120_313
.LBB120_303:
	s_or_b64 exec, exec, s[28:29]
	s_and_b64 s[34:35], s[6:7], s[18:19]
	s_and_saveexec_b64 s[28:29], s[34:35]
	s_cbranch_execnz .LBB120_317
.LBB120_304:
	s_or_b64 exec, exec, s[28:29]
	s_and_b64 s[34:35], s[8:9], s[18:19]
	s_and_saveexec_b64 s[28:29], s[34:35]
	s_cbranch_execnz .LBB120_321
.LBB120_305:
	s_or_b64 exec, exec, s[28:29]
	s_and_b64 s[34:35], s[10:11], s[18:19]
	s_and_saveexec_b64 s[28:29], s[34:35]
	s_cbranch_execnz .LBB120_325
.LBB120_306:
	s_or_b64 exec, exec, s[28:29]
	s_and_b64 s[34:35], s[12:13], s[18:19]
	s_and_saveexec_b64 s[28:29], s[34:35]
	s_cbranch_execnz .LBB120_329
.LBB120_307:
	s_or_b64 exec, exec, s[28:29]
	s_and_b64 s[34:35], s[14:15], s[18:19]
	s_and_saveexec_b64 s[28:29], s[34:35]
	s_cbranch_execnz .LBB120_333
.LBB120_308:
	s_or_b64 exec, exec, s[28:29]
	s_and_b64 s[28:29], s[16:17], s[18:19]
	s_and_saveexec_b64 s[18:19], s[28:29]
	s_cbranch_execnz .LBB120_337
	s_branch .LBB120_341
.LBB120_309:
	s_and_b64 vcc, exec, s[0:1]
	s_cbranch_vccnz .LBB120_311
; %bb.310:
	v_lshl_add_u64 v[20:21], v[0:1], 3, v[18:19]
	flat_load_dwordx2 v[20:21], v[20:21]
	s_waitcnt vmcnt(0) lgkmcnt(0)
	v_mul_f64 v[20:21], s[24:25], v[20:21]
	s_branch .LBB120_312
.LBB120_311:
	v_mov_b64_e32 v[20:21], 0
.LBB120_312:
	v_cvt_f32_f64_e32 v20, v[20:21]
	v_max_f32_e32 v21, v89, v89
	v_min_f32_e32 v20, v20, v21
	v_cvt_f64_f32_e32 v[20:21], v20
	v_lshl_add_u64 v[24:25], v[0:1], 3, v[16:17]
	global_store_dwordx2 v[24:25], v[20:21], off
	s_or_b64 exec, exec, s[28:29]
	s_and_b64 s[34:35], s[4:5], s[18:19]
	s_and_saveexec_b64 s[28:29], s[34:35]
	s_cbranch_execz .LBB120_303
.LBB120_313:
	s_and_b64 vcc, exec, s[0:1]
	s_cbranch_vccnz .LBB120_315
; %bb.314:
	v_lshl_add_u64 v[20:21], v[2:3], 3, v[18:19]
	flat_load_dwordx2 v[20:21], v[20:21]
	s_waitcnt vmcnt(0) lgkmcnt(0)
	v_mul_f64 v[20:21], s[24:25], v[20:21]
	s_branch .LBB120_316
.LBB120_315:
	v_mov_b64_e32 v[20:21], 0
.LBB120_316:
	v_cvt_f32_f64_e32 v20, v[20:21]
	v_max_f32_e32 v21, v88, v88
	v_min_f32_e32 v20, v20, v21
	v_cvt_f64_f32_e32 v[20:21], v20
	v_lshl_add_u64 v[24:25], v[2:3], 3, v[16:17]
	global_store_dwordx2 v[24:25], v[20:21], off
	s_or_b64 exec, exec, s[28:29]
	s_and_b64 s[34:35], s[6:7], s[18:19]
	s_and_saveexec_b64 s[28:29], s[34:35]
	s_cbranch_execz .LBB120_304
.LBB120_317:
	s_and_b64 vcc, exec, s[0:1]
	s_cbranch_vccnz .LBB120_319
; %bb.318:
	v_lshl_add_u64 v[20:21], v[4:5], 3, v[18:19]
	flat_load_dwordx2 v[20:21], v[20:21]
	s_waitcnt vmcnt(0) lgkmcnt(0)
	v_mul_f64 v[20:21], s[24:25], v[20:21]
	s_branch .LBB120_320
.LBB120_319:
	v_mov_b64_e32 v[20:21], 0
.LBB120_320:
	v_cvt_f32_f64_e32 v20, v[20:21]
	v_max_f32_e32 v21, v87, v87
	v_min_f32_e32 v20, v20, v21
	v_cvt_f64_f32_e32 v[20:21], v20
	v_lshl_add_u64 v[24:25], v[4:5], 3, v[16:17]
	global_store_dwordx2 v[24:25], v[20:21], off
	s_or_b64 exec, exec, s[28:29]
	s_and_b64 s[34:35], s[8:9], s[18:19]
	s_and_saveexec_b64 s[28:29], s[34:35]
	s_cbranch_execz .LBB120_305
.LBB120_321:
	s_and_b64 vcc, exec, s[0:1]
	s_cbranch_vccnz .LBB120_323
; %bb.322:
	v_lshl_add_u64 v[20:21], v[6:7], 3, v[18:19]
	flat_load_dwordx2 v[20:21], v[20:21]
	s_waitcnt vmcnt(0) lgkmcnt(0)
	v_mul_f64 v[20:21], s[24:25], v[20:21]
	s_branch .LBB120_324
.LBB120_323:
	v_mov_b64_e32 v[20:21], 0
.LBB120_324:
	v_cvt_f32_f64_e32 v20, v[20:21]
	v_max_f32_e32 v21, v86, v86
	v_min_f32_e32 v20, v20, v21
	v_cvt_f64_f32_e32 v[20:21], v20
	v_lshl_add_u64 v[24:25], v[6:7], 3, v[16:17]
	global_store_dwordx2 v[24:25], v[20:21], off
	s_or_b64 exec, exec, s[28:29]
	s_and_b64 s[34:35], s[10:11], s[18:19]
	s_and_saveexec_b64 s[28:29], s[34:35]
	s_cbranch_execz .LBB120_306
.LBB120_325:
	s_and_b64 vcc, exec, s[0:1]
	s_cbranch_vccnz .LBB120_327
; %bb.326:
	v_lshl_add_u64 v[20:21], v[8:9], 3, v[18:19]
	flat_load_dwordx2 v[20:21], v[20:21]
	s_waitcnt vmcnt(0) lgkmcnt(0)
	v_mul_f64 v[20:21], s[24:25], v[20:21]
	s_branch .LBB120_328
.LBB120_327:
	v_mov_b64_e32 v[20:21], 0
.LBB120_328:
	v_cvt_f32_f64_e32 v20, v[20:21]
	v_max_f32_e32 v21, v85, v85
	v_min_f32_e32 v20, v20, v21
	v_cvt_f64_f32_e32 v[20:21], v20
	v_lshl_add_u64 v[24:25], v[8:9], 3, v[16:17]
	global_store_dwordx2 v[24:25], v[20:21], off
	s_or_b64 exec, exec, s[28:29]
	s_and_b64 s[34:35], s[12:13], s[18:19]
	s_and_saveexec_b64 s[28:29], s[34:35]
	s_cbranch_execz .LBB120_307
.LBB120_329:
	s_and_b64 vcc, exec, s[0:1]
	s_cbranch_vccnz .LBB120_331
; %bb.330:
	v_lshl_add_u64 v[20:21], v[10:11], 3, v[18:19]
	flat_load_dwordx2 v[20:21], v[20:21]
	s_waitcnt vmcnt(0) lgkmcnt(0)
	v_mul_f64 v[20:21], s[24:25], v[20:21]
	s_branch .LBB120_332
.LBB120_331:
	v_mov_b64_e32 v[20:21], 0
.LBB120_332:
	v_cvt_f32_f64_e32 v20, v[20:21]
	v_max_f32_e32 v21, v84, v84
	v_min_f32_e32 v20, v20, v21
	v_cvt_f64_f32_e32 v[20:21], v20
	v_lshl_add_u64 v[24:25], v[10:11], 3, v[16:17]
	global_store_dwordx2 v[24:25], v[20:21], off
	s_or_b64 exec, exec, s[28:29]
	s_and_b64 s[34:35], s[14:15], s[18:19]
	s_and_saveexec_b64 s[28:29], s[34:35]
	s_cbranch_execz .LBB120_308
.LBB120_333:
	s_and_b64 vcc, exec, s[0:1]
	s_cbranch_vccnz .LBB120_335
; %bb.334:
	v_lshl_add_u64 v[20:21], v[12:13], 3, v[18:19]
	flat_load_dwordx2 v[20:21], v[20:21]
	s_waitcnt vmcnt(0) lgkmcnt(0)
	v_mul_f64 v[20:21], s[24:25], v[20:21]
	s_branch .LBB120_336
.LBB120_335:
	v_mov_b64_e32 v[20:21], 0
.LBB120_336:
	v_cvt_f32_f64_e32 v20, v[20:21]
	v_max_f32_e32 v21, v83, v83
	v_min_f32_e32 v20, v20, v21
	v_cvt_f64_f32_e32 v[20:21], v20
	v_lshl_add_u64 v[24:25], v[12:13], 3, v[16:17]
	global_store_dwordx2 v[24:25], v[20:21], off
	s_or_b64 exec, exec, s[28:29]
	s_and_b64 s[28:29], s[16:17], s[18:19]
	s_and_saveexec_b64 s[18:19], s[28:29]
	s_cbranch_execz .LBB120_341
.LBB120_337:
	s_and_b64 vcc, exec, s[0:1]
	s_cbranch_vccnz .LBB120_339
; %bb.338:
	v_lshl_add_u64 v[18:19], v[14:15], 3, v[18:19]
	flat_load_dwordx2 v[18:19], v[18:19]
	s_waitcnt vmcnt(0) lgkmcnt(0)
	v_mul_f64 v[18:19], s[24:25], v[18:19]
	s_branch .LBB120_340
.LBB120_339:
	v_mov_b64_e32 v[18:19], 0
.LBB120_340:
	v_cvt_f32_f64_e32 v18, v[18:19]
	v_max_f32_e32 v19, v82, v82
	v_min_f32_e32 v18, v18, v19
	v_cvt_f64_f32_e32 v[18:19], v18
	v_lshl_add_u64 v[16:17], v[14:15], 3, v[16:17]
	global_store_dwordx2 v[16:17], v[18:19], off
.LBB120_341:
	s_or_b64 exec, exec, s[18:19]
	v_add_u32_e32 v20, 0xe0, v22
	v_cmp_gt_i32_e64 s[18:19], s21, v20
	v_mad_i64_i32 v[16:17], s[20:21], v20, s31, 0
	v_lshl_add_u64 v[18:19], v[16:17], 3, s[26:27]
	v_mad_i64_i32 v[16:17], s[20:21], v20, s30, 0
	v_lshl_add_u64 v[16:17], v[16:17], 3, s[22:23]
	s_and_b64 s[20:21], s[2:3], s[18:19]
	s_and_saveexec_b64 s[2:3], s[20:21]
	s_cbranch_execnz .LBB120_350
; %bb.342:
	s_or_b64 exec, exec, s[2:3]
	s_and_b64 s[4:5], s[4:5], s[18:19]
	s_and_saveexec_b64 s[2:3], s[4:5]
	s_cbranch_execnz .LBB120_354
.LBB120_343:
	s_or_b64 exec, exec, s[2:3]
	s_and_b64 s[4:5], s[6:7], s[18:19]
	s_and_saveexec_b64 s[2:3], s[4:5]
	s_cbranch_execnz .LBB120_358
.LBB120_344:
	s_or_b64 exec, exec, s[2:3]
	s_and_b64 s[4:5], s[8:9], s[18:19]
	s_and_saveexec_b64 s[2:3], s[4:5]
	s_cbranch_execnz .LBB120_362
.LBB120_345:
	s_or_b64 exec, exec, s[2:3]
	s_and_b64 s[4:5], s[10:11], s[18:19]
	s_and_saveexec_b64 s[2:3], s[4:5]
	s_cbranch_execnz .LBB120_366
.LBB120_346:
	s_or_b64 exec, exec, s[2:3]
	s_and_b64 s[4:5], s[12:13], s[18:19]
	s_and_saveexec_b64 s[2:3], s[4:5]
	s_cbranch_execnz .LBB120_370
.LBB120_347:
	s_or_b64 exec, exec, s[2:3]
	s_and_b64 s[4:5], s[14:15], s[18:19]
	s_and_saveexec_b64 s[2:3], s[4:5]
	s_cbranch_execnz .LBB120_374
.LBB120_348:
	s_or_b64 exec, exec, s[2:3]
	s_and_b64 s[2:3], s[16:17], s[18:19]
	s_and_saveexec_b64 s[4:5], s[2:3]
	s_cbranch_execnz .LBB120_378
.LBB120_349:
	s_endpgm
.LBB120_350:
	s_and_b64 vcc, exec, s[0:1]
	s_cbranch_vccnz .LBB120_352
; %bb.351:
	v_lshl_add_u64 v[20:21], v[0:1], 3, v[18:19]
	flat_load_dwordx2 v[20:21], v[20:21]
	s_waitcnt vmcnt(0) lgkmcnt(0)
	v_mul_f64 v[20:21], s[24:25], v[20:21]
	v_cvt_f32_f64_e32 v20, v[20:21]
	s_branch .LBB120_353
.LBB120_352:
	v_mov_b32_e32 v20, 0
.LBB120_353:
	v_max_f32_e32 v21, v81, v81
	v_max_f32_e32 v20, v20, v20
	v_min_f32_e32 v20, v20, v21
	v_cvt_f64_f32_e32 v[20:21], v20
	v_lshl_add_u64 v[0:1], v[0:1], 3, v[16:17]
	global_store_dwordx2 v[0:1], v[20:21], off
	s_or_b64 exec, exec, s[2:3]
	s_and_b64 s[4:5], s[4:5], s[18:19]
	s_and_saveexec_b64 s[2:3], s[4:5]
	s_cbranch_execz .LBB120_343
.LBB120_354:
	s_and_b64 vcc, exec, s[0:1]
	s_cbranch_vccnz .LBB120_356
; %bb.355:
	v_lshl_add_u64 v[0:1], v[2:3], 3, v[18:19]
	flat_load_dwordx2 v[0:1], v[0:1]
	s_waitcnt vmcnt(0) lgkmcnt(0)
	v_mul_f64 v[0:1], s[24:25], v[0:1]
	v_cvt_f32_f64_e32 v0, v[0:1]
	s_branch .LBB120_357
.LBB120_356:
	v_mov_b32_e32 v0, 0
.LBB120_357:
	v_max_f32_e32 v1, v80, v80
	v_max_f32_e32 v0, v0, v0
	v_min_f32_e32 v0, v0, v1
	v_cvt_f64_f32_e32 v[0:1], v0
	v_lshl_add_u64 v[2:3], v[2:3], 3, v[16:17]
	global_store_dwordx2 v[2:3], v[0:1], off
	s_or_b64 exec, exec, s[2:3]
	s_and_b64 s[4:5], s[6:7], s[18:19]
	s_and_saveexec_b64 s[2:3], s[4:5]
	s_cbranch_execz .LBB120_344
.LBB120_358:
	s_and_b64 vcc, exec, s[0:1]
	s_cbranch_vccnz .LBB120_360
; %bb.359:
	v_lshl_add_u64 v[0:1], v[4:5], 3, v[18:19]
	flat_load_dwordx2 v[0:1], v[0:1]
	s_waitcnt vmcnt(0) lgkmcnt(0)
	v_mul_f64 v[0:1], s[24:25], v[0:1]
	v_cvt_f32_f64_e32 v0, v[0:1]
	s_branch .LBB120_361
.LBB120_360:
	v_mov_b32_e32 v0, 0
.LBB120_361:
	v_max_f32_e32 v1, v79, v79
	v_max_f32_e32 v0, v0, v0
	v_min_f32_e32 v0, v0, v1
	v_cvt_f64_f32_e32 v[0:1], v0
	v_lshl_add_u64 v[2:3], v[4:5], 3, v[16:17]
	global_store_dwordx2 v[2:3], v[0:1], off
	s_or_b64 exec, exec, s[2:3]
	s_and_b64 s[4:5], s[8:9], s[18:19]
	s_and_saveexec_b64 s[2:3], s[4:5]
	s_cbranch_execz .LBB120_345
.LBB120_362:
	s_and_b64 vcc, exec, s[0:1]
	s_cbranch_vccnz .LBB120_364
; %bb.363:
	v_lshl_add_u64 v[0:1], v[6:7], 3, v[18:19]
	flat_load_dwordx2 v[0:1], v[0:1]
	s_waitcnt vmcnt(0) lgkmcnt(0)
	v_mul_f64 v[0:1], s[24:25], v[0:1]
	v_cvt_f32_f64_e32 v0, v[0:1]
	s_branch .LBB120_365
.LBB120_364:
	v_mov_b32_e32 v0, 0
.LBB120_365:
	v_max_f32_e32 v1, v78, v78
	v_max_f32_e32 v0, v0, v0
	v_min_f32_e32 v0, v0, v1
	v_cvt_f64_f32_e32 v[0:1], v0
	v_lshl_add_u64 v[2:3], v[6:7], 3, v[16:17]
	global_store_dwordx2 v[2:3], v[0:1], off
	s_or_b64 exec, exec, s[2:3]
	s_and_b64 s[4:5], s[10:11], s[18:19]
	s_and_saveexec_b64 s[2:3], s[4:5]
	s_cbranch_execz .LBB120_346
.LBB120_366:
	s_and_b64 vcc, exec, s[0:1]
	s_cbranch_vccnz .LBB120_368
; %bb.367:
	v_lshl_add_u64 v[0:1], v[8:9], 3, v[18:19]
	flat_load_dwordx2 v[0:1], v[0:1]
	s_waitcnt vmcnt(0) lgkmcnt(0)
	v_mul_f64 v[0:1], s[24:25], v[0:1]
	v_cvt_f32_f64_e32 v0, v[0:1]
	s_branch .LBB120_369
.LBB120_368:
	v_mov_b32_e32 v0, 0
.LBB120_369:
	v_max_f32_e32 v1, v77, v77
	v_max_f32_e32 v0, v0, v0
	v_min_f32_e32 v0, v0, v1
	v_cvt_f64_f32_e32 v[0:1], v0
	v_lshl_add_u64 v[2:3], v[8:9], 3, v[16:17]
	global_store_dwordx2 v[2:3], v[0:1], off
	s_or_b64 exec, exec, s[2:3]
	s_and_b64 s[4:5], s[12:13], s[18:19]
	s_and_saveexec_b64 s[2:3], s[4:5]
	s_cbranch_execz .LBB120_347
.LBB120_370:
	s_and_b64 vcc, exec, s[0:1]
	s_cbranch_vccnz .LBB120_372
; %bb.371:
	v_lshl_add_u64 v[0:1], v[10:11], 3, v[18:19]
	flat_load_dwordx2 v[0:1], v[0:1]
	s_waitcnt vmcnt(0) lgkmcnt(0)
	v_mul_f64 v[0:1], s[24:25], v[0:1]
	v_cvt_f32_f64_e32 v0, v[0:1]
	s_branch .LBB120_373
.LBB120_372:
	v_mov_b32_e32 v0, 0
.LBB120_373:
	v_max_f32_e32 v1, v76, v76
	v_max_f32_e32 v0, v0, v0
	v_min_f32_e32 v0, v0, v1
	v_cvt_f64_f32_e32 v[0:1], v0
	v_lshl_add_u64 v[2:3], v[10:11], 3, v[16:17]
	global_store_dwordx2 v[2:3], v[0:1], off
	s_or_b64 exec, exec, s[2:3]
	s_and_b64 s[4:5], s[14:15], s[18:19]
	s_and_saveexec_b64 s[2:3], s[4:5]
	s_cbranch_execz .LBB120_348
.LBB120_374:
	s_and_b64 vcc, exec, s[0:1]
	s_cbranch_vccnz .LBB120_376
; %bb.375:
	v_lshl_add_u64 v[0:1], v[12:13], 3, v[18:19]
	flat_load_dwordx2 v[0:1], v[0:1]
	s_waitcnt vmcnt(0) lgkmcnt(0)
	v_mul_f64 v[0:1], s[24:25], v[0:1]
	v_cvt_f32_f64_e32 v0, v[0:1]
	s_branch .LBB120_377
.LBB120_376:
	v_mov_b32_e32 v0, 0
.LBB120_377:
	v_max_f32_e32 v1, v75, v75
	v_max_f32_e32 v0, v0, v0
	v_min_f32_e32 v0, v0, v1
	v_cvt_f64_f32_e32 v[0:1], v0
	v_lshl_add_u64 v[2:3], v[12:13], 3, v[16:17]
	global_store_dwordx2 v[2:3], v[0:1], off
	s_or_b64 exec, exec, s[2:3]
	s_and_b64 s[2:3], s[16:17], s[18:19]
	s_and_saveexec_b64 s[4:5], s[2:3]
	s_cbranch_execz .LBB120_349
.LBB120_378:
	s_and_b64 vcc, exec, s[0:1]
	s_cbranch_vccnz .LBB120_380
; %bb.379:
	v_lshl_add_u64 v[0:1], v[14:15], 3, v[18:19]
	flat_load_dwordx2 v[0:1], v[0:1]
	s_waitcnt vmcnt(0) lgkmcnt(0)
	v_mul_f64 v[0:1], s[24:25], v[0:1]
	v_cvt_f32_f64_e32 v0, v[0:1]
	s_branch .LBB120_381
.LBB120_380:
	v_mov_b32_e32 v0, 0
.LBB120_381:
	v_max_f32_e32 v1, v74, v74
	v_max_f32_e32 v0, v0, v0
	v_min_f32_e32 v0, v0, v1
	v_cvt_f64_f32_e32 v[0:1], v0
	v_lshl_add_u64 v[2:3], v[14:15], 3, v[16:17]
	global_store_dwordx2 v[2:3], v[0:1], off
	s_endpgm
	.section	.rodata,"a",@progbits
	.p2align	6, 0x0
	.amdhsa_kernel _ZN12_GLOBAL__N_120geam_min_plus_kernelId15HIP_vector_typeIdLj2EEdLi8ELi32ELi64ELi256ELi4ELi64ELi4ELi64ELi4ELc78ELc84ELb0ELb1ELb1EPKdKS4_KPdEEviiiT16_PT17_ilSA_ilS8_SA_ilPT18_ili26rocblas_geam_ex_operation_
		.amdhsa_group_segment_fixed_size 20480
		.amdhsa_private_segment_fixed_size 0
		.amdhsa_kernarg_size 136
		.amdhsa_user_sgpr_count 2
		.amdhsa_user_sgpr_dispatch_ptr 0
		.amdhsa_user_sgpr_queue_ptr 0
		.amdhsa_user_sgpr_kernarg_segment_ptr 1
		.amdhsa_user_sgpr_dispatch_id 0
		.amdhsa_user_sgpr_kernarg_preload_length 0
		.amdhsa_user_sgpr_kernarg_preload_offset 0
		.amdhsa_user_sgpr_private_segment_size 0
		.amdhsa_uses_dynamic_stack 0
		.amdhsa_enable_private_segment 0
		.amdhsa_system_sgpr_workgroup_id_x 1
		.amdhsa_system_sgpr_workgroup_id_y 0
		.amdhsa_system_sgpr_workgroup_id_z 1
		.amdhsa_system_sgpr_workgroup_info 0
		.amdhsa_system_vgpr_workitem_id 1
		.amdhsa_next_free_vgpr 154
		.amdhsa_next_free_sgpr 46
		.amdhsa_accum_offset 156
		.amdhsa_reserve_vcc 1
		.amdhsa_float_round_mode_32 0
		.amdhsa_float_round_mode_16_64 0
		.amdhsa_float_denorm_mode_32 3
		.amdhsa_float_denorm_mode_16_64 3
		.amdhsa_dx10_clamp 1
		.amdhsa_ieee_mode 1
		.amdhsa_fp16_overflow 0
		.amdhsa_tg_split 0
		.amdhsa_exception_fp_ieee_invalid_op 0
		.amdhsa_exception_fp_denorm_src 0
		.amdhsa_exception_fp_ieee_div_zero 0
		.amdhsa_exception_fp_ieee_overflow 0
		.amdhsa_exception_fp_ieee_underflow 0
		.amdhsa_exception_fp_ieee_inexact 0
		.amdhsa_exception_int_div_zero 0
	.end_amdhsa_kernel
	.section	.text._ZN12_GLOBAL__N_120geam_min_plus_kernelId15HIP_vector_typeIdLj2EEdLi8ELi32ELi64ELi256ELi4ELi64ELi4ELi64ELi4ELc78ELc84ELb0ELb1ELb1EPKdKS4_KPdEEviiiT16_PT17_ilSA_ilS8_SA_ilPT18_ili26rocblas_geam_ex_operation_,"axG",@progbits,_ZN12_GLOBAL__N_120geam_min_plus_kernelId15HIP_vector_typeIdLj2EEdLi8ELi32ELi64ELi256ELi4ELi64ELi4ELi64ELi4ELc78ELc84ELb0ELb1ELb1EPKdKS4_KPdEEviiiT16_PT17_ilSA_ilS8_SA_ilPT18_ili26rocblas_geam_ex_operation_,comdat
.Lfunc_end120:
	.size	_ZN12_GLOBAL__N_120geam_min_plus_kernelId15HIP_vector_typeIdLj2EEdLi8ELi32ELi64ELi256ELi4ELi64ELi4ELi64ELi4ELc78ELc84ELb0ELb1ELb1EPKdKS4_KPdEEviiiT16_PT17_ilSA_ilS8_SA_ilPT18_ili26rocblas_geam_ex_operation_, .Lfunc_end120-_ZN12_GLOBAL__N_120geam_min_plus_kernelId15HIP_vector_typeIdLj2EEdLi8ELi32ELi64ELi256ELi4ELi64ELi4ELi64ELi4ELc78ELc84ELb0ELb1ELb1EPKdKS4_KPdEEviiiT16_PT17_ilSA_ilS8_SA_ilPT18_ili26rocblas_geam_ex_operation_
                                        ; -- End function
	.section	.AMDGPU.csdata,"",@progbits
; Kernel info:
; codeLenInByte = 19232
; NumSgprs: 52
; NumVgprs: 154
; NumAgprs: 0
; TotalNumVgprs: 154
; ScratchSize: 0
; MemoryBound: 0
; FloatMode: 240
; IeeeMode: 1
; LDSByteSize: 20480 bytes/workgroup (compile time only)
; SGPRBlocks: 6
; VGPRBlocks: 19
; NumSGPRsForWavesPerEU: 52
; NumVGPRsForWavesPerEU: 154
; AccumOffset: 156
; Occupancy: 3
; WaveLimiterHint : 1
; COMPUTE_PGM_RSRC2:SCRATCH_EN: 0
; COMPUTE_PGM_RSRC2:USER_SGPR: 2
; COMPUTE_PGM_RSRC2:TRAP_HANDLER: 0
; COMPUTE_PGM_RSRC2:TGID_X_EN: 1
; COMPUTE_PGM_RSRC2:TGID_Y_EN: 0
; COMPUTE_PGM_RSRC2:TGID_Z_EN: 1
; COMPUTE_PGM_RSRC2:TIDIG_COMP_CNT: 1
; COMPUTE_PGM_RSRC3_GFX90A:ACCUM_OFFSET: 38
; COMPUTE_PGM_RSRC3_GFX90A:TG_SPLIT: 0
	.section	.text._ZN12_GLOBAL__N_120geam_min_plus_kernelId15HIP_vector_typeIdLj2EEdLi8ELi32ELi64ELi256ELi4ELi64ELi4ELi64ELi4ELc78ELc84ELb1ELb1ELb1EdKPKdKPdEEviiiT16_PT17_ilSA_ilS8_SA_ilPT18_ili26rocblas_geam_ex_operation_,"axG",@progbits,_ZN12_GLOBAL__N_120geam_min_plus_kernelId15HIP_vector_typeIdLj2EEdLi8ELi32ELi64ELi256ELi4ELi64ELi4ELi64ELi4ELc78ELc84ELb1ELb1ELb1EdKPKdKPdEEviiiT16_PT17_ilSA_ilS8_SA_ilPT18_ili26rocblas_geam_ex_operation_,comdat
	.globl	_ZN12_GLOBAL__N_120geam_min_plus_kernelId15HIP_vector_typeIdLj2EEdLi8ELi32ELi64ELi256ELi4ELi64ELi4ELi64ELi4ELc78ELc84ELb1ELb1ELb1EdKPKdKPdEEviiiT16_PT17_ilSA_ilS8_SA_ilPT18_ili26rocblas_geam_ex_operation_ ; -- Begin function _ZN12_GLOBAL__N_120geam_min_plus_kernelId15HIP_vector_typeIdLj2EEdLi8ELi32ELi64ELi256ELi4ELi64ELi4ELi64ELi4ELc78ELc84ELb1ELb1ELb1EdKPKdKPdEEviiiT16_PT17_ilSA_ilS8_SA_ilPT18_ili26rocblas_geam_ex_operation_
	.p2align	8
	.type	_ZN12_GLOBAL__N_120geam_min_plus_kernelId15HIP_vector_typeIdLj2EEdLi8ELi32ELi64ELi256ELi4ELi64ELi4ELi64ELi4ELc78ELc84ELb1ELb1ELb1EdKPKdKPdEEviiiT16_PT17_ilSA_ilS8_SA_ilPT18_ili26rocblas_geam_ex_operation_,@function
_ZN12_GLOBAL__N_120geam_min_plus_kernelId15HIP_vector_typeIdLj2EEdLi8ELi32ELi64ELi256ELi4ELi64ELi4ELi64ELi4ELc78ELc84ELb1ELb1ELb1EdKPKdKPdEEviiiT16_PT17_ilSA_ilS8_SA_ilPT18_ili26rocblas_geam_ex_operation_: ; @_ZN12_GLOBAL__N_120geam_min_plus_kernelId15HIP_vector_typeIdLj2EEdLi8ELi32ELi64ELi256ELi4ELi64ELi4ELi64ELi4ELc78ELc84ELb1ELb1ELb1EdKPKdKPdEEviiiT16_PT17_ilSA_ilS8_SA_ilPT18_ili26rocblas_geam_ex_operation_
; %bb.0:
	s_load_dwordx4 s[8:11], s[0:1], 0x10
	s_load_dwordx4 s[4:7], s[0:1], 0x28
	s_mov_b32 s14, s3
	s_mov_b64 s[18:19], 0
	s_waitcnt lgkmcnt(0)
	v_cmp_eq_f64_e64 s[12:13], s[8:9], 0
	s_and_b64 vcc, exec, s[12:13]
	s_cbranch_vccnz .LBB121_2
; %bb.1:
	s_mov_b32 s15, 0
	s_lshl_b64 s[8:9], s[14:15], 3
	s_add_u32 s8, s10, s8
	s_addc_u32 s9, s11, s9
	s_load_dwordx2 s[8:9], s[8:9], 0x0
	s_lshl_b64 s[4:5], s[4:5], 3
	s_waitcnt lgkmcnt(0)
	s_add_u32 s18, s8, s4
	s_addc_u32 s19, s9, s5
.LBB121_2:
	s_load_dwordx4 s[20:23], s[0:1], 0x40
	s_load_dwordx2 s[8:9], s[0:1], 0x50
	s_andn2_b64 vcc, exec, s[12:13]
	s_cbranch_vccnz .LBB121_4
; %bb.3:
	s_mov_b32 s15, 0
	s_mov_b64 s[16:17], 0
	s_cbranch_execz .LBB121_5
	s_branch .LBB121_6
.LBB121_4:
                                        ; implicit-def: $sgpr16_sgpr17
.LBB121_5:
	s_mov_b32 s15, 0
	s_lshl_b64 s[4:5], s[14:15], 3
	s_add_u32 s4, s6, s4
	s_addc_u32 s5, s7, s5
	s_load_dwordx2 s[4:5], s[4:5], 0x0
	s_waitcnt lgkmcnt(0)
	s_lshl_b64 s[6:7], s[20:21], 3
	s_add_u32 s16, s4, s6
	s_addc_u32 s17, s5, s7
.LBB121_6:
	s_load_dwordx4 s[4:7], s[0:1], 0x60
	s_waitcnt lgkmcnt(0)
	v_cmp_eq_f64_e64 s[10:11], s[22:23], 0
	s_mov_b64 s[20:21], 0
	v_cmp_neq_f64_e64 s[12:13], s[22:23], 0
	s_and_b64 vcc, exec, s[10:11]
	s_cbranch_vccnz .LBB121_8
; %bb.7:
	s_lshl_b64 s[10:11], s[14:15], 3
	s_add_u32 s8, s8, s10
	s_addc_u32 s9, s9, s11
	s_load_dwordx2 s[8:9], s[8:9], 0x0
	s_lshl_b64 s[4:5], s[4:5], 3
	s_waitcnt lgkmcnt(0)
	s_add_u32 s20, s8, s4
	s_addc_u32 s21, s9, s5
.LBB121_8:
	s_load_dword s34, s[0:1], 0x20
	s_load_dwordx4 s[24:27], s[0:1], 0x0
	s_lshl_b64 s[4:5], s[14:15], 3
	v_and_b32_e32 v130, 0x3ff, v0
	v_bfe_u32 v131, v0, 10, 10
	s_waitcnt lgkmcnt(0)
	s_ashr_i32 s35, s34, 31
	s_add_u32 s4, s6, s4
	s_addc_u32 s5, s7, s5
	s_add_i32 s3, s24, -1
	s_ashr_i32 s6, s3, 31
	s_lshr_b32 s6, s6, 26
	s_add_i32 s3, s3, s6
	s_ashr_i32 s3, s3, 6
	s_add_i32 s9, s3, 1
	v_cvt_f32_u32_e32 v1, s9
	s_load_dwordx2 s[14:15], s[4:5], 0x0
	s_not_b32 s3, s3
	v_lshl_add_u32 v0, v131, 3, v130
	v_rcp_iflag_f32_e32 v1, v1
	v_and_b32_e32 v143, 63, v0
	v_lshrrev_b32_e32 v140, 6, v0
	s_mov_b32 s6, -1
	v_mul_f32_e32 v1, 0x4f7ffffe, v1
	v_cvt_u32_f32_e32 v1, v1
	v_cmp_le_i32_e32 vcc, s26, v140
	s_mov_b32 s7, 0x7fefffff
	v_readfirstlane_b32 s4, v1
	s_mul_i32 s3, s3, s4
	s_mul_hi_u32 s3, s4, s3
	s_add_i32 s4, s4, s3
	s_mul_hi_u32 s3, s2, s4
	s_mul_i32 s4, s3, s9
	s_sub_i32 s4, s2, s4
	s_add_i32 s5, s3, 1
	s_sub_i32 s8, s4, s9
	s_cmp_ge_u32 s4, s9
	s_cselect_b32 s3, s5, s3
	s_cselect_b32 s4, s8, s4
	s_add_i32 s5, s3, 1
	s_cmp_ge_u32 s4, s9
	s_cselect_b32 s8, s5, s3
	s_mul_i32 s3, s8, s9
	s_sub_i32 s2, s2, s3
	s_lshl_b32 s27, s2, 6
	v_or_b32_e32 v62, s27, v143
	v_cmp_le_i32_e64 s[2:3], s24, v62
	s_or_b64 s[4:5], s[2:3], vcc
	s_xor_b64 s[10:11], s[4:5], -1
	v_mov_b64_e32 v[0:1], s[6:7]
	v_ashrrev_i32_e32 v63, 31, v62
	s_and_saveexec_b64 s[4:5], s[10:11]
	s_cbranch_execz .LBB121_10
; %bb.9:
	v_mad_i64_i32 v[0:1], s[10:11], s34, v140, 0
	v_lshl_add_u64 v[0:1], v[0:1], 3, s[18:19]
	v_lshl_add_u64 v[0:1], v[62:63], 3, v[0:1]
	flat_load_dwordx2 v[0:1], v[0:1]
.LBB121_10:
	s_or_b64 exec, exec, s[4:5]
	s_load_dword s36, s[0:1], 0x38
	s_lshl_b32 s33, s8, 8
	v_or_b32_e32 v60, s33, v143
	v_cmp_le_i32_e64 s[4:5], s25, v60
	v_ashrrev_i32_e32 v61, 31, v60
	s_waitcnt lgkmcnt(0)
	v_mad_i64_i32 v[2:3], s[8:9], v140, s36, 0
	s_or_b64 s[8:9], s[4:5], vcc
	v_lshl_add_u64 v[10:11], v[2:3], 3, s[16:17]
	s_xor_b64 s[8:9], s[8:9], -1
	v_mov_b64_e32 v[2:3], s[6:7]
	s_and_saveexec_b64 s[6:7], s[8:9]
	s_cbranch_execz .LBB121_12
; %bb.11:
	v_lshl_add_u64 v[2:3], v[60:61], 3, v[10:11]
	flat_load_dwordx2 v[2:3], v[2:3]
.LBB121_12:
	s_or_b64 exec, exec, s[6:7]
	v_or_b32_e32 v4, 64, v60
	v_cmp_le_i32_e64 s[6:7], s25, v4
	s_mov_b32 s10, -1
	s_or_b64 s[8:9], s[6:7], vcc
	s_mov_b32 s11, 0x7fefffff
	s_xor_b64 s[28:29], s[8:9], -1
	v_mov_b64_e32 v[4:5], s[10:11]
	s_and_saveexec_b64 s[8:9], s[28:29]
	s_cbranch_execz .LBB121_14
; %bb.13:
	v_lshl_add_u64 v[4:5], v[60:61], 3, v[10:11]
	flat_load_dwordx2 v[4:5], v[4:5] offset:512
.LBB121_14:
	s_or_b64 exec, exec, s[8:9]
	v_or_b32_e32 v6, 0x80, v60
	v_cmp_le_i32_e64 s[8:9], s25, v6
	s_or_b64 s[28:29], s[8:9], vcc
	s_ashr_i32 s37, s36, 31
	s_xor_b64 s[28:29], s[28:29], -1
	v_mov_b64_e32 v[6:7], s[10:11]
	s_and_saveexec_b64 s[10:11], s[28:29]
	s_cbranch_execz .LBB121_16
; %bb.15:
	v_lshl_add_u64 v[6:7], v[60:61], 3, v[10:11]
	flat_load_dwordx2 v[6:7], v[6:7] offset:1024
.LBB121_16:
	s_or_b64 exec, exec, s[10:11]
	v_or_b32_e32 v8, 0xc0, v60
	v_cmp_le_i32_e64 s[10:11], s25, v8
	s_or_b64 s[28:29], s[10:11], vcc
	s_xor_b64 s[38:39], s[28:29], -1
	s_mov_b32 s28, -1
	s_mov_b32 s29, 0x7fefffff
	v_mov_b64_e32 v[8:9], s[28:29]
	s_and_saveexec_b64 s[30:31], s[38:39]
	s_cbranch_execz .LBB121_18
; %bb.17:
	v_lshl_add_u64 v[8:9], v[60:61], 3, v[10:11]
	flat_load_dwordx2 v[8:9], v[8:9] offset:1536
.LBB121_18:
	s_or_b64 exec, exec, s[30:31]
	v_add_u32_e32 v10, 4, v140
	v_cmp_le_i32_e32 vcc, s26, v10
	s_or_b64 s[30:31], s[2:3], vcc
	s_xor_b64 s[30:31], s[30:31], -1
	v_mov_b64_e32 v[64:65], s[28:29]
	s_and_saveexec_b64 s[28:29], s[30:31]
	s_cbranch_execz .LBB121_20
; %bb.19:
	v_mad_i64_i32 v[12:13], s[30:31], s34, v10, 0
	v_lshl_add_u64 v[12:13], v[12:13], 3, s[18:19]
	v_lshl_add_u64 v[12:13], v[62:63], 3, v[12:13]
	flat_load_dwordx2 v[64:65], v[12:13]
.LBB121_20:
	s_or_b64 exec, exec, s[28:29]
	v_mad_i64_i32 v[10:11], s[28:29], v10, s36, 0
	s_or_b64 s[28:29], s[4:5], vcc
	s_xor_b64 s[38:39], s[28:29], -1
	s_mov_b32 s28, -1
	s_mov_b32 s29, 0x7fefffff
	v_lshl_add_u64 v[10:11], v[10:11], 3, s[16:17]
	v_mov_b64_e32 v[66:67], s[28:29]
	s_and_saveexec_b64 s[30:31], s[38:39]
	s_cbranch_execz .LBB121_22
; %bb.21:
	v_lshl_add_u64 v[12:13], v[60:61], 3, v[10:11]
	flat_load_dwordx2 v[66:67], v[12:13]
.LBB121_22:
	s_or_b64 exec, exec, s[30:31]
	s_or_b64 s[30:31], s[6:7], vcc
	s_xor_b64 s[30:31], s[30:31], -1
	v_mov_b64_e32 v[68:69], s[28:29]
	s_and_saveexec_b64 s[28:29], s[30:31]
	s_cbranch_execz .LBB121_24
; %bb.23:
	v_lshl_add_u64 v[12:13], v[60:61], 3, v[10:11]
	flat_load_dwordx2 v[68:69], v[12:13] offset:512
.LBB121_24:
	s_or_b64 exec, exec, s[28:29]
	s_or_b64 s[28:29], s[8:9], vcc
	s_xor_b64 s[38:39], s[28:29], -1
	s_mov_b32 s28, -1
	s_mov_b32 s29, 0x7fefffff
	v_mov_b64_e32 v[70:71], s[28:29]
	s_and_saveexec_b64 s[30:31], s[38:39]
	s_cbranch_execz .LBB121_26
; %bb.25:
	v_lshl_add_u64 v[12:13], v[60:61], 3, v[10:11]
	flat_load_dwordx2 v[70:71], v[12:13] offset:1024
.LBB121_26:
	s_or_b64 exec, exec, s[30:31]
	s_or_b64 s[30:31], s[10:11], vcc
	s_xor_b64 s[30:31], s[30:31], -1
	v_mov_b64_e32 v[72:73], s[28:29]
	s_and_saveexec_b64 s[28:29], s[30:31]
	s_cbranch_execz .LBB121_28
; %bb.27:
	v_lshl_add_u64 v[10:11], v[60:61], 3, v[10:11]
	flat_load_dwordx2 v[72:73], v[10:11] offset:1536
.LBB121_28:
	s_or_b64 exec, exec, s[28:29]
	v_lshlrev_b32_e32 v10, 3, v140
	v_lshl_add_u32 v141, v143, 5, v10
	v_or_b32_e32 v142, 0x4000, v141
	s_mov_b32 s30, 0
	s_mov_b64 s[28:29], -1
	v_mov_b32_e32 v74, 0x7f800000
	v_mov_b32_e32 v75, 0x7f800000
	;; [unrolled: 1-line block ×64, first 2 shown]
	s_waitcnt vmcnt(0)
	ds_write_b64 v141, v[0:1] offset:16384
	s_waitcnt lgkmcnt(0)
	ds_write2st64_b64 v141, v[2:3], v[4:5] offset1:4
	ds_write2st64_b64 v141, v[6:7], v[8:9] offset0:8 offset1:12
	s_waitcnt lgkmcnt(0)
	s_barrier
.LBB121_29:                             ; =>This Inner Loop Header: Depth=1
	v_cndmask_b32_e64 v0, 0, 1, s[28:29]
	s_lshl_b32 s28, s30, 3
	v_cmp_ne_u32_e32 vcc, 1, v0
	v_lshl_add_u32 v0, v130, 5, s28
	v_lshl_add_u32 v20, v131, 5, s28
	ds_read_b128 v[32:35], v0 offset:16384
	ds_read_b128 v[28:31], v0 offset:16640
	ds_read_b128 v[24:27], v0 offset:16896
	ds_read_b128 v[16:19], v0 offset:17152
	ds_read_b128 v[12:15], v0 offset:17408
	ds_read_b128 v[8:11], v0 offset:17664
	ds_read_b128 v[4:7], v0 offset:17920
	ds_read_b128 v[0:3], v0 offset:18176
	ds_read_b128 v[144:147], v20
	ds_read_b128 v[56:59], v20 offset:1024
	ds_read_b128 v[52:55], v20 offset:2048
	;; [unrolled: 1-line block ×7, first 2 shown]
	s_waitcnt lgkmcnt(7)
	v_add_f64 v[148:149], v[34:35], v[146:147]
	v_add_f64 v[150:151], v[32:33], v[144:145]
	v_cvt_f32_f64_e32 v150, v[150:151]
	v_cvt_f32_f64_e32 v148, v[148:149]
	v_min3_f32 v139, v150, v148, v139
	v_add_f64 v[148:149], v[30:31], v[146:147]
	v_add_f64 v[150:151], v[28:29], v[144:145]
	v_cvt_f32_f64_e32 v150, v[150:151]
	v_cvt_f32_f64_e32 v148, v[148:149]
	v_min3_f32 v138, v150, v148, v138
	v_add_f64 v[148:149], v[26:27], v[146:147]
	v_add_f64 v[150:151], v[24:25], v[144:145]
	v_cvt_f32_f64_e32 v150, v[150:151]
	v_cvt_f32_f64_e32 v148, v[148:149]
	v_min3_f32 v137, v150, v148, v137
	v_add_f64 v[148:149], v[18:19], v[146:147]
	v_add_f64 v[150:151], v[16:17], v[144:145]
	v_cvt_f32_f64_e32 v150, v[150:151]
	v_cvt_f32_f64_e32 v148, v[148:149]
	v_min3_f32 v136, v150, v148, v136
	v_add_f64 v[148:149], v[14:15], v[146:147]
	v_add_f64 v[150:151], v[12:13], v[144:145]
	v_cvt_f32_f64_e32 v150, v[150:151]
	v_cvt_f32_f64_e32 v148, v[148:149]
	v_min3_f32 v135, v150, v148, v135
	v_add_f64 v[148:149], v[10:11], v[146:147]
	v_add_f64 v[150:151], v[8:9], v[144:145]
	v_cvt_f32_f64_e32 v150, v[150:151]
	v_cvt_f32_f64_e32 v148, v[148:149]
	v_min3_f32 v134, v150, v148, v134
	v_add_f64 v[148:149], v[6:7], v[146:147]
	v_add_f64 v[150:151], v[4:5], v[144:145]
	v_add_f64 v[146:147], v[2:3], v[146:147]
	v_add_f64 v[144:145], v[0:1], v[144:145]
	v_cvt_f32_f64_e32 v144, v[144:145]
	v_cvt_f32_f64_e32 v145, v[146:147]
	v_min3_f32 v132, v144, v145, v132
	s_waitcnt lgkmcnt(6)
	v_add_f64 v[144:145], v[34:35], v[58:59]
	v_add_f64 v[146:147], v[32:33], v[56:57]
	v_cvt_f32_f64_e32 v146, v[146:147]
	v_cvt_f32_f64_e32 v144, v[144:145]
	v_min3_f32 v129, v146, v144, v129
	v_add_f64 v[144:145], v[30:31], v[58:59]
	v_add_f64 v[146:147], v[28:29], v[56:57]
	v_cvt_f32_f64_e32 v146, v[146:147]
	v_cvt_f32_f64_e32 v144, v[144:145]
	v_min3_f32 v128, v146, v144, v128
	v_add_f64 v[144:145], v[26:27], v[58:59]
	v_add_f64 v[146:147], v[24:25], v[56:57]
	v_cvt_f32_f64_e32 v146, v[146:147]
	v_cvt_f32_f64_e32 v144, v[144:145]
	v_min3_f32 v127, v146, v144, v127
	v_add_f64 v[144:145], v[18:19], v[58:59]
	v_add_f64 v[146:147], v[16:17], v[56:57]
	v_cvt_f32_f64_e32 v146, v[146:147]
	v_cvt_f32_f64_e32 v144, v[144:145]
	v_min3_f32 v126, v146, v144, v126
	v_add_f64 v[144:145], v[14:15], v[58:59]
	v_add_f64 v[146:147], v[12:13], v[56:57]
	v_cvt_f32_f64_e32 v146, v[146:147]
	v_cvt_f32_f64_e32 v144, v[144:145]
	v_min3_f32 v125, v146, v144, v125
	v_add_f64 v[144:145], v[10:11], v[58:59]
	v_add_f64 v[146:147], v[8:9], v[56:57]
	v_cvt_f32_f64_e32 v146, v[146:147]
	v_cvt_f32_f64_e32 v144, v[144:145]
	v_min3_f32 v124, v146, v144, v124
	v_add_f64 v[144:145], v[6:7], v[58:59]
	v_add_f64 v[146:147], v[4:5], v[56:57]
	v_add_f64 v[58:59], v[2:3], v[58:59]
	v_add_f64 v[56:57], v[0:1], v[56:57]
	v_cvt_f32_f64_e32 v56, v[56:57]
	v_cvt_f32_f64_e32 v57, v[58:59]
	v_min3_f32 v122, v56, v57, v122
	;; [unrolled: 38-line block ×6, first 2 shown]
	s_waitcnt lgkmcnt(1)
	v_add_f64 v[40:41], v[34:35], v[38:39]
	v_add_f64 v[42:43], v[32:33], v[36:37]
	v_cvt_f32_f64_e32 v42, v[42:43]
	v_cvt_f32_f64_e32 v40, v[40:41]
	v_min3_f32 v89, v42, v40, v89
	v_add_f64 v[40:41], v[30:31], v[38:39]
	v_add_f64 v[42:43], v[28:29], v[36:37]
	v_cvt_f32_f64_e32 v42, v[42:43]
	v_cvt_f32_f64_e32 v40, v[40:41]
	v_min3_f32 v88, v42, v40, v88
	;; [unrolled: 5-line block ×6, first 2 shown]
	v_add_f64 v[40:41], v[6:7], v[38:39]
	v_add_f64 v[42:43], v[4:5], v[36:37]
	;; [unrolled: 1-line block ×4, first 2 shown]
	s_waitcnt lgkmcnt(0)
	v_add_f64 v[34:35], v[34:35], v[22:23]
	v_add_f64 v[32:33], v[32:33], v[20:21]
	;; [unrolled: 1-line block ×16, first 2 shown]
	v_cvt_f32_f64_e32 v150, v[150:151]
	v_cvt_f32_f64_e32 v148, v[148:149]
	;; [unrolled: 1-line block ×32, first 2 shown]
	v_min3_f32 v133, v150, v148, v133
	v_min3_f32 v123, v146, v144, v123
	v_min3_f32 v115, v58, v56, v115
	v_min3_f32 v107, v54, v52, v107
	v_min3_f32 v99, v50, v48, v99
	v_min3_f32 v91, v46, v44, v91
	v_min3_f32 v83, v42, v40, v83
	v_min3_f32 v82, v36, v37, v82
	v_min3_f32 v81, v32, v33, v81
	v_min3_f32 v80, v28, v29, v80
	v_min3_f32 v79, v24, v25, v79
	v_min3_f32 v78, v16, v17, v78
	v_min3_f32 v77, v12, v13, v77
	v_min3_f32 v76, v8, v9, v76
	v_min3_f32 v75, v4, v5, v75
	v_min3_f32 v74, v0, v1, v74
	s_mov_b32 s30, 2
	s_mov_b64 s[28:29], 0
	s_cbranch_vccz .LBB121_29
; %bb.30:
	v_lshlrev_b32_e32 v0, 5, v143
	v_lshl_add_u32 v0, v140, 3, v0
	s_cmp_gt_i32 s26, 8
	s_mov_b32 s30, 8
	ds_write_b64 v0, v[64:65] offset:18432
	ds_write2st64_b64 v0, v[66:67], v[68:69] offset0:16 offset1:20
	ds_write2st64_b64 v0, v[70:71], v[72:73] offset0:24 offset1:28
	s_waitcnt lgkmcnt(0)
	s_barrier
	s_cbranch_scc0 .LBB121_57
; %bb.31:
	v_lshl_add_u64 v[62:63], v[62:63], 3, s[18:19]
	s_mov_b32 s18, -1
	v_add_u32_e32 v143, 0x4800, v0
	v_or_b32_e32 v144, 0x2000, v0
	s_add_i32 s31, s26, -8
	s_mov_b32 s38, 0
	s_mov_b32 s19, 0x7fefffff
.LBB121_32:                             ; =>This Loop Header: Depth=1
                                        ;     Child Loop BB121_43 Depth 2
                                        ;     Child Loop BB121_55 Depth 2
	v_add_u32_e32 v0, s30, v140
	v_cmp_le_i32_e32 vcc, s26, v0
	s_or_b64 s[28:29], s[2:3], vcc
	s_xor_b64 s[40:41], s[28:29], -1
	v_mov_b64_e32 v[64:65], s[18:19]
	s_and_saveexec_b64 s[28:29], s[40:41]
	s_cbranch_execz .LBB121_34
; %bb.33:                               ;   in Loop: Header=BB121_32 Depth=1
	v_mad_u64_u32 v[2:3], s[40:41], v0, s34, 0
	v_mov_b32_e32 v4, v3
	v_mad_u64_u32 v[4:5], s[40:41], v0, s35, v[4:5]
	v_mov_b32_e32 v3, v4
	v_lshl_add_u64 v[2:3], v[2:3], 3, v[62:63]
	flat_load_dwordx2 v[64:65], v[2:3]
.LBB121_34:                             ;   in Loop: Header=BB121_32 Depth=1
	s_or_b64 exec, exec, s[28:29]
	v_mad_u64_u32 v[2:3], s[28:29], v0, s36, 0
	v_mov_b32_e32 v4, v3
	v_mad_u64_u32 v[0:1], s[28:29], v0, s37, v[4:5]
	v_mov_b32_e32 v3, v0
	v_lshl_add_u64 v[0:1], v[2:3], 3, s[16:17]
	s_or_b64 s[28:29], s[4:5], vcc
	s_xor_b64 s[40:41], s[28:29], -1
	v_mov_b64_e32 v[66:67], s[18:19]
	v_lshl_add_u64 v[0:1], v[60:61], 3, v[0:1]
	s_and_saveexec_b64 s[28:29], s[40:41]
	s_cbranch_execz .LBB121_36
; %bb.35:                               ;   in Loop: Header=BB121_32 Depth=1
	flat_load_dwordx2 v[66:67], v[0:1]
.LBB121_36:                             ;   in Loop: Header=BB121_32 Depth=1
	s_or_b64 exec, exec, s[28:29]
	s_or_b64 s[28:29], s[6:7], vcc
	s_xor_b64 s[40:41], s[28:29], -1
	v_mov_b64_e32 v[68:69], s[18:19]
	s_and_saveexec_b64 s[28:29], s[40:41]
	s_cbranch_execz .LBB121_38
; %bb.37:                               ;   in Loop: Header=BB121_32 Depth=1
	flat_load_dwordx2 v[68:69], v[0:1] offset:512
.LBB121_38:                             ;   in Loop: Header=BB121_32 Depth=1
	s_or_b64 exec, exec, s[28:29]
	s_or_b64 s[28:29], s[8:9], vcc
	s_xor_b64 s[40:41], s[28:29], -1
	v_mov_b64_e32 v[70:71], s[18:19]
	s_and_saveexec_b64 s[28:29], s[40:41]
	s_cbranch_execz .LBB121_40
; %bb.39:                               ;   in Loop: Header=BB121_32 Depth=1
	flat_load_dwordx2 v[70:71], v[0:1] offset:1024
.LBB121_40:                             ;   in Loop: Header=BB121_32 Depth=1
	s_or_b64 exec, exec, s[28:29]
	s_or_b64 s[28:29], s[10:11], vcc
	s_xor_b64 s[40:41], s[28:29], -1
	v_mov_b64_e32 v[72:73], s[18:19]
	s_and_saveexec_b64 s[28:29], s[40:41]
	s_cbranch_execz .LBB121_42
; %bb.41:                               ;   in Loop: Header=BB121_32 Depth=1
	flat_load_dwordx2 v[72:73], v[0:1] offset:1536
.LBB121_42:                             ;   in Loop: Header=BB121_32 Depth=1
	s_or_b64 exec, exec, s[28:29]
	s_mov_b32 s39, 0
	s_mov_b64 s[28:29], -1
.LBB121_43:                             ;   Parent Loop BB121_32 Depth=1
                                        ; =>  This Inner Loop Header: Depth=2
	v_cndmask_b32_e64 v0, 0, 1, s[28:29]
	s_lshl_b32 s28, s39, 3
	v_cmp_ne_u32_e32 vcc, 1, v0
	v_lshl_add_u32 v0, v130, 5, s28
	v_lshl_add_u32 v20, v131, 5, s28
	ds_read_b128 v[32:35], v0 offset:18432
	ds_read_b128 v[28:31], v0 offset:18688
	;; [unrolled: 1-line block ×16, first 2 shown]
	s_waitcnt lgkmcnt(0)
	v_add_f64 v[150:151], v[34:35], v[148:149]
	v_add_f64 v[152:153], v[32:33], v[146:147]
	v_cvt_f32_f64_e32 v145, v[152:153]
	v_cvt_f32_f64_e32 v150, v[150:151]
	v_min3_f32 v139, v145, v150, v139
	v_add_f64 v[150:151], v[30:31], v[148:149]
	v_add_f64 v[152:153], v[28:29], v[146:147]
	v_cvt_f32_f64_e32 v145, v[152:153]
	v_cvt_f32_f64_e32 v150, v[150:151]
	v_min3_f32 v138, v145, v150, v138
	;; [unrolled: 5-line block ×6, first 2 shown]
	v_add_f64 v[150:151], v[6:7], v[148:149]
	v_add_f64 v[152:153], v[4:5], v[146:147]
	v_cvt_f32_f64_e32 v145, v[152:153]
	v_cvt_f32_f64_e32 v150, v[150:151]
	v_add_f64 v[148:149], v[2:3], v[148:149]
	v_add_f64 v[146:147], v[0:1], v[146:147]
	v_min3_f32 v133, v145, v150, v133
	v_cvt_f32_f64_e32 v145, v[146:147]
	v_cvt_f32_f64_e32 v146, v[148:149]
	v_min3_f32 v132, v145, v146, v132
	v_add_f64 v[146:147], v[34:35], v[58:59]
	v_add_f64 v[148:149], v[32:33], v[56:57]
	v_cvt_f32_f64_e32 v145, v[148:149]
	v_cvt_f32_f64_e32 v146, v[146:147]
	v_min3_f32 v129, v145, v146, v129
	v_add_f64 v[146:147], v[30:31], v[58:59]
	v_add_f64 v[148:149], v[28:29], v[56:57]
	v_cvt_f32_f64_e32 v145, v[148:149]
	v_cvt_f32_f64_e32 v146, v[146:147]
	v_min3_f32 v128, v145, v146, v128
	v_add_f64 v[146:147], v[26:27], v[58:59]
	v_add_f64 v[148:149], v[24:25], v[56:57]
	v_cvt_f32_f64_e32 v145, v[148:149]
	v_cvt_f32_f64_e32 v146, v[146:147]
	v_min3_f32 v127, v145, v146, v127
	v_add_f64 v[146:147], v[18:19], v[58:59]
	v_add_f64 v[148:149], v[16:17], v[56:57]
	v_cvt_f32_f64_e32 v145, v[148:149]
	v_cvt_f32_f64_e32 v146, v[146:147]
	v_min3_f32 v126, v145, v146, v126
	v_add_f64 v[146:147], v[14:15], v[58:59]
	v_add_f64 v[148:149], v[12:13], v[56:57]
	v_cvt_f32_f64_e32 v145, v[148:149]
	v_cvt_f32_f64_e32 v146, v[146:147]
	v_min3_f32 v125, v145, v146, v125
	v_add_f64 v[146:147], v[10:11], v[58:59]
	v_add_f64 v[148:149], v[8:9], v[56:57]
	v_cvt_f32_f64_e32 v145, v[148:149]
	v_cvt_f32_f64_e32 v146, v[146:147]
	v_min3_f32 v124, v145, v146, v124
	v_add_f64 v[146:147], v[6:7], v[58:59]
	v_add_f64 v[148:149], v[4:5], v[56:57]
	v_add_f64 v[58:59], v[2:3], v[58:59]
	v_add_f64 v[56:57], v[0:1], v[56:57]
	v_cvt_f32_f64_e32 v56, v[56:57]
	v_cvt_f32_f64_e32 v57, v[58:59]
	v_min3_f32 v122, v56, v57, v122
	v_add_f64 v[56:57], v[34:35], v[54:55]
	v_add_f64 v[58:59], v[32:33], v[52:53]
	v_cvt_f32_f64_e32 v58, v[58:59]
	v_cvt_f32_f64_e32 v56, v[56:57]
	v_min3_f32 v121, v58, v56, v121
	v_add_f64 v[56:57], v[30:31], v[54:55]
	v_add_f64 v[58:59], v[28:29], v[52:53]
	v_cvt_f32_f64_e32 v58, v[58:59]
	v_cvt_f32_f64_e32 v56, v[56:57]
	v_min3_f32 v120, v58, v56, v120
	v_add_f64 v[56:57], v[26:27], v[54:55]
	v_add_f64 v[58:59], v[24:25], v[52:53]
	v_cvt_f32_f64_e32 v58, v[58:59]
	v_cvt_f32_f64_e32 v56, v[56:57]
	v_min3_f32 v119, v58, v56, v119
	v_add_f64 v[56:57], v[18:19], v[54:55]
	v_add_f64 v[58:59], v[16:17], v[52:53]
	v_cvt_f32_f64_e32 v58, v[58:59]
	v_cvt_f32_f64_e32 v56, v[56:57]
	v_min3_f32 v118, v58, v56, v118
	v_add_f64 v[56:57], v[14:15], v[54:55]
	v_add_f64 v[58:59], v[12:13], v[52:53]
	v_cvt_f32_f64_e32 v58, v[58:59]
	v_cvt_f32_f64_e32 v56, v[56:57]
	v_min3_f32 v117, v58, v56, v117
	v_add_f64 v[56:57], v[10:11], v[54:55]
	v_add_f64 v[58:59], v[8:9], v[52:53]
	v_cvt_f32_f64_e32 v58, v[58:59]
	v_cvt_f32_f64_e32 v56, v[56:57]
	v_min3_f32 v116, v58, v56, v116
	v_add_f64 v[56:57], v[6:7], v[54:55]
	v_add_f64 v[58:59], v[4:5], v[52:53]
	v_add_f64 v[54:55], v[2:3], v[54:55]
	v_add_f64 v[52:53], v[0:1], v[52:53]
	;; [unrolled: 37-line block ×6, first 2 shown]
	v_add_f64 v[34:35], v[34:35], v[22:23]
	v_add_f64 v[32:33], v[32:33], v[20:21]
	;; [unrolled: 1-line block ×16, first 2 shown]
	v_cvt_f32_f64_e32 v145, v[148:149]
	v_cvt_f32_f64_e32 v146, v[146:147]
	;; [unrolled: 1-line block ×30, first 2 shown]
	v_min3_f32 v123, v145, v146, v123
	v_min3_f32 v115, v58, v56, v115
	;; [unrolled: 1-line block ×15, first 2 shown]
	s_mov_b32 s39, 2
	s_mov_b64 s[28:29], 0
	s_cbranch_vccz .LBB121_43
; %bb.44:                               ;   in Loop: Header=BB121_32 Depth=1
	v_add3_u32 v0, v140, s30, 4
	v_cmp_le_i32_e32 vcc, s26, v0
	s_or_b64 s[28:29], s[2:3], vcc
	s_waitcnt vmcnt(0)
	ds_write_b64 v142, v[64:65]
	ds_write2st64_b64 v141, v[66:67], v[68:69] offset1:4
	ds_write2st64_b64 v141, v[70:71], v[72:73] offset0:8 offset1:12
	s_xor_b64 s[40:41], s[28:29], -1
	v_mov_b64_e32 v[64:65], s[18:19]
	s_waitcnt lgkmcnt(0)
	s_barrier
	s_and_saveexec_b64 s[28:29], s[40:41]
	s_cbranch_execz .LBB121_46
; %bb.45:                               ;   in Loop: Header=BB121_32 Depth=1
	v_mad_u64_u32 v[2:3], s[40:41], v0, s34, 0
	v_mov_b32_e32 v4, v3
	v_mad_u64_u32 v[4:5], s[40:41], v0, s35, v[4:5]
	v_mov_b32_e32 v3, v4
	v_lshl_add_u64 v[2:3], v[2:3], 3, v[62:63]
	flat_load_dwordx2 v[64:65], v[2:3]
.LBB121_46:                             ;   in Loop: Header=BB121_32 Depth=1
	s_or_b64 exec, exec, s[28:29]
	v_mad_u64_u32 v[2:3], s[28:29], v0, s36, 0
	v_mov_b32_e32 v4, v3
	v_mad_u64_u32 v[0:1], s[28:29], v0, s37, v[4:5]
	v_mov_b32_e32 v3, v0
	v_lshl_add_u64 v[0:1], v[2:3], 3, s[16:17]
	s_or_b64 s[28:29], s[4:5], vcc
	s_xor_b64 s[40:41], s[28:29], -1
	v_mov_b64_e32 v[66:67], s[18:19]
	v_lshl_add_u64 v[0:1], v[60:61], 3, v[0:1]
	s_and_saveexec_b64 s[28:29], s[40:41]
	s_cbranch_execz .LBB121_48
; %bb.47:                               ;   in Loop: Header=BB121_32 Depth=1
	flat_load_dwordx2 v[66:67], v[0:1]
.LBB121_48:                             ;   in Loop: Header=BB121_32 Depth=1
	s_or_b64 exec, exec, s[28:29]
	s_or_b64 s[28:29], s[6:7], vcc
	s_xor_b64 s[40:41], s[28:29], -1
	v_mov_b64_e32 v[68:69], s[18:19]
	s_and_saveexec_b64 s[28:29], s[40:41]
	s_cbranch_execz .LBB121_50
; %bb.49:                               ;   in Loop: Header=BB121_32 Depth=1
	flat_load_dwordx2 v[68:69], v[0:1] offset:512
.LBB121_50:                             ;   in Loop: Header=BB121_32 Depth=1
	s_or_b64 exec, exec, s[28:29]
	s_or_b64 s[28:29], s[8:9], vcc
	s_xor_b64 s[40:41], s[28:29], -1
	v_mov_b64_e32 v[70:71], s[18:19]
	s_and_saveexec_b64 s[28:29], s[40:41]
	s_cbranch_execz .LBB121_52
; %bb.51:                               ;   in Loop: Header=BB121_32 Depth=1
	flat_load_dwordx2 v[70:71], v[0:1] offset:1024
.LBB121_52:                             ;   in Loop: Header=BB121_32 Depth=1
	;; [unrolled: 9-line block ×3, first 2 shown]
	s_or_b64 exec, exec, s[28:29]
	s_mov_b32 s39, 0
	s_mov_b64 s[28:29], -1
.LBB121_55:                             ;   Parent Loop BB121_32 Depth=1
                                        ; =>  This Inner Loop Header: Depth=2
	v_cndmask_b32_e64 v0, 0, 1, s[28:29]
	s_lshl_b32 s28, s39, 3
	v_cmp_ne_u32_e32 vcc, 1, v0
	v_lshl_add_u32 v0, v130, 5, s28
	v_lshl_add_u32 v20, v131, 5, s28
	ds_read_b128 v[32:35], v0 offset:16384
	ds_read_b128 v[28:31], v0 offset:16640
	;; [unrolled: 1-line block ×8, first 2 shown]
	ds_read_b128 v[146:149], v20
	ds_read_b128 v[56:59], v20 offset:1024
	ds_read_b128 v[52:55], v20 offset:2048
	;; [unrolled: 1-line block ×7, first 2 shown]
	s_waitcnt lgkmcnt(0)
	v_add_f64 v[150:151], v[34:35], v[148:149]
	v_add_f64 v[152:153], v[32:33], v[146:147]
	v_cvt_f32_f64_e32 v145, v[152:153]
	v_cvt_f32_f64_e32 v150, v[150:151]
	v_min3_f32 v139, v145, v150, v139
	v_add_f64 v[150:151], v[30:31], v[148:149]
	v_add_f64 v[152:153], v[28:29], v[146:147]
	v_cvt_f32_f64_e32 v145, v[152:153]
	v_cvt_f32_f64_e32 v150, v[150:151]
	v_min3_f32 v138, v145, v150, v138
	;; [unrolled: 5-line block ×6, first 2 shown]
	v_add_f64 v[150:151], v[6:7], v[148:149]
	v_add_f64 v[152:153], v[4:5], v[146:147]
	v_cvt_f32_f64_e32 v145, v[152:153]
	v_cvt_f32_f64_e32 v150, v[150:151]
	v_add_f64 v[148:149], v[2:3], v[148:149]
	v_add_f64 v[146:147], v[0:1], v[146:147]
	v_min3_f32 v133, v145, v150, v133
	v_cvt_f32_f64_e32 v145, v[146:147]
	v_cvt_f32_f64_e32 v146, v[148:149]
	v_min3_f32 v132, v145, v146, v132
	v_add_f64 v[146:147], v[34:35], v[58:59]
	v_add_f64 v[148:149], v[32:33], v[56:57]
	v_cvt_f32_f64_e32 v145, v[148:149]
	v_cvt_f32_f64_e32 v146, v[146:147]
	v_min3_f32 v129, v145, v146, v129
	v_add_f64 v[146:147], v[30:31], v[58:59]
	v_add_f64 v[148:149], v[28:29], v[56:57]
	v_cvt_f32_f64_e32 v145, v[148:149]
	v_cvt_f32_f64_e32 v146, v[146:147]
	v_min3_f32 v128, v145, v146, v128
	v_add_f64 v[146:147], v[26:27], v[58:59]
	v_add_f64 v[148:149], v[24:25], v[56:57]
	v_cvt_f32_f64_e32 v145, v[148:149]
	v_cvt_f32_f64_e32 v146, v[146:147]
	v_min3_f32 v127, v145, v146, v127
	v_add_f64 v[146:147], v[18:19], v[58:59]
	v_add_f64 v[148:149], v[16:17], v[56:57]
	v_cvt_f32_f64_e32 v145, v[148:149]
	v_cvt_f32_f64_e32 v146, v[146:147]
	v_min3_f32 v126, v145, v146, v126
	v_add_f64 v[146:147], v[14:15], v[58:59]
	v_add_f64 v[148:149], v[12:13], v[56:57]
	v_cvt_f32_f64_e32 v145, v[148:149]
	v_cvt_f32_f64_e32 v146, v[146:147]
	v_min3_f32 v125, v145, v146, v125
	v_add_f64 v[146:147], v[10:11], v[58:59]
	v_add_f64 v[148:149], v[8:9], v[56:57]
	v_cvt_f32_f64_e32 v145, v[148:149]
	v_cvt_f32_f64_e32 v146, v[146:147]
	v_min3_f32 v124, v145, v146, v124
	v_add_f64 v[146:147], v[6:7], v[58:59]
	v_add_f64 v[148:149], v[4:5], v[56:57]
	v_add_f64 v[58:59], v[2:3], v[58:59]
	v_add_f64 v[56:57], v[0:1], v[56:57]
	v_cvt_f32_f64_e32 v56, v[56:57]
	v_cvt_f32_f64_e32 v57, v[58:59]
	v_min3_f32 v122, v56, v57, v122
	v_add_f64 v[56:57], v[34:35], v[54:55]
	v_add_f64 v[58:59], v[32:33], v[52:53]
	v_cvt_f32_f64_e32 v58, v[58:59]
	v_cvt_f32_f64_e32 v56, v[56:57]
	v_min3_f32 v121, v58, v56, v121
	v_add_f64 v[56:57], v[30:31], v[54:55]
	v_add_f64 v[58:59], v[28:29], v[52:53]
	v_cvt_f32_f64_e32 v58, v[58:59]
	v_cvt_f32_f64_e32 v56, v[56:57]
	v_min3_f32 v120, v58, v56, v120
	v_add_f64 v[56:57], v[26:27], v[54:55]
	v_add_f64 v[58:59], v[24:25], v[52:53]
	v_cvt_f32_f64_e32 v58, v[58:59]
	v_cvt_f32_f64_e32 v56, v[56:57]
	v_min3_f32 v119, v58, v56, v119
	v_add_f64 v[56:57], v[18:19], v[54:55]
	v_add_f64 v[58:59], v[16:17], v[52:53]
	v_cvt_f32_f64_e32 v58, v[58:59]
	v_cvt_f32_f64_e32 v56, v[56:57]
	v_min3_f32 v118, v58, v56, v118
	v_add_f64 v[56:57], v[14:15], v[54:55]
	v_add_f64 v[58:59], v[12:13], v[52:53]
	v_cvt_f32_f64_e32 v58, v[58:59]
	v_cvt_f32_f64_e32 v56, v[56:57]
	v_min3_f32 v117, v58, v56, v117
	v_add_f64 v[56:57], v[10:11], v[54:55]
	v_add_f64 v[58:59], v[8:9], v[52:53]
	v_cvt_f32_f64_e32 v58, v[58:59]
	v_cvt_f32_f64_e32 v56, v[56:57]
	v_min3_f32 v116, v58, v56, v116
	v_add_f64 v[56:57], v[6:7], v[54:55]
	v_add_f64 v[58:59], v[4:5], v[52:53]
	v_add_f64 v[54:55], v[2:3], v[54:55]
	v_add_f64 v[52:53], v[0:1], v[52:53]
	;; [unrolled: 37-line block ×6, first 2 shown]
	v_add_f64 v[34:35], v[34:35], v[22:23]
	v_add_f64 v[32:33], v[32:33], v[20:21]
	;; [unrolled: 1-line block ×16, first 2 shown]
	v_cvt_f32_f64_e32 v145, v[148:149]
	v_cvt_f32_f64_e32 v146, v[146:147]
	;; [unrolled: 1-line block ×30, first 2 shown]
	v_min3_f32 v123, v145, v146, v123
	v_min3_f32 v115, v58, v56, v115
	;; [unrolled: 1-line block ×15, first 2 shown]
	s_mov_b32 s39, 2
	s_mov_b64 s[28:29], 0
	s_cbranch_vccz .LBB121_55
; %bb.56:                               ;   in Loop: Header=BB121_32 Depth=1
	s_add_i32 s30, s30, 8
	s_add_i32 s38, s38, 8
	s_cmp_ge_i32 s38, s31
	s_waitcnt vmcnt(0)
	ds_write_b64 v143, v[64:65]
	ds_write2st64_b64 v144, v[66:67], v[68:69] offset1:4
	ds_write2st64_b64 v144, v[70:71], v[72:73] offset0:8 offset1:12
	s_waitcnt lgkmcnt(0)
	s_barrier
	s_cbranch_scc0 .LBB121_32
.LBB121_57:
	s_mov_b32 s4, 0
	s_mov_b64 s[2:3], -1
.LBB121_58:                             ; =>This Inner Loop Header: Depth=1
	v_cndmask_b32_e64 v0, 0, 1, s[2:3]
	s_lshl_b32 s2, s4, 3
	v_cmp_ne_u32_e32 vcc, 1, v0
	v_lshl_add_u32 v0, v130, 5, s2
	v_lshl_add_u32 v20, v131, 5, s2
	ds_read_b128 v[32:35], v0 offset:18432
	ds_read_b128 v[28:31], v0 offset:18688
	;; [unrolled: 1-line block ×16, first 2 shown]
	s_waitcnt lgkmcnt(7)
	v_add_f64 v[64:65], v[34:35], v[62:63]
	v_add_f64 v[66:67], v[32:33], v[60:61]
	v_cvt_f32_f64_e32 v66, v[66:67]
	v_cvt_f32_f64_e32 v64, v[64:65]
	v_min3_f32 v139, v66, v64, v139
	v_add_f64 v[64:65], v[30:31], v[62:63]
	v_add_f64 v[66:67], v[28:29], v[60:61]
	v_cvt_f32_f64_e32 v66, v[66:67]
	v_cvt_f32_f64_e32 v64, v[64:65]
	v_min3_f32 v138, v66, v64, v138
	v_add_f64 v[64:65], v[26:27], v[62:63]
	v_add_f64 v[66:67], v[24:25], v[60:61]
	v_cvt_f32_f64_e32 v66, v[66:67]
	v_cvt_f32_f64_e32 v64, v[64:65]
	v_min3_f32 v137, v66, v64, v137
	v_add_f64 v[64:65], v[18:19], v[62:63]
	v_add_f64 v[66:67], v[16:17], v[60:61]
	v_cvt_f32_f64_e32 v66, v[66:67]
	v_cvt_f32_f64_e32 v64, v[64:65]
	v_min3_f32 v136, v66, v64, v136
	v_add_f64 v[64:65], v[14:15], v[62:63]
	v_add_f64 v[66:67], v[12:13], v[60:61]
	v_cvt_f32_f64_e32 v66, v[66:67]
	v_cvt_f32_f64_e32 v64, v[64:65]
	v_min3_f32 v135, v66, v64, v135
	v_add_f64 v[64:65], v[10:11], v[62:63]
	v_add_f64 v[66:67], v[8:9], v[60:61]
	v_cvt_f32_f64_e32 v66, v[66:67]
	v_cvt_f32_f64_e32 v64, v[64:65]
	v_min3_f32 v134, v66, v64, v134
	v_add_f64 v[64:65], v[6:7], v[62:63]
	v_add_f64 v[66:67], v[4:5], v[60:61]
	v_add_f64 v[62:63], v[2:3], v[62:63]
	v_add_f64 v[60:61], v[0:1], v[60:61]
	v_cvt_f32_f64_e32 v60, v[60:61]
	v_cvt_f32_f64_e32 v61, v[62:63]
	v_min3_f32 v132, v60, v61, v132
	s_waitcnt lgkmcnt(6)
	v_add_f64 v[60:61], v[34:35], v[58:59]
	v_add_f64 v[62:63], v[32:33], v[56:57]
	v_cvt_f32_f64_e32 v62, v[62:63]
	v_cvt_f32_f64_e32 v60, v[60:61]
	v_min3_f32 v129, v62, v60, v129
	v_add_f64 v[60:61], v[30:31], v[58:59]
	v_add_f64 v[62:63], v[28:29], v[56:57]
	v_cvt_f32_f64_e32 v62, v[62:63]
	v_cvt_f32_f64_e32 v60, v[60:61]
	v_min3_f32 v128, v62, v60, v128
	v_add_f64 v[60:61], v[26:27], v[58:59]
	v_add_f64 v[62:63], v[24:25], v[56:57]
	v_cvt_f32_f64_e32 v62, v[62:63]
	v_cvt_f32_f64_e32 v60, v[60:61]
	v_min3_f32 v127, v62, v60, v127
	v_add_f64 v[60:61], v[18:19], v[58:59]
	v_add_f64 v[62:63], v[16:17], v[56:57]
	v_cvt_f32_f64_e32 v62, v[62:63]
	v_cvt_f32_f64_e32 v60, v[60:61]
	v_min3_f32 v126, v62, v60, v126
	v_add_f64 v[60:61], v[14:15], v[58:59]
	v_add_f64 v[62:63], v[12:13], v[56:57]
	v_cvt_f32_f64_e32 v62, v[62:63]
	v_cvt_f32_f64_e32 v60, v[60:61]
	v_min3_f32 v125, v62, v60, v125
	v_add_f64 v[60:61], v[10:11], v[58:59]
	v_add_f64 v[62:63], v[8:9], v[56:57]
	v_cvt_f32_f64_e32 v62, v[62:63]
	v_cvt_f32_f64_e32 v60, v[60:61]
	v_min3_f32 v124, v62, v60, v124
	v_add_f64 v[60:61], v[6:7], v[58:59]
	v_add_f64 v[62:63], v[4:5], v[56:57]
	v_add_f64 v[58:59], v[2:3], v[58:59]
	v_add_f64 v[56:57], v[0:1], v[56:57]
	v_cvt_f32_f64_e32 v56, v[56:57]
	v_cvt_f32_f64_e32 v57, v[58:59]
	v_min3_f32 v122, v56, v57, v122
	;; [unrolled: 38-line block ×6, first 2 shown]
	s_waitcnt lgkmcnt(1)
	v_add_f64 v[40:41], v[34:35], v[38:39]
	v_add_f64 v[42:43], v[32:33], v[36:37]
	v_cvt_f32_f64_e32 v42, v[42:43]
	v_cvt_f32_f64_e32 v40, v[40:41]
	v_min3_f32 v89, v42, v40, v89
	v_add_f64 v[40:41], v[30:31], v[38:39]
	v_add_f64 v[42:43], v[28:29], v[36:37]
	v_cvt_f32_f64_e32 v42, v[42:43]
	v_cvt_f32_f64_e32 v40, v[40:41]
	v_min3_f32 v88, v42, v40, v88
	;; [unrolled: 5-line block ×6, first 2 shown]
	v_add_f64 v[40:41], v[6:7], v[38:39]
	v_add_f64 v[42:43], v[4:5], v[36:37]
	;; [unrolled: 1-line block ×4, first 2 shown]
	s_waitcnt lgkmcnt(0)
	v_add_f64 v[34:35], v[34:35], v[22:23]
	v_add_f64 v[32:33], v[32:33], v[20:21]
	;; [unrolled: 1-line block ×16, first 2 shown]
	v_cvt_f32_f64_e32 v66, v[66:67]
	v_cvt_f32_f64_e32 v64, v[64:65]
	;; [unrolled: 1-line block ×32, first 2 shown]
	v_min3_f32 v133, v66, v64, v133
	v_min3_f32 v123, v62, v60, v123
	;; [unrolled: 1-line block ×16, first 2 shown]
	s_mov_b32 s4, 2
	s_mov_b64 s[2:3], 0
	s_cbranch_vccz .LBB121_58
; %bb.59:
	s_load_dwordx2 s[2:3], s[0:1], 0x78
	s_load_dword s31, s[0:1], 0x58
	s_load_dword s30, s[0:1], 0x70
	v_add_u32_e32 v22, s33, v131
	v_add_u32_e32 v0, s27, v130
	s_waitcnt lgkmcnt(0)
	s_lshl_b64 s[0:1], s[2:3], 3
	s_add_u32 s26, s14, s0
	s_addc_u32 s27, s15, s1
	v_mad_i64_i32 v[2:3], s[0:1], v22, s31, 0
	v_lshl_add_u64 v[18:19], v[2:3], 3, s[20:21]
	v_mad_i64_i32 v[2:3], s[0:1], v22, s30, 0
	v_cmp_gt_i32_e64 s[2:3], s24, v0
	v_cmp_gt_i32_e64 s[18:19], s25, v22
	v_lshl_add_u64 v[16:17], v[2:3], 3, s[26:27]
	v_cndmask_b32_e64 v2, 0, 1, s[12:13]
	v_ashrrev_i32_e32 v1, 31, v0
	s_and_b64 s[6:7], s[2:3], s[18:19]
	v_cmp_ne_u32_e64 s[0:1], 1, v2
	s_and_saveexec_b64 s[4:5], s[6:7]
	s_cbranch_execz .LBB121_64
; %bb.60:
	s_and_b64 vcc, exec, s[0:1]
	s_cbranch_vccnz .LBB121_62
; %bb.61:
	v_lshl_add_u64 v[2:3], v[0:1], 3, v[18:19]
	flat_load_dwordx2 v[2:3], v[2:3]
	s_waitcnt vmcnt(0) lgkmcnt(0)
	v_mul_f64 v[2:3], v[2:3], s[22:23]
	s_branch .LBB121_63
.LBB121_62:
	v_mov_b64_e32 v[2:3], 0
.LBB121_63:
	v_cvt_f32_f64_e32 v2, v[2:3]
	v_max_f32_e32 v3, v139, v139
	v_min_f32_e32 v2, v2, v3
	v_cvt_f64_f32_e32 v[2:3], v2
	v_lshl_add_u64 v[4:5], v[0:1], 3, v[16:17]
	global_store_dwordx2 v[4:5], v[2:3], off
.LBB121_64:
	s_or_b64 exec, exec, s[4:5]
	v_add_u32_e32 v2, 8, v0
	v_cmp_gt_i32_e64 s[4:5], s24, v2
	v_ashrrev_i32_e32 v3, 31, v2
	s_and_b64 s[8:9], s[4:5], s[18:19]
	s_and_saveexec_b64 s[6:7], s[8:9]
	s_cbranch_execz .LBB121_69
; %bb.65:
	s_and_b64 vcc, exec, s[0:1]
	s_cbranch_vccnz .LBB121_67
; %bb.66:
	v_lshl_add_u64 v[4:5], v[2:3], 3, v[18:19]
	flat_load_dwordx2 v[4:5], v[4:5]
	s_waitcnt vmcnt(0) lgkmcnt(0)
	v_mul_f64 v[4:5], v[4:5], s[22:23]
	s_branch .LBB121_68
.LBB121_67:
	v_mov_b64_e32 v[4:5], 0
.LBB121_68:
	v_cvt_f32_f64_e32 v4, v[4:5]
	v_max_f32_e32 v5, v138, v138
	v_min_f32_e32 v4, v4, v5
	v_cvt_f64_f32_e32 v[4:5], v4
	v_lshl_add_u64 v[6:7], v[2:3], 3, v[16:17]
	global_store_dwordx2 v[6:7], v[4:5], off
.LBB121_69:
	s_or_b64 exec, exec, s[6:7]
	v_add_u32_e32 v4, 16, v0
	v_cmp_gt_i32_e64 s[6:7], s24, v4
	v_ashrrev_i32_e32 v5, 31, v4
	s_and_b64 s[10:11], s[6:7], s[18:19]
	;; [unrolled: 26-line block ×7, first 2 shown]
	s_and_saveexec_b64 s[18:19], s[28:29]
	s_cbranch_execz .LBB121_99
; %bb.95:
	s_and_b64 vcc, exec, s[0:1]
	s_cbranch_vccnz .LBB121_97
; %bb.96:
	v_lshl_add_u64 v[18:19], v[14:15], 3, v[18:19]
	flat_load_dwordx2 v[18:19], v[18:19]
	s_waitcnt vmcnt(0) lgkmcnt(0)
	v_mul_f64 v[18:19], v[18:19], s[22:23]
	s_branch .LBB121_98
.LBB121_97:
	v_mov_b64_e32 v[18:19], 0
.LBB121_98:
	v_cvt_f32_f64_e32 v18, v[18:19]
	v_max_f32_e32 v19, v132, v132
	v_min_f32_e32 v18, v18, v19
	v_cvt_f64_f32_e32 v[18:19], v18
	v_lshl_add_u64 v[16:17], v[14:15], 3, v[16:17]
	global_store_dwordx2 v[16:17], v[18:19], off
.LBB121_99:
	s_or_b64 exec, exec, s[18:19]
	v_add_u32_e32 v20, 32, v22
	v_mad_i64_i32 v[16:17], s[28:29], v20, s31, 0
	v_cmp_gt_i32_e64 s[18:19], s25, v20
	v_lshl_add_u64 v[18:19], v[16:17], 3, s[20:21]
	v_mad_i64_i32 v[16:17], s[28:29], v20, s30, 0
	v_lshl_add_u64 v[16:17], v[16:17], 3, s[26:27]
	s_and_b64 s[34:35], s[2:3], s[18:19]
	s_and_saveexec_b64 s[28:29], s[34:35]
	s_cbranch_execnz .LBB121_107
; %bb.100:
	s_or_b64 exec, exec, s[28:29]
	s_and_b64 s[34:35], s[4:5], s[18:19]
	s_and_saveexec_b64 s[28:29], s[34:35]
	s_cbranch_execnz .LBB121_111
.LBB121_101:
	s_or_b64 exec, exec, s[28:29]
	s_and_b64 s[34:35], s[6:7], s[18:19]
	s_and_saveexec_b64 s[28:29], s[34:35]
	s_cbranch_execnz .LBB121_115
.LBB121_102:
	s_or_b64 exec, exec, s[28:29]
	s_and_b64 s[34:35], s[8:9], s[18:19]
	s_and_saveexec_b64 s[28:29], s[34:35]
	s_cbranch_execnz .LBB121_119
.LBB121_103:
	s_or_b64 exec, exec, s[28:29]
	s_and_b64 s[34:35], s[10:11], s[18:19]
	s_and_saveexec_b64 s[28:29], s[34:35]
	s_cbranch_execnz .LBB121_123
.LBB121_104:
	s_or_b64 exec, exec, s[28:29]
	s_and_b64 s[34:35], s[12:13], s[18:19]
	s_and_saveexec_b64 s[28:29], s[34:35]
	s_cbranch_execnz .LBB121_127
.LBB121_105:
	s_or_b64 exec, exec, s[28:29]
	s_and_b64 s[34:35], s[14:15], s[18:19]
	s_and_saveexec_b64 s[28:29], s[34:35]
	s_cbranch_execnz .LBB121_131
.LBB121_106:
	s_or_b64 exec, exec, s[28:29]
	s_and_b64 s[28:29], s[16:17], s[18:19]
	s_and_saveexec_b64 s[18:19], s[28:29]
	s_cbranch_execnz .LBB121_135
	s_branch .LBB121_139
.LBB121_107:
	s_and_b64 vcc, exec, s[0:1]
	s_cbranch_vccnz .LBB121_109
; %bb.108:
	v_lshl_add_u64 v[20:21], v[0:1], 3, v[18:19]
	flat_load_dwordx2 v[20:21], v[20:21]
	s_waitcnt vmcnt(0) lgkmcnt(0)
	v_mul_f64 v[20:21], v[20:21], s[22:23]
	s_branch .LBB121_110
.LBB121_109:
	v_mov_b64_e32 v[20:21], 0
.LBB121_110:
	v_cvt_f32_f64_e32 v20, v[20:21]
	v_max_f32_e32 v21, v129, v129
	v_min_f32_e32 v20, v20, v21
	v_cvt_f64_f32_e32 v[20:21], v20
	v_lshl_add_u64 v[24:25], v[0:1], 3, v[16:17]
	global_store_dwordx2 v[24:25], v[20:21], off
	s_or_b64 exec, exec, s[28:29]
	s_and_b64 s[34:35], s[4:5], s[18:19]
	s_and_saveexec_b64 s[28:29], s[34:35]
	s_cbranch_execz .LBB121_101
.LBB121_111:
	s_and_b64 vcc, exec, s[0:1]
	s_cbranch_vccnz .LBB121_113
; %bb.112:
	v_lshl_add_u64 v[20:21], v[2:3], 3, v[18:19]
	flat_load_dwordx2 v[20:21], v[20:21]
	s_waitcnt vmcnt(0) lgkmcnt(0)
	v_mul_f64 v[20:21], v[20:21], s[22:23]
	s_branch .LBB121_114
.LBB121_113:
	v_mov_b64_e32 v[20:21], 0
.LBB121_114:
	v_cvt_f32_f64_e32 v20, v[20:21]
	v_max_f32_e32 v21, v128, v128
	v_min_f32_e32 v20, v20, v21
	v_cvt_f64_f32_e32 v[20:21], v20
	v_lshl_add_u64 v[24:25], v[2:3], 3, v[16:17]
	global_store_dwordx2 v[24:25], v[20:21], off
	s_or_b64 exec, exec, s[28:29]
	s_and_b64 s[34:35], s[6:7], s[18:19]
	s_and_saveexec_b64 s[28:29], s[34:35]
	s_cbranch_execz .LBB121_102
.LBB121_115:
	s_and_b64 vcc, exec, s[0:1]
	s_cbranch_vccnz .LBB121_117
; %bb.116:
	v_lshl_add_u64 v[20:21], v[4:5], 3, v[18:19]
	flat_load_dwordx2 v[20:21], v[20:21]
	s_waitcnt vmcnt(0) lgkmcnt(0)
	v_mul_f64 v[20:21], v[20:21], s[22:23]
	s_branch .LBB121_118
.LBB121_117:
	v_mov_b64_e32 v[20:21], 0
.LBB121_118:
	v_cvt_f32_f64_e32 v20, v[20:21]
	v_max_f32_e32 v21, v127, v127
	v_min_f32_e32 v20, v20, v21
	v_cvt_f64_f32_e32 v[20:21], v20
	v_lshl_add_u64 v[24:25], v[4:5], 3, v[16:17]
	global_store_dwordx2 v[24:25], v[20:21], off
	s_or_b64 exec, exec, s[28:29]
	s_and_b64 s[34:35], s[8:9], s[18:19]
	s_and_saveexec_b64 s[28:29], s[34:35]
	s_cbranch_execz .LBB121_103
.LBB121_119:
	s_and_b64 vcc, exec, s[0:1]
	s_cbranch_vccnz .LBB121_121
; %bb.120:
	v_lshl_add_u64 v[20:21], v[6:7], 3, v[18:19]
	flat_load_dwordx2 v[20:21], v[20:21]
	s_waitcnt vmcnt(0) lgkmcnt(0)
	v_mul_f64 v[20:21], v[20:21], s[22:23]
	s_branch .LBB121_122
.LBB121_121:
	v_mov_b64_e32 v[20:21], 0
.LBB121_122:
	v_cvt_f32_f64_e32 v20, v[20:21]
	v_max_f32_e32 v21, v126, v126
	v_min_f32_e32 v20, v20, v21
	v_cvt_f64_f32_e32 v[20:21], v20
	v_lshl_add_u64 v[24:25], v[6:7], 3, v[16:17]
	global_store_dwordx2 v[24:25], v[20:21], off
	s_or_b64 exec, exec, s[28:29]
	s_and_b64 s[34:35], s[10:11], s[18:19]
	s_and_saveexec_b64 s[28:29], s[34:35]
	s_cbranch_execz .LBB121_104
.LBB121_123:
	s_and_b64 vcc, exec, s[0:1]
	s_cbranch_vccnz .LBB121_125
; %bb.124:
	v_lshl_add_u64 v[20:21], v[8:9], 3, v[18:19]
	flat_load_dwordx2 v[20:21], v[20:21]
	s_waitcnt vmcnt(0) lgkmcnt(0)
	v_mul_f64 v[20:21], v[20:21], s[22:23]
	s_branch .LBB121_126
.LBB121_125:
	v_mov_b64_e32 v[20:21], 0
.LBB121_126:
	v_cvt_f32_f64_e32 v20, v[20:21]
	v_max_f32_e32 v21, v125, v125
	v_min_f32_e32 v20, v20, v21
	v_cvt_f64_f32_e32 v[20:21], v20
	v_lshl_add_u64 v[24:25], v[8:9], 3, v[16:17]
	global_store_dwordx2 v[24:25], v[20:21], off
	s_or_b64 exec, exec, s[28:29]
	s_and_b64 s[34:35], s[12:13], s[18:19]
	s_and_saveexec_b64 s[28:29], s[34:35]
	s_cbranch_execz .LBB121_105
.LBB121_127:
	s_and_b64 vcc, exec, s[0:1]
	s_cbranch_vccnz .LBB121_129
; %bb.128:
	v_lshl_add_u64 v[20:21], v[10:11], 3, v[18:19]
	flat_load_dwordx2 v[20:21], v[20:21]
	s_waitcnt vmcnt(0) lgkmcnt(0)
	v_mul_f64 v[20:21], v[20:21], s[22:23]
	s_branch .LBB121_130
.LBB121_129:
	v_mov_b64_e32 v[20:21], 0
.LBB121_130:
	v_cvt_f32_f64_e32 v20, v[20:21]
	v_max_f32_e32 v21, v124, v124
	v_min_f32_e32 v20, v20, v21
	v_cvt_f64_f32_e32 v[20:21], v20
	v_lshl_add_u64 v[24:25], v[10:11], 3, v[16:17]
	global_store_dwordx2 v[24:25], v[20:21], off
	s_or_b64 exec, exec, s[28:29]
	s_and_b64 s[34:35], s[14:15], s[18:19]
	s_and_saveexec_b64 s[28:29], s[34:35]
	s_cbranch_execz .LBB121_106
.LBB121_131:
	s_and_b64 vcc, exec, s[0:1]
	s_cbranch_vccnz .LBB121_133
; %bb.132:
	v_lshl_add_u64 v[20:21], v[12:13], 3, v[18:19]
	flat_load_dwordx2 v[20:21], v[20:21]
	s_waitcnt vmcnt(0) lgkmcnt(0)
	v_mul_f64 v[20:21], v[20:21], s[22:23]
	s_branch .LBB121_134
.LBB121_133:
	v_mov_b64_e32 v[20:21], 0
.LBB121_134:
	v_cvt_f32_f64_e32 v20, v[20:21]
	v_max_f32_e32 v21, v123, v123
	v_min_f32_e32 v20, v20, v21
	v_cvt_f64_f32_e32 v[20:21], v20
	v_lshl_add_u64 v[24:25], v[12:13], 3, v[16:17]
	global_store_dwordx2 v[24:25], v[20:21], off
	s_or_b64 exec, exec, s[28:29]
	s_and_b64 s[28:29], s[16:17], s[18:19]
	s_and_saveexec_b64 s[18:19], s[28:29]
	s_cbranch_execz .LBB121_139
.LBB121_135:
	s_and_b64 vcc, exec, s[0:1]
	s_cbranch_vccnz .LBB121_137
; %bb.136:
	v_lshl_add_u64 v[18:19], v[14:15], 3, v[18:19]
	flat_load_dwordx2 v[18:19], v[18:19]
	s_waitcnt vmcnt(0) lgkmcnt(0)
	v_mul_f64 v[18:19], v[18:19], s[22:23]
	s_branch .LBB121_138
.LBB121_137:
	v_mov_b64_e32 v[18:19], 0
.LBB121_138:
	v_cvt_f32_f64_e32 v18, v[18:19]
	v_max_f32_e32 v19, v122, v122
	v_min_f32_e32 v18, v18, v19
	v_cvt_f64_f32_e32 v[18:19], v18
	v_lshl_add_u64 v[16:17], v[14:15], 3, v[16:17]
	global_store_dwordx2 v[16:17], v[18:19], off
.LBB121_139:
	s_or_b64 exec, exec, s[18:19]
	v_add_u32_e32 v20, 64, v22
	v_mad_i64_i32 v[16:17], s[28:29], v20, s31, 0
	v_cmp_gt_i32_e64 s[18:19], s25, v20
	v_lshl_add_u64 v[18:19], v[16:17], 3, s[20:21]
	v_mad_i64_i32 v[16:17], s[28:29], v20, s30, 0
	v_lshl_add_u64 v[16:17], v[16:17], 3, s[26:27]
	s_and_b64 s[34:35], s[2:3], s[18:19]
	s_and_saveexec_b64 s[28:29], s[34:35]
	s_cbranch_execnz .LBB121_147
; %bb.140:
	s_or_b64 exec, exec, s[28:29]
	s_and_b64 s[34:35], s[4:5], s[18:19]
	s_and_saveexec_b64 s[28:29], s[34:35]
	s_cbranch_execnz .LBB121_151
.LBB121_141:
	s_or_b64 exec, exec, s[28:29]
	s_and_b64 s[34:35], s[6:7], s[18:19]
	s_and_saveexec_b64 s[28:29], s[34:35]
	s_cbranch_execnz .LBB121_155
.LBB121_142:
	s_or_b64 exec, exec, s[28:29]
	s_and_b64 s[34:35], s[8:9], s[18:19]
	s_and_saveexec_b64 s[28:29], s[34:35]
	s_cbranch_execnz .LBB121_159
.LBB121_143:
	s_or_b64 exec, exec, s[28:29]
	s_and_b64 s[34:35], s[10:11], s[18:19]
	s_and_saveexec_b64 s[28:29], s[34:35]
	s_cbranch_execnz .LBB121_163
.LBB121_144:
	s_or_b64 exec, exec, s[28:29]
	s_and_b64 s[34:35], s[12:13], s[18:19]
	s_and_saveexec_b64 s[28:29], s[34:35]
	s_cbranch_execnz .LBB121_167
.LBB121_145:
	s_or_b64 exec, exec, s[28:29]
	s_and_b64 s[34:35], s[14:15], s[18:19]
	s_and_saveexec_b64 s[28:29], s[34:35]
	s_cbranch_execnz .LBB121_171
.LBB121_146:
	s_or_b64 exec, exec, s[28:29]
	s_and_b64 s[28:29], s[16:17], s[18:19]
	s_and_saveexec_b64 s[18:19], s[28:29]
	s_cbranch_execnz .LBB121_175
	s_branch .LBB121_179
.LBB121_147:
	s_and_b64 vcc, exec, s[0:1]
	s_cbranch_vccnz .LBB121_149
; %bb.148:
	v_lshl_add_u64 v[20:21], v[0:1], 3, v[18:19]
	flat_load_dwordx2 v[20:21], v[20:21]
	s_waitcnt vmcnt(0) lgkmcnt(0)
	v_mul_f64 v[20:21], v[20:21], s[22:23]
	s_branch .LBB121_150
.LBB121_149:
	v_mov_b64_e32 v[20:21], 0
.LBB121_150:
	v_cvt_f32_f64_e32 v20, v[20:21]
	v_max_f32_e32 v21, v121, v121
	v_min_f32_e32 v20, v20, v21
	v_cvt_f64_f32_e32 v[20:21], v20
	v_lshl_add_u64 v[24:25], v[0:1], 3, v[16:17]
	global_store_dwordx2 v[24:25], v[20:21], off
	s_or_b64 exec, exec, s[28:29]
	s_and_b64 s[34:35], s[4:5], s[18:19]
	s_and_saveexec_b64 s[28:29], s[34:35]
	s_cbranch_execz .LBB121_141
.LBB121_151:
	s_and_b64 vcc, exec, s[0:1]
	s_cbranch_vccnz .LBB121_153
; %bb.152:
	v_lshl_add_u64 v[20:21], v[2:3], 3, v[18:19]
	flat_load_dwordx2 v[20:21], v[20:21]
	s_waitcnt vmcnt(0) lgkmcnt(0)
	v_mul_f64 v[20:21], v[20:21], s[22:23]
	s_branch .LBB121_154
.LBB121_153:
	v_mov_b64_e32 v[20:21], 0
.LBB121_154:
	v_cvt_f32_f64_e32 v20, v[20:21]
	v_max_f32_e32 v21, v120, v120
	v_min_f32_e32 v20, v20, v21
	v_cvt_f64_f32_e32 v[20:21], v20
	v_lshl_add_u64 v[24:25], v[2:3], 3, v[16:17]
	global_store_dwordx2 v[24:25], v[20:21], off
	s_or_b64 exec, exec, s[28:29]
	s_and_b64 s[34:35], s[6:7], s[18:19]
	s_and_saveexec_b64 s[28:29], s[34:35]
	s_cbranch_execz .LBB121_142
.LBB121_155:
	s_and_b64 vcc, exec, s[0:1]
	s_cbranch_vccnz .LBB121_157
; %bb.156:
	v_lshl_add_u64 v[20:21], v[4:5], 3, v[18:19]
	flat_load_dwordx2 v[20:21], v[20:21]
	s_waitcnt vmcnt(0) lgkmcnt(0)
	v_mul_f64 v[20:21], v[20:21], s[22:23]
	s_branch .LBB121_158
.LBB121_157:
	v_mov_b64_e32 v[20:21], 0
.LBB121_158:
	v_cvt_f32_f64_e32 v20, v[20:21]
	v_max_f32_e32 v21, v119, v119
	v_min_f32_e32 v20, v20, v21
	v_cvt_f64_f32_e32 v[20:21], v20
	v_lshl_add_u64 v[24:25], v[4:5], 3, v[16:17]
	global_store_dwordx2 v[24:25], v[20:21], off
	s_or_b64 exec, exec, s[28:29]
	s_and_b64 s[34:35], s[8:9], s[18:19]
	s_and_saveexec_b64 s[28:29], s[34:35]
	s_cbranch_execz .LBB121_143
.LBB121_159:
	s_and_b64 vcc, exec, s[0:1]
	s_cbranch_vccnz .LBB121_161
; %bb.160:
	v_lshl_add_u64 v[20:21], v[6:7], 3, v[18:19]
	flat_load_dwordx2 v[20:21], v[20:21]
	s_waitcnt vmcnt(0) lgkmcnt(0)
	v_mul_f64 v[20:21], v[20:21], s[22:23]
	s_branch .LBB121_162
.LBB121_161:
	v_mov_b64_e32 v[20:21], 0
.LBB121_162:
	v_cvt_f32_f64_e32 v20, v[20:21]
	v_max_f32_e32 v21, v118, v118
	v_min_f32_e32 v20, v20, v21
	v_cvt_f64_f32_e32 v[20:21], v20
	v_lshl_add_u64 v[24:25], v[6:7], 3, v[16:17]
	global_store_dwordx2 v[24:25], v[20:21], off
	s_or_b64 exec, exec, s[28:29]
	s_and_b64 s[34:35], s[10:11], s[18:19]
	s_and_saveexec_b64 s[28:29], s[34:35]
	s_cbranch_execz .LBB121_144
.LBB121_163:
	s_and_b64 vcc, exec, s[0:1]
	s_cbranch_vccnz .LBB121_165
; %bb.164:
	v_lshl_add_u64 v[20:21], v[8:9], 3, v[18:19]
	flat_load_dwordx2 v[20:21], v[20:21]
	s_waitcnt vmcnt(0) lgkmcnt(0)
	v_mul_f64 v[20:21], v[20:21], s[22:23]
	s_branch .LBB121_166
.LBB121_165:
	v_mov_b64_e32 v[20:21], 0
.LBB121_166:
	v_cvt_f32_f64_e32 v20, v[20:21]
	v_max_f32_e32 v21, v117, v117
	v_min_f32_e32 v20, v20, v21
	v_cvt_f64_f32_e32 v[20:21], v20
	v_lshl_add_u64 v[24:25], v[8:9], 3, v[16:17]
	global_store_dwordx2 v[24:25], v[20:21], off
	s_or_b64 exec, exec, s[28:29]
	s_and_b64 s[34:35], s[12:13], s[18:19]
	s_and_saveexec_b64 s[28:29], s[34:35]
	s_cbranch_execz .LBB121_145
.LBB121_167:
	s_and_b64 vcc, exec, s[0:1]
	s_cbranch_vccnz .LBB121_169
; %bb.168:
	v_lshl_add_u64 v[20:21], v[10:11], 3, v[18:19]
	flat_load_dwordx2 v[20:21], v[20:21]
	s_waitcnt vmcnt(0) lgkmcnt(0)
	v_mul_f64 v[20:21], v[20:21], s[22:23]
	s_branch .LBB121_170
.LBB121_169:
	v_mov_b64_e32 v[20:21], 0
.LBB121_170:
	v_cvt_f32_f64_e32 v20, v[20:21]
	v_max_f32_e32 v21, v116, v116
	v_min_f32_e32 v20, v20, v21
	v_cvt_f64_f32_e32 v[20:21], v20
	v_lshl_add_u64 v[24:25], v[10:11], 3, v[16:17]
	global_store_dwordx2 v[24:25], v[20:21], off
	s_or_b64 exec, exec, s[28:29]
	s_and_b64 s[34:35], s[14:15], s[18:19]
	s_and_saveexec_b64 s[28:29], s[34:35]
	s_cbranch_execz .LBB121_146
.LBB121_171:
	s_and_b64 vcc, exec, s[0:1]
	s_cbranch_vccnz .LBB121_173
; %bb.172:
	v_lshl_add_u64 v[20:21], v[12:13], 3, v[18:19]
	flat_load_dwordx2 v[20:21], v[20:21]
	s_waitcnt vmcnt(0) lgkmcnt(0)
	v_mul_f64 v[20:21], v[20:21], s[22:23]
	s_branch .LBB121_174
.LBB121_173:
	v_mov_b64_e32 v[20:21], 0
.LBB121_174:
	v_cvt_f32_f64_e32 v20, v[20:21]
	v_max_f32_e32 v21, v115, v115
	v_min_f32_e32 v20, v20, v21
	v_cvt_f64_f32_e32 v[20:21], v20
	v_lshl_add_u64 v[24:25], v[12:13], 3, v[16:17]
	global_store_dwordx2 v[24:25], v[20:21], off
	s_or_b64 exec, exec, s[28:29]
	s_and_b64 s[28:29], s[16:17], s[18:19]
	s_and_saveexec_b64 s[18:19], s[28:29]
	s_cbranch_execz .LBB121_179
.LBB121_175:
	s_and_b64 vcc, exec, s[0:1]
	s_cbranch_vccnz .LBB121_177
; %bb.176:
	v_lshl_add_u64 v[18:19], v[14:15], 3, v[18:19]
	flat_load_dwordx2 v[18:19], v[18:19]
	s_waitcnt vmcnt(0) lgkmcnt(0)
	v_mul_f64 v[18:19], v[18:19], s[22:23]
	s_branch .LBB121_178
.LBB121_177:
	v_mov_b64_e32 v[18:19], 0
.LBB121_178:
	v_cvt_f32_f64_e32 v18, v[18:19]
	v_max_f32_e32 v19, v114, v114
	v_min_f32_e32 v18, v18, v19
	v_cvt_f64_f32_e32 v[18:19], v18
	v_lshl_add_u64 v[16:17], v[14:15], 3, v[16:17]
	global_store_dwordx2 v[16:17], v[18:19], off
.LBB121_179:
	s_or_b64 exec, exec, s[18:19]
	v_add_u32_e32 v20, 0x60, v22
	v_mad_i64_i32 v[16:17], s[28:29], v20, s31, 0
	v_cmp_gt_i32_e64 s[18:19], s25, v20
	v_lshl_add_u64 v[18:19], v[16:17], 3, s[20:21]
	v_mad_i64_i32 v[16:17], s[28:29], v20, s30, 0
	v_lshl_add_u64 v[16:17], v[16:17], 3, s[26:27]
	s_and_b64 s[34:35], s[2:3], s[18:19]
	s_and_saveexec_b64 s[28:29], s[34:35]
	s_cbranch_execnz .LBB121_187
; %bb.180:
	s_or_b64 exec, exec, s[28:29]
	s_and_b64 s[34:35], s[4:5], s[18:19]
	s_and_saveexec_b64 s[28:29], s[34:35]
	s_cbranch_execnz .LBB121_191
.LBB121_181:
	s_or_b64 exec, exec, s[28:29]
	s_and_b64 s[34:35], s[6:7], s[18:19]
	s_and_saveexec_b64 s[28:29], s[34:35]
	s_cbranch_execnz .LBB121_195
.LBB121_182:
	s_or_b64 exec, exec, s[28:29]
	s_and_b64 s[34:35], s[8:9], s[18:19]
	s_and_saveexec_b64 s[28:29], s[34:35]
	s_cbranch_execnz .LBB121_199
.LBB121_183:
	s_or_b64 exec, exec, s[28:29]
	s_and_b64 s[34:35], s[10:11], s[18:19]
	s_and_saveexec_b64 s[28:29], s[34:35]
	s_cbranch_execnz .LBB121_203
.LBB121_184:
	s_or_b64 exec, exec, s[28:29]
	s_and_b64 s[34:35], s[12:13], s[18:19]
	s_and_saveexec_b64 s[28:29], s[34:35]
	s_cbranch_execnz .LBB121_207
.LBB121_185:
	s_or_b64 exec, exec, s[28:29]
	s_and_b64 s[34:35], s[14:15], s[18:19]
	s_and_saveexec_b64 s[28:29], s[34:35]
	s_cbranch_execnz .LBB121_211
.LBB121_186:
	s_or_b64 exec, exec, s[28:29]
	s_and_b64 s[28:29], s[16:17], s[18:19]
	s_and_saveexec_b64 s[18:19], s[28:29]
	s_cbranch_execnz .LBB121_215
	s_branch .LBB121_219
.LBB121_187:
	s_and_b64 vcc, exec, s[0:1]
	s_cbranch_vccnz .LBB121_189
; %bb.188:
	v_lshl_add_u64 v[20:21], v[0:1], 3, v[18:19]
	flat_load_dwordx2 v[20:21], v[20:21]
	s_waitcnt vmcnt(0) lgkmcnt(0)
	v_mul_f64 v[20:21], v[20:21], s[22:23]
	s_branch .LBB121_190
.LBB121_189:
	v_mov_b64_e32 v[20:21], 0
.LBB121_190:
	v_cvt_f32_f64_e32 v20, v[20:21]
	v_max_f32_e32 v21, v113, v113
	v_min_f32_e32 v20, v20, v21
	v_cvt_f64_f32_e32 v[20:21], v20
	v_lshl_add_u64 v[24:25], v[0:1], 3, v[16:17]
	global_store_dwordx2 v[24:25], v[20:21], off
	s_or_b64 exec, exec, s[28:29]
	s_and_b64 s[34:35], s[4:5], s[18:19]
	s_and_saveexec_b64 s[28:29], s[34:35]
	s_cbranch_execz .LBB121_181
.LBB121_191:
	s_and_b64 vcc, exec, s[0:1]
	s_cbranch_vccnz .LBB121_193
; %bb.192:
	v_lshl_add_u64 v[20:21], v[2:3], 3, v[18:19]
	flat_load_dwordx2 v[20:21], v[20:21]
	s_waitcnt vmcnt(0) lgkmcnt(0)
	v_mul_f64 v[20:21], v[20:21], s[22:23]
	s_branch .LBB121_194
.LBB121_193:
	v_mov_b64_e32 v[20:21], 0
.LBB121_194:
	v_cvt_f32_f64_e32 v20, v[20:21]
	v_max_f32_e32 v21, v112, v112
	v_min_f32_e32 v20, v20, v21
	v_cvt_f64_f32_e32 v[20:21], v20
	v_lshl_add_u64 v[24:25], v[2:3], 3, v[16:17]
	global_store_dwordx2 v[24:25], v[20:21], off
	s_or_b64 exec, exec, s[28:29]
	s_and_b64 s[34:35], s[6:7], s[18:19]
	s_and_saveexec_b64 s[28:29], s[34:35]
	s_cbranch_execz .LBB121_182
.LBB121_195:
	s_and_b64 vcc, exec, s[0:1]
	s_cbranch_vccnz .LBB121_197
; %bb.196:
	v_lshl_add_u64 v[20:21], v[4:5], 3, v[18:19]
	flat_load_dwordx2 v[20:21], v[20:21]
	s_waitcnt vmcnt(0) lgkmcnt(0)
	v_mul_f64 v[20:21], v[20:21], s[22:23]
	s_branch .LBB121_198
.LBB121_197:
	v_mov_b64_e32 v[20:21], 0
.LBB121_198:
	v_cvt_f32_f64_e32 v20, v[20:21]
	v_max_f32_e32 v21, v111, v111
	v_min_f32_e32 v20, v20, v21
	v_cvt_f64_f32_e32 v[20:21], v20
	v_lshl_add_u64 v[24:25], v[4:5], 3, v[16:17]
	global_store_dwordx2 v[24:25], v[20:21], off
	s_or_b64 exec, exec, s[28:29]
	s_and_b64 s[34:35], s[8:9], s[18:19]
	s_and_saveexec_b64 s[28:29], s[34:35]
	s_cbranch_execz .LBB121_183
.LBB121_199:
	s_and_b64 vcc, exec, s[0:1]
	s_cbranch_vccnz .LBB121_201
; %bb.200:
	v_lshl_add_u64 v[20:21], v[6:7], 3, v[18:19]
	flat_load_dwordx2 v[20:21], v[20:21]
	s_waitcnt vmcnt(0) lgkmcnt(0)
	v_mul_f64 v[20:21], v[20:21], s[22:23]
	s_branch .LBB121_202
.LBB121_201:
	v_mov_b64_e32 v[20:21], 0
.LBB121_202:
	v_cvt_f32_f64_e32 v20, v[20:21]
	v_max_f32_e32 v21, v110, v110
	v_min_f32_e32 v20, v20, v21
	v_cvt_f64_f32_e32 v[20:21], v20
	v_lshl_add_u64 v[24:25], v[6:7], 3, v[16:17]
	global_store_dwordx2 v[24:25], v[20:21], off
	s_or_b64 exec, exec, s[28:29]
	s_and_b64 s[34:35], s[10:11], s[18:19]
	s_and_saveexec_b64 s[28:29], s[34:35]
	s_cbranch_execz .LBB121_184
.LBB121_203:
	s_and_b64 vcc, exec, s[0:1]
	s_cbranch_vccnz .LBB121_205
; %bb.204:
	v_lshl_add_u64 v[20:21], v[8:9], 3, v[18:19]
	flat_load_dwordx2 v[20:21], v[20:21]
	s_waitcnt vmcnt(0) lgkmcnt(0)
	v_mul_f64 v[20:21], v[20:21], s[22:23]
	s_branch .LBB121_206
.LBB121_205:
	v_mov_b64_e32 v[20:21], 0
.LBB121_206:
	v_cvt_f32_f64_e32 v20, v[20:21]
	v_max_f32_e32 v21, v109, v109
	v_min_f32_e32 v20, v20, v21
	v_cvt_f64_f32_e32 v[20:21], v20
	v_lshl_add_u64 v[24:25], v[8:9], 3, v[16:17]
	global_store_dwordx2 v[24:25], v[20:21], off
	s_or_b64 exec, exec, s[28:29]
	s_and_b64 s[34:35], s[12:13], s[18:19]
	s_and_saveexec_b64 s[28:29], s[34:35]
	s_cbranch_execz .LBB121_185
.LBB121_207:
	s_and_b64 vcc, exec, s[0:1]
	s_cbranch_vccnz .LBB121_209
; %bb.208:
	v_lshl_add_u64 v[20:21], v[10:11], 3, v[18:19]
	flat_load_dwordx2 v[20:21], v[20:21]
	s_waitcnt vmcnt(0) lgkmcnt(0)
	v_mul_f64 v[20:21], v[20:21], s[22:23]
	s_branch .LBB121_210
.LBB121_209:
	v_mov_b64_e32 v[20:21], 0
.LBB121_210:
	v_cvt_f32_f64_e32 v20, v[20:21]
	v_max_f32_e32 v21, v108, v108
	v_min_f32_e32 v20, v20, v21
	v_cvt_f64_f32_e32 v[20:21], v20
	v_lshl_add_u64 v[24:25], v[10:11], 3, v[16:17]
	global_store_dwordx2 v[24:25], v[20:21], off
	s_or_b64 exec, exec, s[28:29]
	s_and_b64 s[34:35], s[14:15], s[18:19]
	s_and_saveexec_b64 s[28:29], s[34:35]
	s_cbranch_execz .LBB121_186
.LBB121_211:
	s_and_b64 vcc, exec, s[0:1]
	s_cbranch_vccnz .LBB121_213
; %bb.212:
	v_lshl_add_u64 v[20:21], v[12:13], 3, v[18:19]
	flat_load_dwordx2 v[20:21], v[20:21]
	s_waitcnt vmcnt(0) lgkmcnt(0)
	v_mul_f64 v[20:21], v[20:21], s[22:23]
	s_branch .LBB121_214
.LBB121_213:
	v_mov_b64_e32 v[20:21], 0
.LBB121_214:
	v_cvt_f32_f64_e32 v20, v[20:21]
	v_max_f32_e32 v21, v107, v107
	v_min_f32_e32 v20, v20, v21
	v_cvt_f64_f32_e32 v[20:21], v20
	v_lshl_add_u64 v[24:25], v[12:13], 3, v[16:17]
	global_store_dwordx2 v[24:25], v[20:21], off
	s_or_b64 exec, exec, s[28:29]
	s_and_b64 s[28:29], s[16:17], s[18:19]
	s_and_saveexec_b64 s[18:19], s[28:29]
	s_cbranch_execz .LBB121_219
.LBB121_215:
	s_and_b64 vcc, exec, s[0:1]
	s_cbranch_vccnz .LBB121_217
; %bb.216:
	v_lshl_add_u64 v[18:19], v[14:15], 3, v[18:19]
	flat_load_dwordx2 v[18:19], v[18:19]
	s_waitcnt vmcnt(0) lgkmcnt(0)
	v_mul_f64 v[18:19], v[18:19], s[22:23]
	s_branch .LBB121_218
.LBB121_217:
	v_mov_b64_e32 v[18:19], 0
.LBB121_218:
	v_cvt_f32_f64_e32 v18, v[18:19]
	v_max_f32_e32 v19, v106, v106
	v_min_f32_e32 v18, v18, v19
	v_cvt_f64_f32_e32 v[18:19], v18
	v_lshl_add_u64 v[16:17], v[14:15], 3, v[16:17]
	global_store_dwordx2 v[16:17], v[18:19], off
.LBB121_219:
	s_or_b64 exec, exec, s[18:19]
	v_add_u32_e32 v20, 0x80, v22
	v_mad_i64_i32 v[16:17], s[28:29], v20, s31, 0
	v_cmp_gt_i32_e64 s[18:19], s25, v20
	v_lshl_add_u64 v[18:19], v[16:17], 3, s[20:21]
	v_mad_i64_i32 v[16:17], s[28:29], v20, s30, 0
	v_lshl_add_u64 v[16:17], v[16:17], 3, s[26:27]
	s_and_b64 s[34:35], s[2:3], s[18:19]
	s_and_saveexec_b64 s[28:29], s[34:35]
	s_cbranch_execnz .LBB121_227
; %bb.220:
	s_or_b64 exec, exec, s[28:29]
	s_and_b64 s[34:35], s[4:5], s[18:19]
	s_and_saveexec_b64 s[28:29], s[34:35]
	s_cbranch_execnz .LBB121_231
.LBB121_221:
	s_or_b64 exec, exec, s[28:29]
	s_and_b64 s[34:35], s[6:7], s[18:19]
	s_and_saveexec_b64 s[28:29], s[34:35]
	s_cbranch_execnz .LBB121_235
.LBB121_222:
	s_or_b64 exec, exec, s[28:29]
	s_and_b64 s[34:35], s[8:9], s[18:19]
	s_and_saveexec_b64 s[28:29], s[34:35]
	s_cbranch_execnz .LBB121_239
.LBB121_223:
	s_or_b64 exec, exec, s[28:29]
	s_and_b64 s[34:35], s[10:11], s[18:19]
	s_and_saveexec_b64 s[28:29], s[34:35]
	s_cbranch_execnz .LBB121_243
.LBB121_224:
	s_or_b64 exec, exec, s[28:29]
	s_and_b64 s[34:35], s[12:13], s[18:19]
	s_and_saveexec_b64 s[28:29], s[34:35]
	s_cbranch_execnz .LBB121_247
.LBB121_225:
	s_or_b64 exec, exec, s[28:29]
	s_and_b64 s[34:35], s[14:15], s[18:19]
	s_and_saveexec_b64 s[28:29], s[34:35]
	s_cbranch_execnz .LBB121_251
.LBB121_226:
	s_or_b64 exec, exec, s[28:29]
	s_and_b64 s[28:29], s[16:17], s[18:19]
	s_and_saveexec_b64 s[18:19], s[28:29]
	s_cbranch_execnz .LBB121_255
	s_branch .LBB121_259
.LBB121_227:
	s_and_b64 vcc, exec, s[0:1]
	s_cbranch_vccnz .LBB121_229
; %bb.228:
	v_lshl_add_u64 v[20:21], v[0:1], 3, v[18:19]
	flat_load_dwordx2 v[20:21], v[20:21]
	s_waitcnt vmcnt(0) lgkmcnt(0)
	v_mul_f64 v[20:21], v[20:21], s[22:23]
	s_branch .LBB121_230
.LBB121_229:
	v_mov_b64_e32 v[20:21], 0
.LBB121_230:
	v_cvt_f32_f64_e32 v20, v[20:21]
	v_max_f32_e32 v21, v105, v105
	v_min_f32_e32 v20, v20, v21
	v_cvt_f64_f32_e32 v[20:21], v20
	v_lshl_add_u64 v[24:25], v[0:1], 3, v[16:17]
	global_store_dwordx2 v[24:25], v[20:21], off
	s_or_b64 exec, exec, s[28:29]
	s_and_b64 s[34:35], s[4:5], s[18:19]
	s_and_saveexec_b64 s[28:29], s[34:35]
	s_cbranch_execz .LBB121_221
.LBB121_231:
	s_and_b64 vcc, exec, s[0:1]
	s_cbranch_vccnz .LBB121_233
; %bb.232:
	v_lshl_add_u64 v[20:21], v[2:3], 3, v[18:19]
	flat_load_dwordx2 v[20:21], v[20:21]
	s_waitcnt vmcnt(0) lgkmcnt(0)
	v_mul_f64 v[20:21], v[20:21], s[22:23]
	s_branch .LBB121_234
.LBB121_233:
	v_mov_b64_e32 v[20:21], 0
.LBB121_234:
	v_cvt_f32_f64_e32 v20, v[20:21]
	v_max_f32_e32 v21, v104, v104
	v_min_f32_e32 v20, v20, v21
	v_cvt_f64_f32_e32 v[20:21], v20
	v_lshl_add_u64 v[24:25], v[2:3], 3, v[16:17]
	global_store_dwordx2 v[24:25], v[20:21], off
	s_or_b64 exec, exec, s[28:29]
	s_and_b64 s[34:35], s[6:7], s[18:19]
	s_and_saveexec_b64 s[28:29], s[34:35]
	s_cbranch_execz .LBB121_222
.LBB121_235:
	s_and_b64 vcc, exec, s[0:1]
	s_cbranch_vccnz .LBB121_237
; %bb.236:
	v_lshl_add_u64 v[20:21], v[4:5], 3, v[18:19]
	flat_load_dwordx2 v[20:21], v[20:21]
	s_waitcnt vmcnt(0) lgkmcnt(0)
	v_mul_f64 v[20:21], v[20:21], s[22:23]
	s_branch .LBB121_238
.LBB121_237:
	v_mov_b64_e32 v[20:21], 0
.LBB121_238:
	v_cvt_f32_f64_e32 v20, v[20:21]
	v_max_f32_e32 v21, v103, v103
	v_min_f32_e32 v20, v20, v21
	v_cvt_f64_f32_e32 v[20:21], v20
	v_lshl_add_u64 v[24:25], v[4:5], 3, v[16:17]
	global_store_dwordx2 v[24:25], v[20:21], off
	s_or_b64 exec, exec, s[28:29]
	s_and_b64 s[34:35], s[8:9], s[18:19]
	s_and_saveexec_b64 s[28:29], s[34:35]
	s_cbranch_execz .LBB121_223
.LBB121_239:
	s_and_b64 vcc, exec, s[0:1]
	s_cbranch_vccnz .LBB121_241
; %bb.240:
	v_lshl_add_u64 v[20:21], v[6:7], 3, v[18:19]
	flat_load_dwordx2 v[20:21], v[20:21]
	s_waitcnt vmcnt(0) lgkmcnt(0)
	v_mul_f64 v[20:21], v[20:21], s[22:23]
	s_branch .LBB121_242
.LBB121_241:
	v_mov_b64_e32 v[20:21], 0
.LBB121_242:
	v_cvt_f32_f64_e32 v20, v[20:21]
	v_max_f32_e32 v21, v102, v102
	v_min_f32_e32 v20, v20, v21
	v_cvt_f64_f32_e32 v[20:21], v20
	v_lshl_add_u64 v[24:25], v[6:7], 3, v[16:17]
	global_store_dwordx2 v[24:25], v[20:21], off
	s_or_b64 exec, exec, s[28:29]
	s_and_b64 s[34:35], s[10:11], s[18:19]
	s_and_saveexec_b64 s[28:29], s[34:35]
	s_cbranch_execz .LBB121_224
.LBB121_243:
	s_and_b64 vcc, exec, s[0:1]
	s_cbranch_vccnz .LBB121_245
; %bb.244:
	v_lshl_add_u64 v[20:21], v[8:9], 3, v[18:19]
	flat_load_dwordx2 v[20:21], v[20:21]
	s_waitcnt vmcnt(0) lgkmcnt(0)
	v_mul_f64 v[20:21], v[20:21], s[22:23]
	s_branch .LBB121_246
.LBB121_245:
	v_mov_b64_e32 v[20:21], 0
.LBB121_246:
	v_cvt_f32_f64_e32 v20, v[20:21]
	v_max_f32_e32 v21, v101, v101
	v_min_f32_e32 v20, v20, v21
	v_cvt_f64_f32_e32 v[20:21], v20
	v_lshl_add_u64 v[24:25], v[8:9], 3, v[16:17]
	global_store_dwordx2 v[24:25], v[20:21], off
	s_or_b64 exec, exec, s[28:29]
	s_and_b64 s[34:35], s[12:13], s[18:19]
	s_and_saveexec_b64 s[28:29], s[34:35]
	s_cbranch_execz .LBB121_225
.LBB121_247:
	s_and_b64 vcc, exec, s[0:1]
	s_cbranch_vccnz .LBB121_249
; %bb.248:
	v_lshl_add_u64 v[20:21], v[10:11], 3, v[18:19]
	flat_load_dwordx2 v[20:21], v[20:21]
	s_waitcnt vmcnt(0) lgkmcnt(0)
	v_mul_f64 v[20:21], v[20:21], s[22:23]
	s_branch .LBB121_250
.LBB121_249:
	v_mov_b64_e32 v[20:21], 0
.LBB121_250:
	v_cvt_f32_f64_e32 v20, v[20:21]
	v_max_f32_e32 v21, v100, v100
	v_min_f32_e32 v20, v20, v21
	v_cvt_f64_f32_e32 v[20:21], v20
	v_lshl_add_u64 v[24:25], v[10:11], 3, v[16:17]
	global_store_dwordx2 v[24:25], v[20:21], off
	s_or_b64 exec, exec, s[28:29]
	s_and_b64 s[34:35], s[14:15], s[18:19]
	s_and_saveexec_b64 s[28:29], s[34:35]
	s_cbranch_execz .LBB121_226
.LBB121_251:
	s_and_b64 vcc, exec, s[0:1]
	s_cbranch_vccnz .LBB121_253
; %bb.252:
	v_lshl_add_u64 v[20:21], v[12:13], 3, v[18:19]
	flat_load_dwordx2 v[20:21], v[20:21]
	s_waitcnt vmcnt(0) lgkmcnt(0)
	v_mul_f64 v[20:21], v[20:21], s[22:23]
	s_branch .LBB121_254
.LBB121_253:
	v_mov_b64_e32 v[20:21], 0
.LBB121_254:
	v_cvt_f32_f64_e32 v20, v[20:21]
	v_max_f32_e32 v21, v99, v99
	v_min_f32_e32 v20, v20, v21
	v_cvt_f64_f32_e32 v[20:21], v20
	v_lshl_add_u64 v[24:25], v[12:13], 3, v[16:17]
	global_store_dwordx2 v[24:25], v[20:21], off
	s_or_b64 exec, exec, s[28:29]
	s_and_b64 s[28:29], s[16:17], s[18:19]
	s_and_saveexec_b64 s[18:19], s[28:29]
	s_cbranch_execz .LBB121_259
.LBB121_255:
	s_and_b64 vcc, exec, s[0:1]
	s_cbranch_vccnz .LBB121_257
; %bb.256:
	v_lshl_add_u64 v[18:19], v[14:15], 3, v[18:19]
	flat_load_dwordx2 v[18:19], v[18:19]
	s_waitcnt vmcnt(0) lgkmcnt(0)
	v_mul_f64 v[18:19], v[18:19], s[22:23]
	s_branch .LBB121_258
.LBB121_257:
	v_mov_b64_e32 v[18:19], 0
.LBB121_258:
	v_cvt_f32_f64_e32 v18, v[18:19]
	v_max_f32_e32 v19, v98, v98
	v_min_f32_e32 v18, v18, v19
	v_cvt_f64_f32_e32 v[18:19], v18
	v_lshl_add_u64 v[16:17], v[14:15], 3, v[16:17]
	global_store_dwordx2 v[16:17], v[18:19], off
.LBB121_259:
	s_or_b64 exec, exec, s[18:19]
	v_add_u32_e32 v20, 0xa0, v22
	v_mad_i64_i32 v[16:17], s[28:29], v20, s31, 0
	v_cmp_gt_i32_e64 s[18:19], s25, v20
	v_lshl_add_u64 v[18:19], v[16:17], 3, s[20:21]
	v_mad_i64_i32 v[16:17], s[28:29], v20, s30, 0
	v_lshl_add_u64 v[16:17], v[16:17], 3, s[26:27]
	s_and_b64 s[34:35], s[2:3], s[18:19]
	s_and_saveexec_b64 s[28:29], s[34:35]
	s_cbranch_execnz .LBB121_267
; %bb.260:
	s_or_b64 exec, exec, s[28:29]
	s_and_b64 s[34:35], s[4:5], s[18:19]
	s_and_saveexec_b64 s[28:29], s[34:35]
	s_cbranch_execnz .LBB121_271
.LBB121_261:
	s_or_b64 exec, exec, s[28:29]
	s_and_b64 s[34:35], s[6:7], s[18:19]
	s_and_saveexec_b64 s[28:29], s[34:35]
	s_cbranch_execnz .LBB121_275
.LBB121_262:
	s_or_b64 exec, exec, s[28:29]
	s_and_b64 s[34:35], s[8:9], s[18:19]
	s_and_saveexec_b64 s[28:29], s[34:35]
	s_cbranch_execnz .LBB121_279
.LBB121_263:
	s_or_b64 exec, exec, s[28:29]
	s_and_b64 s[34:35], s[10:11], s[18:19]
	s_and_saveexec_b64 s[28:29], s[34:35]
	s_cbranch_execnz .LBB121_283
.LBB121_264:
	s_or_b64 exec, exec, s[28:29]
	s_and_b64 s[34:35], s[12:13], s[18:19]
	s_and_saveexec_b64 s[28:29], s[34:35]
	s_cbranch_execnz .LBB121_287
.LBB121_265:
	s_or_b64 exec, exec, s[28:29]
	s_and_b64 s[34:35], s[14:15], s[18:19]
	s_and_saveexec_b64 s[28:29], s[34:35]
	s_cbranch_execnz .LBB121_291
.LBB121_266:
	s_or_b64 exec, exec, s[28:29]
	s_and_b64 s[28:29], s[16:17], s[18:19]
	s_and_saveexec_b64 s[18:19], s[28:29]
	s_cbranch_execnz .LBB121_295
	s_branch .LBB121_299
.LBB121_267:
	s_and_b64 vcc, exec, s[0:1]
	s_cbranch_vccnz .LBB121_269
; %bb.268:
	v_lshl_add_u64 v[20:21], v[0:1], 3, v[18:19]
	flat_load_dwordx2 v[20:21], v[20:21]
	s_waitcnt vmcnt(0) lgkmcnt(0)
	v_mul_f64 v[20:21], v[20:21], s[22:23]
	s_branch .LBB121_270
.LBB121_269:
	v_mov_b64_e32 v[20:21], 0
.LBB121_270:
	v_cvt_f32_f64_e32 v20, v[20:21]
	v_max_f32_e32 v21, v97, v97
	v_min_f32_e32 v20, v20, v21
	v_cvt_f64_f32_e32 v[20:21], v20
	v_lshl_add_u64 v[24:25], v[0:1], 3, v[16:17]
	global_store_dwordx2 v[24:25], v[20:21], off
	s_or_b64 exec, exec, s[28:29]
	s_and_b64 s[34:35], s[4:5], s[18:19]
	s_and_saveexec_b64 s[28:29], s[34:35]
	s_cbranch_execz .LBB121_261
.LBB121_271:
	s_and_b64 vcc, exec, s[0:1]
	s_cbranch_vccnz .LBB121_273
; %bb.272:
	v_lshl_add_u64 v[20:21], v[2:3], 3, v[18:19]
	flat_load_dwordx2 v[20:21], v[20:21]
	s_waitcnt vmcnt(0) lgkmcnt(0)
	v_mul_f64 v[20:21], v[20:21], s[22:23]
	s_branch .LBB121_274
.LBB121_273:
	v_mov_b64_e32 v[20:21], 0
.LBB121_274:
	v_cvt_f32_f64_e32 v20, v[20:21]
	v_max_f32_e32 v21, v96, v96
	v_min_f32_e32 v20, v20, v21
	v_cvt_f64_f32_e32 v[20:21], v20
	v_lshl_add_u64 v[24:25], v[2:3], 3, v[16:17]
	global_store_dwordx2 v[24:25], v[20:21], off
	s_or_b64 exec, exec, s[28:29]
	s_and_b64 s[34:35], s[6:7], s[18:19]
	s_and_saveexec_b64 s[28:29], s[34:35]
	s_cbranch_execz .LBB121_262
.LBB121_275:
	s_and_b64 vcc, exec, s[0:1]
	s_cbranch_vccnz .LBB121_277
; %bb.276:
	v_lshl_add_u64 v[20:21], v[4:5], 3, v[18:19]
	flat_load_dwordx2 v[20:21], v[20:21]
	s_waitcnt vmcnt(0) lgkmcnt(0)
	v_mul_f64 v[20:21], v[20:21], s[22:23]
	s_branch .LBB121_278
.LBB121_277:
	v_mov_b64_e32 v[20:21], 0
.LBB121_278:
	v_cvt_f32_f64_e32 v20, v[20:21]
	v_max_f32_e32 v21, v95, v95
	v_min_f32_e32 v20, v20, v21
	v_cvt_f64_f32_e32 v[20:21], v20
	v_lshl_add_u64 v[24:25], v[4:5], 3, v[16:17]
	global_store_dwordx2 v[24:25], v[20:21], off
	s_or_b64 exec, exec, s[28:29]
	s_and_b64 s[34:35], s[8:9], s[18:19]
	s_and_saveexec_b64 s[28:29], s[34:35]
	s_cbranch_execz .LBB121_263
.LBB121_279:
	s_and_b64 vcc, exec, s[0:1]
	s_cbranch_vccnz .LBB121_281
; %bb.280:
	v_lshl_add_u64 v[20:21], v[6:7], 3, v[18:19]
	flat_load_dwordx2 v[20:21], v[20:21]
	s_waitcnt vmcnt(0) lgkmcnt(0)
	v_mul_f64 v[20:21], v[20:21], s[22:23]
	s_branch .LBB121_282
.LBB121_281:
	v_mov_b64_e32 v[20:21], 0
.LBB121_282:
	v_cvt_f32_f64_e32 v20, v[20:21]
	v_max_f32_e32 v21, v94, v94
	v_min_f32_e32 v20, v20, v21
	v_cvt_f64_f32_e32 v[20:21], v20
	v_lshl_add_u64 v[24:25], v[6:7], 3, v[16:17]
	global_store_dwordx2 v[24:25], v[20:21], off
	s_or_b64 exec, exec, s[28:29]
	s_and_b64 s[34:35], s[10:11], s[18:19]
	s_and_saveexec_b64 s[28:29], s[34:35]
	s_cbranch_execz .LBB121_264
.LBB121_283:
	s_and_b64 vcc, exec, s[0:1]
	s_cbranch_vccnz .LBB121_285
; %bb.284:
	v_lshl_add_u64 v[20:21], v[8:9], 3, v[18:19]
	flat_load_dwordx2 v[20:21], v[20:21]
	s_waitcnt vmcnt(0) lgkmcnt(0)
	v_mul_f64 v[20:21], v[20:21], s[22:23]
	s_branch .LBB121_286
.LBB121_285:
	v_mov_b64_e32 v[20:21], 0
.LBB121_286:
	v_cvt_f32_f64_e32 v20, v[20:21]
	v_max_f32_e32 v21, v93, v93
	v_min_f32_e32 v20, v20, v21
	v_cvt_f64_f32_e32 v[20:21], v20
	v_lshl_add_u64 v[24:25], v[8:9], 3, v[16:17]
	global_store_dwordx2 v[24:25], v[20:21], off
	s_or_b64 exec, exec, s[28:29]
	s_and_b64 s[34:35], s[12:13], s[18:19]
	s_and_saveexec_b64 s[28:29], s[34:35]
	s_cbranch_execz .LBB121_265
.LBB121_287:
	s_and_b64 vcc, exec, s[0:1]
	s_cbranch_vccnz .LBB121_289
; %bb.288:
	v_lshl_add_u64 v[20:21], v[10:11], 3, v[18:19]
	flat_load_dwordx2 v[20:21], v[20:21]
	s_waitcnt vmcnt(0) lgkmcnt(0)
	v_mul_f64 v[20:21], v[20:21], s[22:23]
	s_branch .LBB121_290
.LBB121_289:
	v_mov_b64_e32 v[20:21], 0
.LBB121_290:
	v_cvt_f32_f64_e32 v20, v[20:21]
	v_max_f32_e32 v21, v92, v92
	v_min_f32_e32 v20, v20, v21
	v_cvt_f64_f32_e32 v[20:21], v20
	v_lshl_add_u64 v[24:25], v[10:11], 3, v[16:17]
	global_store_dwordx2 v[24:25], v[20:21], off
	s_or_b64 exec, exec, s[28:29]
	s_and_b64 s[34:35], s[14:15], s[18:19]
	s_and_saveexec_b64 s[28:29], s[34:35]
	s_cbranch_execz .LBB121_266
.LBB121_291:
	s_and_b64 vcc, exec, s[0:1]
	s_cbranch_vccnz .LBB121_293
; %bb.292:
	v_lshl_add_u64 v[20:21], v[12:13], 3, v[18:19]
	flat_load_dwordx2 v[20:21], v[20:21]
	s_waitcnt vmcnt(0) lgkmcnt(0)
	v_mul_f64 v[20:21], v[20:21], s[22:23]
	s_branch .LBB121_294
.LBB121_293:
	v_mov_b64_e32 v[20:21], 0
.LBB121_294:
	v_cvt_f32_f64_e32 v20, v[20:21]
	v_max_f32_e32 v21, v91, v91
	v_min_f32_e32 v20, v20, v21
	v_cvt_f64_f32_e32 v[20:21], v20
	v_lshl_add_u64 v[24:25], v[12:13], 3, v[16:17]
	global_store_dwordx2 v[24:25], v[20:21], off
	s_or_b64 exec, exec, s[28:29]
	s_and_b64 s[28:29], s[16:17], s[18:19]
	s_and_saveexec_b64 s[18:19], s[28:29]
	s_cbranch_execz .LBB121_299
.LBB121_295:
	s_and_b64 vcc, exec, s[0:1]
	s_cbranch_vccnz .LBB121_297
; %bb.296:
	v_lshl_add_u64 v[18:19], v[14:15], 3, v[18:19]
	flat_load_dwordx2 v[18:19], v[18:19]
	s_waitcnt vmcnt(0) lgkmcnt(0)
	v_mul_f64 v[18:19], v[18:19], s[22:23]
	s_branch .LBB121_298
.LBB121_297:
	v_mov_b64_e32 v[18:19], 0
.LBB121_298:
	v_cvt_f32_f64_e32 v18, v[18:19]
	v_max_f32_e32 v19, v90, v90
	v_min_f32_e32 v18, v18, v19
	v_cvt_f64_f32_e32 v[18:19], v18
	v_lshl_add_u64 v[16:17], v[14:15], 3, v[16:17]
	global_store_dwordx2 v[16:17], v[18:19], off
.LBB121_299:
	s_or_b64 exec, exec, s[18:19]
	v_add_u32_e32 v20, 0xc0, v22
	v_mad_i64_i32 v[16:17], s[28:29], v20, s31, 0
	v_cmp_gt_i32_e64 s[18:19], s25, v20
	v_lshl_add_u64 v[18:19], v[16:17], 3, s[20:21]
	v_mad_i64_i32 v[16:17], s[28:29], v20, s30, 0
	v_lshl_add_u64 v[16:17], v[16:17], 3, s[26:27]
	s_and_b64 s[34:35], s[2:3], s[18:19]
	s_and_saveexec_b64 s[28:29], s[34:35]
	s_cbranch_execnz .LBB121_307
; %bb.300:
	s_or_b64 exec, exec, s[28:29]
	s_and_b64 s[34:35], s[4:5], s[18:19]
	s_and_saveexec_b64 s[28:29], s[34:35]
	s_cbranch_execnz .LBB121_311
.LBB121_301:
	s_or_b64 exec, exec, s[28:29]
	s_and_b64 s[34:35], s[6:7], s[18:19]
	s_and_saveexec_b64 s[28:29], s[34:35]
	s_cbranch_execnz .LBB121_315
.LBB121_302:
	s_or_b64 exec, exec, s[28:29]
	s_and_b64 s[34:35], s[8:9], s[18:19]
	s_and_saveexec_b64 s[28:29], s[34:35]
	s_cbranch_execnz .LBB121_319
.LBB121_303:
	s_or_b64 exec, exec, s[28:29]
	s_and_b64 s[34:35], s[10:11], s[18:19]
	s_and_saveexec_b64 s[28:29], s[34:35]
	s_cbranch_execnz .LBB121_323
.LBB121_304:
	s_or_b64 exec, exec, s[28:29]
	s_and_b64 s[34:35], s[12:13], s[18:19]
	s_and_saveexec_b64 s[28:29], s[34:35]
	s_cbranch_execnz .LBB121_327
.LBB121_305:
	s_or_b64 exec, exec, s[28:29]
	s_and_b64 s[34:35], s[14:15], s[18:19]
	s_and_saveexec_b64 s[28:29], s[34:35]
	s_cbranch_execnz .LBB121_331
.LBB121_306:
	s_or_b64 exec, exec, s[28:29]
	s_and_b64 s[28:29], s[16:17], s[18:19]
	s_and_saveexec_b64 s[18:19], s[28:29]
	s_cbranch_execnz .LBB121_335
	s_branch .LBB121_339
.LBB121_307:
	s_and_b64 vcc, exec, s[0:1]
	s_cbranch_vccnz .LBB121_309
; %bb.308:
	v_lshl_add_u64 v[20:21], v[0:1], 3, v[18:19]
	flat_load_dwordx2 v[20:21], v[20:21]
	s_waitcnt vmcnt(0) lgkmcnt(0)
	v_mul_f64 v[20:21], v[20:21], s[22:23]
	s_branch .LBB121_310
.LBB121_309:
	v_mov_b64_e32 v[20:21], 0
.LBB121_310:
	v_cvt_f32_f64_e32 v20, v[20:21]
	v_max_f32_e32 v21, v89, v89
	v_min_f32_e32 v20, v20, v21
	v_cvt_f64_f32_e32 v[20:21], v20
	v_lshl_add_u64 v[24:25], v[0:1], 3, v[16:17]
	global_store_dwordx2 v[24:25], v[20:21], off
	s_or_b64 exec, exec, s[28:29]
	s_and_b64 s[34:35], s[4:5], s[18:19]
	s_and_saveexec_b64 s[28:29], s[34:35]
	s_cbranch_execz .LBB121_301
.LBB121_311:
	s_and_b64 vcc, exec, s[0:1]
	s_cbranch_vccnz .LBB121_313
; %bb.312:
	v_lshl_add_u64 v[20:21], v[2:3], 3, v[18:19]
	flat_load_dwordx2 v[20:21], v[20:21]
	s_waitcnt vmcnt(0) lgkmcnt(0)
	v_mul_f64 v[20:21], v[20:21], s[22:23]
	s_branch .LBB121_314
.LBB121_313:
	v_mov_b64_e32 v[20:21], 0
.LBB121_314:
	v_cvt_f32_f64_e32 v20, v[20:21]
	v_max_f32_e32 v21, v88, v88
	v_min_f32_e32 v20, v20, v21
	v_cvt_f64_f32_e32 v[20:21], v20
	v_lshl_add_u64 v[24:25], v[2:3], 3, v[16:17]
	global_store_dwordx2 v[24:25], v[20:21], off
	s_or_b64 exec, exec, s[28:29]
	s_and_b64 s[34:35], s[6:7], s[18:19]
	s_and_saveexec_b64 s[28:29], s[34:35]
	s_cbranch_execz .LBB121_302
.LBB121_315:
	s_and_b64 vcc, exec, s[0:1]
	s_cbranch_vccnz .LBB121_317
; %bb.316:
	v_lshl_add_u64 v[20:21], v[4:5], 3, v[18:19]
	flat_load_dwordx2 v[20:21], v[20:21]
	s_waitcnt vmcnt(0) lgkmcnt(0)
	v_mul_f64 v[20:21], v[20:21], s[22:23]
	s_branch .LBB121_318
.LBB121_317:
	v_mov_b64_e32 v[20:21], 0
.LBB121_318:
	v_cvt_f32_f64_e32 v20, v[20:21]
	v_max_f32_e32 v21, v87, v87
	v_min_f32_e32 v20, v20, v21
	v_cvt_f64_f32_e32 v[20:21], v20
	v_lshl_add_u64 v[24:25], v[4:5], 3, v[16:17]
	global_store_dwordx2 v[24:25], v[20:21], off
	s_or_b64 exec, exec, s[28:29]
	s_and_b64 s[34:35], s[8:9], s[18:19]
	s_and_saveexec_b64 s[28:29], s[34:35]
	s_cbranch_execz .LBB121_303
.LBB121_319:
	s_and_b64 vcc, exec, s[0:1]
	s_cbranch_vccnz .LBB121_321
; %bb.320:
	v_lshl_add_u64 v[20:21], v[6:7], 3, v[18:19]
	flat_load_dwordx2 v[20:21], v[20:21]
	s_waitcnt vmcnt(0) lgkmcnt(0)
	v_mul_f64 v[20:21], v[20:21], s[22:23]
	s_branch .LBB121_322
.LBB121_321:
	v_mov_b64_e32 v[20:21], 0
.LBB121_322:
	v_cvt_f32_f64_e32 v20, v[20:21]
	v_max_f32_e32 v21, v86, v86
	v_min_f32_e32 v20, v20, v21
	v_cvt_f64_f32_e32 v[20:21], v20
	v_lshl_add_u64 v[24:25], v[6:7], 3, v[16:17]
	global_store_dwordx2 v[24:25], v[20:21], off
	s_or_b64 exec, exec, s[28:29]
	s_and_b64 s[34:35], s[10:11], s[18:19]
	s_and_saveexec_b64 s[28:29], s[34:35]
	s_cbranch_execz .LBB121_304
.LBB121_323:
	s_and_b64 vcc, exec, s[0:1]
	s_cbranch_vccnz .LBB121_325
; %bb.324:
	v_lshl_add_u64 v[20:21], v[8:9], 3, v[18:19]
	flat_load_dwordx2 v[20:21], v[20:21]
	s_waitcnt vmcnt(0) lgkmcnt(0)
	v_mul_f64 v[20:21], v[20:21], s[22:23]
	s_branch .LBB121_326
.LBB121_325:
	v_mov_b64_e32 v[20:21], 0
.LBB121_326:
	v_cvt_f32_f64_e32 v20, v[20:21]
	v_max_f32_e32 v21, v85, v85
	v_min_f32_e32 v20, v20, v21
	v_cvt_f64_f32_e32 v[20:21], v20
	v_lshl_add_u64 v[24:25], v[8:9], 3, v[16:17]
	global_store_dwordx2 v[24:25], v[20:21], off
	s_or_b64 exec, exec, s[28:29]
	s_and_b64 s[34:35], s[12:13], s[18:19]
	s_and_saveexec_b64 s[28:29], s[34:35]
	s_cbranch_execz .LBB121_305
.LBB121_327:
	s_and_b64 vcc, exec, s[0:1]
	s_cbranch_vccnz .LBB121_329
; %bb.328:
	v_lshl_add_u64 v[20:21], v[10:11], 3, v[18:19]
	flat_load_dwordx2 v[20:21], v[20:21]
	s_waitcnt vmcnt(0) lgkmcnt(0)
	v_mul_f64 v[20:21], v[20:21], s[22:23]
	s_branch .LBB121_330
.LBB121_329:
	v_mov_b64_e32 v[20:21], 0
.LBB121_330:
	v_cvt_f32_f64_e32 v20, v[20:21]
	v_max_f32_e32 v21, v84, v84
	v_min_f32_e32 v20, v20, v21
	v_cvt_f64_f32_e32 v[20:21], v20
	v_lshl_add_u64 v[24:25], v[10:11], 3, v[16:17]
	global_store_dwordx2 v[24:25], v[20:21], off
	s_or_b64 exec, exec, s[28:29]
	s_and_b64 s[34:35], s[14:15], s[18:19]
	s_and_saveexec_b64 s[28:29], s[34:35]
	s_cbranch_execz .LBB121_306
.LBB121_331:
	s_and_b64 vcc, exec, s[0:1]
	s_cbranch_vccnz .LBB121_333
; %bb.332:
	v_lshl_add_u64 v[20:21], v[12:13], 3, v[18:19]
	flat_load_dwordx2 v[20:21], v[20:21]
	s_waitcnt vmcnt(0) lgkmcnt(0)
	v_mul_f64 v[20:21], v[20:21], s[22:23]
	s_branch .LBB121_334
.LBB121_333:
	v_mov_b64_e32 v[20:21], 0
.LBB121_334:
	v_cvt_f32_f64_e32 v20, v[20:21]
	v_max_f32_e32 v21, v83, v83
	v_min_f32_e32 v20, v20, v21
	v_cvt_f64_f32_e32 v[20:21], v20
	v_lshl_add_u64 v[24:25], v[12:13], 3, v[16:17]
	global_store_dwordx2 v[24:25], v[20:21], off
	s_or_b64 exec, exec, s[28:29]
	s_and_b64 s[28:29], s[16:17], s[18:19]
	s_and_saveexec_b64 s[18:19], s[28:29]
	s_cbranch_execz .LBB121_339
.LBB121_335:
	s_and_b64 vcc, exec, s[0:1]
	s_cbranch_vccnz .LBB121_337
; %bb.336:
	v_lshl_add_u64 v[18:19], v[14:15], 3, v[18:19]
	flat_load_dwordx2 v[18:19], v[18:19]
	s_waitcnt vmcnt(0) lgkmcnt(0)
	v_mul_f64 v[18:19], v[18:19], s[22:23]
	s_branch .LBB121_338
.LBB121_337:
	v_mov_b64_e32 v[18:19], 0
.LBB121_338:
	v_cvt_f32_f64_e32 v18, v[18:19]
	v_max_f32_e32 v19, v82, v82
	v_min_f32_e32 v18, v18, v19
	v_cvt_f64_f32_e32 v[18:19], v18
	v_lshl_add_u64 v[16:17], v[14:15], 3, v[16:17]
	global_store_dwordx2 v[16:17], v[18:19], off
.LBB121_339:
	s_or_b64 exec, exec, s[18:19]
	v_add_u32_e32 v20, 0xe0, v22
	v_cmp_gt_i32_e64 s[18:19], s25, v20
	v_mad_i64_i32 v[16:17], s[24:25], v20, s31, 0
	v_lshl_add_u64 v[18:19], v[16:17], 3, s[20:21]
	v_mad_i64_i32 v[16:17], s[20:21], v20, s30, 0
	v_lshl_add_u64 v[16:17], v[16:17], 3, s[26:27]
	s_and_b64 s[20:21], s[2:3], s[18:19]
	s_and_saveexec_b64 s[2:3], s[20:21]
	s_cbranch_execnz .LBB121_348
; %bb.340:
	s_or_b64 exec, exec, s[2:3]
	s_and_b64 s[4:5], s[4:5], s[18:19]
	s_and_saveexec_b64 s[2:3], s[4:5]
	s_cbranch_execnz .LBB121_352
.LBB121_341:
	s_or_b64 exec, exec, s[2:3]
	s_and_b64 s[4:5], s[6:7], s[18:19]
	s_and_saveexec_b64 s[2:3], s[4:5]
	s_cbranch_execnz .LBB121_356
.LBB121_342:
	s_or_b64 exec, exec, s[2:3]
	s_and_b64 s[4:5], s[8:9], s[18:19]
	s_and_saveexec_b64 s[2:3], s[4:5]
	s_cbranch_execnz .LBB121_360
.LBB121_343:
	s_or_b64 exec, exec, s[2:3]
	s_and_b64 s[4:5], s[10:11], s[18:19]
	s_and_saveexec_b64 s[2:3], s[4:5]
	s_cbranch_execnz .LBB121_364
.LBB121_344:
	s_or_b64 exec, exec, s[2:3]
	s_and_b64 s[4:5], s[12:13], s[18:19]
	s_and_saveexec_b64 s[2:3], s[4:5]
	s_cbranch_execnz .LBB121_368
.LBB121_345:
	s_or_b64 exec, exec, s[2:3]
	s_and_b64 s[4:5], s[14:15], s[18:19]
	s_and_saveexec_b64 s[2:3], s[4:5]
	s_cbranch_execnz .LBB121_372
.LBB121_346:
	s_or_b64 exec, exec, s[2:3]
	s_and_b64 s[2:3], s[16:17], s[18:19]
	s_and_saveexec_b64 s[4:5], s[2:3]
	s_cbranch_execnz .LBB121_376
.LBB121_347:
	s_endpgm
.LBB121_348:
	s_and_b64 vcc, exec, s[0:1]
	s_cbranch_vccnz .LBB121_350
; %bb.349:
	v_lshl_add_u64 v[20:21], v[0:1], 3, v[18:19]
	flat_load_dwordx2 v[20:21], v[20:21]
	s_waitcnt vmcnt(0) lgkmcnt(0)
	v_mul_f64 v[20:21], v[20:21], s[22:23]
	v_cvt_f32_f64_e32 v20, v[20:21]
	s_branch .LBB121_351
.LBB121_350:
	v_mov_b32_e32 v20, 0
.LBB121_351:
	v_max_f32_e32 v21, v81, v81
	v_max_f32_e32 v20, v20, v20
	v_min_f32_e32 v20, v20, v21
	v_cvt_f64_f32_e32 v[20:21], v20
	v_lshl_add_u64 v[0:1], v[0:1], 3, v[16:17]
	global_store_dwordx2 v[0:1], v[20:21], off
	s_or_b64 exec, exec, s[2:3]
	s_and_b64 s[4:5], s[4:5], s[18:19]
	s_and_saveexec_b64 s[2:3], s[4:5]
	s_cbranch_execz .LBB121_341
.LBB121_352:
	s_and_b64 vcc, exec, s[0:1]
	s_cbranch_vccnz .LBB121_354
; %bb.353:
	v_lshl_add_u64 v[0:1], v[2:3], 3, v[18:19]
	flat_load_dwordx2 v[0:1], v[0:1]
	s_waitcnt vmcnt(0) lgkmcnt(0)
	v_mul_f64 v[0:1], v[0:1], s[22:23]
	v_cvt_f32_f64_e32 v0, v[0:1]
	s_branch .LBB121_355
.LBB121_354:
	v_mov_b32_e32 v0, 0
.LBB121_355:
	v_max_f32_e32 v1, v80, v80
	v_max_f32_e32 v0, v0, v0
	v_min_f32_e32 v0, v0, v1
	v_cvt_f64_f32_e32 v[0:1], v0
	v_lshl_add_u64 v[2:3], v[2:3], 3, v[16:17]
	global_store_dwordx2 v[2:3], v[0:1], off
	s_or_b64 exec, exec, s[2:3]
	s_and_b64 s[4:5], s[6:7], s[18:19]
	s_and_saveexec_b64 s[2:3], s[4:5]
	s_cbranch_execz .LBB121_342
.LBB121_356:
	s_and_b64 vcc, exec, s[0:1]
	s_cbranch_vccnz .LBB121_358
; %bb.357:
	v_lshl_add_u64 v[0:1], v[4:5], 3, v[18:19]
	flat_load_dwordx2 v[0:1], v[0:1]
	s_waitcnt vmcnt(0) lgkmcnt(0)
	v_mul_f64 v[0:1], v[0:1], s[22:23]
	v_cvt_f32_f64_e32 v0, v[0:1]
	s_branch .LBB121_359
.LBB121_358:
	v_mov_b32_e32 v0, 0
.LBB121_359:
	v_max_f32_e32 v1, v79, v79
	v_max_f32_e32 v0, v0, v0
	v_min_f32_e32 v0, v0, v1
	v_cvt_f64_f32_e32 v[0:1], v0
	v_lshl_add_u64 v[2:3], v[4:5], 3, v[16:17]
	global_store_dwordx2 v[2:3], v[0:1], off
	s_or_b64 exec, exec, s[2:3]
	s_and_b64 s[4:5], s[8:9], s[18:19]
	s_and_saveexec_b64 s[2:3], s[4:5]
	s_cbranch_execz .LBB121_343
.LBB121_360:
	s_and_b64 vcc, exec, s[0:1]
	s_cbranch_vccnz .LBB121_362
; %bb.361:
	v_lshl_add_u64 v[0:1], v[6:7], 3, v[18:19]
	flat_load_dwordx2 v[0:1], v[0:1]
	s_waitcnt vmcnt(0) lgkmcnt(0)
	v_mul_f64 v[0:1], v[0:1], s[22:23]
	v_cvt_f32_f64_e32 v0, v[0:1]
	s_branch .LBB121_363
.LBB121_362:
	v_mov_b32_e32 v0, 0
.LBB121_363:
	v_max_f32_e32 v1, v78, v78
	v_max_f32_e32 v0, v0, v0
	v_min_f32_e32 v0, v0, v1
	v_cvt_f64_f32_e32 v[0:1], v0
	v_lshl_add_u64 v[2:3], v[6:7], 3, v[16:17]
	global_store_dwordx2 v[2:3], v[0:1], off
	s_or_b64 exec, exec, s[2:3]
	s_and_b64 s[4:5], s[10:11], s[18:19]
	s_and_saveexec_b64 s[2:3], s[4:5]
	s_cbranch_execz .LBB121_344
.LBB121_364:
	s_and_b64 vcc, exec, s[0:1]
	s_cbranch_vccnz .LBB121_366
; %bb.365:
	v_lshl_add_u64 v[0:1], v[8:9], 3, v[18:19]
	flat_load_dwordx2 v[0:1], v[0:1]
	s_waitcnt vmcnt(0) lgkmcnt(0)
	v_mul_f64 v[0:1], v[0:1], s[22:23]
	v_cvt_f32_f64_e32 v0, v[0:1]
	s_branch .LBB121_367
.LBB121_366:
	v_mov_b32_e32 v0, 0
.LBB121_367:
	v_max_f32_e32 v1, v77, v77
	v_max_f32_e32 v0, v0, v0
	v_min_f32_e32 v0, v0, v1
	v_cvt_f64_f32_e32 v[0:1], v0
	v_lshl_add_u64 v[2:3], v[8:9], 3, v[16:17]
	global_store_dwordx2 v[2:3], v[0:1], off
	s_or_b64 exec, exec, s[2:3]
	s_and_b64 s[4:5], s[12:13], s[18:19]
	s_and_saveexec_b64 s[2:3], s[4:5]
	s_cbranch_execz .LBB121_345
.LBB121_368:
	s_and_b64 vcc, exec, s[0:1]
	s_cbranch_vccnz .LBB121_370
; %bb.369:
	v_lshl_add_u64 v[0:1], v[10:11], 3, v[18:19]
	flat_load_dwordx2 v[0:1], v[0:1]
	s_waitcnt vmcnt(0) lgkmcnt(0)
	v_mul_f64 v[0:1], v[0:1], s[22:23]
	v_cvt_f32_f64_e32 v0, v[0:1]
	s_branch .LBB121_371
.LBB121_370:
	v_mov_b32_e32 v0, 0
.LBB121_371:
	v_max_f32_e32 v1, v76, v76
	v_max_f32_e32 v0, v0, v0
	v_min_f32_e32 v0, v0, v1
	v_cvt_f64_f32_e32 v[0:1], v0
	v_lshl_add_u64 v[2:3], v[10:11], 3, v[16:17]
	global_store_dwordx2 v[2:3], v[0:1], off
	s_or_b64 exec, exec, s[2:3]
	s_and_b64 s[4:5], s[14:15], s[18:19]
	s_and_saveexec_b64 s[2:3], s[4:5]
	s_cbranch_execz .LBB121_346
.LBB121_372:
	s_and_b64 vcc, exec, s[0:1]
	s_cbranch_vccnz .LBB121_374
; %bb.373:
	v_lshl_add_u64 v[0:1], v[12:13], 3, v[18:19]
	flat_load_dwordx2 v[0:1], v[0:1]
	s_waitcnt vmcnt(0) lgkmcnt(0)
	v_mul_f64 v[0:1], v[0:1], s[22:23]
	v_cvt_f32_f64_e32 v0, v[0:1]
	s_branch .LBB121_375
.LBB121_374:
	v_mov_b32_e32 v0, 0
.LBB121_375:
	v_max_f32_e32 v1, v75, v75
	v_max_f32_e32 v0, v0, v0
	v_min_f32_e32 v0, v0, v1
	v_cvt_f64_f32_e32 v[0:1], v0
	v_lshl_add_u64 v[2:3], v[12:13], 3, v[16:17]
	global_store_dwordx2 v[2:3], v[0:1], off
	s_or_b64 exec, exec, s[2:3]
	s_and_b64 s[2:3], s[16:17], s[18:19]
	s_and_saveexec_b64 s[4:5], s[2:3]
	s_cbranch_execz .LBB121_347
.LBB121_376:
	s_and_b64 vcc, exec, s[0:1]
	s_cbranch_vccnz .LBB121_378
; %bb.377:
	v_lshl_add_u64 v[0:1], v[14:15], 3, v[18:19]
	flat_load_dwordx2 v[0:1], v[0:1]
	s_waitcnt vmcnt(0) lgkmcnt(0)
	v_mul_f64 v[0:1], v[0:1], s[22:23]
	v_cvt_f32_f64_e32 v0, v[0:1]
	s_branch .LBB121_379
.LBB121_378:
	v_mov_b32_e32 v0, 0
.LBB121_379:
	v_max_f32_e32 v1, v74, v74
	v_max_f32_e32 v0, v0, v0
	v_min_f32_e32 v0, v0, v1
	v_cvt_f64_f32_e32 v[0:1], v0
	v_lshl_add_u64 v[2:3], v[14:15], 3, v[16:17]
	global_store_dwordx2 v[2:3], v[0:1], off
	s_endpgm
	.section	.rodata,"a",@progbits
	.p2align	6, 0x0
	.amdhsa_kernel _ZN12_GLOBAL__N_120geam_min_plus_kernelId15HIP_vector_typeIdLj2EEdLi8ELi32ELi64ELi256ELi4ELi64ELi4ELi64ELi4ELc78ELc84ELb1ELb1ELb1EdKPKdKPdEEviiiT16_PT17_ilSA_ilS8_SA_ilPT18_ili26rocblas_geam_ex_operation_
		.amdhsa_group_segment_fixed_size 20480
		.amdhsa_private_segment_fixed_size 0
		.amdhsa_kernarg_size 136
		.amdhsa_user_sgpr_count 2
		.amdhsa_user_sgpr_dispatch_ptr 0
		.amdhsa_user_sgpr_queue_ptr 0
		.amdhsa_user_sgpr_kernarg_segment_ptr 1
		.amdhsa_user_sgpr_dispatch_id 0
		.amdhsa_user_sgpr_kernarg_preload_length 0
		.amdhsa_user_sgpr_kernarg_preload_offset 0
		.amdhsa_user_sgpr_private_segment_size 0
		.amdhsa_uses_dynamic_stack 0
		.amdhsa_enable_private_segment 0
		.amdhsa_system_sgpr_workgroup_id_x 1
		.amdhsa_system_sgpr_workgroup_id_y 0
		.amdhsa_system_sgpr_workgroup_id_z 1
		.amdhsa_system_sgpr_workgroup_info 0
		.amdhsa_system_vgpr_workitem_id 1
		.amdhsa_next_free_vgpr 154
		.amdhsa_next_free_sgpr 42
		.amdhsa_accum_offset 156
		.amdhsa_reserve_vcc 1
		.amdhsa_float_round_mode_32 0
		.amdhsa_float_round_mode_16_64 0
		.amdhsa_float_denorm_mode_32 3
		.amdhsa_float_denorm_mode_16_64 3
		.amdhsa_dx10_clamp 1
		.amdhsa_ieee_mode 1
		.amdhsa_fp16_overflow 0
		.amdhsa_tg_split 0
		.amdhsa_exception_fp_ieee_invalid_op 0
		.amdhsa_exception_fp_denorm_src 0
		.amdhsa_exception_fp_ieee_div_zero 0
		.amdhsa_exception_fp_ieee_overflow 0
		.amdhsa_exception_fp_ieee_underflow 0
		.amdhsa_exception_fp_ieee_inexact 0
		.amdhsa_exception_int_div_zero 0
	.end_amdhsa_kernel
	.section	.text._ZN12_GLOBAL__N_120geam_min_plus_kernelId15HIP_vector_typeIdLj2EEdLi8ELi32ELi64ELi256ELi4ELi64ELi4ELi64ELi4ELc78ELc84ELb1ELb1ELb1EdKPKdKPdEEviiiT16_PT17_ilSA_ilS8_SA_ilPT18_ili26rocblas_geam_ex_operation_,"axG",@progbits,_ZN12_GLOBAL__N_120geam_min_plus_kernelId15HIP_vector_typeIdLj2EEdLi8ELi32ELi64ELi256ELi4ELi64ELi4ELi64ELi4ELc78ELc84ELb1ELb1ELb1EdKPKdKPdEEviiiT16_PT17_ilSA_ilS8_SA_ilPT18_ili26rocblas_geam_ex_operation_,comdat
.Lfunc_end121:
	.size	_ZN12_GLOBAL__N_120geam_min_plus_kernelId15HIP_vector_typeIdLj2EEdLi8ELi32ELi64ELi256ELi4ELi64ELi4ELi64ELi4ELc78ELc84ELb1ELb1ELb1EdKPKdKPdEEviiiT16_PT17_ilSA_ilS8_SA_ilPT18_ili26rocblas_geam_ex_operation_, .Lfunc_end121-_ZN12_GLOBAL__N_120geam_min_plus_kernelId15HIP_vector_typeIdLj2EEdLi8ELi32ELi64ELi256ELi4ELi64ELi4ELi64ELi4ELc78ELc84ELb1ELb1ELb1EdKPKdKPdEEviiiT16_PT17_ilSA_ilS8_SA_ilPT18_ili26rocblas_geam_ex_operation_
                                        ; -- End function
	.section	.AMDGPU.csdata,"",@progbits
; Kernel info:
; codeLenInByte = 18584
; NumSgprs: 48
; NumVgprs: 154
; NumAgprs: 0
; TotalNumVgprs: 154
; ScratchSize: 0
; MemoryBound: 0
; FloatMode: 240
; IeeeMode: 1
; LDSByteSize: 20480 bytes/workgroup (compile time only)
; SGPRBlocks: 5
; VGPRBlocks: 19
; NumSGPRsForWavesPerEU: 48
; NumVGPRsForWavesPerEU: 154
; AccumOffset: 156
; Occupancy: 3
; WaveLimiterHint : 1
; COMPUTE_PGM_RSRC2:SCRATCH_EN: 0
; COMPUTE_PGM_RSRC2:USER_SGPR: 2
; COMPUTE_PGM_RSRC2:TRAP_HANDLER: 0
; COMPUTE_PGM_RSRC2:TGID_X_EN: 1
; COMPUTE_PGM_RSRC2:TGID_Y_EN: 0
; COMPUTE_PGM_RSRC2:TGID_Z_EN: 1
; COMPUTE_PGM_RSRC2:TIDIG_COMP_CNT: 1
; COMPUTE_PGM_RSRC3_GFX90A:ACCUM_OFFSET: 38
; COMPUTE_PGM_RSRC3_GFX90A:TG_SPLIT: 0
	.section	.text._ZN12_GLOBAL__N_120geam_min_plus_kernelId15HIP_vector_typeIdLj2EEdLi8ELi32ELi64ELi256ELi4ELi64ELi4ELi64ELi4ELc78ELc84ELb0ELb1ELb1EdKPKdKPdEEviiiT16_PT17_ilSA_ilS8_SA_ilPT18_ili26rocblas_geam_ex_operation_,"axG",@progbits,_ZN12_GLOBAL__N_120geam_min_plus_kernelId15HIP_vector_typeIdLj2EEdLi8ELi32ELi64ELi256ELi4ELi64ELi4ELi64ELi4ELc78ELc84ELb0ELb1ELb1EdKPKdKPdEEviiiT16_PT17_ilSA_ilS8_SA_ilPT18_ili26rocblas_geam_ex_operation_,comdat
	.globl	_ZN12_GLOBAL__N_120geam_min_plus_kernelId15HIP_vector_typeIdLj2EEdLi8ELi32ELi64ELi256ELi4ELi64ELi4ELi64ELi4ELc78ELc84ELb0ELb1ELb1EdKPKdKPdEEviiiT16_PT17_ilSA_ilS8_SA_ilPT18_ili26rocblas_geam_ex_operation_ ; -- Begin function _ZN12_GLOBAL__N_120geam_min_plus_kernelId15HIP_vector_typeIdLj2EEdLi8ELi32ELi64ELi256ELi4ELi64ELi4ELi64ELi4ELc78ELc84ELb0ELb1ELb1EdKPKdKPdEEviiiT16_PT17_ilSA_ilS8_SA_ilPT18_ili26rocblas_geam_ex_operation_
	.p2align	8
	.type	_ZN12_GLOBAL__N_120geam_min_plus_kernelId15HIP_vector_typeIdLj2EEdLi8ELi32ELi64ELi256ELi4ELi64ELi4ELi64ELi4ELc78ELc84ELb0ELb1ELb1EdKPKdKPdEEviiiT16_PT17_ilSA_ilS8_SA_ilPT18_ili26rocblas_geam_ex_operation_,@function
_ZN12_GLOBAL__N_120geam_min_plus_kernelId15HIP_vector_typeIdLj2EEdLi8ELi32ELi64ELi256ELi4ELi64ELi4ELi64ELi4ELc78ELc84ELb0ELb1ELb1EdKPKdKPdEEviiiT16_PT17_ilSA_ilS8_SA_ilPT18_ili26rocblas_geam_ex_operation_: ; @_ZN12_GLOBAL__N_120geam_min_plus_kernelId15HIP_vector_typeIdLj2EEdLi8ELi32ELi64ELi256ELi4ELi64ELi4ELi64ELi4ELc78ELc84ELb0ELb1ELb1EdKPKdKPdEEviiiT16_PT17_ilSA_ilS8_SA_ilPT18_ili26rocblas_geam_ex_operation_
; %bb.0:
	s_load_dwordx4 s[16:19], s[0:1], 0x10
	s_load_dwordx4 s[4:7], s[0:1], 0x28
	s_mov_b32 s8, s3
	s_mov_b64 s[34:35], 0
	s_waitcnt lgkmcnt(0)
	v_cmp_eq_f64_e64 s[28:29], s[16:17], 0
	v_cmp_neq_f64_e64 s[12:13], s[16:17], 0
	s_and_b64 vcc, exec, s[28:29]
	s_cbranch_vccnz .LBB122_2
; %bb.1:
	s_mov_b32 s9, 0
	s_lshl_b64 s[10:11], s[8:9], 3
	s_add_u32 s10, s18, s10
	s_addc_u32 s11, s19, s11
	s_load_dwordx2 s[10:11], s[10:11], 0x0
	s_lshl_b64 s[4:5], s[4:5], 3
	s_waitcnt lgkmcnt(0)
	s_add_u32 s34, s10, s4
	s_addc_u32 s35, s11, s5
.LBB122_2:
	s_load_dwordx4 s[20:23], s[0:1], 0x40
	s_load_dwordx2 s[10:11], s[0:1], 0x50
	s_and_b64 vcc, exec, s[12:13]
	s_cbranch_vccz .LBB122_4
; %bb.3:
	s_mov_b32 s9, 0
	s_lshl_b64 s[4:5], s[8:9], 3
	s_add_u32 s4, s6, s4
	s_addc_u32 s5, s7, s5
	s_load_dwordx2 s[4:5], s[4:5], 0x0
	s_waitcnt lgkmcnt(0)
	s_lshl_b64 s[6:7], s[20:21], 3
	s_add_u32 s30, s4, s6
	s_addc_u32 s31, s5, s7
	s_cbranch_execz .LBB122_5
	s_branch .LBB122_6
.LBB122_4:
                                        ; implicit-def: $sgpr30_sgpr31
.LBB122_5:
	s_mov_b32 s9, 0
	s_mov_b64 s[30:31], 0
.LBB122_6:
	s_load_dwordx4 s[4:7], s[0:1], 0x60
	s_waitcnt lgkmcnt(0)
	v_cmp_eq_f64_e64 s[12:13], s[22:23], 0
	s_mov_b64 s[20:21], 0
	v_cmp_neq_f64_e64 s[14:15], s[22:23], 0
	s_and_b64 vcc, exec, s[12:13]
	s_cbranch_vccnz .LBB122_8
; %bb.7:
	s_lshl_b64 s[12:13], s[8:9], 3
	s_add_u32 s10, s10, s12
	s_addc_u32 s11, s11, s13
	s_load_dwordx2 s[10:11], s[10:11], 0x0
	s_lshl_b64 s[4:5], s[4:5], 3
	s_waitcnt lgkmcnt(0)
	s_add_u32 s20, s10, s4
	s_addc_u32 s21, s11, s5
.LBB122_8:
	s_load_dword s38, s[0:1], 0x20
	s_load_dwordx4 s[24:27], s[0:1], 0x0
	s_lshl_b64 s[4:5], s[8:9], 3
	v_and_b32_e32 v126, 0x3ff, v0
	v_bfe_u32 v127, v0, 10, 10
	s_waitcnt lgkmcnt(0)
	s_ashr_i32 s39, s38, 31
	s_add_u32 s4, s6, s4
	s_addc_u32 s5, s7, s5
	s_add_i32 s6, s24, -1
	s_ashr_i32 s3, s6, 31
	s_lshr_b32 s3, s3, 26
	s_add_i32 s3, s6, s3
	s_ashr_i32 s3, s3, 6
	s_add_i32 s7, s3, 1
	v_cvt_f32_u32_e32 v1, s7
	s_load_dwordx2 s[18:19], s[4:5], 0x0
	s_not_b32 s3, s3
	v_rcp_iflag_f32_e32 v0, v1
	v_lshl_add_u32 v1, v127, 3, v126
	v_and_b32_e32 v143, 63, v1
	v_lshrrev_b32_e32 v140, 6, v1
	v_mul_f32_e32 v0, 0x4f7ffffe, v0
	v_cvt_u32_f32_e32 v0, v0
	v_cmp_le_i32_e32 vcc, s26, v140
	v_readfirstlane_b32 s4, v0
	s_mul_i32 s3, s3, s4
	s_mul_hi_u32 s3, s4, s3
	s_add_i32 s4, s4, s3
	s_mul_hi_u32 s3, s2, s4
	s_mul_i32 s4, s3, s7
	s_sub_i32 s4, s2, s4
	s_add_i32 s5, s3, 1
	s_sub_i32 s8, s4, s7
	s_cmp_ge_u32 s4, s7
	s_cselect_b32 s3, s5, s3
	s_cselect_b32 s4, s8, s4
	s_add_i32 s5, s3, 1
	s_cmp_ge_u32 s4, s7
	s_cselect_b32 s8, s5, s3
	s_mul_i32 s3, s8, s7
	s_sub_i32 s2, s2, s3
	s_lshl_b32 s27, s2, 6
	v_or_b32_e32 v0, s27, v143
	v_cmp_le_i32_e64 s[2:3], s24, v0
	s_or_b64 s[4:5], s[2:3], vcc
	s_add_i32 s40, s26, -1
	v_min_i32_e32 v62, s6, v0
	v_min_i32_e32 v2, s40, v140
	s_or_b64 s[6:7], s[28:29], s[4:5]
	s_xor_b64 s[6:7], s[6:7], -1
	v_ashrrev_i32_e32 v3, 31, v2
	v_ashrrev_i32_e32 v63, 31, v62
                                        ; implicit-def: $vgpr0_vgpr1
	s_and_saveexec_b64 s[10:11], s[6:7]
	s_xor_b64 s[6:7], exec, s[10:11]
	s_cbranch_execz .LBB122_10
; %bb.9:
	v_mad_i64_i32 v[0:1], s[10:11], s38, v2, 0
	v_lshl_add_u64 v[0:1], v[0:1], 3, s[34:35]
	v_lshl_add_u64 v[0:1], v[62:63], 3, v[0:1]
	flat_load_dwordx2 v[0:1], v[0:1]
	s_waitcnt vmcnt(0) lgkmcnt(0)
	v_mul_f64 v[0:1], v[0:1], s[16:17]
.LBB122_10:
	s_andn2_saveexec_b64 s[6:7], s[6:7]
; %bb.11:
	v_mov_b32_e32 v0, 0x7fefffff
	v_cndmask_b32_e64 v1, 0, v0, s[4:5]
	v_cndmask_b32_e64 v0, 0, -1, s[4:5]
; %bb.12:
	s_or_b64 exec, exec, s[6:7]
	s_load_dword s41, s[0:1], 0x38
	s_lshl_b32 s33, s8, 8
	v_or_b32_e32 v60, s33, v143
	v_ashrrev_i32_e32 v61, 31, v60
	s_waitcnt lgkmcnt(0)
	s_ashr_i32 s42, s41, 31
	v_mul_lo_u32 v4, v3, s41
	v_mul_lo_u32 v5, v2, s42
	v_mad_u64_u32 v[2:3], s[4:5], v2, s41, 0
	v_cmp_le_i32_e64 s[4:5], s25, v60
	s_or_b64 s[6:7], s[4:5], vcc
	v_add3_u32 v3, v3, v5, v4
	v_mov_b32_e32 v4, 0x7fefffff
	s_or_b64 s[8:9], s[28:29], s[6:7]
	v_lshl_add_u64 v[10:11], v[2:3], 3, s[30:31]
	v_cndmask_b32_e64 v3, 0, v4, s[6:7]
	s_xor_b64 s[8:9], s[8:9], -1
	v_cndmask_b32_e64 v2, 0, -1, s[6:7]
	s_and_saveexec_b64 s[6:7], s[8:9]
	s_cbranch_execz .LBB122_14
; %bb.13:
	v_lshl_add_u64 v[2:3], v[60:61], 3, v[10:11]
	flat_load_dwordx2 v[2:3], v[2:3]
	s_waitcnt vmcnt(0) lgkmcnt(0)
	v_mul_f64 v[2:3], v[2:3], s[16:17]
.LBB122_14:
	s_or_b64 exec, exec, s[6:7]
	v_or_b32_e32 v5, 64, v60
	v_cmp_le_i32_e64 s[6:7], s25, v5
	s_or_b64 s[8:9], s[6:7], vcc
	s_or_b64 s[10:11], s[28:29], s[8:9]
	v_cndmask_b32_e64 v5, 0, v4, s[8:9]
	s_xor_b64 s[10:11], s[10:11], -1
	v_cndmask_b32_e64 v4, 0, -1, s[8:9]
	s_and_saveexec_b64 s[8:9], s[10:11]
	s_cbranch_execz .LBB122_16
; %bb.15:
	v_lshl_add_u64 v[4:5], v[60:61], 3, v[10:11]
	flat_load_dwordx2 v[4:5], v[4:5] offset:512
	s_waitcnt vmcnt(0) lgkmcnt(0)
	v_mul_f64 v[4:5], v[4:5], s[16:17]
.LBB122_16:
	s_or_b64 exec, exec, s[8:9]
	v_or_b32_e32 v6, 0x80, v60
	v_cmp_le_i32_e64 s[8:9], s25, v6
	s_or_b64 s[10:11], s[8:9], vcc
	v_mov_b32_e32 v8, 0x7fefffff
	s_or_b64 s[12:13], s[28:29], s[10:11]
	v_cndmask_b32_e64 v7, 0, v8, s[10:11]
	s_xor_b64 s[12:13], s[12:13], -1
	v_cndmask_b32_e64 v6, 0, -1, s[10:11]
	s_and_saveexec_b64 s[10:11], s[12:13]
	s_cbranch_execz .LBB122_18
; %bb.17:
	v_lshl_add_u64 v[6:7], v[60:61], 3, v[10:11]
	flat_load_dwordx2 v[6:7], v[6:7] offset:1024
	s_waitcnt vmcnt(0) lgkmcnt(0)
	v_mul_f64 v[6:7], v[6:7], s[16:17]
.LBB122_18:
	s_or_b64 exec, exec, s[10:11]
	v_or_b32_e32 v9, 0xc0, v60
	v_cmp_le_i32_e64 s[10:11], s25, v9
	s_or_b64 vcc, s[10:11], vcc
	s_or_b64 s[12:13], s[28:29], vcc
	v_cndmask_b32_e32 v9, 0, v8, vcc
	s_xor_b64 s[36:37], s[12:13], -1
	v_cndmask_b32_e64 v8, 0, -1, vcc
	s_and_saveexec_b64 s[12:13], s[36:37]
	s_cbranch_execz .LBB122_20
; %bb.19:
	v_lshl_add_u64 v[8:9], v[60:61], 3, v[10:11]
	flat_load_dwordx2 v[8:9], v[8:9] offset:1536
	s_waitcnt vmcnt(0) lgkmcnt(0)
	v_mul_f64 v[8:9], v[8:9], s[16:17]
.LBB122_20:
	s_or_b64 exec, exec, s[12:13]
	v_add_u32_e32 v10, 4, v140
	v_cmp_le_i32_e32 vcc, s26, v10
	s_or_b64 s[12:13], s[2:3], vcc
	v_min_i32_e32 v10, s40, v10
	s_or_b64 s[36:37], s[28:29], s[12:13]
	s_xor_b64 s[36:37], s[36:37], -1
	v_ashrrev_i32_e32 v11, 31, v10
                                        ; implicit-def: $vgpr64_vgpr65
	s_and_saveexec_b64 s[44:45], s[36:37]
	s_xor_b64 s[36:37], exec, s[44:45]
	s_cbranch_execz .LBB122_22
; %bb.21:
	v_mad_i64_i32 v[12:13], s[44:45], s38, v10, 0
	v_lshl_add_u64 v[12:13], v[12:13], 3, s[34:35]
	v_lshl_add_u64 v[12:13], v[62:63], 3, v[12:13]
	flat_load_dwordx2 v[12:13], v[12:13]
	s_waitcnt vmcnt(0) lgkmcnt(0)
	v_mul_f64 v[64:65], v[12:13], s[16:17]
.LBB122_22:
	s_andn2_saveexec_b64 s[36:37], s[36:37]
; %bb.23:
	v_mov_b32_e32 v12, 0x7fefffff
	v_cndmask_b32_e64 v65, 0, v12, s[12:13]
	v_cndmask_b32_e64 v64, 0, -1, s[12:13]
; %bb.24:
	s_or_b64 exec, exec, s[36:37]
	v_mul_lo_u32 v12, v11, s41
	v_mul_lo_u32 v13, v10, s42
	v_mad_u64_u32 v[10:11], s[12:13], v10, s41, 0
	s_or_b64 s[12:13], s[4:5], vcc
	v_add3_u32 v11, v11, v13, v12
	v_mov_b32_e32 v12, 0x7fefffff
	s_or_b64 s[36:37], s[28:29], s[12:13]
	v_lshl_add_u64 v[10:11], v[10:11], 3, s[30:31]
	v_cndmask_b32_e64 v67, 0, v12, s[12:13]
	s_xor_b64 s[36:37], s[36:37], -1
	v_cndmask_b32_e64 v66, 0, -1, s[12:13]
	s_and_saveexec_b64 s[12:13], s[36:37]
	s_cbranch_execz .LBB122_26
; %bb.25:
	v_lshl_add_u64 v[14:15], v[60:61], 3, v[10:11]
	flat_load_dwordx2 v[14:15], v[14:15]
	s_waitcnt vmcnt(0) lgkmcnt(0)
	v_mul_f64 v[66:67], v[14:15], s[16:17]
.LBB122_26:
	s_or_b64 exec, exec, s[12:13]
	s_or_b64 s[12:13], s[6:7], vcc
	s_or_b64 s[36:37], s[28:29], s[12:13]
	v_cndmask_b32_e64 v69, 0, v12, s[12:13]
	s_xor_b64 s[36:37], s[36:37], -1
	v_cndmask_b32_e64 v68, 0, -1, s[12:13]
	s_and_saveexec_b64 s[12:13], s[36:37]
	s_cbranch_execz .LBB122_28
; %bb.27:
	v_lshl_add_u64 v[12:13], v[60:61], 3, v[10:11]
	flat_load_dwordx2 v[12:13], v[12:13] offset:512
	s_waitcnt vmcnt(0) lgkmcnt(0)
	v_mul_f64 v[68:69], v[12:13], s[16:17]
.LBB122_28:
	s_or_b64 exec, exec, s[12:13]
	s_or_b64 s[12:13], s[8:9], vcc
	v_mov_b32_e32 v12, 0x7fefffff
	s_or_b64 s[36:37], s[28:29], s[12:13]
	v_cndmask_b32_e64 v71, 0, v12, s[12:13]
	s_xor_b64 s[36:37], s[36:37], -1
	v_cndmask_b32_e64 v70, 0, -1, s[12:13]
	s_and_saveexec_b64 s[12:13], s[36:37]
	s_cbranch_execz .LBB122_30
; %bb.29:
	v_lshl_add_u64 v[14:15], v[60:61], 3, v[10:11]
	flat_load_dwordx2 v[14:15], v[14:15] offset:1024
	s_waitcnt vmcnt(0) lgkmcnt(0)
	v_mul_f64 v[70:71], v[14:15], s[16:17]
.LBB122_30:
	s_or_b64 exec, exec, s[12:13]
	s_or_b64 vcc, s[10:11], vcc
	s_or_b64 s[12:13], s[28:29], vcc
	v_cndmask_b32_e32 v73, 0, v12, vcc
	s_xor_b64 s[42:43], s[12:13], -1
	s_mov_b32 s36, 0
	v_cndmask_b32_e64 v72, 0, -1, vcc
	s_and_saveexec_b64 s[12:13], s[42:43]
	s_cbranch_execz .LBB122_32
; %bb.31:
	v_lshl_add_u64 v[10:11], v[60:61], 3, v[10:11]
	flat_load_dwordx2 v[10:11], v[10:11] offset:1536
	s_waitcnt vmcnt(0) lgkmcnt(0)
	v_mul_f64 v[72:73], v[10:11], s[16:17]
.LBB122_32:
	s_or_b64 exec, exec, s[12:13]
	v_lshlrev_b32_e32 v10, 3, v140
	v_lshl_add_u32 v141, v143, 5, v10
	v_or_b32_e32 v142, 0x4000, v141
	s_mov_b64 s[12:13], -1
	v_mov_b32_e32 v74, 0x7f800000
	v_mov_b32_e32 v75, 0x7f800000
	;; [unrolled: 1-line block ×64, first 2 shown]
	ds_write_b64 v141, v[0:1] offset:16384
	ds_write2st64_b64 v141, v[2:3], v[4:5] offset1:4
	ds_write2st64_b64 v141, v[6:7], v[8:9] offset0:8 offset1:12
	s_waitcnt lgkmcnt(0)
	s_barrier
.LBB122_33:                             ; =>This Inner Loop Header: Depth=1
	v_cndmask_b32_e64 v0, 0, 1, s[12:13]
	s_lshl_b32 s12, s36, 3
	v_cmp_ne_u32_e32 vcc, 1, v0
	v_lshl_add_u32 v0, v126, 5, s12
	v_lshl_add_u32 v20, v127, 5, s12
	ds_read_b128 v[32:35], v0 offset:16384
	ds_read_b128 v[28:31], v0 offset:16640
	;; [unrolled: 1-line block ×8, first 2 shown]
	ds_read_b128 v[144:147], v20
	ds_read_b128 v[56:59], v20 offset:1024
	ds_read_b128 v[52:55], v20 offset:2048
	;; [unrolled: 1-line block ×7, first 2 shown]
	s_waitcnt lgkmcnt(7)
	v_add_f64 v[148:149], v[34:35], v[146:147]
	v_add_f64 v[150:151], v[32:33], v[144:145]
	v_cvt_f32_f64_e32 v150, v[150:151]
	v_cvt_f32_f64_e32 v148, v[148:149]
	v_min3_f32 v139, v150, v148, v139
	v_add_f64 v[148:149], v[30:31], v[146:147]
	v_add_f64 v[150:151], v[28:29], v[144:145]
	v_cvt_f32_f64_e32 v150, v[150:151]
	v_cvt_f32_f64_e32 v148, v[148:149]
	v_min3_f32 v138, v150, v148, v138
	v_add_f64 v[148:149], v[26:27], v[146:147]
	v_add_f64 v[150:151], v[24:25], v[144:145]
	v_cvt_f32_f64_e32 v150, v[150:151]
	v_cvt_f32_f64_e32 v148, v[148:149]
	v_min3_f32 v137, v150, v148, v137
	v_add_f64 v[148:149], v[18:19], v[146:147]
	v_add_f64 v[150:151], v[16:17], v[144:145]
	v_cvt_f32_f64_e32 v150, v[150:151]
	v_cvt_f32_f64_e32 v148, v[148:149]
	v_min3_f32 v136, v150, v148, v136
	v_add_f64 v[148:149], v[14:15], v[146:147]
	v_add_f64 v[150:151], v[12:13], v[144:145]
	v_cvt_f32_f64_e32 v150, v[150:151]
	v_cvt_f32_f64_e32 v148, v[148:149]
	v_min3_f32 v135, v150, v148, v135
	v_add_f64 v[148:149], v[10:11], v[146:147]
	v_add_f64 v[150:151], v[8:9], v[144:145]
	v_cvt_f32_f64_e32 v150, v[150:151]
	v_cvt_f32_f64_e32 v148, v[148:149]
	v_min3_f32 v134, v150, v148, v134
	v_add_f64 v[148:149], v[6:7], v[146:147]
	v_add_f64 v[150:151], v[4:5], v[144:145]
	v_add_f64 v[146:147], v[2:3], v[146:147]
	v_add_f64 v[144:145], v[0:1], v[144:145]
	v_cvt_f32_f64_e32 v144, v[144:145]
	v_cvt_f32_f64_e32 v145, v[146:147]
	v_min3_f32 v132, v144, v145, v132
	s_waitcnt lgkmcnt(6)
	v_add_f64 v[144:145], v[34:35], v[58:59]
	v_add_f64 v[146:147], v[32:33], v[56:57]
	v_cvt_f32_f64_e32 v146, v[146:147]
	v_cvt_f32_f64_e32 v144, v[144:145]
	v_min3_f32 v131, v146, v144, v131
	v_add_f64 v[144:145], v[30:31], v[58:59]
	v_add_f64 v[146:147], v[28:29], v[56:57]
	v_cvt_f32_f64_e32 v146, v[146:147]
	v_cvt_f32_f64_e32 v144, v[144:145]
	v_min3_f32 v130, v146, v144, v130
	v_add_f64 v[144:145], v[26:27], v[58:59]
	v_add_f64 v[146:147], v[24:25], v[56:57]
	v_cvt_f32_f64_e32 v146, v[146:147]
	v_cvt_f32_f64_e32 v144, v[144:145]
	v_min3_f32 v129, v146, v144, v129
	v_add_f64 v[144:145], v[18:19], v[58:59]
	v_add_f64 v[146:147], v[16:17], v[56:57]
	v_cvt_f32_f64_e32 v146, v[146:147]
	v_cvt_f32_f64_e32 v144, v[144:145]
	v_min3_f32 v128, v146, v144, v128
	v_add_f64 v[144:145], v[14:15], v[58:59]
	v_add_f64 v[146:147], v[12:13], v[56:57]
	v_cvt_f32_f64_e32 v146, v[146:147]
	v_cvt_f32_f64_e32 v144, v[144:145]
	v_min3_f32 v125, v146, v144, v125
	v_add_f64 v[144:145], v[10:11], v[58:59]
	v_add_f64 v[146:147], v[8:9], v[56:57]
	v_cvt_f32_f64_e32 v146, v[146:147]
	v_cvt_f32_f64_e32 v144, v[144:145]
	v_min3_f32 v124, v146, v144, v124
	v_add_f64 v[144:145], v[6:7], v[58:59]
	v_add_f64 v[146:147], v[4:5], v[56:57]
	v_add_f64 v[58:59], v[2:3], v[58:59]
	v_add_f64 v[56:57], v[0:1], v[56:57]
	v_cvt_f32_f64_e32 v56, v[56:57]
	v_cvt_f32_f64_e32 v57, v[58:59]
	v_min3_f32 v122, v56, v57, v122
	;; [unrolled: 38-line block ×6, first 2 shown]
	s_waitcnt lgkmcnt(1)
	v_add_f64 v[40:41], v[34:35], v[38:39]
	v_add_f64 v[42:43], v[32:33], v[36:37]
	v_cvt_f32_f64_e32 v42, v[42:43]
	v_cvt_f32_f64_e32 v40, v[40:41]
	v_min3_f32 v89, v42, v40, v89
	v_add_f64 v[40:41], v[30:31], v[38:39]
	v_add_f64 v[42:43], v[28:29], v[36:37]
	v_cvt_f32_f64_e32 v42, v[42:43]
	v_cvt_f32_f64_e32 v40, v[40:41]
	v_min3_f32 v88, v42, v40, v88
	;; [unrolled: 5-line block ×6, first 2 shown]
	v_add_f64 v[40:41], v[6:7], v[38:39]
	v_add_f64 v[42:43], v[4:5], v[36:37]
	;; [unrolled: 1-line block ×4, first 2 shown]
	s_waitcnt lgkmcnt(0)
	v_add_f64 v[34:35], v[34:35], v[22:23]
	v_add_f64 v[32:33], v[32:33], v[20:21]
	;; [unrolled: 1-line block ×16, first 2 shown]
	v_cvt_f32_f64_e32 v150, v[150:151]
	v_cvt_f32_f64_e32 v148, v[148:149]
	;; [unrolled: 1-line block ×32, first 2 shown]
	v_min3_f32 v133, v150, v148, v133
	v_min3_f32 v123, v146, v144, v123
	;; [unrolled: 1-line block ×16, first 2 shown]
	s_mov_b32 s36, 2
	s_mov_b64 s[12:13], 0
	s_cbranch_vccz .LBB122_33
; %bb.34:
	v_lshlrev_b32_e32 v0, 5, v143
	v_lshl_add_u32 v0, v140, 3, v0
	s_cmp_gt_i32 s26, 8
	s_mov_b32 s36, 8
	ds_write_b64 v0, v[64:65] offset:18432
	ds_write2st64_b64 v0, v[66:67], v[68:69] offset0:16 offset1:20
	ds_write2st64_b64 v0, v[70:71], v[72:73] offset0:24 offset1:28
	s_waitcnt lgkmcnt(0)
	s_barrier
	s_cbranch_scc0 .LBB122_61
; %bb.35:
	v_add_u32_e32 v143, 0x4800, v0
	v_or_b32_e32 v144, 0x2000, v0
	s_add_i32 s37, s26, -8
	v_lshl_add_u64 v[62:63], v[62:63], 3, s[34:35]
	s_mov_b32 s34, 0
	v_mov_b32_e32 v145, 0x7fefffff
.LBB122_36:                             ; =>This Loop Header: Depth=1
                                        ;     Child Loop BB122_47 Depth 2
                                        ;     Child Loop BB122_59 Depth 2
	v_add_u32_e32 v0, s36, v140
	v_cmp_le_i32_e32 vcc, s26, v0
	s_or_b64 s[12:13], s[2:3], vcc
	s_or_b64 s[42:43], s[28:29], s[12:13]
	v_cndmask_b32_e64 v65, 0, v145, s[12:13]
	s_xor_b64 s[42:43], s[42:43], -1
	v_cndmask_b32_e64 v64, 0, -1, s[12:13]
	s_and_saveexec_b64 s[12:13], s[42:43]
	s_cbranch_execz .LBB122_38
; %bb.37:                               ;   in Loop: Header=BB122_36 Depth=1
	v_mad_u64_u32 v[2:3], s[42:43], v0, s38, 0
	v_mov_b32_e32 v4, v3
	v_mad_u64_u32 v[4:5], s[42:43], v0, s39, v[4:5]
	v_mov_b32_e32 v3, v4
	v_lshl_add_u64 v[2:3], v[2:3], 3, v[62:63]
	flat_load_dwordx2 v[2:3], v[2:3]
	s_waitcnt vmcnt(0) lgkmcnt(0)
	v_mul_f64 v[64:65], v[2:3], s[16:17]
.LBB122_38:                             ;   in Loop: Header=BB122_36 Depth=1
	s_or_b64 exec, exec, s[12:13]
	v_min_i32_e32 v0, s40, v0
	v_mad_i64_i32 v[0:1], s[12:13], v0, s41, 0
	s_or_b64 s[12:13], s[4:5], vcc
	v_lshl_add_u64 v[0:1], v[0:1], 3, s[30:31]
	s_or_b64 s[42:43], s[28:29], s[12:13]
	v_cndmask_b32_e64 v67, 0, v145, s[12:13]
	s_xor_b64 s[42:43], s[42:43], -1
	v_cndmask_b32_e64 v66, 0, -1, s[12:13]
	v_lshl_add_u64 v[0:1], v[60:61], 3, v[0:1]
	s_and_saveexec_b64 s[12:13], s[42:43]
	s_cbranch_execz .LBB122_40
; %bb.39:                               ;   in Loop: Header=BB122_36 Depth=1
	flat_load_dwordx2 v[2:3], v[0:1]
	s_waitcnt vmcnt(0) lgkmcnt(0)
	v_mul_f64 v[66:67], v[2:3], s[16:17]
.LBB122_40:                             ;   in Loop: Header=BB122_36 Depth=1
	s_or_b64 exec, exec, s[12:13]
	s_or_b64 s[12:13], s[6:7], vcc
	s_or_b64 s[42:43], s[28:29], s[12:13]
	v_cndmask_b32_e64 v69, 0, v145, s[12:13]
	s_xor_b64 s[42:43], s[42:43], -1
	v_cndmask_b32_e64 v68, 0, -1, s[12:13]
	s_and_saveexec_b64 s[12:13], s[42:43]
	s_cbranch_execz .LBB122_42
; %bb.41:                               ;   in Loop: Header=BB122_36 Depth=1
	flat_load_dwordx2 v[2:3], v[0:1] offset:512
	s_waitcnt vmcnt(0) lgkmcnt(0)
	v_mul_f64 v[68:69], v[2:3], s[16:17]
.LBB122_42:                             ;   in Loop: Header=BB122_36 Depth=1
	s_or_b64 exec, exec, s[12:13]
	s_or_b64 s[12:13], s[8:9], vcc
	s_or_b64 s[42:43], s[28:29], s[12:13]
	v_cndmask_b32_e64 v71, 0, v145, s[12:13]
	s_xor_b64 s[42:43], s[42:43], -1
	v_cndmask_b32_e64 v70, 0, -1, s[12:13]
	s_and_saveexec_b64 s[12:13], s[42:43]
	s_cbranch_execz .LBB122_44
; %bb.43:                               ;   in Loop: Header=BB122_36 Depth=1
	flat_load_dwordx2 v[2:3], v[0:1] offset:1024
	s_waitcnt vmcnt(0) lgkmcnt(0)
	v_mul_f64 v[70:71], v[2:3], s[16:17]
.LBB122_44:                             ;   in Loop: Header=BB122_36 Depth=1
	s_or_b64 exec, exec, s[12:13]
	s_or_b64 vcc, s[10:11], vcc
	s_or_b64 s[12:13], s[28:29], vcc
	v_cndmask_b32_e32 v73, 0, v145, vcc
	s_xor_b64 s[42:43], s[12:13], -1
	v_cndmask_b32_e64 v72, 0, -1, vcc
	s_and_saveexec_b64 s[12:13], s[42:43]
	s_cbranch_execz .LBB122_46
; %bb.45:                               ;   in Loop: Header=BB122_36 Depth=1
	flat_load_dwordx2 v[0:1], v[0:1] offset:1536
	s_waitcnt vmcnt(0) lgkmcnt(0)
	v_mul_f64 v[72:73], v[0:1], s[16:17]
.LBB122_46:                             ;   in Loop: Header=BB122_36 Depth=1
	s_or_b64 exec, exec, s[12:13]
	s_mov_b32 s35, 0
	s_mov_b64 s[12:13], -1
.LBB122_47:                             ;   Parent Loop BB122_36 Depth=1
                                        ; =>  This Inner Loop Header: Depth=2
	v_cndmask_b32_e64 v0, 0, 1, s[12:13]
	s_lshl_b32 s12, s35, 3
	v_cmp_ne_u32_e32 vcc, 1, v0
	v_lshl_add_u32 v0, v126, 5, s12
	v_lshl_add_u32 v20, v127, 5, s12
	ds_read_b128 v[32:35], v0 offset:18432
	ds_read_b128 v[28:31], v0 offset:18688
	;; [unrolled: 1-line block ×16, first 2 shown]
	s_waitcnt lgkmcnt(7)
	v_add_f64 v[150:151], v[34:35], v[148:149]
	v_add_f64 v[152:153], v[32:33], v[146:147]
	v_cvt_f32_f64_e32 v152, v[152:153]
	v_cvt_f32_f64_e32 v150, v[150:151]
	v_min3_f32 v139, v152, v150, v139
	v_add_f64 v[150:151], v[30:31], v[148:149]
	v_add_f64 v[152:153], v[28:29], v[146:147]
	v_cvt_f32_f64_e32 v152, v[152:153]
	v_cvt_f32_f64_e32 v150, v[150:151]
	v_min3_f32 v138, v152, v150, v138
	v_add_f64 v[150:151], v[26:27], v[148:149]
	v_add_f64 v[152:153], v[24:25], v[146:147]
	v_cvt_f32_f64_e32 v152, v[152:153]
	v_cvt_f32_f64_e32 v150, v[150:151]
	v_min3_f32 v137, v152, v150, v137
	v_add_f64 v[150:151], v[18:19], v[148:149]
	v_add_f64 v[152:153], v[16:17], v[146:147]
	v_cvt_f32_f64_e32 v152, v[152:153]
	v_cvt_f32_f64_e32 v150, v[150:151]
	v_min3_f32 v136, v152, v150, v136
	v_add_f64 v[150:151], v[14:15], v[148:149]
	v_add_f64 v[152:153], v[12:13], v[146:147]
	v_cvt_f32_f64_e32 v152, v[152:153]
	v_cvt_f32_f64_e32 v150, v[150:151]
	v_min3_f32 v135, v152, v150, v135
	v_add_f64 v[150:151], v[10:11], v[148:149]
	v_add_f64 v[152:153], v[8:9], v[146:147]
	v_cvt_f32_f64_e32 v152, v[152:153]
	v_cvt_f32_f64_e32 v150, v[150:151]
	v_min3_f32 v134, v152, v150, v134
	v_add_f64 v[150:151], v[6:7], v[148:149]
	v_add_f64 v[152:153], v[4:5], v[146:147]
	v_add_f64 v[148:149], v[2:3], v[148:149]
	v_add_f64 v[146:147], v[0:1], v[146:147]
	v_cvt_f32_f64_e32 v146, v[146:147]
	v_cvt_f32_f64_e32 v147, v[148:149]
	v_min3_f32 v132, v146, v147, v132
	s_waitcnt lgkmcnt(6)
	v_add_f64 v[146:147], v[34:35], v[58:59]
	v_add_f64 v[148:149], v[32:33], v[56:57]
	v_cvt_f32_f64_e32 v148, v[148:149]
	v_cvt_f32_f64_e32 v146, v[146:147]
	v_min3_f32 v131, v148, v146, v131
	v_add_f64 v[146:147], v[30:31], v[58:59]
	v_add_f64 v[148:149], v[28:29], v[56:57]
	v_cvt_f32_f64_e32 v148, v[148:149]
	v_cvt_f32_f64_e32 v146, v[146:147]
	v_min3_f32 v130, v148, v146, v130
	v_add_f64 v[146:147], v[26:27], v[58:59]
	v_add_f64 v[148:149], v[24:25], v[56:57]
	v_cvt_f32_f64_e32 v148, v[148:149]
	v_cvt_f32_f64_e32 v146, v[146:147]
	v_min3_f32 v129, v148, v146, v129
	v_add_f64 v[146:147], v[18:19], v[58:59]
	v_add_f64 v[148:149], v[16:17], v[56:57]
	v_cvt_f32_f64_e32 v148, v[148:149]
	v_cvt_f32_f64_e32 v146, v[146:147]
	v_min3_f32 v128, v148, v146, v128
	v_add_f64 v[146:147], v[14:15], v[58:59]
	v_add_f64 v[148:149], v[12:13], v[56:57]
	v_cvt_f32_f64_e32 v148, v[148:149]
	v_cvt_f32_f64_e32 v146, v[146:147]
	v_min3_f32 v125, v148, v146, v125
	v_add_f64 v[146:147], v[10:11], v[58:59]
	v_add_f64 v[148:149], v[8:9], v[56:57]
	v_cvt_f32_f64_e32 v148, v[148:149]
	v_cvt_f32_f64_e32 v146, v[146:147]
	v_min3_f32 v124, v148, v146, v124
	v_add_f64 v[146:147], v[6:7], v[58:59]
	v_add_f64 v[148:149], v[4:5], v[56:57]
	v_add_f64 v[58:59], v[2:3], v[58:59]
	v_add_f64 v[56:57], v[0:1], v[56:57]
	v_cvt_f32_f64_e32 v56, v[56:57]
	v_cvt_f32_f64_e32 v57, v[58:59]
	v_min3_f32 v122, v56, v57, v122
	s_waitcnt lgkmcnt(5)
	v_add_f64 v[56:57], v[34:35], v[54:55]
	v_add_f64 v[58:59], v[32:33], v[52:53]
	v_cvt_f32_f64_e32 v58, v[58:59]
	v_cvt_f32_f64_e32 v56, v[56:57]
	v_min3_f32 v121, v58, v56, v121
	v_add_f64 v[56:57], v[30:31], v[54:55]
	v_add_f64 v[58:59], v[28:29], v[52:53]
	v_cvt_f32_f64_e32 v58, v[58:59]
	v_cvt_f32_f64_e32 v56, v[56:57]
	v_min3_f32 v120, v58, v56, v120
	v_add_f64 v[56:57], v[26:27], v[54:55]
	v_add_f64 v[58:59], v[24:25], v[52:53]
	v_cvt_f32_f64_e32 v58, v[58:59]
	v_cvt_f32_f64_e32 v56, v[56:57]
	v_min3_f32 v119, v58, v56, v119
	v_add_f64 v[56:57], v[18:19], v[54:55]
	v_add_f64 v[58:59], v[16:17], v[52:53]
	v_cvt_f32_f64_e32 v58, v[58:59]
	v_cvt_f32_f64_e32 v56, v[56:57]
	v_min3_f32 v118, v58, v56, v118
	v_add_f64 v[56:57], v[14:15], v[54:55]
	v_add_f64 v[58:59], v[12:13], v[52:53]
	v_cvt_f32_f64_e32 v58, v[58:59]
	v_cvt_f32_f64_e32 v56, v[56:57]
	v_min3_f32 v117, v58, v56, v117
	v_add_f64 v[56:57], v[10:11], v[54:55]
	v_add_f64 v[58:59], v[8:9], v[52:53]
	v_cvt_f32_f64_e32 v58, v[58:59]
	v_cvt_f32_f64_e32 v56, v[56:57]
	v_min3_f32 v116, v58, v56, v116
	v_add_f64 v[56:57], v[6:7], v[54:55]
	v_add_f64 v[58:59], v[4:5], v[52:53]
	v_add_f64 v[54:55], v[2:3], v[54:55]
	v_add_f64 v[52:53], v[0:1], v[52:53]
	v_cvt_f32_f64_e32 v52, v[52:53]
	v_cvt_f32_f64_e32 v53, v[54:55]
	v_min3_f32 v114, v52, v53, v114
	s_waitcnt lgkmcnt(4)
	v_add_f64 v[52:53], v[34:35], v[50:51]
	v_add_f64 v[54:55], v[32:33], v[48:49]
	v_cvt_f32_f64_e32 v54, v[54:55]
	v_cvt_f32_f64_e32 v52, v[52:53]
	v_min3_f32 v113, v54, v52, v113
	v_add_f64 v[52:53], v[30:31], v[50:51]
	v_add_f64 v[54:55], v[28:29], v[48:49]
	v_cvt_f32_f64_e32 v54, v[54:55]
	v_cvt_f32_f64_e32 v52, v[52:53]
	v_min3_f32 v112, v54, v52, v112
	v_add_f64 v[52:53], v[26:27], v[50:51]
	v_add_f64 v[54:55], v[24:25], v[48:49]
	v_cvt_f32_f64_e32 v54, v[54:55]
	v_cvt_f32_f64_e32 v52, v[52:53]
	v_min3_f32 v111, v54, v52, v111
	v_add_f64 v[52:53], v[18:19], v[50:51]
	v_add_f64 v[54:55], v[16:17], v[48:49]
	v_cvt_f32_f64_e32 v54, v[54:55]
	v_cvt_f32_f64_e32 v52, v[52:53]
	v_min3_f32 v110, v54, v52, v110
	v_add_f64 v[52:53], v[14:15], v[50:51]
	v_add_f64 v[54:55], v[12:13], v[48:49]
	v_cvt_f32_f64_e32 v54, v[54:55]
	v_cvt_f32_f64_e32 v52, v[52:53]
	v_min3_f32 v109, v54, v52, v109
	v_add_f64 v[52:53], v[10:11], v[50:51]
	v_add_f64 v[54:55], v[8:9], v[48:49]
	v_cvt_f32_f64_e32 v54, v[54:55]
	v_cvt_f32_f64_e32 v52, v[52:53]
	v_min3_f32 v108, v54, v52, v108
	v_add_f64 v[52:53], v[6:7], v[50:51]
	v_add_f64 v[54:55], v[4:5], v[48:49]
	v_add_f64 v[50:51], v[2:3], v[50:51]
	v_add_f64 v[48:49], v[0:1], v[48:49]
	v_cvt_f32_f64_e32 v48, v[48:49]
	v_cvt_f32_f64_e32 v49, v[50:51]
	v_min3_f32 v106, v48, v49, v106
	s_waitcnt lgkmcnt(3)
	v_add_f64 v[48:49], v[34:35], v[46:47]
	v_add_f64 v[50:51], v[32:33], v[44:45]
	v_cvt_f32_f64_e32 v50, v[50:51]
	v_cvt_f32_f64_e32 v48, v[48:49]
	v_min3_f32 v105, v50, v48, v105
	v_add_f64 v[48:49], v[30:31], v[46:47]
	v_add_f64 v[50:51], v[28:29], v[44:45]
	v_cvt_f32_f64_e32 v50, v[50:51]
	v_cvt_f32_f64_e32 v48, v[48:49]
	v_min3_f32 v104, v50, v48, v104
	v_add_f64 v[48:49], v[26:27], v[46:47]
	v_add_f64 v[50:51], v[24:25], v[44:45]
	v_cvt_f32_f64_e32 v50, v[50:51]
	v_cvt_f32_f64_e32 v48, v[48:49]
	v_min3_f32 v103, v50, v48, v103
	v_add_f64 v[48:49], v[18:19], v[46:47]
	v_add_f64 v[50:51], v[16:17], v[44:45]
	v_cvt_f32_f64_e32 v50, v[50:51]
	v_cvt_f32_f64_e32 v48, v[48:49]
	v_min3_f32 v102, v50, v48, v102
	v_add_f64 v[48:49], v[14:15], v[46:47]
	v_add_f64 v[50:51], v[12:13], v[44:45]
	v_cvt_f32_f64_e32 v50, v[50:51]
	v_cvt_f32_f64_e32 v48, v[48:49]
	v_min3_f32 v101, v50, v48, v101
	v_add_f64 v[48:49], v[10:11], v[46:47]
	v_add_f64 v[50:51], v[8:9], v[44:45]
	v_cvt_f32_f64_e32 v50, v[50:51]
	v_cvt_f32_f64_e32 v48, v[48:49]
	v_min3_f32 v100, v50, v48, v100
	v_add_f64 v[48:49], v[6:7], v[46:47]
	v_add_f64 v[50:51], v[4:5], v[44:45]
	v_add_f64 v[46:47], v[2:3], v[46:47]
	v_add_f64 v[44:45], v[0:1], v[44:45]
	v_cvt_f32_f64_e32 v44, v[44:45]
	v_cvt_f32_f64_e32 v45, v[46:47]
	v_min3_f32 v98, v44, v45, v98
	s_waitcnt lgkmcnt(2)
	v_add_f64 v[44:45], v[34:35], v[42:43]
	v_add_f64 v[46:47], v[32:33], v[40:41]
	v_cvt_f32_f64_e32 v46, v[46:47]
	v_cvt_f32_f64_e32 v44, v[44:45]
	v_min3_f32 v97, v46, v44, v97
	v_add_f64 v[44:45], v[30:31], v[42:43]
	v_add_f64 v[46:47], v[28:29], v[40:41]
	v_cvt_f32_f64_e32 v46, v[46:47]
	v_cvt_f32_f64_e32 v44, v[44:45]
	v_min3_f32 v96, v46, v44, v96
	v_add_f64 v[44:45], v[26:27], v[42:43]
	v_add_f64 v[46:47], v[24:25], v[40:41]
	v_cvt_f32_f64_e32 v46, v[46:47]
	v_cvt_f32_f64_e32 v44, v[44:45]
	v_min3_f32 v95, v46, v44, v95
	v_add_f64 v[44:45], v[18:19], v[42:43]
	v_add_f64 v[46:47], v[16:17], v[40:41]
	v_cvt_f32_f64_e32 v46, v[46:47]
	v_cvt_f32_f64_e32 v44, v[44:45]
	v_min3_f32 v94, v46, v44, v94
	v_add_f64 v[44:45], v[14:15], v[42:43]
	v_add_f64 v[46:47], v[12:13], v[40:41]
	v_cvt_f32_f64_e32 v46, v[46:47]
	v_cvt_f32_f64_e32 v44, v[44:45]
	v_min3_f32 v93, v46, v44, v93
	v_add_f64 v[44:45], v[10:11], v[42:43]
	v_add_f64 v[46:47], v[8:9], v[40:41]
	v_cvt_f32_f64_e32 v46, v[46:47]
	v_cvt_f32_f64_e32 v44, v[44:45]
	v_min3_f32 v92, v46, v44, v92
	v_add_f64 v[44:45], v[6:7], v[42:43]
	v_add_f64 v[46:47], v[4:5], v[40:41]
	v_add_f64 v[42:43], v[2:3], v[42:43]
	v_add_f64 v[40:41], v[0:1], v[40:41]
	v_cvt_f32_f64_e32 v40, v[40:41]
	v_cvt_f32_f64_e32 v41, v[42:43]
	v_min3_f32 v90, v40, v41, v90
	s_waitcnt lgkmcnt(1)
	v_add_f64 v[40:41], v[34:35], v[38:39]
	v_add_f64 v[42:43], v[32:33], v[36:37]
	v_cvt_f32_f64_e32 v42, v[42:43]
	v_cvt_f32_f64_e32 v40, v[40:41]
	v_min3_f32 v89, v42, v40, v89
	v_add_f64 v[40:41], v[30:31], v[38:39]
	v_add_f64 v[42:43], v[28:29], v[36:37]
	v_cvt_f32_f64_e32 v42, v[42:43]
	v_cvt_f32_f64_e32 v40, v[40:41]
	v_min3_f32 v88, v42, v40, v88
	;; [unrolled: 5-line block ×6, first 2 shown]
	v_add_f64 v[40:41], v[6:7], v[38:39]
	v_add_f64 v[42:43], v[4:5], v[36:37]
	;; [unrolled: 1-line block ×4, first 2 shown]
	s_waitcnt lgkmcnt(0)
	v_add_f64 v[34:35], v[34:35], v[22:23]
	v_add_f64 v[32:33], v[32:33], v[20:21]
	;; [unrolled: 1-line block ×16, first 2 shown]
	v_cvt_f32_f64_e32 v152, v[152:153]
	v_cvt_f32_f64_e32 v150, v[150:151]
	;; [unrolled: 1-line block ×32, first 2 shown]
	v_min3_f32 v133, v152, v150, v133
	v_min3_f32 v123, v148, v146, v123
	;; [unrolled: 1-line block ×16, first 2 shown]
	s_mov_b32 s35, 2
	s_mov_b64 s[12:13], 0
	s_cbranch_vccz .LBB122_47
; %bb.48:                               ;   in Loop: Header=BB122_36 Depth=1
	v_add3_u32 v0, v140, s36, 4
	v_cmp_le_i32_e32 vcc, s26, v0
	s_or_b64 s[12:13], s[2:3], vcc
	s_or_b64 s[42:43], s[28:29], s[12:13]
	ds_write_b64 v142, v[64:65]
	ds_write2st64_b64 v141, v[66:67], v[68:69] offset1:4
	ds_write2st64_b64 v141, v[70:71], v[72:73] offset0:8 offset1:12
	v_cndmask_b32_e64 v65, 0, v145, s[12:13]
	s_xor_b64 s[42:43], s[42:43], -1
	v_cndmask_b32_e64 v64, 0, -1, s[12:13]
	s_waitcnt lgkmcnt(0)
	s_barrier
	s_and_saveexec_b64 s[12:13], s[42:43]
	s_cbranch_execz .LBB122_50
; %bb.49:                               ;   in Loop: Header=BB122_36 Depth=1
	v_mad_u64_u32 v[2:3], s[42:43], v0, s38, 0
	v_mov_b32_e32 v4, v3
	v_mad_u64_u32 v[4:5], s[42:43], v0, s39, v[4:5]
	v_mov_b32_e32 v3, v4
	v_lshl_add_u64 v[2:3], v[2:3], 3, v[62:63]
	flat_load_dwordx2 v[2:3], v[2:3]
	s_waitcnt vmcnt(0) lgkmcnt(0)
	v_mul_f64 v[64:65], v[2:3], s[16:17]
.LBB122_50:                             ;   in Loop: Header=BB122_36 Depth=1
	s_or_b64 exec, exec, s[12:13]
	v_min_i32_e32 v0, s40, v0
	v_mad_i64_i32 v[0:1], s[12:13], v0, s41, 0
	s_or_b64 s[12:13], s[4:5], vcc
	v_lshl_add_u64 v[0:1], v[0:1], 3, s[30:31]
	s_or_b64 s[42:43], s[28:29], s[12:13]
	v_cndmask_b32_e64 v67, 0, v145, s[12:13]
	s_xor_b64 s[42:43], s[42:43], -1
	v_cndmask_b32_e64 v66, 0, -1, s[12:13]
	v_lshl_add_u64 v[0:1], v[60:61], 3, v[0:1]
	s_and_saveexec_b64 s[12:13], s[42:43]
	s_cbranch_execz .LBB122_52
; %bb.51:                               ;   in Loop: Header=BB122_36 Depth=1
	flat_load_dwordx2 v[2:3], v[0:1]
	s_waitcnt vmcnt(0) lgkmcnt(0)
	v_mul_f64 v[66:67], v[2:3], s[16:17]
.LBB122_52:                             ;   in Loop: Header=BB122_36 Depth=1
	s_or_b64 exec, exec, s[12:13]
	s_or_b64 s[12:13], s[6:7], vcc
	s_or_b64 s[42:43], s[28:29], s[12:13]
	v_cndmask_b32_e64 v69, 0, v145, s[12:13]
	s_xor_b64 s[42:43], s[42:43], -1
	v_cndmask_b32_e64 v68, 0, -1, s[12:13]
	s_and_saveexec_b64 s[12:13], s[42:43]
	s_cbranch_execz .LBB122_54
; %bb.53:                               ;   in Loop: Header=BB122_36 Depth=1
	flat_load_dwordx2 v[2:3], v[0:1] offset:512
	s_waitcnt vmcnt(0) lgkmcnt(0)
	v_mul_f64 v[68:69], v[2:3], s[16:17]
.LBB122_54:                             ;   in Loop: Header=BB122_36 Depth=1
	s_or_b64 exec, exec, s[12:13]
	s_or_b64 s[12:13], s[8:9], vcc
	s_or_b64 s[42:43], s[28:29], s[12:13]
	v_cndmask_b32_e64 v71, 0, v145, s[12:13]
	s_xor_b64 s[42:43], s[42:43], -1
	v_cndmask_b32_e64 v70, 0, -1, s[12:13]
	s_and_saveexec_b64 s[12:13], s[42:43]
	s_cbranch_execz .LBB122_56
; %bb.55:                               ;   in Loop: Header=BB122_36 Depth=1
	flat_load_dwordx2 v[2:3], v[0:1] offset:1024
	s_waitcnt vmcnt(0) lgkmcnt(0)
	v_mul_f64 v[70:71], v[2:3], s[16:17]
.LBB122_56:                             ;   in Loop: Header=BB122_36 Depth=1
	s_or_b64 exec, exec, s[12:13]
	s_or_b64 vcc, s[10:11], vcc
	s_or_b64 s[12:13], s[28:29], vcc
	v_cndmask_b32_e32 v73, 0, v145, vcc
	s_xor_b64 s[42:43], s[12:13], -1
	v_cndmask_b32_e64 v72, 0, -1, vcc
	s_and_saveexec_b64 s[12:13], s[42:43]
	s_cbranch_execz .LBB122_58
; %bb.57:                               ;   in Loop: Header=BB122_36 Depth=1
	flat_load_dwordx2 v[0:1], v[0:1] offset:1536
	s_waitcnt vmcnt(0) lgkmcnt(0)
	v_mul_f64 v[72:73], v[0:1], s[16:17]
.LBB122_58:                             ;   in Loop: Header=BB122_36 Depth=1
	s_or_b64 exec, exec, s[12:13]
	s_mov_b32 s35, 0
	s_mov_b64 s[12:13], -1
.LBB122_59:                             ;   Parent Loop BB122_36 Depth=1
                                        ; =>  This Inner Loop Header: Depth=2
	v_cndmask_b32_e64 v0, 0, 1, s[12:13]
	s_lshl_b32 s12, s35, 3
	v_cmp_ne_u32_e32 vcc, 1, v0
	v_lshl_add_u32 v0, v126, 5, s12
	v_lshl_add_u32 v20, v127, 5, s12
	ds_read_b128 v[32:35], v0 offset:16384
	ds_read_b128 v[28:31], v0 offset:16640
	;; [unrolled: 1-line block ×8, first 2 shown]
	ds_read_b128 v[146:149], v20
	ds_read_b128 v[56:59], v20 offset:1024
	ds_read_b128 v[52:55], v20 offset:2048
	;; [unrolled: 1-line block ×7, first 2 shown]
	s_waitcnt lgkmcnt(7)
	v_add_f64 v[150:151], v[34:35], v[148:149]
	v_add_f64 v[152:153], v[32:33], v[146:147]
	v_cvt_f32_f64_e32 v152, v[152:153]
	v_cvt_f32_f64_e32 v150, v[150:151]
	v_min3_f32 v139, v152, v150, v139
	v_add_f64 v[150:151], v[30:31], v[148:149]
	v_add_f64 v[152:153], v[28:29], v[146:147]
	v_cvt_f32_f64_e32 v152, v[152:153]
	v_cvt_f32_f64_e32 v150, v[150:151]
	v_min3_f32 v138, v152, v150, v138
	v_add_f64 v[150:151], v[26:27], v[148:149]
	v_add_f64 v[152:153], v[24:25], v[146:147]
	v_cvt_f32_f64_e32 v152, v[152:153]
	v_cvt_f32_f64_e32 v150, v[150:151]
	v_min3_f32 v137, v152, v150, v137
	v_add_f64 v[150:151], v[18:19], v[148:149]
	v_add_f64 v[152:153], v[16:17], v[146:147]
	v_cvt_f32_f64_e32 v152, v[152:153]
	v_cvt_f32_f64_e32 v150, v[150:151]
	v_min3_f32 v136, v152, v150, v136
	v_add_f64 v[150:151], v[14:15], v[148:149]
	v_add_f64 v[152:153], v[12:13], v[146:147]
	v_cvt_f32_f64_e32 v152, v[152:153]
	v_cvt_f32_f64_e32 v150, v[150:151]
	v_min3_f32 v135, v152, v150, v135
	v_add_f64 v[150:151], v[10:11], v[148:149]
	v_add_f64 v[152:153], v[8:9], v[146:147]
	v_cvt_f32_f64_e32 v152, v[152:153]
	v_cvt_f32_f64_e32 v150, v[150:151]
	v_min3_f32 v134, v152, v150, v134
	v_add_f64 v[150:151], v[6:7], v[148:149]
	v_add_f64 v[152:153], v[4:5], v[146:147]
	v_add_f64 v[148:149], v[2:3], v[148:149]
	v_add_f64 v[146:147], v[0:1], v[146:147]
	v_cvt_f32_f64_e32 v146, v[146:147]
	v_cvt_f32_f64_e32 v147, v[148:149]
	v_min3_f32 v132, v146, v147, v132
	s_waitcnt lgkmcnt(6)
	v_add_f64 v[146:147], v[34:35], v[58:59]
	v_add_f64 v[148:149], v[32:33], v[56:57]
	v_cvt_f32_f64_e32 v148, v[148:149]
	v_cvt_f32_f64_e32 v146, v[146:147]
	v_min3_f32 v131, v148, v146, v131
	v_add_f64 v[146:147], v[30:31], v[58:59]
	v_add_f64 v[148:149], v[28:29], v[56:57]
	v_cvt_f32_f64_e32 v148, v[148:149]
	v_cvt_f32_f64_e32 v146, v[146:147]
	v_min3_f32 v130, v148, v146, v130
	v_add_f64 v[146:147], v[26:27], v[58:59]
	v_add_f64 v[148:149], v[24:25], v[56:57]
	v_cvt_f32_f64_e32 v148, v[148:149]
	v_cvt_f32_f64_e32 v146, v[146:147]
	v_min3_f32 v129, v148, v146, v129
	v_add_f64 v[146:147], v[18:19], v[58:59]
	v_add_f64 v[148:149], v[16:17], v[56:57]
	v_cvt_f32_f64_e32 v148, v[148:149]
	v_cvt_f32_f64_e32 v146, v[146:147]
	v_min3_f32 v128, v148, v146, v128
	v_add_f64 v[146:147], v[14:15], v[58:59]
	v_add_f64 v[148:149], v[12:13], v[56:57]
	v_cvt_f32_f64_e32 v148, v[148:149]
	v_cvt_f32_f64_e32 v146, v[146:147]
	v_min3_f32 v125, v148, v146, v125
	v_add_f64 v[146:147], v[10:11], v[58:59]
	v_add_f64 v[148:149], v[8:9], v[56:57]
	v_cvt_f32_f64_e32 v148, v[148:149]
	v_cvt_f32_f64_e32 v146, v[146:147]
	v_min3_f32 v124, v148, v146, v124
	v_add_f64 v[146:147], v[6:7], v[58:59]
	v_add_f64 v[148:149], v[4:5], v[56:57]
	v_add_f64 v[58:59], v[2:3], v[58:59]
	v_add_f64 v[56:57], v[0:1], v[56:57]
	v_cvt_f32_f64_e32 v56, v[56:57]
	v_cvt_f32_f64_e32 v57, v[58:59]
	v_min3_f32 v122, v56, v57, v122
	;; [unrolled: 38-line block ×6, first 2 shown]
	s_waitcnt lgkmcnt(1)
	v_add_f64 v[40:41], v[34:35], v[38:39]
	v_add_f64 v[42:43], v[32:33], v[36:37]
	v_cvt_f32_f64_e32 v42, v[42:43]
	v_cvt_f32_f64_e32 v40, v[40:41]
	v_min3_f32 v89, v42, v40, v89
	v_add_f64 v[40:41], v[30:31], v[38:39]
	v_add_f64 v[42:43], v[28:29], v[36:37]
	v_cvt_f32_f64_e32 v42, v[42:43]
	v_cvt_f32_f64_e32 v40, v[40:41]
	v_min3_f32 v88, v42, v40, v88
	;; [unrolled: 5-line block ×6, first 2 shown]
	v_add_f64 v[40:41], v[6:7], v[38:39]
	v_add_f64 v[42:43], v[4:5], v[36:37]
	;; [unrolled: 1-line block ×4, first 2 shown]
	s_waitcnt lgkmcnt(0)
	v_add_f64 v[34:35], v[34:35], v[22:23]
	v_add_f64 v[32:33], v[32:33], v[20:21]
	;; [unrolled: 1-line block ×16, first 2 shown]
	v_cvt_f32_f64_e32 v152, v[152:153]
	v_cvt_f32_f64_e32 v150, v[150:151]
	;; [unrolled: 1-line block ×32, first 2 shown]
	v_min3_f32 v133, v152, v150, v133
	v_min3_f32 v123, v148, v146, v123
	;; [unrolled: 1-line block ×16, first 2 shown]
	s_mov_b32 s35, 2
	s_mov_b64 s[12:13], 0
	s_cbranch_vccz .LBB122_59
; %bb.60:                               ;   in Loop: Header=BB122_36 Depth=1
	s_add_i32 s36, s36, 8
	s_add_i32 s34, s34, 8
	s_cmp_ge_i32 s34, s37
	ds_write_b64 v143, v[64:65]
	ds_write2st64_b64 v144, v[66:67], v[68:69] offset1:4
	ds_write2st64_b64 v144, v[70:71], v[72:73] offset0:8 offset1:12
	s_waitcnt lgkmcnt(0)
	s_barrier
	s_cbranch_scc0 .LBB122_36
.LBB122_61:
	s_mov_b32 s4, 0
	s_mov_b64 s[2:3], -1
.LBB122_62:                             ; =>This Inner Loop Header: Depth=1
	v_cndmask_b32_e64 v0, 0, 1, s[2:3]
	s_lshl_b32 s2, s4, 3
	v_cmp_ne_u32_e32 vcc, 1, v0
	v_lshl_add_u32 v0, v126, 5, s2
	v_lshl_add_u32 v20, v127, 5, s2
	ds_read_b128 v[32:35], v0 offset:18432
	ds_read_b128 v[28:31], v0 offset:18688
	ds_read_b128 v[24:27], v0 offset:18944
	ds_read_b128 v[16:19], v0 offset:19200
	ds_read_b128 v[12:15], v0 offset:19456
	ds_read_b128 v[8:11], v0 offset:19712
	ds_read_b128 v[4:7], v0 offset:19968
	ds_read_b128 v[0:3], v0 offset:20224
	ds_read_b128 v[60:63], v20 offset:8192
	ds_read_b128 v[56:59], v20 offset:9216
	ds_read_b128 v[52:55], v20 offset:10240
	ds_read_b128 v[48:51], v20 offset:11264
	ds_read_b128 v[44:47], v20 offset:12288
	ds_read_b128 v[40:43], v20 offset:13312
	ds_read_b128 v[36:39], v20 offset:14336
	ds_read_b128 v[20:23], v20 offset:15360
	s_waitcnt lgkmcnt(7)
	v_add_f64 v[64:65], v[34:35], v[62:63]
	v_add_f64 v[66:67], v[32:33], v[60:61]
	v_cvt_f32_f64_e32 v66, v[66:67]
	v_cvt_f32_f64_e32 v64, v[64:65]
	v_min3_f32 v139, v66, v64, v139
	v_add_f64 v[64:65], v[30:31], v[62:63]
	v_add_f64 v[66:67], v[28:29], v[60:61]
	v_cvt_f32_f64_e32 v66, v[66:67]
	v_cvt_f32_f64_e32 v64, v[64:65]
	v_min3_f32 v138, v66, v64, v138
	v_add_f64 v[64:65], v[26:27], v[62:63]
	v_add_f64 v[66:67], v[24:25], v[60:61]
	v_cvt_f32_f64_e32 v66, v[66:67]
	v_cvt_f32_f64_e32 v64, v[64:65]
	v_min3_f32 v137, v66, v64, v137
	v_add_f64 v[64:65], v[18:19], v[62:63]
	v_add_f64 v[66:67], v[16:17], v[60:61]
	v_cvt_f32_f64_e32 v66, v[66:67]
	v_cvt_f32_f64_e32 v64, v[64:65]
	v_min3_f32 v136, v66, v64, v136
	v_add_f64 v[64:65], v[14:15], v[62:63]
	v_add_f64 v[66:67], v[12:13], v[60:61]
	v_cvt_f32_f64_e32 v66, v[66:67]
	v_cvt_f32_f64_e32 v64, v[64:65]
	v_min3_f32 v135, v66, v64, v135
	v_add_f64 v[64:65], v[10:11], v[62:63]
	v_add_f64 v[66:67], v[8:9], v[60:61]
	v_cvt_f32_f64_e32 v66, v[66:67]
	v_cvt_f32_f64_e32 v64, v[64:65]
	v_min3_f32 v134, v66, v64, v134
	v_add_f64 v[64:65], v[6:7], v[62:63]
	v_add_f64 v[66:67], v[4:5], v[60:61]
	v_add_f64 v[62:63], v[2:3], v[62:63]
	v_add_f64 v[60:61], v[0:1], v[60:61]
	v_cvt_f32_f64_e32 v60, v[60:61]
	v_cvt_f32_f64_e32 v61, v[62:63]
	v_min3_f32 v132, v60, v61, v132
	s_waitcnt lgkmcnt(6)
	v_add_f64 v[60:61], v[34:35], v[58:59]
	v_add_f64 v[62:63], v[32:33], v[56:57]
	v_cvt_f32_f64_e32 v62, v[62:63]
	v_cvt_f32_f64_e32 v60, v[60:61]
	v_min3_f32 v131, v62, v60, v131
	v_add_f64 v[60:61], v[30:31], v[58:59]
	v_add_f64 v[62:63], v[28:29], v[56:57]
	v_cvt_f32_f64_e32 v62, v[62:63]
	v_cvt_f32_f64_e32 v60, v[60:61]
	v_min3_f32 v130, v62, v60, v130
	v_add_f64 v[60:61], v[26:27], v[58:59]
	v_add_f64 v[62:63], v[24:25], v[56:57]
	v_cvt_f32_f64_e32 v62, v[62:63]
	v_cvt_f32_f64_e32 v60, v[60:61]
	v_min3_f32 v129, v62, v60, v129
	v_add_f64 v[60:61], v[18:19], v[58:59]
	v_add_f64 v[62:63], v[16:17], v[56:57]
	v_cvt_f32_f64_e32 v62, v[62:63]
	v_cvt_f32_f64_e32 v60, v[60:61]
	v_min3_f32 v128, v62, v60, v128
	v_add_f64 v[60:61], v[14:15], v[58:59]
	v_add_f64 v[62:63], v[12:13], v[56:57]
	v_cvt_f32_f64_e32 v62, v[62:63]
	v_cvt_f32_f64_e32 v60, v[60:61]
	v_min3_f32 v125, v62, v60, v125
	v_add_f64 v[60:61], v[10:11], v[58:59]
	v_add_f64 v[62:63], v[8:9], v[56:57]
	v_cvt_f32_f64_e32 v62, v[62:63]
	v_cvt_f32_f64_e32 v60, v[60:61]
	v_min3_f32 v124, v62, v60, v124
	v_add_f64 v[60:61], v[6:7], v[58:59]
	v_add_f64 v[62:63], v[4:5], v[56:57]
	v_add_f64 v[58:59], v[2:3], v[58:59]
	v_add_f64 v[56:57], v[0:1], v[56:57]
	v_cvt_f32_f64_e32 v56, v[56:57]
	v_cvt_f32_f64_e32 v57, v[58:59]
	v_min3_f32 v122, v56, v57, v122
	;; [unrolled: 38-line block ×6, first 2 shown]
	s_waitcnt lgkmcnt(1)
	v_add_f64 v[40:41], v[34:35], v[38:39]
	v_add_f64 v[42:43], v[32:33], v[36:37]
	v_cvt_f32_f64_e32 v42, v[42:43]
	v_cvt_f32_f64_e32 v40, v[40:41]
	v_min3_f32 v89, v42, v40, v89
	v_add_f64 v[40:41], v[30:31], v[38:39]
	v_add_f64 v[42:43], v[28:29], v[36:37]
	v_cvt_f32_f64_e32 v42, v[42:43]
	v_cvt_f32_f64_e32 v40, v[40:41]
	v_min3_f32 v88, v42, v40, v88
	;; [unrolled: 5-line block ×6, first 2 shown]
	v_add_f64 v[40:41], v[6:7], v[38:39]
	v_add_f64 v[42:43], v[4:5], v[36:37]
	v_add_f64 v[38:39], v[2:3], v[38:39]
	v_add_f64 v[36:37], v[0:1], v[36:37]
	s_waitcnt lgkmcnt(0)
	v_add_f64 v[34:35], v[34:35], v[22:23]
	v_add_f64 v[32:33], v[32:33], v[20:21]
	;; [unrolled: 1-line block ×16, first 2 shown]
	v_cvt_f32_f64_e32 v66, v[66:67]
	v_cvt_f32_f64_e32 v64, v[64:65]
	v_cvt_f32_f64_e32 v62, v[62:63]
	v_cvt_f32_f64_e32 v60, v[60:61]
	v_cvt_f32_f64_e32 v58, v[58:59]
	v_cvt_f32_f64_e32 v56, v[56:57]
	v_cvt_f32_f64_e32 v54, v[54:55]
	v_cvt_f32_f64_e32 v52, v[52:53]
	v_cvt_f32_f64_e32 v50, v[50:51]
	v_cvt_f32_f64_e32 v48, v[48:49]
	v_cvt_f32_f64_e32 v46, v[46:47]
	v_cvt_f32_f64_e32 v44, v[44:45]
	v_cvt_f32_f64_e32 v42, v[42:43]
	v_cvt_f32_f64_e32 v40, v[40:41]
	v_cvt_f32_f64_e32 v36, v[36:37]
	v_cvt_f32_f64_e32 v37, v[38:39]
	v_cvt_f32_f64_e32 v32, v[32:33]
	v_cvt_f32_f64_e32 v33, v[34:35]
	v_cvt_f32_f64_e32 v28, v[28:29]
	v_cvt_f32_f64_e32 v29, v[30:31]
	v_cvt_f32_f64_e32 v24, v[24:25]
	v_cvt_f32_f64_e32 v25, v[26:27]
	v_cvt_f32_f64_e32 v16, v[16:17]
	v_cvt_f32_f64_e32 v17, v[18:19]
	v_cvt_f32_f64_e32 v12, v[12:13]
	v_cvt_f32_f64_e32 v13, v[14:15]
	v_cvt_f32_f64_e32 v8, v[8:9]
	v_cvt_f32_f64_e32 v9, v[10:11]
	v_cvt_f32_f64_e32 v4, v[4:5]
	v_cvt_f32_f64_e32 v5, v[6:7]
	v_cvt_f32_f64_e32 v0, v[0:1]
	v_cvt_f32_f64_e32 v1, v[2:3]
	v_min3_f32 v133, v66, v64, v133
	v_min3_f32 v123, v62, v60, v123
	;; [unrolled: 1-line block ×16, first 2 shown]
	s_mov_b32 s4, 2
	s_mov_b64 s[2:3], 0
	s_cbranch_vccz .LBB122_62
; %bb.63:
	s_load_dwordx2 s[2:3], s[0:1], 0x78
	s_load_dword s31, s[0:1], 0x58
	s_load_dword s30, s[0:1], 0x70
	v_add_u32_e32 v22, s33, v127
	v_add_u32_e32 v0, s27, v126
	s_waitcnt lgkmcnt(0)
	s_lshl_b64 s[0:1], s[2:3], 3
	s_add_u32 s26, s18, s0
	s_addc_u32 s27, s19, s1
	v_mad_i64_i32 v[2:3], s[0:1], v22, s31, 0
	v_lshl_add_u64 v[18:19], v[2:3], 3, s[20:21]
	v_mad_i64_i32 v[2:3], s[0:1], v22, s30, 0
	v_cmp_gt_i32_e64 s[2:3], s24, v0
	v_cmp_gt_i32_e64 s[18:19], s25, v22
	v_lshl_add_u64 v[16:17], v[2:3], 3, s[26:27]
	v_cndmask_b32_e64 v2, 0, 1, s[14:15]
	v_ashrrev_i32_e32 v1, 31, v0
	s_and_b64 s[6:7], s[2:3], s[18:19]
	v_cmp_ne_u32_e64 s[0:1], 1, v2
	s_and_saveexec_b64 s[4:5], s[6:7]
	s_cbranch_execz .LBB122_68
; %bb.64:
	s_and_b64 vcc, exec, s[0:1]
	s_cbranch_vccnz .LBB122_66
; %bb.65:
	v_lshl_add_u64 v[2:3], v[0:1], 3, v[18:19]
	flat_load_dwordx2 v[2:3], v[2:3]
	s_waitcnt vmcnt(0) lgkmcnt(0)
	v_mul_f64 v[2:3], v[2:3], s[22:23]
	s_branch .LBB122_67
.LBB122_66:
	v_mov_b64_e32 v[2:3], 0
.LBB122_67:
	v_cvt_f32_f64_e32 v2, v[2:3]
	v_max_f32_e32 v3, v139, v139
	v_min_f32_e32 v2, v2, v3
	v_cvt_f64_f32_e32 v[2:3], v2
	v_lshl_add_u64 v[4:5], v[0:1], 3, v[16:17]
	global_store_dwordx2 v[4:5], v[2:3], off
.LBB122_68:
	s_or_b64 exec, exec, s[4:5]
	v_add_u32_e32 v2, 8, v0
	v_cmp_gt_i32_e64 s[4:5], s24, v2
	v_ashrrev_i32_e32 v3, 31, v2
	s_and_b64 s[8:9], s[4:5], s[18:19]
	s_and_saveexec_b64 s[6:7], s[8:9]
	s_cbranch_execz .LBB122_73
; %bb.69:
	s_and_b64 vcc, exec, s[0:1]
	s_cbranch_vccnz .LBB122_71
; %bb.70:
	v_lshl_add_u64 v[4:5], v[2:3], 3, v[18:19]
	flat_load_dwordx2 v[4:5], v[4:5]
	s_waitcnt vmcnt(0) lgkmcnt(0)
	v_mul_f64 v[4:5], v[4:5], s[22:23]
	s_branch .LBB122_72
.LBB122_71:
	v_mov_b64_e32 v[4:5], 0
.LBB122_72:
	v_cvt_f32_f64_e32 v4, v[4:5]
	v_max_f32_e32 v5, v138, v138
	v_min_f32_e32 v4, v4, v5
	v_cvt_f64_f32_e32 v[4:5], v4
	v_lshl_add_u64 v[6:7], v[2:3], 3, v[16:17]
	global_store_dwordx2 v[6:7], v[4:5], off
.LBB122_73:
	s_or_b64 exec, exec, s[6:7]
	v_add_u32_e32 v4, 16, v0
	v_cmp_gt_i32_e64 s[6:7], s24, v4
	v_ashrrev_i32_e32 v5, 31, v4
	s_and_b64 s[10:11], s[6:7], s[18:19]
	;; [unrolled: 26-line block ×7, first 2 shown]
	s_and_saveexec_b64 s[18:19], s[28:29]
	s_cbranch_execz .LBB122_103
; %bb.99:
	s_and_b64 vcc, exec, s[0:1]
	s_cbranch_vccnz .LBB122_101
; %bb.100:
	v_lshl_add_u64 v[18:19], v[14:15], 3, v[18:19]
	flat_load_dwordx2 v[18:19], v[18:19]
	s_waitcnt vmcnt(0) lgkmcnt(0)
	v_mul_f64 v[18:19], v[18:19], s[22:23]
	s_branch .LBB122_102
.LBB122_101:
	v_mov_b64_e32 v[18:19], 0
.LBB122_102:
	v_cvt_f32_f64_e32 v18, v[18:19]
	v_max_f32_e32 v19, v132, v132
	v_min_f32_e32 v18, v18, v19
	v_cvt_f64_f32_e32 v[18:19], v18
	v_lshl_add_u64 v[16:17], v[14:15], 3, v[16:17]
	global_store_dwordx2 v[16:17], v[18:19], off
.LBB122_103:
	s_or_b64 exec, exec, s[18:19]
	v_add_u32_e32 v20, 32, v22
	v_mad_i64_i32 v[16:17], s[28:29], v20, s31, 0
	v_cmp_gt_i32_e64 s[18:19], s25, v20
	v_lshl_add_u64 v[18:19], v[16:17], 3, s[20:21]
	v_mad_i64_i32 v[16:17], s[28:29], v20, s30, 0
	v_lshl_add_u64 v[16:17], v[16:17], 3, s[26:27]
	s_and_b64 s[34:35], s[2:3], s[18:19]
	s_and_saveexec_b64 s[28:29], s[34:35]
	s_cbranch_execnz .LBB122_111
; %bb.104:
	s_or_b64 exec, exec, s[28:29]
	s_and_b64 s[34:35], s[4:5], s[18:19]
	s_and_saveexec_b64 s[28:29], s[34:35]
	s_cbranch_execnz .LBB122_115
.LBB122_105:
	s_or_b64 exec, exec, s[28:29]
	s_and_b64 s[34:35], s[6:7], s[18:19]
	s_and_saveexec_b64 s[28:29], s[34:35]
	s_cbranch_execnz .LBB122_119
.LBB122_106:
	s_or_b64 exec, exec, s[28:29]
	s_and_b64 s[34:35], s[8:9], s[18:19]
	s_and_saveexec_b64 s[28:29], s[34:35]
	s_cbranch_execnz .LBB122_123
.LBB122_107:
	s_or_b64 exec, exec, s[28:29]
	s_and_b64 s[34:35], s[10:11], s[18:19]
	s_and_saveexec_b64 s[28:29], s[34:35]
	s_cbranch_execnz .LBB122_127
.LBB122_108:
	s_or_b64 exec, exec, s[28:29]
	s_and_b64 s[34:35], s[12:13], s[18:19]
	s_and_saveexec_b64 s[28:29], s[34:35]
	s_cbranch_execnz .LBB122_131
.LBB122_109:
	s_or_b64 exec, exec, s[28:29]
	s_and_b64 s[34:35], s[14:15], s[18:19]
	s_and_saveexec_b64 s[28:29], s[34:35]
	s_cbranch_execnz .LBB122_135
.LBB122_110:
	s_or_b64 exec, exec, s[28:29]
	s_and_b64 s[28:29], s[16:17], s[18:19]
	s_and_saveexec_b64 s[18:19], s[28:29]
	s_cbranch_execnz .LBB122_139
	s_branch .LBB122_143
.LBB122_111:
	s_and_b64 vcc, exec, s[0:1]
	s_cbranch_vccnz .LBB122_113
; %bb.112:
	v_lshl_add_u64 v[20:21], v[0:1], 3, v[18:19]
	flat_load_dwordx2 v[20:21], v[20:21]
	s_waitcnt vmcnt(0) lgkmcnt(0)
	v_mul_f64 v[20:21], v[20:21], s[22:23]
	s_branch .LBB122_114
.LBB122_113:
	v_mov_b64_e32 v[20:21], 0
.LBB122_114:
	v_cvt_f32_f64_e32 v20, v[20:21]
	v_max_f32_e32 v21, v131, v131
	v_min_f32_e32 v20, v20, v21
	v_cvt_f64_f32_e32 v[20:21], v20
	v_lshl_add_u64 v[24:25], v[0:1], 3, v[16:17]
	global_store_dwordx2 v[24:25], v[20:21], off
	s_or_b64 exec, exec, s[28:29]
	s_and_b64 s[34:35], s[4:5], s[18:19]
	s_and_saveexec_b64 s[28:29], s[34:35]
	s_cbranch_execz .LBB122_105
.LBB122_115:
	s_and_b64 vcc, exec, s[0:1]
	s_cbranch_vccnz .LBB122_117
; %bb.116:
	v_lshl_add_u64 v[20:21], v[2:3], 3, v[18:19]
	flat_load_dwordx2 v[20:21], v[20:21]
	s_waitcnt vmcnt(0) lgkmcnt(0)
	v_mul_f64 v[20:21], v[20:21], s[22:23]
	s_branch .LBB122_118
.LBB122_117:
	v_mov_b64_e32 v[20:21], 0
.LBB122_118:
	v_cvt_f32_f64_e32 v20, v[20:21]
	v_max_f32_e32 v21, v130, v130
	v_min_f32_e32 v20, v20, v21
	v_cvt_f64_f32_e32 v[20:21], v20
	v_lshl_add_u64 v[24:25], v[2:3], 3, v[16:17]
	global_store_dwordx2 v[24:25], v[20:21], off
	s_or_b64 exec, exec, s[28:29]
	s_and_b64 s[34:35], s[6:7], s[18:19]
	s_and_saveexec_b64 s[28:29], s[34:35]
	s_cbranch_execz .LBB122_106
.LBB122_119:
	s_and_b64 vcc, exec, s[0:1]
	s_cbranch_vccnz .LBB122_121
; %bb.120:
	v_lshl_add_u64 v[20:21], v[4:5], 3, v[18:19]
	flat_load_dwordx2 v[20:21], v[20:21]
	s_waitcnt vmcnt(0) lgkmcnt(0)
	v_mul_f64 v[20:21], v[20:21], s[22:23]
	s_branch .LBB122_122
.LBB122_121:
	v_mov_b64_e32 v[20:21], 0
.LBB122_122:
	v_cvt_f32_f64_e32 v20, v[20:21]
	v_max_f32_e32 v21, v129, v129
	v_min_f32_e32 v20, v20, v21
	v_cvt_f64_f32_e32 v[20:21], v20
	v_lshl_add_u64 v[24:25], v[4:5], 3, v[16:17]
	global_store_dwordx2 v[24:25], v[20:21], off
	s_or_b64 exec, exec, s[28:29]
	s_and_b64 s[34:35], s[8:9], s[18:19]
	s_and_saveexec_b64 s[28:29], s[34:35]
	s_cbranch_execz .LBB122_107
.LBB122_123:
	s_and_b64 vcc, exec, s[0:1]
	s_cbranch_vccnz .LBB122_125
; %bb.124:
	v_lshl_add_u64 v[20:21], v[6:7], 3, v[18:19]
	flat_load_dwordx2 v[20:21], v[20:21]
	s_waitcnt vmcnt(0) lgkmcnt(0)
	v_mul_f64 v[20:21], v[20:21], s[22:23]
	s_branch .LBB122_126
.LBB122_125:
	v_mov_b64_e32 v[20:21], 0
.LBB122_126:
	v_cvt_f32_f64_e32 v20, v[20:21]
	v_max_f32_e32 v21, v128, v128
	v_min_f32_e32 v20, v20, v21
	v_cvt_f64_f32_e32 v[20:21], v20
	v_lshl_add_u64 v[24:25], v[6:7], 3, v[16:17]
	global_store_dwordx2 v[24:25], v[20:21], off
	s_or_b64 exec, exec, s[28:29]
	s_and_b64 s[34:35], s[10:11], s[18:19]
	s_and_saveexec_b64 s[28:29], s[34:35]
	s_cbranch_execz .LBB122_108
.LBB122_127:
	s_and_b64 vcc, exec, s[0:1]
	s_cbranch_vccnz .LBB122_129
; %bb.128:
	v_lshl_add_u64 v[20:21], v[8:9], 3, v[18:19]
	flat_load_dwordx2 v[20:21], v[20:21]
	s_waitcnt vmcnt(0) lgkmcnt(0)
	v_mul_f64 v[20:21], v[20:21], s[22:23]
	s_branch .LBB122_130
.LBB122_129:
	v_mov_b64_e32 v[20:21], 0
.LBB122_130:
	v_cvt_f32_f64_e32 v20, v[20:21]
	v_max_f32_e32 v21, v125, v125
	v_min_f32_e32 v20, v20, v21
	v_cvt_f64_f32_e32 v[20:21], v20
	v_lshl_add_u64 v[24:25], v[8:9], 3, v[16:17]
	global_store_dwordx2 v[24:25], v[20:21], off
	s_or_b64 exec, exec, s[28:29]
	s_and_b64 s[34:35], s[12:13], s[18:19]
	s_and_saveexec_b64 s[28:29], s[34:35]
	s_cbranch_execz .LBB122_109
.LBB122_131:
	s_and_b64 vcc, exec, s[0:1]
	s_cbranch_vccnz .LBB122_133
; %bb.132:
	v_lshl_add_u64 v[20:21], v[10:11], 3, v[18:19]
	flat_load_dwordx2 v[20:21], v[20:21]
	s_waitcnt vmcnt(0) lgkmcnt(0)
	v_mul_f64 v[20:21], v[20:21], s[22:23]
	s_branch .LBB122_134
.LBB122_133:
	v_mov_b64_e32 v[20:21], 0
.LBB122_134:
	v_cvt_f32_f64_e32 v20, v[20:21]
	v_max_f32_e32 v21, v124, v124
	v_min_f32_e32 v20, v20, v21
	v_cvt_f64_f32_e32 v[20:21], v20
	v_lshl_add_u64 v[24:25], v[10:11], 3, v[16:17]
	global_store_dwordx2 v[24:25], v[20:21], off
	s_or_b64 exec, exec, s[28:29]
	s_and_b64 s[34:35], s[14:15], s[18:19]
	s_and_saveexec_b64 s[28:29], s[34:35]
	s_cbranch_execz .LBB122_110
.LBB122_135:
	s_and_b64 vcc, exec, s[0:1]
	s_cbranch_vccnz .LBB122_137
; %bb.136:
	v_lshl_add_u64 v[20:21], v[12:13], 3, v[18:19]
	flat_load_dwordx2 v[20:21], v[20:21]
	s_waitcnt vmcnt(0) lgkmcnt(0)
	v_mul_f64 v[20:21], v[20:21], s[22:23]
	s_branch .LBB122_138
.LBB122_137:
	v_mov_b64_e32 v[20:21], 0
.LBB122_138:
	v_cvt_f32_f64_e32 v20, v[20:21]
	v_max_f32_e32 v21, v123, v123
	v_min_f32_e32 v20, v20, v21
	v_cvt_f64_f32_e32 v[20:21], v20
	v_lshl_add_u64 v[24:25], v[12:13], 3, v[16:17]
	global_store_dwordx2 v[24:25], v[20:21], off
	s_or_b64 exec, exec, s[28:29]
	s_and_b64 s[28:29], s[16:17], s[18:19]
	s_and_saveexec_b64 s[18:19], s[28:29]
	s_cbranch_execz .LBB122_143
.LBB122_139:
	s_and_b64 vcc, exec, s[0:1]
	s_cbranch_vccnz .LBB122_141
; %bb.140:
	v_lshl_add_u64 v[18:19], v[14:15], 3, v[18:19]
	flat_load_dwordx2 v[18:19], v[18:19]
	s_waitcnt vmcnt(0) lgkmcnt(0)
	v_mul_f64 v[18:19], v[18:19], s[22:23]
	s_branch .LBB122_142
.LBB122_141:
	v_mov_b64_e32 v[18:19], 0
.LBB122_142:
	v_cvt_f32_f64_e32 v18, v[18:19]
	v_max_f32_e32 v19, v122, v122
	v_min_f32_e32 v18, v18, v19
	v_cvt_f64_f32_e32 v[18:19], v18
	v_lshl_add_u64 v[16:17], v[14:15], 3, v[16:17]
	global_store_dwordx2 v[16:17], v[18:19], off
.LBB122_143:
	s_or_b64 exec, exec, s[18:19]
	v_add_u32_e32 v20, 64, v22
	v_mad_i64_i32 v[16:17], s[28:29], v20, s31, 0
	v_cmp_gt_i32_e64 s[18:19], s25, v20
	v_lshl_add_u64 v[18:19], v[16:17], 3, s[20:21]
	v_mad_i64_i32 v[16:17], s[28:29], v20, s30, 0
	v_lshl_add_u64 v[16:17], v[16:17], 3, s[26:27]
	s_and_b64 s[34:35], s[2:3], s[18:19]
	s_and_saveexec_b64 s[28:29], s[34:35]
	s_cbranch_execnz .LBB122_151
; %bb.144:
	s_or_b64 exec, exec, s[28:29]
	s_and_b64 s[34:35], s[4:5], s[18:19]
	s_and_saveexec_b64 s[28:29], s[34:35]
	s_cbranch_execnz .LBB122_155
.LBB122_145:
	s_or_b64 exec, exec, s[28:29]
	s_and_b64 s[34:35], s[6:7], s[18:19]
	s_and_saveexec_b64 s[28:29], s[34:35]
	s_cbranch_execnz .LBB122_159
.LBB122_146:
	s_or_b64 exec, exec, s[28:29]
	s_and_b64 s[34:35], s[8:9], s[18:19]
	s_and_saveexec_b64 s[28:29], s[34:35]
	s_cbranch_execnz .LBB122_163
.LBB122_147:
	s_or_b64 exec, exec, s[28:29]
	s_and_b64 s[34:35], s[10:11], s[18:19]
	s_and_saveexec_b64 s[28:29], s[34:35]
	s_cbranch_execnz .LBB122_167
.LBB122_148:
	s_or_b64 exec, exec, s[28:29]
	s_and_b64 s[34:35], s[12:13], s[18:19]
	s_and_saveexec_b64 s[28:29], s[34:35]
	s_cbranch_execnz .LBB122_171
.LBB122_149:
	s_or_b64 exec, exec, s[28:29]
	s_and_b64 s[34:35], s[14:15], s[18:19]
	s_and_saveexec_b64 s[28:29], s[34:35]
	s_cbranch_execnz .LBB122_175
.LBB122_150:
	s_or_b64 exec, exec, s[28:29]
	s_and_b64 s[28:29], s[16:17], s[18:19]
	s_and_saveexec_b64 s[18:19], s[28:29]
	s_cbranch_execnz .LBB122_179
	s_branch .LBB122_183
.LBB122_151:
	s_and_b64 vcc, exec, s[0:1]
	s_cbranch_vccnz .LBB122_153
; %bb.152:
	v_lshl_add_u64 v[20:21], v[0:1], 3, v[18:19]
	flat_load_dwordx2 v[20:21], v[20:21]
	s_waitcnt vmcnt(0) lgkmcnt(0)
	v_mul_f64 v[20:21], v[20:21], s[22:23]
	s_branch .LBB122_154
.LBB122_153:
	v_mov_b64_e32 v[20:21], 0
.LBB122_154:
	v_cvt_f32_f64_e32 v20, v[20:21]
	v_max_f32_e32 v21, v121, v121
	v_min_f32_e32 v20, v20, v21
	v_cvt_f64_f32_e32 v[20:21], v20
	v_lshl_add_u64 v[24:25], v[0:1], 3, v[16:17]
	global_store_dwordx2 v[24:25], v[20:21], off
	s_or_b64 exec, exec, s[28:29]
	s_and_b64 s[34:35], s[4:5], s[18:19]
	s_and_saveexec_b64 s[28:29], s[34:35]
	s_cbranch_execz .LBB122_145
.LBB122_155:
	s_and_b64 vcc, exec, s[0:1]
	s_cbranch_vccnz .LBB122_157
; %bb.156:
	v_lshl_add_u64 v[20:21], v[2:3], 3, v[18:19]
	flat_load_dwordx2 v[20:21], v[20:21]
	s_waitcnt vmcnt(0) lgkmcnt(0)
	v_mul_f64 v[20:21], v[20:21], s[22:23]
	s_branch .LBB122_158
.LBB122_157:
	v_mov_b64_e32 v[20:21], 0
.LBB122_158:
	v_cvt_f32_f64_e32 v20, v[20:21]
	v_max_f32_e32 v21, v120, v120
	v_min_f32_e32 v20, v20, v21
	v_cvt_f64_f32_e32 v[20:21], v20
	v_lshl_add_u64 v[24:25], v[2:3], 3, v[16:17]
	global_store_dwordx2 v[24:25], v[20:21], off
	s_or_b64 exec, exec, s[28:29]
	s_and_b64 s[34:35], s[6:7], s[18:19]
	s_and_saveexec_b64 s[28:29], s[34:35]
	s_cbranch_execz .LBB122_146
.LBB122_159:
	s_and_b64 vcc, exec, s[0:1]
	s_cbranch_vccnz .LBB122_161
; %bb.160:
	v_lshl_add_u64 v[20:21], v[4:5], 3, v[18:19]
	flat_load_dwordx2 v[20:21], v[20:21]
	s_waitcnt vmcnt(0) lgkmcnt(0)
	v_mul_f64 v[20:21], v[20:21], s[22:23]
	s_branch .LBB122_162
.LBB122_161:
	v_mov_b64_e32 v[20:21], 0
.LBB122_162:
	v_cvt_f32_f64_e32 v20, v[20:21]
	v_max_f32_e32 v21, v119, v119
	v_min_f32_e32 v20, v20, v21
	v_cvt_f64_f32_e32 v[20:21], v20
	v_lshl_add_u64 v[24:25], v[4:5], 3, v[16:17]
	global_store_dwordx2 v[24:25], v[20:21], off
	s_or_b64 exec, exec, s[28:29]
	s_and_b64 s[34:35], s[8:9], s[18:19]
	s_and_saveexec_b64 s[28:29], s[34:35]
	s_cbranch_execz .LBB122_147
.LBB122_163:
	s_and_b64 vcc, exec, s[0:1]
	s_cbranch_vccnz .LBB122_165
; %bb.164:
	v_lshl_add_u64 v[20:21], v[6:7], 3, v[18:19]
	flat_load_dwordx2 v[20:21], v[20:21]
	s_waitcnt vmcnt(0) lgkmcnt(0)
	v_mul_f64 v[20:21], v[20:21], s[22:23]
	s_branch .LBB122_166
.LBB122_165:
	v_mov_b64_e32 v[20:21], 0
.LBB122_166:
	v_cvt_f32_f64_e32 v20, v[20:21]
	v_max_f32_e32 v21, v118, v118
	v_min_f32_e32 v20, v20, v21
	v_cvt_f64_f32_e32 v[20:21], v20
	v_lshl_add_u64 v[24:25], v[6:7], 3, v[16:17]
	global_store_dwordx2 v[24:25], v[20:21], off
	s_or_b64 exec, exec, s[28:29]
	s_and_b64 s[34:35], s[10:11], s[18:19]
	s_and_saveexec_b64 s[28:29], s[34:35]
	s_cbranch_execz .LBB122_148
.LBB122_167:
	s_and_b64 vcc, exec, s[0:1]
	s_cbranch_vccnz .LBB122_169
; %bb.168:
	v_lshl_add_u64 v[20:21], v[8:9], 3, v[18:19]
	flat_load_dwordx2 v[20:21], v[20:21]
	s_waitcnt vmcnt(0) lgkmcnt(0)
	v_mul_f64 v[20:21], v[20:21], s[22:23]
	s_branch .LBB122_170
.LBB122_169:
	v_mov_b64_e32 v[20:21], 0
.LBB122_170:
	v_cvt_f32_f64_e32 v20, v[20:21]
	v_max_f32_e32 v21, v117, v117
	v_min_f32_e32 v20, v20, v21
	v_cvt_f64_f32_e32 v[20:21], v20
	v_lshl_add_u64 v[24:25], v[8:9], 3, v[16:17]
	global_store_dwordx2 v[24:25], v[20:21], off
	s_or_b64 exec, exec, s[28:29]
	s_and_b64 s[34:35], s[12:13], s[18:19]
	s_and_saveexec_b64 s[28:29], s[34:35]
	s_cbranch_execz .LBB122_149
.LBB122_171:
	s_and_b64 vcc, exec, s[0:1]
	s_cbranch_vccnz .LBB122_173
; %bb.172:
	v_lshl_add_u64 v[20:21], v[10:11], 3, v[18:19]
	flat_load_dwordx2 v[20:21], v[20:21]
	s_waitcnt vmcnt(0) lgkmcnt(0)
	v_mul_f64 v[20:21], v[20:21], s[22:23]
	s_branch .LBB122_174
.LBB122_173:
	v_mov_b64_e32 v[20:21], 0
.LBB122_174:
	v_cvt_f32_f64_e32 v20, v[20:21]
	v_max_f32_e32 v21, v116, v116
	v_min_f32_e32 v20, v20, v21
	v_cvt_f64_f32_e32 v[20:21], v20
	v_lshl_add_u64 v[24:25], v[10:11], 3, v[16:17]
	global_store_dwordx2 v[24:25], v[20:21], off
	s_or_b64 exec, exec, s[28:29]
	s_and_b64 s[34:35], s[14:15], s[18:19]
	s_and_saveexec_b64 s[28:29], s[34:35]
	s_cbranch_execz .LBB122_150
.LBB122_175:
	s_and_b64 vcc, exec, s[0:1]
	s_cbranch_vccnz .LBB122_177
; %bb.176:
	v_lshl_add_u64 v[20:21], v[12:13], 3, v[18:19]
	flat_load_dwordx2 v[20:21], v[20:21]
	s_waitcnt vmcnt(0) lgkmcnt(0)
	v_mul_f64 v[20:21], v[20:21], s[22:23]
	s_branch .LBB122_178
.LBB122_177:
	v_mov_b64_e32 v[20:21], 0
.LBB122_178:
	v_cvt_f32_f64_e32 v20, v[20:21]
	v_max_f32_e32 v21, v115, v115
	v_min_f32_e32 v20, v20, v21
	v_cvt_f64_f32_e32 v[20:21], v20
	v_lshl_add_u64 v[24:25], v[12:13], 3, v[16:17]
	global_store_dwordx2 v[24:25], v[20:21], off
	s_or_b64 exec, exec, s[28:29]
	s_and_b64 s[28:29], s[16:17], s[18:19]
	s_and_saveexec_b64 s[18:19], s[28:29]
	s_cbranch_execz .LBB122_183
.LBB122_179:
	s_and_b64 vcc, exec, s[0:1]
	s_cbranch_vccnz .LBB122_181
; %bb.180:
	v_lshl_add_u64 v[18:19], v[14:15], 3, v[18:19]
	flat_load_dwordx2 v[18:19], v[18:19]
	s_waitcnt vmcnt(0) lgkmcnt(0)
	v_mul_f64 v[18:19], v[18:19], s[22:23]
	s_branch .LBB122_182
.LBB122_181:
	v_mov_b64_e32 v[18:19], 0
.LBB122_182:
	v_cvt_f32_f64_e32 v18, v[18:19]
	v_max_f32_e32 v19, v114, v114
	v_min_f32_e32 v18, v18, v19
	v_cvt_f64_f32_e32 v[18:19], v18
	v_lshl_add_u64 v[16:17], v[14:15], 3, v[16:17]
	global_store_dwordx2 v[16:17], v[18:19], off
.LBB122_183:
	s_or_b64 exec, exec, s[18:19]
	v_add_u32_e32 v20, 0x60, v22
	v_mad_i64_i32 v[16:17], s[28:29], v20, s31, 0
	v_cmp_gt_i32_e64 s[18:19], s25, v20
	v_lshl_add_u64 v[18:19], v[16:17], 3, s[20:21]
	v_mad_i64_i32 v[16:17], s[28:29], v20, s30, 0
	v_lshl_add_u64 v[16:17], v[16:17], 3, s[26:27]
	s_and_b64 s[34:35], s[2:3], s[18:19]
	s_and_saveexec_b64 s[28:29], s[34:35]
	s_cbranch_execnz .LBB122_191
; %bb.184:
	s_or_b64 exec, exec, s[28:29]
	s_and_b64 s[34:35], s[4:5], s[18:19]
	s_and_saveexec_b64 s[28:29], s[34:35]
	s_cbranch_execnz .LBB122_195
.LBB122_185:
	s_or_b64 exec, exec, s[28:29]
	s_and_b64 s[34:35], s[6:7], s[18:19]
	s_and_saveexec_b64 s[28:29], s[34:35]
	s_cbranch_execnz .LBB122_199
.LBB122_186:
	s_or_b64 exec, exec, s[28:29]
	s_and_b64 s[34:35], s[8:9], s[18:19]
	s_and_saveexec_b64 s[28:29], s[34:35]
	s_cbranch_execnz .LBB122_203
.LBB122_187:
	s_or_b64 exec, exec, s[28:29]
	s_and_b64 s[34:35], s[10:11], s[18:19]
	s_and_saveexec_b64 s[28:29], s[34:35]
	s_cbranch_execnz .LBB122_207
.LBB122_188:
	s_or_b64 exec, exec, s[28:29]
	s_and_b64 s[34:35], s[12:13], s[18:19]
	s_and_saveexec_b64 s[28:29], s[34:35]
	s_cbranch_execnz .LBB122_211
.LBB122_189:
	s_or_b64 exec, exec, s[28:29]
	s_and_b64 s[34:35], s[14:15], s[18:19]
	s_and_saveexec_b64 s[28:29], s[34:35]
	s_cbranch_execnz .LBB122_215
.LBB122_190:
	s_or_b64 exec, exec, s[28:29]
	s_and_b64 s[28:29], s[16:17], s[18:19]
	s_and_saveexec_b64 s[18:19], s[28:29]
	s_cbranch_execnz .LBB122_219
	s_branch .LBB122_223
.LBB122_191:
	s_and_b64 vcc, exec, s[0:1]
	s_cbranch_vccnz .LBB122_193
; %bb.192:
	v_lshl_add_u64 v[20:21], v[0:1], 3, v[18:19]
	flat_load_dwordx2 v[20:21], v[20:21]
	s_waitcnt vmcnt(0) lgkmcnt(0)
	v_mul_f64 v[20:21], v[20:21], s[22:23]
	s_branch .LBB122_194
.LBB122_193:
	v_mov_b64_e32 v[20:21], 0
.LBB122_194:
	v_cvt_f32_f64_e32 v20, v[20:21]
	v_max_f32_e32 v21, v113, v113
	v_min_f32_e32 v20, v20, v21
	v_cvt_f64_f32_e32 v[20:21], v20
	v_lshl_add_u64 v[24:25], v[0:1], 3, v[16:17]
	global_store_dwordx2 v[24:25], v[20:21], off
	s_or_b64 exec, exec, s[28:29]
	s_and_b64 s[34:35], s[4:5], s[18:19]
	s_and_saveexec_b64 s[28:29], s[34:35]
	s_cbranch_execz .LBB122_185
.LBB122_195:
	s_and_b64 vcc, exec, s[0:1]
	s_cbranch_vccnz .LBB122_197
; %bb.196:
	v_lshl_add_u64 v[20:21], v[2:3], 3, v[18:19]
	flat_load_dwordx2 v[20:21], v[20:21]
	s_waitcnt vmcnt(0) lgkmcnt(0)
	v_mul_f64 v[20:21], v[20:21], s[22:23]
	s_branch .LBB122_198
.LBB122_197:
	v_mov_b64_e32 v[20:21], 0
.LBB122_198:
	v_cvt_f32_f64_e32 v20, v[20:21]
	v_max_f32_e32 v21, v112, v112
	v_min_f32_e32 v20, v20, v21
	v_cvt_f64_f32_e32 v[20:21], v20
	v_lshl_add_u64 v[24:25], v[2:3], 3, v[16:17]
	global_store_dwordx2 v[24:25], v[20:21], off
	s_or_b64 exec, exec, s[28:29]
	s_and_b64 s[34:35], s[6:7], s[18:19]
	s_and_saveexec_b64 s[28:29], s[34:35]
	s_cbranch_execz .LBB122_186
.LBB122_199:
	s_and_b64 vcc, exec, s[0:1]
	s_cbranch_vccnz .LBB122_201
; %bb.200:
	v_lshl_add_u64 v[20:21], v[4:5], 3, v[18:19]
	flat_load_dwordx2 v[20:21], v[20:21]
	s_waitcnt vmcnt(0) lgkmcnt(0)
	v_mul_f64 v[20:21], v[20:21], s[22:23]
	s_branch .LBB122_202
.LBB122_201:
	v_mov_b64_e32 v[20:21], 0
.LBB122_202:
	v_cvt_f32_f64_e32 v20, v[20:21]
	v_max_f32_e32 v21, v111, v111
	v_min_f32_e32 v20, v20, v21
	v_cvt_f64_f32_e32 v[20:21], v20
	v_lshl_add_u64 v[24:25], v[4:5], 3, v[16:17]
	global_store_dwordx2 v[24:25], v[20:21], off
	s_or_b64 exec, exec, s[28:29]
	s_and_b64 s[34:35], s[8:9], s[18:19]
	s_and_saveexec_b64 s[28:29], s[34:35]
	s_cbranch_execz .LBB122_187
.LBB122_203:
	s_and_b64 vcc, exec, s[0:1]
	s_cbranch_vccnz .LBB122_205
; %bb.204:
	v_lshl_add_u64 v[20:21], v[6:7], 3, v[18:19]
	flat_load_dwordx2 v[20:21], v[20:21]
	s_waitcnt vmcnt(0) lgkmcnt(0)
	v_mul_f64 v[20:21], v[20:21], s[22:23]
	s_branch .LBB122_206
.LBB122_205:
	v_mov_b64_e32 v[20:21], 0
.LBB122_206:
	v_cvt_f32_f64_e32 v20, v[20:21]
	v_max_f32_e32 v21, v110, v110
	v_min_f32_e32 v20, v20, v21
	v_cvt_f64_f32_e32 v[20:21], v20
	v_lshl_add_u64 v[24:25], v[6:7], 3, v[16:17]
	global_store_dwordx2 v[24:25], v[20:21], off
	s_or_b64 exec, exec, s[28:29]
	s_and_b64 s[34:35], s[10:11], s[18:19]
	s_and_saveexec_b64 s[28:29], s[34:35]
	s_cbranch_execz .LBB122_188
.LBB122_207:
	s_and_b64 vcc, exec, s[0:1]
	s_cbranch_vccnz .LBB122_209
; %bb.208:
	v_lshl_add_u64 v[20:21], v[8:9], 3, v[18:19]
	flat_load_dwordx2 v[20:21], v[20:21]
	s_waitcnt vmcnt(0) lgkmcnt(0)
	v_mul_f64 v[20:21], v[20:21], s[22:23]
	s_branch .LBB122_210
.LBB122_209:
	v_mov_b64_e32 v[20:21], 0
.LBB122_210:
	v_cvt_f32_f64_e32 v20, v[20:21]
	v_max_f32_e32 v21, v109, v109
	v_min_f32_e32 v20, v20, v21
	v_cvt_f64_f32_e32 v[20:21], v20
	v_lshl_add_u64 v[24:25], v[8:9], 3, v[16:17]
	global_store_dwordx2 v[24:25], v[20:21], off
	s_or_b64 exec, exec, s[28:29]
	s_and_b64 s[34:35], s[12:13], s[18:19]
	s_and_saveexec_b64 s[28:29], s[34:35]
	s_cbranch_execz .LBB122_189
.LBB122_211:
	s_and_b64 vcc, exec, s[0:1]
	s_cbranch_vccnz .LBB122_213
; %bb.212:
	v_lshl_add_u64 v[20:21], v[10:11], 3, v[18:19]
	flat_load_dwordx2 v[20:21], v[20:21]
	s_waitcnt vmcnt(0) lgkmcnt(0)
	v_mul_f64 v[20:21], v[20:21], s[22:23]
	s_branch .LBB122_214
.LBB122_213:
	v_mov_b64_e32 v[20:21], 0
.LBB122_214:
	v_cvt_f32_f64_e32 v20, v[20:21]
	v_max_f32_e32 v21, v108, v108
	v_min_f32_e32 v20, v20, v21
	v_cvt_f64_f32_e32 v[20:21], v20
	v_lshl_add_u64 v[24:25], v[10:11], 3, v[16:17]
	global_store_dwordx2 v[24:25], v[20:21], off
	s_or_b64 exec, exec, s[28:29]
	s_and_b64 s[34:35], s[14:15], s[18:19]
	s_and_saveexec_b64 s[28:29], s[34:35]
	s_cbranch_execz .LBB122_190
.LBB122_215:
	s_and_b64 vcc, exec, s[0:1]
	s_cbranch_vccnz .LBB122_217
; %bb.216:
	v_lshl_add_u64 v[20:21], v[12:13], 3, v[18:19]
	flat_load_dwordx2 v[20:21], v[20:21]
	s_waitcnt vmcnt(0) lgkmcnt(0)
	v_mul_f64 v[20:21], v[20:21], s[22:23]
	s_branch .LBB122_218
.LBB122_217:
	v_mov_b64_e32 v[20:21], 0
.LBB122_218:
	v_cvt_f32_f64_e32 v20, v[20:21]
	v_max_f32_e32 v21, v107, v107
	v_min_f32_e32 v20, v20, v21
	v_cvt_f64_f32_e32 v[20:21], v20
	v_lshl_add_u64 v[24:25], v[12:13], 3, v[16:17]
	global_store_dwordx2 v[24:25], v[20:21], off
	s_or_b64 exec, exec, s[28:29]
	s_and_b64 s[28:29], s[16:17], s[18:19]
	s_and_saveexec_b64 s[18:19], s[28:29]
	s_cbranch_execz .LBB122_223
.LBB122_219:
	s_and_b64 vcc, exec, s[0:1]
	s_cbranch_vccnz .LBB122_221
; %bb.220:
	v_lshl_add_u64 v[18:19], v[14:15], 3, v[18:19]
	flat_load_dwordx2 v[18:19], v[18:19]
	s_waitcnt vmcnt(0) lgkmcnt(0)
	v_mul_f64 v[18:19], v[18:19], s[22:23]
	s_branch .LBB122_222
.LBB122_221:
	v_mov_b64_e32 v[18:19], 0
.LBB122_222:
	v_cvt_f32_f64_e32 v18, v[18:19]
	v_max_f32_e32 v19, v106, v106
	v_min_f32_e32 v18, v18, v19
	v_cvt_f64_f32_e32 v[18:19], v18
	v_lshl_add_u64 v[16:17], v[14:15], 3, v[16:17]
	global_store_dwordx2 v[16:17], v[18:19], off
.LBB122_223:
	s_or_b64 exec, exec, s[18:19]
	v_add_u32_e32 v20, 0x80, v22
	v_mad_i64_i32 v[16:17], s[28:29], v20, s31, 0
	v_cmp_gt_i32_e64 s[18:19], s25, v20
	v_lshl_add_u64 v[18:19], v[16:17], 3, s[20:21]
	v_mad_i64_i32 v[16:17], s[28:29], v20, s30, 0
	v_lshl_add_u64 v[16:17], v[16:17], 3, s[26:27]
	s_and_b64 s[34:35], s[2:3], s[18:19]
	s_and_saveexec_b64 s[28:29], s[34:35]
	s_cbranch_execnz .LBB122_231
; %bb.224:
	s_or_b64 exec, exec, s[28:29]
	s_and_b64 s[34:35], s[4:5], s[18:19]
	s_and_saveexec_b64 s[28:29], s[34:35]
	s_cbranch_execnz .LBB122_235
.LBB122_225:
	s_or_b64 exec, exec, s[28:29]
	s_and_b64 s[34:35], s[6:7], s[18:19]
	s_and_saveexec_b64 s[28:29], s[34:35]
	s_cbranch_execnz .LBB122_239
.LBB122_226:
	s_or_b64 exec, exec, s[28:29]
	s_and_b64 s[34:35], s[8:9], s[18:19]
	s_and_saveexec_b64 s[28:29], s[34:35]
	s_cbranch_execnz .LBB122_243
.LBB122_227:
	s_or_b64 exec, exec, s[28:29]
	s_and_b64 s[34:35], s[10:11], s[18:19]
	s_and_saveexec_b64 s[28:29], s[34:35]
	s_cbranch_execnz .LBB122_247
.LBB122_228:
	s_or_b64 exec, exec, s[28:29]
	s_and_b64 s[34:35], s[12:13], s[18:19]
	s_and_saveexec_b64 s[28:29], s[34:35]
	s_cbranch_execnz .LBB122_251
.LBB122_229:
	s_or_b64 exec, exec, s[28:29]
	s_and_b64 s[34:35], s[14:15], s[18:19]
	s_and_saveexec_b64 s[28:29], s[34:35]
	s_cbranch_execnz .LBB122_255
.LBB122_230:
	s_or_b64 exec, exec, s[28:29]
	s_and_b64 s[28:29], s[16:17], s[18:19]
	s_and_saveexec_b64 s[18:19], s[28:29]
	s_cbranch_execnz .LBB122_259
	s_branch .LBB122_263
.LBB122_231:
	s_and_b64 vcc, exec, s[0:1]
	s_cbranch_vccnz .LBB122_233
; %bb.232:
	v_lshl_add_u64 v[20:21], v[0:1], 3, v[18:19]
	flat_load_dwordx2 v[20:21], v[20:21]
	s_waitcnt vmcnt(0) lgkmcnt(0)
	v_mul_f64 v[20:21], v[20:21], s[22:23]
	s_branch .LBB122_234
.LBB122_233:
	v_mov_b64_e32 v[20:21], 0
.LBB122_234:
	v_cvt_f32_f64_e32 v20, v[20:21]
	v_max_f32_e32 v21, v105, v105
	v_min_f32_e32 v20, v20, v21
	v_cvt_f64_f32_e32 v[20:21], v20
	v_lshl_add_u64 v[24:25], v[0:1], 3, v[16:17]
	global_store_dwordx2 v[24:25], v[20:21], off
	s_or_b64 exec, exec, s[28:29]
	s_and_b64 s[34:35], s[4:5], s[18:19]
	s_and_saveexec_b64 s[28:29], s[34:35]
	s_cbranch_execz .LBB122_225
.LBB122_235:
	s_and_b64 vcc, exec, s[0:1]
	s_cbranch_vccnz .LBB122_237
; %bb.236:
	v_lshl_add_u64 v[20:21], v[2:3], 3, v[18:19]
	flat_load_dwordx2 v[20:21], v[20:21]
	s_waitcnt vmcnt(0) lgkmcnt(0)
	v_mul_f64 v[20:21], v[20:21], s[22:23]
	s_branch .LBB122_238
.LBB122_237:
	v_mov_b64_e32 v[20:21], 0
.LBB122_238:
	v_cvt_f32_f64_e32 v20, v[20:21]
	v_max_f32_e32 v21, v104, v104
	v_min_f32_e32 v20, v20, v21
	v_cvt_f64_f32_e32 v[20:21], v20
	v_lshl_add_u64 v[24:25], v[2:3], 3, v[16:17]
	global_store_dwordx2 v[24:25], v[20:21], off
	s_or_b64 exec, exec, s[28:29]
	s_and_b64 s[34:35], s[6:7], s[18:19]
	s_and_saveexec_b64 s[28:29], s[34:35]
	s_cbranch_execz .LBB122_226
.LBB122_239:
	s_and_b64 vcc, exec, s[0:1]
	s_cbranch_vccnz .LBB122_241
; %bb.240:
	v_lshl_add_u64 v[20:21], v[4:5], 3, v[18:19]
	flat_load_dwordx2 v[20:21], v[20:21]
	s_waitcnt vmcnt(0) lgkmcnt(0)
	v_mul_f64 v[20:21], v[20:21], s[22:23]
	s_branch .LBB122_242
.LBB122_241:
	v_mov_b64_e32 v[20:21], 0
.LBB122_242:
	v_cvt_f32_f64_e32 v20, v[20:21]
	v_max_f32_e32 v21, v103, v103
	v_min_f32_e32 v20, v20, v21
	v_cvt_f64_f32_e32 v[20:21], v20
	v_lshl_add_u64 v[24:25], v[4:5], 3, v[16:17]
	global_store_dwordx2 v[24:25], v[20:21], off
	s_or_b64 exec, exec, s[28:29]
	s_and_b64 s[34:35], s[8:9], s[18:19]
	s_and_saveexec_b64 s[28:29], s[34:35]
	s_cbranch_execz .LBB122_227
.LBB122_243:
	s_and_b64 vcc, exec, s[0:1]
	s_cbranch_vccnz .LBB122_245
; %bb.244:
	v_lshl_add_u64 v[20:21], v[6:7], 3, v[18:19]
	flat_load_dwordx2 v[20:21], v[20:21]
	s_waitcnt vmcnt(0) lgkmcnt(0)
	v_mul_f64 v[20:21], v[20:21], s[22:23]
	s_branch .LBB122_246
.LBB122_245:
	v_mov_b64_e32 v[20:21], 0
.LBB122_246:
	v_cvt_f32_f64_e32 v20, v[20:21]
	v_max_f32_e32 v21, v102, v102
	v_min_f32_e32 v20, v20, v21
	v_cvt_f64_f32_e32 v[20:21], v20
	v_lshl_add_u64 v[24:25], v[6:7], 3, v[16:17]
	global_store_dwordx2 v[24:25], v[20:21], off
	s_or_b64 exec, exec, s[28:29]
	s_and_b64 s[34:35], s[10:11], s[18:19]
	s_and_saveexec_b64 s[28:29], s[34:35]
	s_cbranch_execz .LBB122_228
.LBB122_247:
	s_and_b64 vcc, exec, s[0:1]
	s_cbranch_vccnz .LBB122_249
; %bb.248:
	v_lshl_add_u64 v[20:21], v[8:9], 3, v[18:19]
	flat_load_dwordx2 v[20:21], v[20:21]
	s_waitcnt vmcnt(0) lgkmcnt(0)
	v_mul_f64 v[20:21], v[20:21], s[22:23]
	s_branch .LBB122_250
.LBB122_249:
	v_mov_b64_e32 v[20:21], 0
.LBB122_250:
	v_cvt_f32_f64_e32 v20, v[20:21]
	v_max_f32_e32 v21, v101, v101
	v_min_f32_e32 v20, v20, v21
	v_cvt_f64_f32_e32 v[20:21], v20
	v_lshl_add_u64 v[24:25], v[8:9], 3, v[16:17]
	global_store_dwordx2 v[24:25], v[20:21], off
	s_or_b64 exec, exec, s[28:29]
	s_and_b64 s[34:35], s[12:13], s[18:19]
	s_and_saveexec_b64 s[28:29], s[34:35]
	s_cbranch_execz .LBB122_229
.LBB122_251:
	s_and_b64 vcc, exec, s[0:1]
	s_cbranch_vccnz .LBB122_253
; %bb.252:
	v_lshl_add_u64 v[20:21], v[10:11], 3, v[18:19]
	flat_load_dwordx2 v[20:21], v[20:21]
	s_waitcnt vmcnt(0) lgkmcnt(0)
	v_mul_f64 v[20:21], v[20:21], s[22:23]
	s_branch .LBB122_254
.LBB122_253:
	v_mov_b64_e32 v[20:21], 0
.LBB122_254:
	v_cvt_f32_f64_e32 v20, v[20:21]
	v_max_f32_e32 v21, v100, v100
	v_min_f32_e32 v20, v20, v21
	v_cvt_f64_f32_e32 v[20:21], v20
	v_lshl_add_u64 v[24:25], v[10:11], 3, v[16:17]
	global_store_dwordx2 v[24:25], v[20:21], off
	s_or_b64 exec, exec, s[28:29]
	s_and_b64 s[34:35], s[14:15], s[18:19]
	s_and_saveexec_b64 s[28:29], s[34:35]
	s_cbranch_execz .LBB122_230
.LBB122_255:
	s_and_b64 vcc, exec, s[0:1]
	s_cbranch_vccnz .LBB122_257
; %bb.256:
	v_lshl_add_u64 v[20:21], v[12:13], 3, v[18:19]
	flat_load_dwordx2 v[20:21], v[20:21]
	s_waitcnt vmcnt(0) lgkmcnt(0)
	v_mul_f64 v[20:21], v[20:21], s[22:23]
	s_branch .LBB122_258
.LBB122_257:
	v_mov_b64_e32 v[20:21], 0
.LBB122_258:
	v_cvt_f32_f64_e32 v20, v[20:21]
	v_max_f32_e32 v21, v99, v99
	v_min_f32_e32 v20, v20, v21
	v_cvt_f64_f32_e32 v[20:21], v20
	v_lshl_add_u64 v[24:25], v[12:13], 3, v[16:17]
	global_store_dwordx2 v[24:25], v[20:21], off
	s_or_b64 exec, exec, s[28:29]
	s_and_b64 s[28:29], s[16:17], s[18:19]
	s_and_saveexec_b64 s[18:19], s[28:29]
	s_cbranch_execz .LBB122_263
.LBB122_259:
	s_and_b64 vcc, exec, s[0:1]
	s_cbranch_vccnz .LBB122_261
; %bb.260:
	v_lshl_add_u64 v[18:19], v[14:15], 3, v[18:19]
	flat_load_dwordx2 v[18:19], v[18:19]
	s_waitcnt vmcnt(0) lgkmcnt(0)
	v_mul_f64 v[18:19], v[18:19], s[22:23]
	s_branch .LBB122_262
.LBB122_261:
	v_mov_b64_e32 v[18:19], 0
.LBB122_262:
	v_cvt_f32_f64_e32 v18, v[18:19]
	v_max_f32_e32 v19, v98, v98
	v_min_f32_e32 v18, v18, v19
	v_cvt_f64_f32_e32 v[18:19], v18
	v_lshl_add_u64 v[16:17], v[14:15], 3, v[16:17]
	global_store_dwordx2 v[16:17], v[18:19], off
.LBB122_263:
	s_or_b64 exec, exec, s[18:19]
	v_add_u32_e32 v20, 0xa0, v22
	v_mad_i64_i32 v[16:17], s[28:29], v20, s31, 0
	v_cmp_gt_i32_e64 s[18:19], s25, v20
	v_lshl_add_u64 v[18:19], v[16:17], 3, s[20:21]
	v_mad_i64_i32 v[16:17], s[28:29], v20, s30, 0
	v_lshl_add_u64 v[16:17], v[16:17], 3, s[26:27]
	s_and_b64 s[34:35], s[2:3], s[18:19]
	s_and_saveexec_b64 s[28:29], s[34:35]
	s_cbranch_execnz .LBB122_271
; %bb.264:
	s_or_b64 exec, exec, s[28:29]
	s_and_b64 s[34:35], s[4:5], s[18:19]
	s_and_saveexec_b64 s[28:29], s[34:35]
	s_cbranch_execnz .LBB122_275
.LBB122_265:
	s_or_b64 exec, exec, s[28:29]
	s_and_b64 s[34:35], s[6:7], s[18:19]
	s_and_saveexec_b64 s[28:29], s[34:35]
	s_cbranch_execnz .LBB122_279
.LBB122_266:
	s_or_b64 exec, exec, s[28:29]
	s_and_b64 s[34:35], s[8:9], s[18:19]
	s_and_saveexec_b64 s[28:29], s[34:35]
	s_cbranch_execnz .LBB122_283
.LBB122_267:
	s_or_b64 exec, exec, s[28:29]
	s_and_b64 s[34:35], s[10:11], s[18:19]
	s_and_saveexec_b64 s[28:29], s[34:35]
	s_cbranch_execnz .LBB122_287
.LBB122_268:
	s_or_b64 exec, exec, s[28:29]
	s_and_b64 s[34:35], s[12:13], s[18:19]
	s_and_saveexec_b64 s[28:29], s[34:35]
	s_cbranch_execnz .LBB122_291
.LBB122_269:
	s_or_b64 exec, exec, s[28:29]
	s_and_b64 s[34:35], s[14:15], s[18:19]
	s_and_saveexec_b64 s[28:29], s[34:35]
	s_cbranch_execnz .LBB122_295
.LBB122_270:
	s_or_b64 exec, exec, s[28:29]
	s_and_b64 s[28:29], s[16:17], s[18:19]
	s_and_saveexec_b64 s[18:19], s[28:29]
	s_cbranch_execnz .LBB122_299
	s_branch .LBB122_303
.LBB122_271:
	s_and_b64 vcc, exec, s[0:1]
	s_cbranch_vccnz .LBB122_273
; %bb.272:
	v_lshl_add_u64 v[20:21], v[0:1], 3, v[18:19]
	flat_load_dwordx2 v[20:21], v[20:21]
	s_waitcnt vmcnt(0) lgkmcnt(0)
	v_mul_f64 v[20:21], v[20:21], s[22:23]
	s_branch .LBB122_274
.LBB122_273:
	v_mov_b64_e32 v[20:21], 0
.LBB122_274:
	v_cvt_f32_f64_e32 v20, v[20:21]
	v_max_f32_e32 v21, v97, v97
	v_min_f32_e32 v20, v20, v21
	v_cvt_f64_f32_e32 v[20:21], v20
	v_lshl_add_u64 v[24:25], v[0:1], 3, v[16:17]
	global_store_dwordx2 v[24:25], v[20:21], off
	s_or_b64 exec, exec, s[28:29]
	s_and_b64 s[34:35], s[4:5], s[18:19]
	s_and_saveexec_b64 s[28:29], s[34:35]
	s_cbranch_execz .LBB122_265
.LBB122_275:
	s_and_b64 vcc, exec, s[0:1]
	s_cbranch_vccnz .LBB122_277
; %bb.276:
	v_lshl_add_u64 v[20:21], v[2:3], 3, v[18:19]
	flat_load_dwordx2 v[20:21], v[20:21]
	s_waitcnt vmcnt(0) lgkmcnt(0)
	v_mul_f64 v[20:21], v[20:21], s[22:23]
	s_branch .LBB122_278
.LBB122_277:
	v_mov_b64_e32 v[20:21], 0
.LBB122_278:
	v_cvt_f32_f64_e32 v20, v[20:21]
	v_max_f32_e32 v21, v96, v96
	v_min_f32_e32 v20, v20, v21
	v_cvt_f64_f32_e32 v[20:21], v20
	v_lshl_add_u64 v[24:25], v[2:3], 3, v[16:17]
	global_store_dwordx2 v[24:25], v[20:21], off
	s_or_b64 exec, exec, s[28:29]
	s_and_b64 s[34:35], s[6:7], s[18:19]
	s_and_saveexec_b64 s[28:29], s[34:35]
	s_cbranch_execz .LBB122_266
.LBB122_279:
	s_and_b64 vcc, exec, s[0:1]
	s_cbranch_vccnz .LBB122_281
; %bb.280:
	v_lshl_add_u64 v[20:21], v[4:5], 3, v[18:19]
	flat_load_dwordx2 v[20:21], v[20:21]
	s_waitcnt vmcnt(0) lgkmcnt(0)
	v_mul_f64 v[20:21], v[20:21], s[22:23]
	s_branch .LBB122_282
.LBB122_281:
	v_mov_b64_e32 v[20:21], 0
.LBB122_282:
	v_cvt_f32_f64_e32 v20, v[20:21]
	v_max_f32_e32 v21, v95, v95
	v_min_f32_e32 v20, v20, v21
	v_cvt_f64_f32_e32 v[20:21], v20
	v_lshl_add_u64 v[24:25], v[4:5], 3, v[16:17]
	global_store_dwordx2 v[24:25], v[20:21], off
	s_or_b64 exec, exec, s[28:29]
	s_and_b64 s[34:35], s[8:9], s[18:19]
	s_and_saveexec_b64 s[28:29], s[34:35]
	s_cbranch_execz .LBB122_267
.LBB122_283:
	s_and_b64 vcc, exec, s[0:1]
	s_cbranch_vccnz .LBB122_285
; %bb.284:
	v_lshl_add_u64 v[20:21], v[6:7], 3, v[18:19]
	flat_load_dwordx2 v[20:21], v[20:21]
	s_waitcnt vmcnt(0) lgkmcnt(0)
	v_mul_f64 v[20:21], v[20:21], s[22:23]
	s_branch .LBB122_286
.LBB122_285:
	v_mov_b64_e32 v[20:21], 0
.LBB122_286:
	v_cvt_f32_f64_e32 v20, v[20:21]
	v_max_f32_e32 v21, v94, v94
	v_min_f32_e32 v20, v20, v21
	v_cvt_f64_f32_e32 v[20:21], v20
	v_lshl_add_u64 v[24:25], v[6:7], 3, v[16:17]
	global_store_dwordx2 v[24:25], v[20:21], off
	s_or_b64 exec, exec, s[28:29]
	s_and_b64 s[34:35], s[10:11], s[18:19]
	s_and_saveexec_b64 s[28:29], s[34:35]
	s_cbranch_execz .LBB122_268
.LBB122_287:
	s_and_b64 vcc, exec, s[0:1]
	s_cbranch_vccnz .LBB122_289
; %bb.288:
	v_lshl_add_u64 v[20:21], v[8:9], 3, v[18:19]
	flat_load_dwordx2 v[20:21], v[20:21]
	s_waitcnt vmcnt(0) lgkmcnt(0)
	v_mul_f64 v[20:21], v[20:21], s[22:23]
	s_branch .LBB122_290
.LBB122_289:
	v_mov_b64_e32 v[20:21], 0
.LBB122_290:
	v_cvt_f32_f64_e32 v20, v[20:21]
	v_max_f32_e32 v21, v93, v93
	v_min_f32_e32 v20, v20, v21
	v_cvt_f64_f32_e32 v[20:21], v20
	v_lshl_add_u64 v[24:25], v[8:9], 3, v[16:17]
	global_store_dwordx2 v[24:25], v[20:21], off
	s_or_b64 exec, exec, s[28:29]
	s_and_b64 s[34:35], s[12:13], s[18:19]
	s_and_saveexec_b64 s[28:29], s[34:35]
	s_cbranch_execz .LBB122_269
.LBB122_291:
	s_and_b64 vcc, exec, s[0:1]
	s_cbranch_vccnz .LBB122_293
; %bb.292:
	v_lshl_add_u64 v[20:21], v[10:11], 3, v[18:19]
	flat_load_dwordx2 v[20:21], v[20:21]
	s_waitcnt vmcnt(0) lgkmcnt(0)
	v_mul_f64 v[20:21], v[20:21], s[22:23]
	s_branch .LBB122_294
.LBB122_293:
	v_mov_b64_e32 v[20:21], 0
.LBB122_294:
	v_cvt_f32_f64_e32 v20, v[20:21]
	v_max_f32_e32 v21, v92, v92
	v_min_f32_e32 v20, v20, v21
	v_cvt_f64_f32_e32 v[20:21], v20
	v_lshl_add_u64 v[24:25], v[10:11], 3, v[16:17]
	global_store_dwordx2 v[24:25], v[20:21], off
	s_or_b64 exec, exec, s[28:29]
	s_and_b64 s[34:35], s[14:15], s[18:19]
	s_and_saveexec_b64 s[28:29], s[34:35]
	s_cbranch_execz .LBB122_270
.LBB122_295:
	s_and_b64 vcc, exec, s[0:1]
	s_cbranch_vccnz .LBB122_297
; %bb.296:
	v_lshl_add_u64 v[20:21], v[12:13], 3, v[18:19]
	flat_load_dwordx2 v[20:21], v[20:21]
	s_waitcnt vmcnt(0) lgkmcnt(0)
	v_mul_f64 v[20:21], v[20:21], s[22:23]
	s_branch .LBB122_298
.LBB122_297:
	v_mov_b64_e32 v[20:21], 0
.LBB122_298:
	v_cvt_f32_f64_e32 v20, v[20:21]
	v_max_f32_e32 v21, v91, v91
	v_min_f32_e32 v20, v20, v21
	v_cvt_f64_f32_e32 v[20:21], v20
	v_lshl_add_u64 v[24:25], v[12:13], 3, v[16:17]
	global_store_dwordx2 v[24:25], v[20:21], off
	s_or_b64 exec, exec, s[28:29]
	s_and_b64 s[28:29], s[16:17], s[18:19]
	s_and_saveexec_b64 s[18:19], s[28:29]
	s_cbranch_execz .LBB122_303
.LBB122_299:
	s_and_b64 vcc, exec, s[0:1]
	s_cbranch_vccnz .LBB122_301
; %bb.300:
	v_lshl_add_u64 v[18:19], v[14:15], 3, v[18:19]
	flat_load_dwordx2 v[18:19], v[18:19]
	s_waitcnt vmcnt(0) lgkmcnt(0)
	v_mul_f64 v[18:19], v[18:19], s[22:23]
	s_branch .LBB122_302
.LBB122_301:
	v_mov_b64_e32 v[18:19], 0
.LBB122_302:
	v_cvt_f32_f64_e32 v18, v[18:19]
	v_max_f32_e32 v19, v90, v90
	v_min_f32_e32 v18, v18, v19
	v_cvt_f64_f32_e32 v[18:19], v18
	v_lshl_add_u64 v[16:17], v[14:15], 3, v[16:17]
	global_store_dwordx2 v[16:17], v[18:19], off
.LBB122_303:
	s_or_b64 exec, exec, s[18:19]
	v_add_u32_e32 v20, 0xc0, v22
	v_mad_i64_i32 v[16:17], s[28:29], v20, s31, 0
	v_cmp_gt_i32_e64 s[18:19], s25, v20
	v_lshl_add_u64 v[18:19], v[16:17], 3, s[20:21]
	v_mad_i64_i32 v[16:17], s[28:29], v20, s30, 0
	v_lshl_add_u64 v[16:17], v[16:17], 3, s[26:27]
	s_and_b64 s[34:35], s[2:3], s[18:19]
	s_and_saveexec_b64 s[28:29], s[34:35]
	s_cbranch_execnz .LBB122_311
; %bb.304:
	s_or_b64 exec, exec, s[28:29]
	s_and_b64 s[34:35], s[4:5], s[18:19]
	s_and_saveexec_b64 s[28:29], s[34:35]
	s_cbranch_execnz .LBB122_315
.LBB122_305:
	s_or_b64 exec, exec, s[28:29]
	s_and_b64 s[34:35], s[6:7], s[18:19]
	s_and_saveexec_b64 s[28:29], s[34:35]
	s_cbranch_execnz .LBB122_319
.LBB122_306:
	s_or_b64 exec, exec, s[28:29]
	s_and_b64 s[34:35], s[8:9], s[18:19]
	s_and_saveexec_b64 s[28:29], s[34:35]
	s_cbranch_execnz .LBB122_323
.LBB122_307:
	s_or_b64 exec, exec, s[28:29]
	s_and_b64 s[34:35], s[10:11], s[18:19]
	s_and_saveexec_b64 s[28:29], s[34:35]
	s_cbranch_execnz .LBB122_327
.LBB122_308:
	s_or_b64 exec, exec, s[28:29]
	s_and_b64 s[34:35], s[12:13], s[18:19]
	s_and_saveexec_b64 s[28:29], s[34:35]
	s_cbranch_execnz .LBB122_331
.LBB122_309:
	s_or_b64 exec, exec, s[28:29]
	s_and_b64 s[34:35], s[14:15], s[18:19]
	s_and_saveexec_b64 s[28:29], s[34:35]
	s_cbranch_execnz .LBB122_335
.LBB122_310:
	s_or_b64 exec, exec, s[28:29]
	s_and_b64 s[28:29], s[16:17], s[18:19]
	s_and_saveexec_b64 s[18:19], s[28:29]
	s_cbranch_execnz .LBB122_339
	s_branch .LBB122_343
.LBB122_311:
	s_and_b64 vcc, exec, s[0:1]
	s_cbranch_vccnz .LBB122_313
; %bb.312:
	v_lshl_add_u64 v[20:21], v[0:1], 3, v[18:19]
	flat_load_dwordx2 v[20:21], v[20:21]
	s_waitcnt vmcnt(0) lgkmcnt(0)
	v_mul_f64 v[20:21], v[20:21], s[22:23]
	s_branch .LBB122_314
.LBB122_313:
	v_mov_b64_e32 v[20:21], 0
.LBB122_314:
	v_cvt_f32_f64_e32 v20, v[20:21]
	v_max_f32_e32 v21, v89, v89
	v_min_f32_e32 v20, v20, v21
	v_cvt_f64_f32_e32 v[20:21], v20
	v_lshl_add_u64 v[24:25], v[0:1], 3, v[16:17]
	global_store_dwordx2 v[24:25], v[20:21], off
	s_or_b64 exec, exec, s[28:29]
	s_and_b64 s[34:35], s[4:5], s[18:19]
	s_and_saveexec_b64 s[28:29], s[34:35]
	s_cbranch_execz .LBB122_305
.LBB122_315:
	s_and_b64 vcc, exec, s[0:1]
	s_cbranch_vccnz .LBB122_317
; %bb.316:
	v_lshl_add_u64 v[20:21], v[2:3], 3, v[18:19]
	flat_load_dwordx2 v[20:21], v[20:21]
	s_waitcnt vmcnt(0) lgkmcnt(0)
	v_mul_f64 v[20:21], v[20:21], s[22:23]
	s_branch .LBB122_318
.LBB122_317:
	v_mov_b64_e32 v[20:21], 0
.LBB122_318:
	v_cvt_f32_f64_e32 v20, v[20:21]
	v_max_f32_e32 v21, v88, v88
	v_min_f32_e32 v20, v20, v21
	v_cvt_f64_f32_e32 v[20:21], v20
	v_lshl_add_u64 v[24:25], v[2:3], 3, v[16:17]
	global_store_dwordx2 v[24:25], v[20:21], off
	s_or_b64 exec, exec, s[28:29]
	s_and_b64 s[34:35], s[6:7], s[18:19]
	s_and_saveexec_b64 s[28:29], s[34:35]
	s_cbranch_execz .LBB122_306
.LBB122_319:
	s_and_b64 vcc, exec, s[0:1]
	s_cbranch_vccnz .LBB122_321
; %bb.320:
	v_lshl_add_u64 v[20:21], v[4:5], 3, v[18:19]
	flat_load_dwordx2 v[20:21], v[20:21]
	s_waitcnt vmcnt(0) lgkmcnt(0)
	v_mul_f64 v[20:21], v[20:21], s[22:23]
	s_branch .LBB122_322
.LBB122_321:
	v_mov_b64_e32 v[20:21], 0
.LBB122_322:
	v_cvt_f32_f64_e32 v20, v[20:21]
	v_max_f32_e32 v21, v87, v87
	v_min_f32_e32 v20, v20, v21
	v_cvt_f64_f32_e32 v[20:21], v20
	v_lshl_add_u64 v[24:25], v[4:5], 3, v[16:17]
	global_store_dwordx2 v[24:25], v[20:21], off
	s_or_b64 exec, exec, s[28:29]
	s_and_b64 s[34:35], s[8:9], s[18:19]
	s_and_saveexec_b64 s[28:29], s[34:35]
	s_cbranch_execz .LBB122_307
.LBB122_323:
	s_and_b64 vcc, exec, s[0:1]
	s_cbranch_vccnz .LBB122_325
; %bb.324:
	v_lshl_add_u64 v[20:21], v[6:7], 3, v[18:19]
	flat_load_dwordx2 v[20:21], v[20:21]
	s_waitcnt vmcnt(0) lgkmcnt(0)
	v_mul_f64 v[20:21], v[20:21], s[22:23]
	s_branch .LBB122_326
.LBB122_325:
	v_mov_b64_e32 v[20:21], 0
.LBB122_326:
	v_cvt_f32_f64_e32 v20, v[20:21]
	v_max_f32_e32 v21, v86, v86
	v_min_f32_e32 v20, v20, v21
	v_cvt_f64_f32_e32 v[20:21], v20
	v_lshl_add_u64 v[24:25], v[6:7], 3, v[16:17]
	global_store_dwordx2 v[24:25], v[20:21], off
	s_or_b64 exec, exec, s[28:29]
	s_and_b64 s[34:35], s[10:11], s[18:19]
	s_and_saveexec_b64 s[28:29], s[34:35]
	s_cbranch_execz .LBB122_308
.LBB122_327:
	s_and_b64 vcc, exec, s[0:1]
	s_cbranch_vccnz .LBB122_329
; %bb.328:
	v_lshl_add_u64 v[20:21], v[8:9], 3, v[18:19]
	flat_load_dwordx2 v[20:21], v[20:21]
	s_waitcnt vmcnt(0) lgkmcnt(0)
	v_mul_f64 v[20:21], v[20:21], s[22:23]
	s_branch .LBB122_330
.LBB122_329:
	v_mov_b64_e32 v[20:21], 0
.LBB122_330:
	v_cvt_f32_f64_e32 v20, v[20:21]
	v_max_f32_e32 v21, v85, v85
	v_min_f32_e32 v20, v20, v21
	v_cvt_f64_f32_e32 v[20:21], v20
	v_lshl_add_u64 v[24:25], v[8:9], 3, v[16:17]
	global_store_dwordx2 v[24:25], v[20:21], off
	s_or_b64 exec, exec, s[28:29]
	s_and_b64 s[34:35], s[12:13], s[18:19]
	s_and_saveexec_b64 s[28:29], s[34:35]
	s_cbranch_execz .LBB122_309
.LBB122_331:
	s_and_b64 vcc, exec, s[0:1]
	s_cbranch_vccnz .LBB122_333
; %bb.332:
	v_lshl_add_u64 v[20:21], v[10:11], 3, v[18:19]
	flat_load_dwordx2 v[20:21], v[20:21]
	s_waitcnt vmcnt(0) lgkmcnt(0)
	v_mul_f64 v[20:21], v[20:21], s[22:23]
	s_branch .LBB122_334
.LBB122_333:
	v_mov_b64_e32 v[20:21], 0
.LBB122_334:
	v_cvt_f32_f64_e32 v20, v[20:21]
	v_max_f32_e32 v21, v84, v84
	v_min_f32_e32 v20, v20, v21
	v_cvt_f64_f32_e32 v[20:21], v20
	v_lshl_add_u64 v[24:25], v[10:11], 3, v[16:17]
	global_store_dwordx2 v[24:25], v[20:21], off
	s_or_b64 exec, exec, s[28:29]
	s_and_b64 s[34:35], s[14:15], s[18:19]
	s_and_saveexec_b64 s[28:29], s[34:35]
	s_cbranch_execz .LBB122_310
.LBB122_335:
	s_and_b64 vcc, exec, s[0:1]
	s_cbranch_vccnz .LBB122_337
; %bb.336:
	v_lshl_add_u64 v[20:21], v[12:13], 3, v[18:19]
	flat_load_dwordx2 v[20:21], v[20:21]
	s_waitcnt vmcnt(0) lgkmcnt(0)
	v_mul_f64 v[20:21], v[20:21], s[22:23]
	s_branch .LBB122_338
.LBB122_337:
	v_mov_b64_e32 v[20:21], 0
.LBB122_338:
	v_cvt_f32_f64_e32 v20, v[20:21]
	v_max_f32_e32 v21, v83, v83
	v_min_f32_e32 v20, v20, v21
	v_cvt_f64_f32_e32 v[20:21], v20
	v_lshl_add_u64 v[24:25], v[12:13], 3, v[16:17]
	global_store_dwordx2 v[24:25], v[20:21], off
	s_or_b64 exec, exec, s[28:29]
	s_and_b64 s[28:29], s[16:17], s[18:19]
	s_and_saveexec_b64 s[18:19], s[28:29]
	s_cbranch_execz .LBB122_343
.LBB122_339:
	s_and_b64 vcc, exec, s[0:1]
	s_cbranch_vccnz .LBB122_341
; %bb.340:
	v_lshl_add_u64 v[18:19], v[14:15], 3, v[18:19]
	flat_load_dwordx2 v[18:19], v[18:19]
	s_waitcnt vmcnt(0) lgkmcnt(0)
	v_mul_f64 v[18:19], v[18:19], s[22:23]
	s_branch .LBB122_342
.LBB122_341:
	v_mov_b64_e32 v[18:19], 0
.LBB122_342:
	v_cvt_f32_f64_e32 v18, v[18:19]
	v_max_f32_e32 v19, v82, v82
	v_min_f32_e32 v18, v18, v19
	v_cvt_f64_f32_e32 v[18:19], v18
	v_lshl_add_u64 v[16:17], v[14:15], 3, v[16:17]
	global_store_dwordx2 v[16:17], v[18:19], off
.LBB122_343:
	s_or_b64 exec, exec, s[18:19]
	v_add_u32_e32 v20, 0xe0, v22
	v_cmp_gt_i32_e64 s[18:19], s25, v20
	v_mad_i64_i32 v[16:17], s[24:25], v20, s31, 0
	v_lshl_add_u64 v[18:19], v[16:17], 3, s[20:21]
	v_mad_i64_i32 v[16:17], s[20:21], v20, s30, 0
	v_lshl_add_u64 v[16:17], v[16:17], 3, s[26:27]
	s_and_b64 s[20:21], s[2:3], s[18:19]
	s_and_saveexec_b64 s[2:3], s[20:21]
	s_cbranch_execnz .LBB122_352
; %bb.344:
	s_or_b64 exec, exec, s[2:3]
	s_and_b64 s[4:5], s[4:5], s[18:19]
	s_and_saveexec_b64 s[2:3], s[4:5]
	s_cbranch_execnz .LBB122_356
.LBB122_345:
	s_or_b64 exec, exec, s[2:3]
	s_and_b64 s[4:5], s[6:7], s[18:19]
	s_and_saveexec_b64 s[2:3], s[4:5]
	s_cbranch_execnz .LBB122_360
.LBB122_346:
	s_or_b64 exec, exec, s[2:3]
	s_and_b64 s[4:5], s[8:9], s[18:19]
	s_and_saveexec_b64 s[2:3], s[4:5]
	s_cbranch_execnz .LBB122_364
.LBB122_347:
	s_or_b64 exec, exec, s[2:3]
	s_and_b64 s[4:5], s[10:11], s[18:19]
	s_and_saveexec_b64 s[2:3], s[4:5]
	s_cbranch_execnz .LBB122_368
.LBB122_348:
	s_or_b64 exec, exec, s[2:3]
	s_and_b64 s[4:5], s[12:13], s[18:19]
	s_and_saveexec_b64 s[2:3], s[4:5]
	s_cbranch_execnz .LBB122_372
.LBB122_349:
	s_or_b64 exec, exec, s[2:3]
	s_and_b64 s[4:5], s[14:15], s[18:19]
	s_and_saveexec_b64 s[2:3], s[4:5]
	s_cbranch_execnz .LBB122_376
.LBB122_350:
	s_or_b64 exec, exec, s[2:3]
	s_and_b64 s[2:3], s[16:17], s[18:19]
	s_and_saveexec_b64 s[4:5], s[2:3]
	s_cbranch_execnz .LBB122_380
.LBB122_351:
	s_endpgm
.LBB122_352:
	s_and_b64 vcc, exec, s[0:1]
	s_cbranch_vccnz .LBB122_354
; %bb.353:
	v_lshl_add_u64 v[20:21], v[0:1], 3, v[18:19]
	flat_load_dwordx2 v[20:21], v[20:21]
	s_waitcnt vmcnt(0) lgkmcnt(0)
	v_mul_f64 v[20:21], v[20:21], s[22:23]
	v_cvt_f32_f64_e32 v20, v[20:21]
	s_branch .LBB122_355
.LBB122_354:
	v_mov_b32_e32 v20, 0
.LBB122_355:
	v_max_f32_e32 v21, v81, v81
	v_max_f32_e32 v20, v20, v20
	v_min_f32_e32 v20, v20, v21
	v_cvt_f64_f32_e32 v[20:21], v20
	v_lshl_add_u64 v[0:1], v[0:1], 3, v[16:17]
	global_store_dwordx2 v[0:1], v[20:21], off
	s_or_b64 exec, exec, s[2:3]
	s_and_b64 s[4:5], s[4:5], s[18:19]
	s_and_saveexec_b64 s[2:3], s[4:5]
	s_cbranch_execz .LBB122_345
.LBB122_356:
	s_and_b64 vcc, exec, s[0:1]
	s_cbranch_vccnz .LBB122_358
; %bb.357:
	v_lshl_add_u64 v[0:1], v[2:3], 3, v[18:19]
	flat_load_dwordx2 v[0:1], v[0:1]
	s_waitcnt vmcnt(0) lgkmcnt(0)
	v_mul_f64 v[0:1], v[0:1], s[22:23]
	v_cvt_f32_f64_e32 v0, v[0:1]
	s_branch .LBB122_359
.LBB122_358:
	v_mov_b32_e32 v0, 0
.LBB122_359:
	v_max_f32_e32 v1, v80, v80
	v_max_f32_e32 v0, v0, v0
	v_min_f32_e32 v0, v0, v1
	v_cvt_f64_f32_e32 v[0:1], v0
	v_lshl_add_u64 v[2:3], v[2:3], 3, v[16:17]
	global_store_dwordx2 v[2:3], v[0:1], off
	s_or_b64 exec, exec, s[2:3]
	s_and_b64 s[4:5], s[6:7], s[18:19]
	s_and_saveexec_b64 s[2:3], s[4:5]
	s_cbranch_execz .LBB122_346
.LBB122_360:
	s_and_b64 vcc, exec, s[0:1]
	s_cbranch_vccnz .LBB122_362
; %bb.361:
	v_lshl_add_u64 v[0:1], v[4:5], 3, v[18:19]
	flat_load_dwordx2 v[0:1], v[0:1]
	s_waitcnt vmcnt(0) lgkmcnt(0)
	v_mul_f64 v[0:1], v[0:1], s[22:23]
	v_cvt_f32_f64_e32 v0, v[0:1]
	s_branch .LBB122_363
.LBB122_362:
	v_mov_b32_e32 v0, 0
.LBB122_363:
	v_max_f32_e32 v1, v79, v79
	v_max_f32_e32 v0, v0, v0
	v_min_f32_e32 v0, v0, v1
	v_cvt_f64_f32_e32 v[0:1], v0
	v_lshl_add_u64 v[2:3], v[4:5], 3, v[16:17]
	global_store_dwordx2 v[2:3], v[0:1], off
	s_or_b64 exec, exec, s[2:3]
	s_and_b64 s[4:5], s[8:9], s[18:19]
	s_and_saveexec_b64 s[2:3], s[4:5]
	s_cbranch_execz .LBB122_347
.LBB122_364:
	s_and_b64 vcc, exec, s[0:1]
	s_cbranch_vccnz .LBB122_366
; %bb.365:
	v_lshl_add_u64 v[0:1], v[6:7], 3, v[18:19]
	flat_load_dwordx2 v[0:1], v[0:1]
	s_waitcnt vmcnt(0) lgkmcnt(0)
	v_mul_f64 v[0:1], v[0:1], s[22:23]
	v_cvt_f32_f64_e32 v0, v[0:1]
	s_branch .LBB122_367
.LBB122_366:
	v_mov_b32_e32 v0, 0
.LBB122_367:
	v_max_f32_e32 v1, v78, v78
	v_max_f32_e32 v0, v0, v0
	v_min_f32_e32 v0, v0, v1
	v_cvt_f64_f32_e32 v[0:1], v0
	v_lshl_add_u64 v[2:3], v[6:7], 3, v[16:17]
	global_store_dwordx2 v[2:3], v[0:1], off
	s_or_b64 exec, exec, s[2:3]
	s_and_b64 s[4:5], s[10:11], s[18:19]
	s_and_saveexec_b64 s[2:3], s[4:5]
	s_cbranch_execz .LBB122_348
.LBB122_368:
	s_and_b64 vcc, exec, s[0:1]
	s_cbranch_vccnz .LBB122_370
; %bb.369:
	v_lshl_add_u64 v[0:1], v[8:9], 3, v[18:19]
	flat_load_dwordx2 v[0:1], v[0:1]
	s_waitcnt vmcnt(0) lgkmcnt(0)
	v_mul_f64 v[0:1], v[0:1], s[22:23]
	v_cvt_f32_f64_e32 v0, v[0:1]
	s_branch .LBB122_371
.LBB122_370:
	v_mov_b32_e32 v0, 0
.LBB122_371:
	v_max_f32_e32 v1, v77, v77
	v_max_f32_e32 v0, v0, v0
	v_min_f32_e32 v0, v0, v1
	v_cvt_f64_f32_e32 v[0:1], v0
	v_lshl_add_u64 v[2:3], v[8:9], 3, v[16:17]
	global_store_dwordx2 v[2:3], v[0:1], off
	s_or_b64 exec, exec, s[2:3]
	s_and_b64 s[4:5], s[12:13], s[18:19]
	s_and_saveexec_b64 s[2:3], s[4:5]
	s_cbranch_execz .LBB122_349
.LBB122_372:
	s_and_b64 vcc, exec, s[0:1]
	s_cbranch_vccnz .LBB122_374
; %bb.373:
	v_lshl_add_u64 v[0:1], v[10:11], 3, v[18:19]
	flat_load_dwordx2 v[0:1], v[0:1]
	s_waitcnt vmcnt(0) lgkmcnt(0)
	v_mul_f64 v[0:1], v[0:1], s[22:23]
	v_cvt_f32_f64_e32 v0, v[0:1]
	s_branch .LBB122_375
.LBB122_374:
	v_mov_b32_e32 v0, 0
.LBB122_375:
	v_max_f32_e32 v1, v76, v76
	v_max_f32_e32 v0, v0, v0
	v_min_f32_e32 v0, v0, v1
	v_cvt_f64_f32_e32 v[0:1], v0
	v_lshl_add_u64 v[2:3], v[10:11], 3, v[16:17]
	global_store_dwordx2 v[2:3], v[0:1], off
	s_or_b64 exec, exec, s[2:3]
	s_and_b64 s[4:5], s[14:15], s[18:19]
	s_and_saveexec_b64 s[2:3], s[4:5]
	s_cbranch_execz .LBB122_350
.LBB122_376:
	s_and_b64 vcc, exec, s[0:1]
	s_cbranch_vccnz .LBB122_378
; %bb.377:
	v_lshl_add_u64 v[0:1], v[12:13], 3, v[18:19]
	flat_load_dwordx2 v[0:1], v[0:1]
	s_waitcnt vmcnt(0) lgkmcnt(0)
	v_mul_f64 v[0:1], v[0:1], s[22:23]
	v_cvt_f32_f64_e32 v0, v[0:1]
	s_branch .LBB122_379
.LBB122_378:
	v_mov_b32_e32 v0, 0
.LBB122_379:
	v_max_f32_e32 v1, v75, v75
	v_max_f32_e32 v0, v0, v0
	v_min_f32_e32 v0, v0, v1
	v_cvt_f64_f32_e32 v[0:1], v0
	v_lshl_add_u64 v[2:3], v[12:13], 3, v[16:17]
	global_store_dwordx2 v[2:3], v[0:1], off
	s_or_b64 exec, exec, s[2:3]
	s_and_b64 s[2:3], s[16:17], s[18:19]
	s_and_saveexec_b64 s[4:5], s[2:3]
	s_cbranch_execz .LBB122_351
.LBB122_380:
	s_and_b64 vcc, exec, s[0:1]
	s_cbranch_vccnz .LBB122_382
; %bb.381:
	v_lshl_add_u64 v[0:1], v[14:15], 3, v[18:19]
	flat_load_dwordx2 v[0:1], v[0:1]
	s_waitcnt vmcnt(0) lgkmcnt(0)
	v_mul_f64 v[0:1], v[0:1], s[22:23]
	v_cvt_f32_f64_e32 v0, v[0:1]
	s_branch .LBB122_383
.LBB122_382:
	v_mov_b32_e32 v0, 0
.LBB122_383:
	v_max_f32_e32 v1, v74, v74
	v_max_f32_e32 v0, v0, v0
	v_min_f32_e32 v0, v0, v1
	v_cvt_f64_f32_e32 v[0:1], v0
	v_lshl_add_u64 v[2:3], v[14:15], 3, v[16:17]
	global_store_dwordx2 v[2:3], v[0:1], off
	s_endpgm
	.section	.rodata,"a",@progbits
	.p2align	6, 0x0
	.amdhsa_kernel _ZN12_GLOBAL__N_120geam_min_plus_kernelId15HIP_vector_typeIdLj2EEdLi8ELi32ELi64ELi256ELi4ELi64ELi4ELi64ELi4ELc78ELc84ELb0ELb1ELb1EdKPKdKPdEEviiiT16_PT17_ilSA_ilS8_SA_ilPT18_ili26rocblas_geam_ex_operation_
		.amdhsa_group_segment_fixed_size 20480
		.amdhsa_private_segment_fixed_size 0
		.amdhsa_kernarg_size 136
		.amdhsa_user_sgpr_count 2
		.amdhsa_user_sgpr_dispatch_ptr 0
		.amdhsa_user_sgpr_queue_ptr 0
		.amdhsa_user_sgpr_kernarg_segment_ptr 1
		.amdhsa_user_sgpr_dispatch_id 0
		.amdhsa_user_sgpr_kernarg_preload_length 0
		.amdhsa_user_sgpr_kernarg_preload_offset 0
		.amdhsa_user_sgpr_private_segment_size 0
		.amdhsa_uses_dynamic_stack 0
		.amdhsa_enable_private_segment 0
		.amdhsa_system_sgpr_workgroup_id_x 1
		.amdhsa_system_sgpr_workgroup_id_y 0
		.amdhsa_system_sgpr_workgroup_id_z 1
		.amdhsa_system_sgpr_workgroup_info 0
		.amdhsa_system_vgpr_workitem_id 1
		.amdhsa_next_free_vgpr 154
		.amdhsa_next_free_sgpr 46
		.amdhsa_accum_offset 156
		.amdhsa_reserve_vcc 1
		.amdhsa_float_round_mode_32 0
		.amdhsa_float_round_mode_16_64 0
		.amdhsa_float_denorm_mode_32 3
		.amdhsa_float_denorm_mode_16_64 3
		.amdhsa_dx10_clamp 1
		.amdhsa_ieee_mode 1
		.amdhsa_fp16_overflow 0
		.amdhsa_tg_split 0
		.amdhsa_exception_fp_ieee_invalid_op 0
		.amdhsa_exception_fp_denorm_src 0
		.amdhsa_exception_fp_ieee_div_zero 0
		.amdhsa_exception_fp_ieee_overflow 0
		.amdhsa_exception_fp_ieee_underflow 0
		.amdhsa_exception_fp_ieee_inexact 0
		.amdhsa_exception_int_div_zero 0
	.end_amdhsa_kernel
	.section	.text._ZN12_GLOBAL__N_120geam_min_plus_kernelId15HIP_vector_typeIdLj2EEdLi8ELi32ELi64ELi256ELi4ELi64ELi4ELi64ELi4ELc78ELc84ELb0ELb1ELb1EdKPKdKPdEEviiiT16_PT17_ilSA_ilS8_SA_ilPT18_ili26rocblas_geam_ex_operation_,"axG",@progbits,_ZN12_GLOBAL__N_120geam_min_plus_kernelId15HIP_vector_typeIdLj2EEdLi8ELi32ELi64ELi256ELi4ELi64ELi4ELi64ELi4ELc78ELc84ELb0ELb1ELb1EdKPKdKPdEEviiiT16_PT17_ilSA_ilS8_SA_ilPT18_ili26rocblas_geam_ex_operation_,comdat
.Lfunc_end122:
	.size	_ZN12_GLOBAL__N_120geam_min_plus_kernelId15HIP_vector_typeIdLj2EEdLi8ELi32ELi64ELi256ELi4ELi64ELi4ELi64ELi4ELc78ELc84ELb0ELb1ELb1EdKPKdKPdEEviiiT16_PT17_ilSA_ilS8_SA_ilPT18_ili26rocblas_geam_ex_operation_, .Lfunc_end122-_ZN12_GLOBAL__N_120geam_min_plus_kernelId15HIP_vector_typeIdLj2EEdLi8ELi32ELi64ELi256ELi4ELi64ELi4ELi64ELi4ELc78ELc84ELb0ELb1ELb1EdKPKdKPdEEviiiT16_PT17_ilSA_ilS8_SA_ilPT18_ili26rocblas_geam_ex_operation_
                                        ; -- End function
	.section	.AMDGPU.csdata,"",@progbits
; Kernel info:
; codeLenInByte = 19224
; NumSgprs: 52
; NumVgprs: 154
; NumAgprs: 0
; TotalNumVgprs: 154
; ScratchSize: 0
; MemoryBound: 0
; FloatMode: 240
; IeeeMode: 1
; LDSByteSize: 20480 bytes/workgroup (compile time only)
; SGPRBlocks: 6
; VGPRBlocks: 19
; NumSGPRsForWavesPerEU: 52
; NumVGPRsForWavesPerEU: 154
; AccumOffset: 156
; Occupancy: 3
; WaveLimiterHint : 1
; COMPUTE_PGM_RSRC2:SCRATCH_EN: 0
; COMPUTE_PGM_RSRC2:USER_SGPR: 2
; COMPUTE_PGM_RSRC2:TRAP_HANDLER: 0
; COMPUTE_PGM_RSRC2:TGID_X_EN: 1
; COMPUTE_PGM_RSRC2:TGID_Y_EN: 0
; COMPUTE_PGM_RSRC2:TGID_Z_EN: 1
; COMPUTE_PGM_RSRC2:TIDIG_COMP_CNT: 1
; COMPUTE_PGM_RSRC3_GFX90A:ACCUM_OFFSET: 38
; COMPUTE_PGM_RSRC3_GFX90A:TG_SPLIT: 0
	.section	.text._ZN12_GLOBAL__N_120geam_min_plus_kernelId15HIP_vector_typeIdLj2EEdLi8ELi32ELi64ELi256ELi4ELi4ELi64ELi64ELi4ELc84ELc84ELb0ELb0ELb1EPKdKS4_KPdEEviiiT16_PT17_ilSA_ilS8_SA_ilPT18_ili26rocblas_geam_ex_operation_,"axG",@progbits,_ZN12_GLOBAL__N_120geam_min_plus_kernelId15HIP_vector_typeIdLj2EEdLi8ELi32ELi64ELi256ELi4ELi4ELi64ELi64ELi4ELc84ELc84ELb0ELb0ELb1EPKdKS4_KPdEEviiiT16_PT17_ilSA_ilS8_SA_ilPT18_ili26rocblas_geam_ex_operation_,comdat
	.globl	_ZN12_GLOBAL__N_120geam_min_plus_kernelId15HIP_vector_typeIdLj2EEdLi8ELi32ELi64ELi256ELi4ELi4ELi64ELi64ELi4ELc84ELc84ELb0ELb0ELb1EPKdKS4_KPdEEviiiT16_PT17_ilSA_ilS8_SA_ilPT18_ili26rocblas_geam_ex_operation_ ; -- Begin function _ZN12_GLOBAL__N_120geam_min_plus_kernelId15HIP_vector_typeIdLj2EEdLi8ELi32ELi64ELi256ELi4ELi4ELi64ELi64ELi4ELc84ELc84ELb0ELb0ELb1EPKdKS4_KPdEEviiiT16_PT17_ilSA_ilS8_SA_ilPT18_ili26rocblas_geam_ex_operation_
	.p2align	8
	.type	_ZN12_GLOBAL__N_120geam_min_plus_kernelId15HIP_vector_typeIdLj2EEdLi8ELi32ELi64ELi256ELi4ELi4ELi64ELi64ELi4ELc84ELc84ELb0ELb0ELb1EPKdKS4_KPdEEviiiT16_PT17_ilSA_ilS8_SA_ilPT18_ili26rocblas_geam_ex_operation_,@function
_ZN12_GLOBAL__N_120geam_min_plus_kernelId15HIP_vector_typeIdLj2EEdLi8ELi32ELi64ELi256ELi4ELi4ELi64ELi64ELi4ELc84ELc84ELb0ELb0ELb1EPKdKS4_KPdEEviiiT16_PT17_ilSA_ilS8_SA_ilPT18_ili26rocblas_geam_ex_operation_: ; @_ZN12_GLOBAL__N_120geam_min_plus_kernelId15HIP_vector_typeIdLj2EEdLi8ELi32ELi64ELi256ELi4ELi4ELi64ELi64ELi4ELc84ELc84ELb0ELb0ELb1EPKdKS4_KPdEEviiiT16_PT17_ilSA_ilS8_SA_ilPT18_ili26rocblas_geam_ex_operation_
; %bb.0:
	s_load_dwordx4 s[12:15], s[0:1], 0x10
	s_load_dwordx4 s[4:7], s[0:1], 0x28
	s_mov_b32 s8, s3
	s_mov_b32 s9, 0
	s_lshl_b64 s[22:23], s[8:9], 3
	s_waitcnt lgkmcnt(0)
	s_add_u32 s12, s12, s22
	s_load_dwordx4 s[8:11], s[0:1], 0x40
	s_addc_u32 s13, s13, s23
	s_load_dwordx2 s[16:17], s[12:13], 0x0
	s_load_dwordx2 s[24:25], s[0:1], 0x50
	s_mov_b64 s[18:19], 0
	s_mov_b64 s[20:21], 0
	s_waitcnt lgkmcnt(0)
	s_add_u32 s10, s10, s22
	v_cmp_eq_f64_e64 s[12:13], s[16:17], 0
	s_addc_u32 s11, s11, s23
	v_cmp_neq_f64_e64 s[26:27], s[16:17], 0
	s_and_b64 vcc, exec, s[12:13]
	s_cbranch_vccnz .LBB123_2
; %bb.1:
	s_add_u32 s12, s14, s22
	s_addc_u32 s13, s15, s23
	s_load_dwordx2 s[12:13], s[12:13], 0x0
	s_lshl_b64 s[4:5], s[4:5], 3
	s_waitcnt lgkmcnt(0)
	s_add_u32 s20, s12, s4
	s_addc_u32 s21, s13, s5
.LBB123_2:
	s_load_dwordx2 s[12:13], s[10:11], 0x0
	v_cndmask_b32_e64 v1, 0, 1, s[26:27]
	v_cmp_ne_u32_e64 s[4:5], 1, v1
	s_andn2_b64 vcc, exec, s[26:27]
	s_cbranch_vccnz .LBB123_4
; %bb.3:
	s_add_u32 s6, s6, s22
	s_addc_u32 s7, s7, s23
	s_load_dwordx2 s[6:7], s[6:7], 0x0
	s_lshl_b64 s[8:9], s[8:9], 3
	s_waitcnt lgkmcnt(0)
	s_add_u32 s18, s6, s8
	s_addc_u32 s19, s7, s9
.LBB123_4:
	s_load_dwordx4 s[8:11], s[0:1], 0x60
	s_waitcnt lgkmcnt(0)
	v_cmp_eq_f64_e64 s[6:7], s[12:13], 0
	s_and_b64 s[6:7], exec, s[6:7]
	s_mov_b64 s[14:15], 0
	s_mov_b64 vcc, s[6:7]
	s_cbranch_vccnz .LBB123_6
; %bb.5:
	s_add_u32 s14, s24, s22
	s_addc_u32 s15, s25, s23
	s_load_dwordx2 s[14:15], s[14:15], 0x0
	s_lshl_b64 s[8:9], s[8:9], 3
	s_waitcnt lgkmcnt(0)
	s_add_u32 s14, s14, s8
	s_addc_u32 s15, s15, s9
.LBB123_6:
	s_load_dword s3, s[0:1], 0x0
	s_load_dword s26, s[0:1], 0x20
	s_add_u32 s8, s10, s22
	s_addc_u32 s9, s11, s23
	v_and_b32_e32 v135, 0x3ff, v0
	s_waitcnt lgkmcnt(0)
	s_add_i32 s3, s3, -1
	s_ashr_i32 s10, s3, 31
	s_lshr_b32 s10, s10, 26
	s_add_i32 s3, s3, s10
	s_ashr_i32 s3, s3, 6
	s_add_i32 s10, s3, 1
	v_cvt_f32_u32_e32 v1, s10
	v_bfe_u32 v136, v0, 10, 10
	s_not_b32 s3, s3
	s_load_dwordx2 s[8:9], s[8:9], 0x0
	v_rcp_iflag_f32_e32 v1, v1
	v_lshl_add_u32 v4, v136, 3, v135
	v_and_b32_e32 v144, 3, v135
	v_lshrrev_b32_e32 v14, 2, v4
	v_mul_f32_e32 v0, 0x4f7ffffe, v1
	v_cvt_u32_f32_e32 v0, v0
	s_nop 0
	v_readfirstlane_b32 s11, v0
	s_mul_i32 s3, s3, s11
	s_mul_hi_u32 s3, s11, s3
	s_add_i32 s11, s11, s3
	s_mul_hi_u32 s3, s2, s11
	s_mul_i32 s11, s3, s10
	s_sub_i32 s11, s2, s11
	s_add_i32 s22, s3, 1
	s_sub_i32 s23, s11, s10
	s_cmp_ge_u32 s11, s10
	s_cselect_b32 s3, s22, s3
	s_cselect_b32 s11, s23, s11
	s_add_i32 s22, s3, 1
	s_cmp_ge_u32 s11, s10
	s_cselect_b32 s3, s22, s3
	s_mul_i32 s10, s3, s10
	s_sub_i32 s2, s2, s10
	s_lshl_b32 s10, s2, 6
	s_and_b64 vcc, exec, s[4:5]
	v_add_u32_e32 v72, s10, v14
	v_lshlrev_b32_e32 v0, 3, v144
	s_cbranch_vccnz .LBB123_8
; %bb.7:
	v_mad_i64_i32 v[2:3], s[22:23], v72, s26, 0
	v_lshl_add_u64 v[2:3], v[2:3], 3, s[20:21]
	v_mov_b32_e32 v1, 0
	v_lshl_add_u64 v[2:3], v[2:3], 0, v[0:1]
	flat_load_dwordx2 v[2:3], v[2:3]
	s_waitcnt vmcnt(0) lgkmcnt(0)
	v_mul_f64 v[2:3], s[16:17], v[2:3]
	s_branch .LBB123_9
.LBB123_8:
	v_mov_b64_e32 v[2:3], 0
.LBB123_9:
	s_load_dword s22, s[0:1], 0x38
	v_and_b32_e32 v73, 63, v4
	v_lshrrev_b32_e32 v145, 6, v4
	s_lshl_b32 s11, s3, 8
	v_or_b32_e32 v60, s11, v73
	s_waitcnt lgkmcnt(0)
	v_mad_i64_i32 v[4:5], s[2:3], s22, v145, 0
	s_ashr_i32 s23, s22, 31
	v_lshl_add_u64 v[8:9], v[4:5], 3, s[18:19]
	s_and_b64 vcc, exec, s[4:5]
	v_ashrrev_i32_e32 v61, 31, v60
	s_cbranch_vccnz .LBB123_13
; %bb.10:
	v_lshl_add_u64 v[4:5], v[60:61], 3, v[8:9]
	flat_load_dwordx2 v[6:7], v[4:5]
	flat_load_dwordx2 v[10:11], v[4:5] offset:512
	s_waitcnt vmcnt(0) lgkmcnt(0)
	v_mul_f64 v[4:5], s[16:17], v[6:7]
	v_mul_f64 v[6:7], s[16:17], v[10:11]
	s_and_b64 vcc, exec, s[4:5]
	s_cbranch_vccnz .LBB123_14
.LBB123_11:
	v_lshl_add_u64 v[8:9], v[60:61], 3, v[8:9]
	flat_load_dwordx2 v[10:11], v[8:9] offset:1024
	flat_load_dwordx2 v[12:13], v[8:9] offset:1536
	s_waitcnt vmcnt(0) lgkmcnt(0)
	v_mul_f64 v[8:9], s[16:17], v[10:11]
	v_mul_f64 v[10:11], s[16:17], v[12:13]
	s_and_b64 vcc, exec, s[4:5]
	s_cbranch_vccnz .LBB123_15
.LBB123_12:
	v_mad_i64_i32 v[12:13], s[2:3], v72, s26, 0
	v_lshl_add_u64 v[12:13], v[12:13], 3, s[20:21]
	v_mov_b32_e32 v1, 0
	v_lshl_add_u64 v[12:13], v[12:13], 0, v[0:1]
	flat_load_dwordx2 v[12:13], v[12:13] offset:32
	s_waitcnt vmcnt(0) lgkmcnt(0)
	v_mul_f64 v[62:63], s[16:17], v[12:13]
	s_branch .LBB123_16
.LBB123_13:
	v_mov_b64_e32 v[4:5], 0
	v_mov_b64_e32 v[6:7], 0
	s_and_b64 vcc, exec, s[4:5]
	s_cbranch_vccz .LBB123_11
.LBB123_14:
	v_mov_b64_e32 v[8:9], 0
	v_mov_b64_e32 v[10:11], 0
	s_and_b64 vcc, exec, s[4:5]
	s_cbranch_vccz .LBB123_12
.LBB123_15:
	v_mov_b64_e32 v[62:63], 0
.LBB123_16:
	v_add_u32_e32 v146, 4, v145
	v_mad_i64_i32 v[12:13], s[2:3], s22, v146, 0
	s_and_b64 vcc, exec, s[4:5]
	v_lshl_add_u64 v[12:13], v[12:13], 3, s[18:19]
	s_cbranch_vccnz .LBB123_19
; %bb.17:
	v_lshl_add_u64 v[16:17], v[60:61], 3, v[12:13]
	flat_load_dwordx2 v[18:19], v[16:17]
	flat_load_dwordx2 v[20:21], v[16:17] offset:512
	s_waitcnt vmcnt(0) lgkmcnt(0)
	v_mul_f64 v[64:65], s[16:17], v[18:19]
	v_mul_f64 v[66:67], s[16:17], v[20:21]
	s_and_b64 vcc, exec, s[4:5]
	s_cbranch_vccnz .LBB123_20
.LBB123_18:
	v_lshl_add_u64 v[12:13], v[60:61], 3, v[12:13]
	flat_load_dwordx2 v[16:17], v[12:13] offset:1024
	flat_load_dwordx2 v[18:19], v[12:13] offset:1536
	s_waitcnt vmcnt(0) lgkmcnt(0)
	v_mul_f64 v[68:69], s[16:17], v[16:17]
	v_mul_f64 v[70:71], s[16:17], v[18:19]
	s_branch .LBB123_21
.LBB123_19:
	v_mov_b64_e32 v[64:65], 0
	v_mov_b64_e32 v[66:67], 0
	s_and_b64 vcc, exec, s[4:5]
	s_cbranch_vccz .LBB123_18
.LBB123_20:
	v_mov_b64_e32 v[68:69], 0
	v_mov_b64_e32 v[70:71], 0
.LBB123_21:
	v_lshl_or_b32 v74, v14, 5, v0
	v_lshlrev_b32_e32 v0, 3, v145
	v_add_u32_e32 v147, 0x4000, v74
	v_lshl_add_u32 v148, v73, 5, v0
	s_mov_b32 s24, 0
	s_mov_b64 s[2:3], -1
	v_mov_b32_e32 v78, 0x7f800000
	v_mov_b32_e32 v79, 0x7f800000
	;; [unrolled: 1-line block ×64, first 2 shown]
	ds_write_b64 v74, v[2:3] offset:16384
	ds_write2st64_b64 v148, v[4:5], v[6:7] offset1:4
	ds_write2st64_b64 v148, v[8:9], v[10:11] offset0:8 offset1:12
	s_waitcnt lgkmcnt(0)
	s_barrier
.LBB123_22:                             ; =>This Inner Loop Header: Depth=1
	v_cndmask_b32_e64 v0, 0, 1, s[2:3]
	s_lshl_b32 s2, s24, 3
	v_cmp_ne_u32_e32 vcc, 1, v0
	v_lshl_add_u32 v0, v135, 5, s2
	v_lshl_add_u32 v20, v136, 5, s2
	ds_read_b128 v[32:35], v0 offset:16384
	ds_read_b128 v[28:31], v0 offset:16640
	;; [unrolled: 1-line block ×8, first 2 shown]
	ds_read_b128 v[150:153], v20
	ds_read_b128 v[56:59], v20 offset:1024
	ds_read_b128 v[52:55], v20 offset:2048
	;; [unrolled: 1-line block ×7, first 2 shown]
	s_waitcnt lgkmcnt(7)
	v_add_f64 v[76:77], v[34:35], v[152:153]
	v_add_f64 v[154:155], v[32:33], v[150:151]
	v_cvt_f32_f64_e32 v75, v[154:155]
	v_cvt_f32_f64_e32 v76, v[76:77]
	v_min3_f32 v143, v75, v76, v143
	v_add_f64 v[76:77], v[30:31], v[152:153]
	v_add_f64 v[154:155], v[28:29], v[150:151]
	v_cvt_f32_f64_e32 v75, v[154:155]
	v_cvt_f32_f64_e32 v76, v[76:77]
	v_min3_f32 v142, v75, v76, v142
	;; [unrolled: 5-line block ×8, first 2 shown]
	s_waitcnt lgkmcnt(6)
	v_add_f64 v[76:77], v[34:35], v[58:59]
	v_add_f64 v[150:151], v[32:33], v[56:57]
	v_cvt_f32_f64_e32 v75, v[150:151]
	v_cvt_f32_f64_e32 v76, v[76:77]
	v_min3_f32 v133, v75, v76, v133
	v_add_f64 v[76:77], v[30:31], v[58:59]
	v_add_f64 v[150:151], v[28:29], v[56:57]
	v_cvt_f32_f64_e32 v75, v[150:151]
	v_cvt_f32_f64_e32 v76, v[76:77]
	v_min3_f32 v132, v75, v76, v132
	v_add_f64 v[76:77], v[26:27], v[58:59]
	v_add_f64 v[150:151], v[24:25], v[56:57]
	v_cvt_f32_f64_e32 v75, v[150:151]
	v_cvt_f32_f64_e32 v76, v[76:77]
	v_min3_f32 v131, v75, v76, v131
	v_add_f64 v[76:77], v[18:19], v[58:59]
	v_add_f64 v[150:151], v[16:17], v[56:57]
	v_cvt_f32_f64_e32 v75, v[150:151]
	v_cvt_f32_f64_e32 v76, v[76:77]
	v_min3_f32 v130, v75, v76, v130
	v_add_f64 v[76:77], v[14:15], v[58:59]
	v_add_f64 v[150:151], v[12:13], v[56:57]
	v_cvt_f32_f64_e32 v75, v[150:151]
	v_cvt_f32_f64_e32 v76, v[76:77]
	v_min3_f32 v129, v75, v76, v129
	v_add_f64 v[76:77], v[10:11], v[58:59]
	v_add_f64 v[150:151], v[8:9], v[56:57]
	v_cvt_f32_f64_e32 v75, v[150:151]
	v_cvt_f32_f64_e32 v76, v[76:77]
	v_min3_f32 v128, v75, v76, v128
	v_add_f64 v[76:77], v[6:7], v[58:59]
	v_add_f64 v[150:151], v[4:5], v[56:57]
	v_add_f64 v[58:59], v[2:3], v[58:59]
	v_add_f64 v[56:57], v[0:1], v[56:57]
	v_cvt_f32_f64_e32 v56, v[56:57]
	v_cvt_f32_f64_e32 v57, v[58:59]
	v_min3_f32 v126, v56, v57, v126
	s_waitcnt lgkmcnt(5)
	v_add_f64 v[56:57], v[34:35], v[54:55]
	v_add_f64 v[58:59], v[32:33], v[52:53]
	v_cvt_f32_f64_e32 v58, v[58:59]
	v_cvt_f32_f64_e32 v56, v[56:57]
	v_min3_f32 v125, v58, v56, v125
	v_add_f64 v[56:57], v[30:31], v[54:55]
	v_add_f64 v[58:59], v[28:29], v[52:53]
	v_cvt_f32_f64_e32 v58, v[58:59]
	v_cvt_f32_f64_e32 v56, v[56:57]
	v_min3_f32 v124, v58, v56, v124
	v_add_f64 v[56:57], v[26:27], v[54:55]
	v_add_f64 v[58:59], v[24:25], v[52:53]
	v_cvt_f32_f64_e32 v58, v[58:59]
	v_cvt_f32_f64_e32 v56, v[56:57]
	v_min3_f32 v123, v58, v56, v123
	v_add_f64 v[56:57], v[18:19], v[54:55]
	v_add_f64 v[58:59], v[16:17], v[52:53]
	v_cvt_f32_f64_e32 v58, v[58:59]
	v_cvt_f32_f64_e32 v56, v[56:57]
	v_min3_f32 v122, v58, v56, v122
	v_add_f64 v[56:57], v[14:15], v[54:55]
	v_add_f64 v[58:59], v[12:13], v[52:53]
	v_cvt_f32_f64_e32 v58, v[58:59]
	v_cvt_f32_f64_e32 v56, v[56:57]
	v_min3_f32 v121, v58, v56, v121
	v_add_f64 v[56:57], v[10:11], v[54:55]
	v_add_f64 v[58:59], v[8:9], v[52:53]
	v_cvt_f32_f64_e32 v58, v[58:59]
	v_cvt_f32_f64_e32 v56, v[56:57]
	v_min3_f32 v120, v58, v56, v120
	v_add_f64 v[56:57], v[6:7], v[54:55]
	v_add_f64 v[58:59], v[4:5], v[52:53]
	v_add_f64 v[54:55], v[2:3], v[54:55]
	v_add_f64 v[52:53], v[0:1], v[52:53]
	v_cvt_f32_f64_e32 v52, v[52:53]
	v_cvt_f32_f64_e32 v53, v[54:55]
	v_min3_f32 v118, v52, v53, v118
	;; [unrolled: 38-line block ×5, first 2 shown]
	s_waitcnt lgkmcnt(1)
	v_add_f64 v[40:41], v[34:35], v[38:39]
	v_add_f64 v[42:43], v[32:33], v[36:37]
	v_cvt_f32_f64_e32 v42, v[42:43]
	v_cvt_f32_f64_e32 v40, v[40:41]
	v_min3_f32 v93, v42, v40, v93
	v_add_f64 v[40:41], v[30:31], v[38:39]
	v_add_f64 v[42:43], v[28:29], v[36:37]
	v_cvt_f32_f64_e32 v42, v[42:43]
	v_cvt_f32_f64_e32 v40, v[40:41]
	v_min3_f32 v92, v42, v40, v92
	;; [unrolled: 5-line block ×6, first 2 shown]
	v_add_f64 v[40:41], v[6:7], v[38:39]
	v_add_f64 v[42:43], v[4:5], v[36:37]
	;; [unrolled: 1-line block ×4, first 2 shown]
	s_waitcnt lgkmcnt(0)
	v_add_f64 v[34:35], v[34:35], v[22:23]
	v_add_f64 v[32:33], v[32:33], v[20:21]
	;; [unrolled: 1-line block ×16, first 2 shown]
	v_cvt_f32_f64_e32 v75, v[150:151]
	v_cvt_f32_f64_e32 v76, v[76:77]
	;; [unrolled: 1-line block ×30, first 2 shown]
	v_min3_f32 v127, v75, v76, v127
	v_min3_f32 v119, v58, v56, v119
	;; [unrolled: 1-line block ×15, first 2 shown]
	s_mov_b32 s24, 2
	s_mov_b64 s[2:3], 0
	s_cbranch_vccz .LBB123_22
; %bb.23:
	s_load_dword s25, s[0:1], 0x8
	v_lshlrev_b32_e32 v0, 5, v73
	v_lshl_add_u32 v0, v145, 3, v0
	s_mov_b32 s24, 8
	ds_write_b64 v74, v[62:63] offset:18432
	s_waitcnt lgkmcnt(0)
	s_cmp_gt_i32 s25, 8
	ds_write2st64_b64 v0, v[64:65], v[66:67] offset0:16 offset1:20
	ds_write2st64_b64 v0, v[68:69], v[70:71] offset0:24 offset1:28
	s_waitcnt lgkmcnt(0)
	s_barrier
	s_cbranch_scc0 .LBB123_46
; %bb.24:
	v_or_b32_e32 v150, 0x2000, v0
	v_mad_i64_i32 v[0:1], s[2:3], v72, s26, 0
	v_lshl_add_u64 v[62:63], v[0:1], 3, s[20:21]
	v_add_u32_e32 v149, 0x4800, v74
	s_add_i32 s25, s25, -8
	v_lshl_add_u64 v[64:65], v[62:63], 0, 32
	s_mov_b32 s20, 0
	v_mov_b32_e32 v67, 0
.LBB123_25:                             ; =>This Loop Header: Depth=1
                                        ;     Child Loop BB123_34 Depth 2
                                        ;     Child Loop BB123_44 Depth 2
	s_and_b64 vcc, exec, s[4:5]
	s_cbranch_vccnz .LBB123_27
; %bb.26:                               ;   in Loop: Header=BB123_25 Depth=1
	v_or_b32_e32 v66, s24, v144
	v_lshl_add_u64 v[0:1], v[66:67], 3, v[62:63]
	flat_load_dwordx2 v[0:1], v[0:1]
	s_waitcnt vmcnt(0) lgkmcnt(0)
	v_mul_f64 v[68:69], s[16:17], v[0:1]
	s_branch .LBB123_28
.LBB123_27:                             ;   in Loop: Header=BB123_25 Depth=1
	v_mov_b64_e32 v[68:69], 0
.LBB123_28:                             ;   in Loop: Header=BB123_25 Depth=1
	v_add_u32_e32 v3, s24, v145
	v_mad_u64_u32 v[0:1], s[2:3], v3, s22, 0
	v_mov_b32_e32 v2, v1
	v_mad_u64_u32 v[2:3], s[2:3], v3, s23, v[2:3]
	v_mov_b32_e32 v1, v2
	v_lshl_add_u64 v[0:1], v[0:1], 3, s[18:19]
	s_and_b64 vcc, exec, s[4:5]
	v_lshl_add_u64 v[0:1], v[60:61], 3, v[0:1]
	s_cbranch_vccnz .LBB123_31
; %bb.29:                               ;   in Loop: Header=BB123_25 Depth=1
	flat_load_dwordx2 v[2:3], v[0:1]
	flat_load_dwordx2 v[4:5], v[0:1] offset:512
	s_waitcnt vmcnt(0) lgkmcnt(0)
	v_mul_f64 v[70:71], s[16:17], v[2:3]
	v_mul_f64 v[72:73], s[16:17], v[4:5]
	s_and_b64 vcc, exec, s[4:5]
	s_cbranch_vccnz .LBB123_32
.LBB123_30:                             ;   in Loop: Header=BB123_25 Depth=1
	flat_load_dwordx2 v[2:3], v[0:1] offset:1024
	flat_load_dwordx2 v[4:5], v[0:1] offset:1536
	s_waitcnt vmcnt(0) lgkmcnt(0)
	v_mul_f64 v[74:75], s[16:17], v[2:3]
	v_mul_f64 v[76:77], s[16:17], v[4:5]
	s_branch .LBB123_33
.LBB123_31:                             ;   in Loop: Header=BB123_25 Depth=1
	v_mov_b64_e32 v[70:71], 0
	v_mov_b64_e32 v[72:73], 0
	s_and_b64 vcc, exec, s[4:5]
	s_cbranch_vccz .LBB123_30
.LBB123_32:                             ;   in Loop: Header=BB123_25 Depth=1
	v_mov_b64_e32 v[74:75], 0
	v_mov_b64_e32 v[76:77], 0
.LBB123_33:                             ;   in Loop: Header=BB123_25 Depth=1
	s_mov_b32 s21, 0
	s_mov_b64 s[2:3], -1
.LBB123_34:                             ;   Parent Loop BB123_25 Depth=1
                                        ; =>  This Inner Loop Header: Depth=2
	v_cndmask_b32_e64 v0, 0, 1, s[2:3]
	s_lshl_b32 s2, s21, 3
	v_cmp_ne_u32_e32 vcc, 1, v0
	v_lshl_add_u32 v0, v135, 5, s2
	v_lshl_add_u32 v20, v136, 5, s2
	ds_read_b128 v[32:35], v0 offset:18432
	ds_read_b128 v[28:31], v0 offset:18688
	;; [unrolled: 1-line block ×16, first 2 shown]
	s_waitcnt lgkmcnt(7)
	v_add_f64 v[156:157], v[34:35], v[154:155]
	v_add_f64 v[158:159], v[32:33], v[152:153]
	v_cvt_f32_f64_e32 v66, v[158:159]
	v_cvt_f32_f64_e32 v151, v[156:157]
	v_add_f64 v[156:157], v[30:31], v[154:155]
	v_add_f64 v[158:159], v[28:29], v[152:153]
	v_min3_f32 v143, v66, v151, v143
	v_cvt_f32_f64_e32 v66, v[158:159]
	v_cvt_f32_f64_e32 v151, v[156:157]
	v_add_f64 v[156:157], v[26:27], v[154:155]
	v_add_f64 v[158:159], v[24:25], v[152:153]
	v_min3_f32 v142, v66, v151, v142
	;; [unrolled: 5-line block ×7, first 2 shown]
	v_cvt_f32_f64_e32 v66, v[152:153]
	v_cvt_f32_f64_e32 v151, v[154:155]
	s_waitcnt lgkmcnt(6)
	v_add_f64 v[152:153], v[34:35], v[58:59]
	v_add_f64 v[154:155], v[32:33], v[56:57]
	v_min3_f32 v134, v66, v151, v134
	v_cvt_f32_f64_e32 v66, v[154:155]
	v_cvt_f32_f64_e32 v151, v[152:153]
	v_add_f64 v[152:153], v[30:31], v[58:59]
	v_add_f64 v[154:155], v[28:29], v[56:57]
	v_min3_f32 v133, v66, v151, v133
	v_cvt_f32_f64_e32 v66, v[154:155]
	v_cvt_f32_f64_e32 v151, v[152:153]
	;; [unrolled: 5-line block ×6, first 2 shown]
	v_add_f64 v[152:153], v[6:7], v[58:59]
	v_add_f64 v[154:155], v[4:5], v[56:57]
	v_add_f64 v[58:59], v[2:3], v[58:59]
	v_add_f64 v[56:57], v[0:1], v[56:57]
	v_cvt_f32_f64_e32 v56, v[56:57]
	v_cvt_f32_f64_e32 v57, v[58:59]
	v_min3_f32 v126, v56, v57, v126
	s_waitcnt lgkmcnt(5)
	v_add_f64 v[56:57], v[34:35], v[54:55]
	v_add_f64 v[58:59], v[32:33], v[52:53]
	v_cvt_f32_f64_e32 v58, v[58:59]
	v_cvt_f32_f64_e32 v56, v[56:57]
	v_min3_f32 v125, v58, v56, v125
	v_add_f64 v[56:57], v[30:31], v[54:55]
	v_add_f64 v[58:59], v[28:29], v[52:53]
	v_cvt_f32_f64_e32 v58, v[58:59]
	v_cvt_f32_f64_e32 v56, v[56:57]
	v_min3_f32 v124, v58, v56, v124
	v_add_f64 v[56:57], v[26:27], v[54:55]
	v_add_f64 v[58:59], v[24:25], v[52:53]
	v_cvt_f32_f64_e32 v58, v[58:59]
	v_cvt_f32_f64_e32 v56, v[56:57]
	v_min3_f32 v123, v58, v56, v123
	v_add_f64 v[56:57], v[18:19], v[54:55]
	v_add_f64 v[58:59], v[16:17], v[52:53]
	v_cvt_f32_f64_e32 v58, v[58:59]
	v_cvt_f32_f64_e32 v56, v[56:57]
	v_min3_f32 v122, v58, v56, v122
	v_add_f64 v[56:57], v[14:15], v[54:55]
	v_add_f64 v[58:59], v[12:13], v[52:53]
	v_cvt_f32_f64_e32 v58, v[58:59]
	v_cvt_f32_f64_e32 v56, v[56:57]
	v_min3_f32 v121, v58, v56, v121
	v_add_f64 v[56:57], v[10:11], v[54:55]
	v_add_f64 v[58:59], v[8:9], v[52:53]
	v_cvt_f32_f64_e32 v58, v[58:59]
	v_cvt_f32_f64_e32 v56, v[56:57]
	v_min3_f32 v120, v58, v56, v120
	v_add_f64 v[56:57], v[6:7], v[54:55]
	v_add_f64 v[58:59], v[4:5], v[52:53]
	v_add_f64 v[54:55], v[2:3], v[54:55]
	v_add_f64 v[52:53], v[0:1], v[52:53]
	v_cvt_f32_f64_e32 v52, v[52:53]
	v_cvt_f32_f64_e32 v53, v[54:55]
	v_min3_f32 v118, v52, v53, v118
	s_waitcnt lgkmcnt(4)
	v_add_f64 v[52:53], v[34:35], v[50:51]
	v_add_f64 v[54:55], v[32:33], v[48:49]
	v_cvt_f32_f64_e32 v54, v[54:55]
	v_cvt_f32_f64_e32 v52, v[52:53]
	v_min3_f32 v117, v54, v52, v117
	v_add_f64 v[52:53], v[30:31], v[50:51]
	v_add_f64 v[54:55], v[28:29], v[48:49]
	v_cvt_f32_f64_e32 v54, v[54:55]
	v_cvt_f32_f64_e32 v52, v[52:53]
	v_min3_f32 v116, v54, v52, v116
	v_add_f64 v[52:53], v[26:27], v[50:51]
	v_add_f64 v[54:55], v[24:25], v[48:49]
	v_cvt_f32_f64_e32 v54, v[54:55]
	v_cvt_f32_f64_e32 v52, v[52:53]
	v_min3_f32 v115, v54, v52, v115
	v_add_f64 v[52:53], v[18:19], v[50:51]
	v_add_f64 v[54:55], v[16:17], v[48:49]
	v_cvt_f32_f64_e32 v54, v[54:55]
	v_cvt_f32_f64_e32 v52, v[52:53]
	v_min3_f32 v114, v54, v52, v114
	v_add_f64 v[52:53], v[14:15], v[50:51]
	v_add_f64 v[54:55], v[12:13], v[48:49]
	v_cvt_f32_f64_e32 v54, v[54:55]
	v_cvt_f32_f64_e32 v52, v[52:53]
	v_min3_f32 v113, v54, v52, v113
	v_add_f64 v[52:53], v[10:11], v[50:51]
	v_add_f64 v[54:55], v[8:9], v[48:49]
	v_cvt_f32_f64_e32 v54, v[54:55]
	v_cvt_f32_f64_e32 v52, v[52:53]
	v_min3_f32 v112, v54, v52, v112
	;; [unrolled: 38-line block ×5, first 2 shown]
	v_add_f64 v[40:41], v[6:7], v[38:39]
	v_add_f64 v[42:43], v[4:5], v[36:37]
	;; [unrolled: 1-line block ×4, first 2 shown]
	s_waitcnt lgkmcnt(0)
	v_add_f64 v[34:35], v[34:35], v[22:23]
	v_add_f64 v[32:33], v[32:33], v[20:21]
	;; [unrolled: 1-line block ×16, first 2 shown]
	v_min3_f32 v128, v66, v151, v128
	v_cvt_f32_f64_e32 v66, v[154:155]
	v_cvt_f32_f64_e32 v151, v[152:153]
	;; [unrolled: 1-line block ×30, first 2 shown]
	v_min3_f32 v127, v66, v151, v127
	v_min3_f32 v119, v58, v56, v119
	v_min3_f32 v111, v54, v52, v111
	v_min3_f32 v103, v50, v48, v103
	v_min3_f32 v95, v46, v44, v95
	v_min3_f32 v87, v42, v40, v87
	v_min3_f32 v86, v36, v37, v86
	v_min3_f32 v85, v32, v33, v85
	v_min3_f32 v84, v28, v29, v84
	v_min3_f32 v83, v24, v25, v83
	v_min3_f32 v82, v16, v17, v82
	v_min3_f32 v81, v12, v13, v81
	v_min3_f32 v80, v8, v9, v80
	v_min3_f32 v79, v4, v5, v79
	v_min3_f32 v78, v0, v1, v78
	s_mov_b32 s21, 2
	s_mov_b64 s[2:3], 0
	s_cbranch_vccz .LBB123_34
; %bb.35:                               ;   in Loop: Header=BB123_25 Depth=1
	s_and_b64 vcc, exec, s[4:5]
	ds_write_b64 v147, v[68:69]
	ds_write2st64_b64 v148, v[70:71], v[72:73] offset1:4
	ds_write2st64_b64 v148, v[74:75], v[76:77] offset0:8 offset1:12
	s_waitcnt lgkmcnt(0)
	s_barrier
	s_cbranch_vccnz .LBB123_37
; %bb.36:                               ;   in Loop: Header=BB123_25 Depth=1
	v_or_b32_e32 v66, s24, v144
	v_lshl_add_u64 v[0:1], v[66:67], 3, v[64:65]
	flat_load_dwordx2 v[0:1], v[0:1]
	s_waitcnt vmcnt(0) lgkmcnt(0)
	v_mul_f64 v[68:69], s[16:17], v[0:1]
	s_branch .LBB123_38
.LBB123_37:                             ;   in Loop: Header=BB123_25 Depth=1
	v_mov_b64_e32 v[68:69], 0
.LBB123_38:                             ;   in Loop: Header=BB123_25 Depth=1
	v_add_u32_e32 v3, s24, v146
	v_mad_u64_u32 v[0:1], s[2:3], v3, s22, 0
	v_mov_b32_e32 v2, v1
	v_mad_u64_u32 v[2:3], s[2:3], v3, s23, v[2:3]
	v_mov_b32_e32 v1, v2
	v_lshl_add_u64 v[0:1], v[0:1], 3, s[18:19]
	s_and_b64 vcc, exec, s[4:5]
	v_lshl_add_u64 v[0:1], v[60:61], 3, v[0:1]
	s_cbranch_vccnz .LBB123_41
; %bb.39:                               ;   in Loop: Header=BB123_25 Depth=1
	flat_load_dwordx2 v[2:3], v[0:1]
	flat_load_dwordx2 v[4:5], v[0:1] offset:512
	s_waitcnt vmcnt(0) lgkmcnt(0)
	v_mul_f64 v[70:71], s[16:17], v[2:3]
	v_mul_f64 v[72:73], s[16:17], v[4:5]
	s_and_b64 vcc, exec, s[4:5]
	s_cbranch_vccnz .LBB123_42
.LBB123_40:                             ;   in Loop: Header=BB123_25 Depth=1
	flat_load_dwordx2 v[2:3], v[0:1] offset:1024
	flat_load_dwordx2 v[4:5], v[0:1] offset:1536
	s_waitcnt vmcnt(0) lgkmcnt(0)
	v_mul_f64 v[74:75], s[16:17], v[2:3]
	v_mul_f64 v[76:77], s[16:17], v[4:5]
	s_branch .LBB123_43
.LBB123_41:                             ;   in Loop: Header=BB123_25 Depth=1
	v_mov_b64_e32 v[70:71], 0
	v_mov_b64_e32 v[72:73], 0
	s_and_b64 vcc, exec, s[4:5]
	s_cbranch_vccz .LBB123_40
.LBB123_42:                             ;   in Loop: Header=BB123_25 Depth=1
	v_mov_b64_e32 v[74:75], 0
	v_mov_b64_e32 v[76:77], 0
.LBB123_43:                             ;   in Loop: Header=BB123_25 Depth=1
	s_mov_b32 s21, 0
	s_mov_b64 s[2:3], -1
.LBB123_44:                             ;   Parent Loop BB123_25 Depth=1
                                        ; =>  This Inner Loop Header: Depth=2
	v_cndmask_b32_e64 v0, 0, 1, s[2:3]
	s_lshl_b32 s2, s21, 3
	v_cmp_ne_u32_e32 vcc, 1, v0
	v_lshl_add_u32 v0, v135, 5, s2
	v_lshl_add_u32 v20, v136, 5, s2
	ds_read_b128 v[32:35], v0 offset:16384
	ds_read_b128 v[28:31], v0 offset:16640
	;; [unrolled: 1-line block ×8, first 2 shown]
	ds_read_b128 v[152:155], v20
	ds_read_b128 v[56:59], v20 offset:1024
	ds_read_b128 v[52:55], v20 offset:2048
	;; [unrolled: 1-line block ×7, first 2 shown]
	s_waitcnt lgkmcnt(7)
	v_add_f64 v[156:157], v[34:35], v[154:155]
	v_add_f64 v[158:159], v[32:33], v[152:153]
	v_cvt_f32_f64_e32 v66, v[158:159]
	v_cvt_f32_f64_e32 v151, v[156:157]
	v_add_f64 v[156:157], v[30:31], v[154:155]
	v_add_f64 v[158:159], v[28:29], v[152:153]
	v_min3_f32 v143, v66, v151, v143
	v_cvt_f32_f64_e32 v66, v[158:159]
	v_cvt_f32_f64_e32 v151, v[156:157]
	v_add_f64 v[156:157], v[26:27], v[154:155]
	v_add_f64 v[158:159], v[24:25], v[152:153]
	v_min3_f32 v142, v66, v151, v142
	;; [unrolled: 5-line block ×7, first 2 shown]
	v_cvt_f32_f64_e32 v66, v[152:153]
	v_cvt_f32_f64_e32 v151, v[154:155]
	s_waitcnt lgkmcnt(6)
	v_add_f64 v[152:153], v[34:35], v[58:59]
	v_add_f64 v[154:155], v[32:33], v[56:57]
	v_min3_f32 v134, v66, v151, v134
	v_cvt_f32_f64_e32 v66, v[154:155]
	v_cvt_f32_f64_e32 v151, v[152:153]
	v_add_f64 v[152:153], v[30:31], v[58:59]
	v_add_f64 v[154:155], v[28:29], v[56:57]
	v_min3_f32 v133, v66, v151, v133
	v_cvt_f32_f64_e32 v66, v[154:155]
	v_cvt_f32_f64_e32 v151, v[152:153]
	;; [unrolled: 5-line block ×6, first 2 shown]
	v_add_f64 v[152:153], v[6:7], v[58:59]
	v_add_f64 v[154:155], v[4:5], v[56:57]
	v_add_f64 v[58:59], v[2:3], v[58:59]
	v_add_f64 v[56:57], v[0:1], v[56:57]
	v_cvt_f32_f64_e32 v56, v[56:57]
	v_cvt_f32_f64_e32 v57, v[58:59]
	v_min3_f32 v126, v56, v57, v126
	s_waitcnt lgkmcnt(5)
	v_add_f64 v[56:57], v[34:35], v[54:55]
	v_add_f64 v[58:59], v[32:33], v[52:53]
	v_cvt_f32_f64_e32 v58, v[58:59]
	v_cvt_f32_f64_e32 v56, v[56:57]
	v_min3_f32 v125, v58, v56, v125
	v_add_f64 v[56:57], v[30:31], v[54:55]
	v_add_f64 v[58:59], v[28:29], v[52:53]
	v_cvt_f32_f64_e32 v58, v[58:59]
	v_cvt_f32_f64_e32 v56, v[56:57]
	v_min3_f32 v124, v58, v56, v124
	v_add_f64 v[56:57], v[26:27], v[54:55]
	v_add_f64 v[58:59], v[24:25], v[52:53]
	v_cvt_f32_f64_e32 v58, v[58:59]
	v_cvt_f32_f64_e32 v56, v[56:57]
	v_min3_f32 v123, v58, v56, v123
	v_add_f64 v[56:57], v[18:19], v[54:55]
	v_add_f64 v[58:59], v[16:17], v[52:53]
	v_cvt_f32_f64_e32 v58, v[58:59]
	v_cvt_f32_f64_e32 v56, v[56:57]
	v_min3_f32 v122, v58, v56, v122
	v_add_f64 v[56:57], v[14:15], v[54:55]
	v_add_f64 v[58:59], v[12:13], v[52:53]
	v_cvt_f32_f64_e32 v58, v[58:59]
	v_cvt_f32_f64_e32 v56, v[56:57]
	v_min3_f32 v121, v58, v56, v121
	v_add_f64 v[56:57], v[10:11], v[54:55]
	v_add_f64 v[58:59], v[8:9], v[52:53]
	v_cvt_f32_f64_e32 v58, v[58:59]
	v_cvt_f32_f64_e32 v56, v[56:57]
	v_min3_f32 v120, v58, v56, v120
	v_add_f64 v[56:57], v[6:7], v[54:55]
	v_add_f64 v[58:59], v[4:5], v[52:53]
	v_add_f64 v[54:55], v[2:3], v[54:55]
	v_add_f64 v[52:53], v[0:1], v[52:53]
	v_cvt_f32_f64_e32 v52, v[52:53]
	v_cvt_f32_f64_e32 v53, v[54:55]
	v_min3_f32 v118, v52, v53, v118
	s_waitcnt lgkmcnt(4)
	v_add_f64 v[52:53], v[34:35], v[50:51]
	v_add_f64 v[54:55], v[32:33], v[48:49]
	v_cvt_f32_f64_e32 v54, v[54:55]
	v_cvt_f32_f64_e32 v52, v[52:53]
	v_min3_f32 v117, v54, v52, v117
	v_add_f64 v[52:53], v[30:31], v[50:51]
	v_add_f64 v[54:55], v[28:29], v[48:49]
	v_cvt_f32_f64_e32 v54, v[54:55]
	v_cvt_f32_f64_e32 v52, v[52:53]
	v_min3_f32 v116, v54, v52, v116
	v_add_f64 v[52:53], v[26:27], v[50:51]
	v_add_f64 v[54:55], v[24:25], v[48:49]
	v_cvt_f32_f64_e32 v54, v[54:55]
	v_cvt_f32_f64_e32 v52, v[52:53]
	v_min3_f32 v115, v54, v52, v115
	v_add_f64 v[52:53], v[18:19], v[50:51]
	v_add_f64 v[54:55], v[16:17], v[48:49]
	v_cvt_f32_f64_e32 v54, v[54:55]
	v_cvt_f32_f64_e32 v52, v[52:53]
	v_min3_f32 v114, v54, v52, v114
	v_add_f64 v[52:53], v[14:15], v[50:51]
	v_add_f64 v[54:55], v[12:13], v[48:49]
	v_cvt_f32_f64_e32 v54, v[54:55]
	v_cvt_f32_f64_e32 v52, v[52:53]
	v_min3_f32 v113, v54, v52, v113
	v_add_f64 v[52:53], v[10:11], v[50:51]
	v_add_f64 v[54:55], v[8:9], v[48:49]
	v_cvt_f32_f64_e32 v54, v[54:55]
	v_cvt_f32_f64_e32 v52, v[52:53]
	v_min3_f32 v112, v54, v52, v112
	;; [unrolled: 38-line block ×5, first 2 shown]
	v_add_f64 v[40:41], v[6:7], v[38:39]
	v_add_f64 v[42:43], v[4:5], v[36:37]
	;; [unrolled: 1-line block ×4, first 2 shown]
	s_waitcnt lgkmcnt(0)
	v_add_f64 v[34:35], v[34:35], v[22:23]
	v_add_f64 v[32:33], v[32:33], v[20:21]
	;; [unrolled: 1-line block ×16, first 2 shown]
	v_min3_f32 v128, v66, v151, v128
	v_cvt_f32_f64_e32 v66, v[154:155]
	v_cvt_f32_f64_e32 v151, v[152:153]
	;; [unrolled: 1-line block ×30, first 2 shown]
	v_min3_f32 v127, v66, v151, v127
	v_min3_f32 v119, v58, v56, v119
	;; [unrolled: 1-line block ×15, first 2 shown]
	s_mov_b32 s21, 2
	s_mov_b64 s[2:3], 0
	s_cbranch_vccz .LBB123_44
; %bb.45:                               ;   in Loop: Header=BB123_25 Depth=1
	s_add_i32 s24, s24, 8
	s_add_i32 s20, s20, 8
	s_cmp_ge_i32 s20, s25
	ds_write_b64 v149, v[68:69]
	ds_write2st64_b64 v150, v[70:71], v[72:73] offset1:4
	ds_write2st64_b64 v150, v[74:75], v[76:77] offset0:8 offset1:12
	s_waitcnt lgkmcnt(0)
	s_barrier
	s_cbranch_scc0 .LBB123_25
.LBB123_46:
	s_mov_b32 s4, 0
	s_mov_b64 s[2:3], -1
.LBB123_47:                             ; =>This Inner Loop Header: Depth=1
	v_cndmask_b32_e64 v0, 0, 1, s[2:3]
	s_lshl_b32 s2, s4, 3
	v_cmp_ne_u32_e32 vcc, 1, v0
	v_lshl_add_u32 v0, v135, 5, s2
	v_lshl_add_u32 v20, v136, 5, s2
	ds_read_b128 v[32:35], v0 offset:18432
	ds_read_b128 v[28:31], v0 offset:18688
	;; [unrolled: 1-line block ×16, first 2 shown]
	s_waitcnt lgkmcnt(7)
	v_add_f64 v[64:65], v[34:35], v[62:63]
	v_add_f64 v[66:67], v[32:33], v[60:61]
	v_cvt_f32_f64_e32 v66, v[66:67]
	v_cvt_f32_f64_e32 v64, v[64:65]
	v_min3_f32 v143, v66, v64, v143
	v_add_f64 v[64:65], v[30:31], v[62:63]
	v_add_f64 v[66:67], v[28:29], v[60:61]
	v_cvt_f32_f64_e32 v66, v[66:67]
	v_cvt_f32_f64_e32 v64, v[64:65]
	v_min3_f32 v142, v66, v64, v142
	v_add_f64 v[64:65], v[26:27], v[62:63]
	v_add_f64 v[66:67], v[24:25], v[60:61]
	v_cvt_f32_f64_e32 v66, v[66:67]
	v_cvt_f32_f64_e32 v64, v[64:65]
	v_min3_f32 v141, v66, v64, v141
	v_add_f64 v[64:65], v[18:19], v[62:63]
	v_add_f64 v[66:67], v[16:17], v[60:61]
	v_cvt_f32_f64_e32 v66, v[66:67]
	v_cvt_f32_f64_e32 v64, v[64:65]
	v_min3_f32 v140, v66, v64, v140
	v_add_f64 v[64:65], v[14:15], v[62:63]
	v_add_f64 v[66:67], v[12:13], v[60:61]
	v_cvt_f32_f64_e32 v66, v[66:67]
	v_cvt_f32_f64_e32 v64, v[64:65]
	v_min3_f32 v139, v66, v64, v139
	v_add_f64 v[64:65], v[10:11], v[62:63]
	v_add_f64 v[66:67], v[8:9], v[60:61]
	v_cvt_f32_f64_e32 v66, v[66:67]
	v_cvt_f32_f64_e32 v64, v[64:65]
	v_min3_f32 v138, v66, v64, v138
	v_add_f64 v[64:65], v[6:7], v[62:63]
	v_add_f64 v[66:67], v[4:5], v[60:61]
	v_add_f64 v[62:63], v[2:3], v[62:63]
	v_add_f64 v[60:61], v[0:1], v[60:61]
	v_cvt_f32_f64_e32 v60, v[60:61]
	v_cvt_f32_f64_e32 v61, v[62:63]
	v_min3_f32 v134, v60, v61, v134
	s_waitcnt lgkmcnt(6)
	v_add_f64 v[60:61], v[34:35], v[58:59]
	v_add_f64 v[62:63], v[32:33], v[56:57]
	v_cvt_f32_f64_e32 v62, v[62:63]
	v_cvt_f32_f64_e32 v60, v[60:61]
	v_min3_f32 v133, v62, v60, v133
	v_add_f64 v[60:61], v[30:31], v[58:59]
	v_add_f64 v[62:63], v[28:29], v[56:57]
	v_cvt_f32_f64_e32 v62, v[62:63]
	v_cvt_f32_f64_e32 v60, v[60:61]
	v_min3_f32 v132, v62, v60, v132
	v_add_f64 v[60:61], v[26:27], v[58:59]
	v_add_f64 v[62:63], v[24:25], v[56:57]
	v_cvt_f32_f64_e32 v62, v[62:63]
	v_cvt_f32_f64_e32 v60, v[60:61]
	v_min3_f32 v131, v62, v60, v131
	v_add_f64 v[60:61], v[18:19], v[58:59]
	v_add_f64 v[62:63], v[16:17], v[56:57]
	v_cvt_f32_f64_e32 v62, v[62:63]
	v_cvt_f32_f64_e32 v60, v[60:61]
	v_min3_f32 v130, v62, v60, v130
	v_add_f64 v[60:61], v[14:15], v[58:59]
	v_add_f64 v[62:63], v[12:13], v[56:57]
	v_cvt_f32_f64_e32 v62, v[62:63]
	v_cvt_f32_f64_e32 v60, v[60:61]
	v_min3_f32 v129, v62, v60, v129
	v_add_f64 v[60:61], v[10:11], v[58:59]
	v_add_f64 v[62:63], v[8:9], v[56:57]
	v_cvt_f32_f64_e32 v62, v[62:63]
	v_cvt_f32_f64_e32 v60, v[60:61]
	v_min3_f32 v128, v62, v60, v128
	v_add_f64 v[60:61], v[6:7], v[58:59]
	v_add_f64 v[62:63], v[4:5], v[56:57]
	v_add_f64 v[58:59], v[2:3], v[58:59]
	v_add_f64 v[56:57], v[0:1], v[56:57]
	v_cvt_f32_f64_e32 v56, v[56:57]
	v_cvt_f32_f64_e32 v57, v[58:59]
	v_min3_f32 v126, v56, v57, v126
	;; [unrolled: 38-line block ×6, first 2 shown]
	s_waitcnt lgkmcnt(1)
	v_add_f64 v[40:41], v[34:35], v[38:39]
	v_add_f64 v[42:43], v[32:33], v[36:37]
	v_cvt_f32_f64_e32 v42, v[42:43]
	v_cvt_f32_f64_e32 v40, v[40:41]
	v_min3_f32 v93, v42, v40, v93
	v_add_f64 v[40:41], v[30:31], v[38:39]
	v_add_f64 v[42:43], v[28:29], v[36:37]
	v_cvt_f32_f64_e32 v42, v[42:43]
	v_cvt_f32_f64_e32 v40, v[40:41]
	v_min3_f32 v92, v42, v40, v92
	;; [unrolled: 5-line block ×6, first 2 shown]
	v_add_f64 v[40:41], v[6:7], v[38:39]
	v_add_f64 v[42:43], v[4:5], v[36:37]
	;; [unrolled: 1-line block ×4, first 2 shown]
	s_waitcnt lgkmcnt(0)
	v_add_f64 v[34:35], v[34:35], v[22:23]
	v_add_f64 v[32:33], v[32:33], v[20:21]
	;; [unrolled: 1-line block ×16, first 2 shown]
	v_cvt_f32_f64_e32 v66, v[66:67]
	v_cvt_f32_f64_e32 v64, v[64:65]
	;; [unrolled: 1-line block ×32, first 2 shown]
	v_min3_f32 v137, v66, v64, v137
	v_min3_f32 v127, v62, v60, v127
	;; [unrolled: 1-line block ×16, first 2 shown]
	s_mov_b32 s4, 2
	s_mov_b64 s[2:3], 0
	s_cbranch_vccz .LBB123_47
; %bb.48:
	s_load_dwordx2 s[2:3], s[0:1], 0x78
	s_load_dword s16, s[0:1], 0x58
	s_load_dword s17, s[0:1], 0x70
	v_add_u32_e32 v8, s10, v135
	v_add_u32_e32 v30, s11, v136
	s_waitcnt lgkmcnt(0)
	s_lshl_b64 s[0:1], s[2:3], 3
	s_add_u32 s0, s8, s0
	s_addc_u32 s1, s9, s1
	v_add_u32_e32 v0, 8, v8
	v_mad_i64_i32 v[2:3], s[2:3], v30, s17, 0
	v_ashrrev_i32_e32 v9, 31, v8
	v_ashrrev_i32_e32 v1, 31, v0
	v_lshl_add_u64 v[24:25], v[2:3], 3, s[0:1]
	v_mad_i64_i32 v[2:3], s[2:3], v30, s16, 0
	v_max_f32_e32 v4, v143, v143
	s_mov_b64 vcc, s[6:7]
	s_cbranch_vccz .LBB123_51
; %bb.49:
	v_min_f32_e32 v5, 0, v4
	v_cvt_f64_f32_e32 v[6:7], v5
	v_lshl_add_u64 v[10:11], v[8:9], 3, v[24:25]
	global_store_dwordx2 v[10:11], v[6:7], off
	s_mov_b64 s[2:3], 0
	v_lshl_add_u64 v[26:27], v[2:3], 3, s[14:15]
	v_lshlrev_b64 v[12:13], 3, v[8:9]
	s_cbranch_execz .LBB123_52
; %bb.50:
	v_mov_b64_e32 v[4:5], s[2:3]
	s_branch .LBB123_53
.LBB123_51:
                                        ; implicit-def: $sgpr2_sgpr3
	v_lshl_add_u64 v[26:27], v[2:3], 3, s[14:15]
	v_lshlrev_b64 v[12:13], 3, v[8:9]
.LBB123_52:
	v_lshl_add_u64 v[2:3], v[26:27], 0, v[12:13]
	flat_load_dwordx2 v[2:3], v[2:3]
	v_lshl_add_u64 v[6:7], v[24:25], 0, v[12:13]
	s_waitcnt vmcnt(0) lgkmcnt(0)
	v_mul_f64 v[2:3], s[12:13], v[2:3]
	v_cvt_f32_f64_e32 v2, v[2:3]
	v_min_f32_e32 v2, v2, v4
	v_cvt_f64_f32_e32 v[2:3], v2
	global_store_dwordx2 v[6:7], v[2:3], off
	v_lshl_add_u64 v[2:3], v[0:1], 3, v[26:27]
	flat_load_dwordx2 v[2:3], v[2:3]
	s_waitcnt vmcnt(0) lgkmcnt(0)
	v_mul_f64 v[4:5], s[12:13], v[2:3]
.LBB123_53:
	v_cvt_f32_f64_e32 v4, v[4:5]
	v_max_f32_e32 v5, v142, v142
	v_min_f32_e32 v4, v4, v5
	v_add_u32_e32 v10, 16, v8
	v_add_u32_e32 v2, 24, v8
	v_cvt_f64_f32_e32 v[4:5], v4
	v_lshl_add_u64 v[6:7], v[0:1], 3, v[24:25]
	v_ashrrev_i32_e32 v11, 31, v10
	v_ashrrev_i32_e32 v3, 31, v2
	global_store_dwordx2 v[6:7], v[4:5], off
	v_max_f32_e32 v4, v141, v141
	s_mov_b64 vcc, s[6:7]
	s_cbranch_vccz .LBB123_56
; %bb.54:
	v_min_f32_e32 v5, 0, v4
	v_cvt_f64_f32_e32 v[6:7], v5
	v_lshl_add_u64 v[14:15], v[10:11], 3, v[24:25]
	global_store_dwordx2 v[14:15], v[6:7], off
	s_mov_b64 s[2:3], 0
	v_lshlrev_b64 v[16:17], 3, v[10:11]
	s_cbranch_execz .LBB123_57
; %bb.55:
	v_mov_b64_e32 v[6:7], s[2:3]
	s_branch .LBB123_58
.LBB123_56:
                                        ; implicit-def: $sgpr2_sgpr3
	v_lshlrev_b64 v[16:17], 3, v[10:11]
.LBB123_57:
	v_lshl_add_u64 v[6:7], v[26:27], 0, v[16:17]
	flat_load_dwordx2 v[6:7], v[6:7]
	v_lshl_add_u64 v[14:15], v[24:25], 0, v[16:17]
	s_waitcnt vmcnt(0) lgkmcnt(0)
	v_mul_f64 v[6:7], s[12:13], v[6:7]
	v_cvt_f32_f64_e32 v5, v[6:7]
	v_min_f32_e32 v4, v5, v4
	v_cvt_f64_f32_e32 v[4:5], v4
	global_store_dwordx2 v[14:15], v[4:5], off
	v_lshl_add_u64 v[4:5], v[2:3], 3, v[26:27]
	flat_load_dwordx2 v[4:5], v[4:5]
	s_waitcnt vmcnt(0) lgkmcnt(0)
	v_mul_f64 v[6:7], s[12:13], v[4:5]
.LBB123_58:
	v_cvt_f32_f64_e32 v6, v[6:7]
	v_max_f32_e32 v7, v140, v140
	v_min_f32_e32 v6, v6, v7
	v_add_u32_e32 v14, 32, v8
	v_add_u32_e32 v4, 40, v8
	v_cvt_f64_f32_e32 v[6:7], v6
	v_lshl_add_u64 v[18:19], v[2:3], 3, v[24:25]
	v_ashrrev_i32_e32 v15, 31, v14
	v_ashrrev_i32_e32 v5, 31, v4
	global_store_dwordx2 v[18:19], v[6:7], off
	v_max_f32_e32 v6, v139, v139
	s_mov_b64 vcc, s[6:7]
	s_cbranch_vccz .LBB123_61
; %bb.59:
	v_min_f32_e32 v7, 0, v6
	v_cvt_f64_f32_e32 v[18:19], v7
	v_lshl_add_u64 v[20:21], v[14:15], 3, v[24:25]
	global_store_dwordx2 v[20:21], v[18:19], off
	s_mov_b64 s[2:3], 0
	v_lshlrev_b64 v[20:21], 3, v[14:15]
	s_cbranch_execz .LBB123_62
; %bb.60:
	v_mov_b64_e32 v[22:23], s[2:3]
	s_branch .LBB123_63
.LBB123_61:
                                        ; implicit-def: $sgpr2_sgpr3
	v_lshlrev_b64 v[20:21], 3, v[14:15]
.LBB123_62:
	v_lshl_add_u64 v[18:19], v[26:27], 0, v[20:21]
	flat_load_dwordx2 v[18:19], v[18:19]
	v_lshl_add_u64 v[22:23], v[24:25], 0, v[20:21]
	s_waitcnt vmcnt(0) lgkmcnt(0)
	v_mul_f64 v[18:19], s[12:13], v[18:19]
	v_cvt_f32_f64_e32 v7, v[18:19]
	v_min_f32_e32 v6, v7, v6
	v_cvt_f64_f32_e32 v[6:7], v6
	global_store_dwordx2 v[22:23], v[6:7], off
	v_lshl_add_u64 v[6:7], v[4:5], 3, v[26:27]
	flat_load_dwordx2 v[6:7], v[6:7]
	s_waitcnt vmcnt(0) lgkmcnt(0)
	v_mul_f64 v[22:23], s[12:13], v[6:7]
.LBB123_63:
	v_cvt_f32_f64_e32 v22, v[22:23]
	v_max_f32_e32 v23, v138, v138
	v_min_f32_e32 v22, v22, v23
	v_add_u32_e32 v18, 48, v8
	v_add_u32_e32 v6, 56, v8
	v_cvt_f64_f32_e32 v[22:23], v22
	v_lshl_add_u64 v[28:29], v[4:5], 3, v[24:25]
	v_ashrrev_i32_e32 v19, 31, v18
	v_ashrrev_i32_e32 v7, 31, v6
	global_store_dwordx2 v[28:29], v[22:23], off
	v_max_f32_e32 v28, v137, v137
	s_mov_b64 vcc, s[6:7]
	s_cbranch_vccz .LBB123_66
; %bb.64:
	v_min_f32_e32 v22, 0, v28
	v_cvt_f64_f32_e32 v[22:23], v22
	v_lshl_add_u64 v[32:33], v[18:19], 3, v[24:25]
	global_store_dwordx2 v[32:33], v[22:23], off
	s_mov_b64 s[2:3], 0
	v_lshlrev_b64 v[22:23], 3, v[18:19]
	s_cbranch_execz .LBB123_67
; %bb.65:
	v_mov_b64_e32 v[26:27], s[2:3]
	s_branch .LBB123_68
.LBB123_66:
                                        ; implicit-def: $sgpr2_sgpr3
	v_lshlrev_b64 v[22:23], 3, v[18:19]
.LBB123_67:
	v_lshl_add_u64 v[32:33], v[26:27], 0, v[22:23]
	flat_load_dwordx2 v[32:33], v[32:33]
	v_lshl_add_u64 v[34:35], v[24:25], 0, v[22:23]
	v_lshl_add_u64 v[26:27], v[6:7], 3, v[26:27]
	s_waitcnt vmcnt(0) lgkmcnt(0)
	v_mul_f64 v[32:33], s[12:13], v[32:33]
	v_cvt_f32_f64_e32 v29, v[32:33]
	v_min_f32_e32 v28, v29, v28
	v_cvt_f64_f32_e32 v[28:29], v28
	global_store_dwordx2 v[34:35], v[28:29], off
	flat_load_dwordx2 v[26:27], v[26:27]
	s_waitcnt vmcnt(0) lgkmcnt(0)
	v_mul_f64 v[26:27], s[12:13], v[26:27]
.LBB123_68:
	v_cvt_f32_f64_e32 v26, v[26:27]
	v_max_f32_e32 v27, v134, v134
	v_min_f32_e32 v26, v26, v27
	v_cvt_f64_f32_e32 v[26:27], v26
	v_lshl_add_u64 v[24:25], v[6:7], 3, v[24:25]
	global_store_dwordx2 v[24:25], v[26:27], off
	v_add_u32_e32 v26, 32, v30
	v_mad_i64_i32 v[24:25], s[2:3], v26, s17, 0
	v_lshl_add_u64 v[24:25], v[24:25], 3, s[0:1]
	v_mad_i64_i32 v[26:27], s[2:3], v26, s16, 0
	v_max_f32_e32 v28, v133, v133
	s_mov_b64 vcc, s[6:7]
	s_cbranch_vccz .LBB123_71
; %bb.69:
	v_min_f32_e32 v29, 0, v28
	v_cvt_f64_f32_e32 v[32:33], v29
	v_lshl_add_u64 v[34:35], v[8:9], 3, v[24:25]
	global_store_dwordx2 v[34:35], v[32:33], off
	s_mov_b64 s[2:3], 0
	v_lshl_add_u64 v[26:27], v[26:27], 3, s[14:15]
	s_cbranch_execz .LBB123_72
; %bb.70:
	v_mov_b64_e32 v[28:29], s[2:3]
	s_branch .LBB123_73
.LBB123_71:
                                        ; implicit-def: $sgpr2_sgpr3
	v_lshl_add_u64 v[26:27], v[26:27], 3, s[14:15]
.LBB123_72:
	v_lshl_add_u64 v[32:33], v[26:27], 0, v[12:13]
	flat_load_dwordx2 v[32:33], v[32:33]
	v_lshl_add_u64 v[34:35], v[24:25], 0, v[12:13]
	s_waitcnt vmcnt(0) lgkmcnt(0)
	v_mul_f64 v[32:33], s[12:13], v[32:33]
	v_cvt_f32_f64_e32 v29, v[32:33]
	v_min_f32_e32 v28, v29, v28
	v_cvt_f64_f32_e32 v[28:29], v28
	global_store_dwordx2 v[34:35], v[28:29], off
	v_lshl_add_u64 v[28:29], v[0:1], 3, v[26:27]
	flat_load_dwordx2 v[28:29], v[28:29]
	s_waitcnt vmcnt(0) lgkmcnt(0)
	v_mul_f64 v[28:29], s[12:13], v[28:29]
.LBB123_73:
	v_cvt_f32_f64_e32 v28, v[28:29]
	v_max_f32_e32 v29, v132, v132
	v_min_f32_e32 v28, v28, v29
	v_cvt_f64_f32_e32 v[28:29], v28
	v_lshl_add_u64 v[32:33], v[0:1], 3, v[24:25]
	global_store_dwordx2 v[32:33], v[28:29], off
	v_max_f32_e32 v28, v131, v131
	s_mov_b64 vcc, s[6:7]
	s_cbranch_vccz .LBB123_76
; %bb.74:
	v_min_f32_e32 v29, 0, v28
	v_cvt_f64_f32_e32 v[32:33], v29
	v_lshl_add_u64 v[34:35], v[10:11], 3, v[24:25]
	global_store_dwordx2 v[34:35], v[32:33], off
	s_mov_b64 s[2:3], 0
	s_cbranch_execz .LBB123_77
; %bb.75:
	v_mov_b64_e32 v[28:29], s[2:3]
	s_branch .LBB123_78
.LBB123_76:
                                        ; implicit-def: $sgpr2_sgpr3
.LBB123_77:
	v_lshl_add_u64 v[32:33], v[26:27], 0, v[16:17]
	flat_load_dwordx2 v[32:33], v[32:33]
	v_lshl_add_u64 v[34:35], v[24:25], 0, v[16:17]
	s_waitcnt vmcnt(0) lgkmcnt(0)
	v_mul_f64 v[32:33], s[12:13], v[32:33]
	v_cvt_f32_f64_e32 v29, v[32:33]
	v_min_f32_e32 v28, v29, v28
	v_cvt_f64_f32_e32 v[28:29], v28
	global_store_dwordx2 v[34:35], v[28:29], off
	v_lshl_add_u64 v[28:29], v[2:3], 3, v[26:27]
	flat_load_dwordx2 v[28:29], v[28:29]
	s_waitcnt vmcnt(0) lgkmcnt(0)
	v_mul_f64 v[28:29], s[12:13], v[28:29]
.LBB123_78:
	v_cvt_f32_f64_e32 v28, v[28:29]
	v_max_f32_e32 v29, v130, v130
	v_min_f32_e32 v28, v28, v29
	v_cvt_f64_f32_e32 v[28:29], v28
	v_lshl_add_u64 v[32:33], v[2:3], 3, v[24:25]
	global_store_dwordx2 v[32:33], v[28:29], off
	v_max_f32_e32 v28, v129, v129
	s_mov_b64 vcc, s[6:7]
	s_cbranch_vccz .LBB123_81
; %bb.79:
	v_min_f32_e32 v29, 0, v28
	v_cvt_f64_f32_e32 v[32:33], v29
	v_lshl_add_u64 v[34:35], v[14:15], 3, v[24:25]
	global_store_dwordx2 v[34:35], v[32:33], off
	s_mov_b64 s[2:3], 0
	s_cbranch_execz .LBB123_82
; %bb.80:
	v_mov_b64_e32 v[28:29], s[2:3]
	s_branch .LBB123_83
.LBB123_81:
                                        ; implicit-def: $sgpr2_sgpr3
.LBB123_82:
	v_lshl_add_u64 v[32:33], v[26:27], 0, v[20:21]
	flat_load_dwordx2 v[32:33], v[32:33]
	v_lshl_add_u64 v[34:35], v[24:25], 0, v[20:21]
	s_waitcnt vmcnt(0) lgkmcnt(0)
	v_mul_f64 v[32:33], s[12:13], v[32:33]
	v_cvt_f32_f64_e32 v29, v[32:33]
	v_min_f32_e32 v28, v29, v28
	v_cvt_f64_f32_e32 v[28:29], v28
	global_store_dwordx2 v[34:35], v[28:29], off
	v_lshl_add_u64 v[28:29], v[4:5], 3, v[26:27]
	flat_load_dwordx2 v[28:29], v[28:29]
	s_waitcnt vmcnt(0) lgkmcnt(0)
	v_mul_f64 v[28:29], s[12:13], v[28:29]
.LBB123_83:
	v_cvt_f32_f64_e32 v28, v[28:29]
	v_max_f32_e32 v29, v128, v128
	v_min_f32_e32 v28, v28, v29
	v_cvt_f64_f32_e32 v[28:29], v28
	v_lshl_add_u64 v[32:33], v[4:5], 3, v[24:25]
	global_store_dwordx2 v[32:33], v[28:29], off
	v_max_f32_e32 v28, v127, v127
	s_mov_b64 vcc, s[6:7]
	s_cbranch_vccz .LBB123_86
; %bb.84:
	v_min_f32_e32 v29, 0, v28
	v_cvt_f64_f32_e32 v[32:33], v29
	v_lshl_add_u64 v[34:35], v[18:19], 3, v[24:25]
	global_store_dwordx2 v[34:35], v[32:33], off
	s_mov_b64 s[2:3], 0
	s_cbranch_execz .LBB123_87
; %bb.85:
	v_mov_b64_e32 v[26:27], s[2:3]
	s_branch .LBB123_88
.LBB123_86:
                                        ; implicit-def: $sgpr2_sgpr3
.LBB123_87:
	v_lshl_add_u64 v[32:33], v[26:27], 0, v[22:23]
	flat_load_dwordx2 v[32:33], v[32:33]
	v_lshl_add_u64 v[34:35], v[24:25], 0, v[22:23]
	v_lshl_add_u64 v[26:27], v[6:7], 3, v[26:27]
	s_waitcnt vmcnt(0) lgkmcnt(0)
	v_mul_f64 v[32:33], s[12:13], v[32:33]
	v_cvt_f32_f64_e32 v29, v[32:33]
	v_min_f32_e32 v28, v29, v28
	v_cvt_f64_f32_e32 v[28:29], v28
	global_store_dwordx2 v[34:35], v[28:29], off
	flat_load_dwordx2 v[26:27], v[26:27]
	s_waitcnt vmcnt(0) lgkmcnt(0)
	v_mul_f64 v[26:27], s[12:13], v[26:27]
.LBB123_88:
	v_cvt_f32_f64_e32 v26, v[26:27]
	v_max_f32_e32 v27, v126, v126
	v_min_f32_e32 v26, v26, v27
	v_cvt_f64_f32_e32 v[26:27], v26
	v_lshl_add_u64 v[24:25], v[6:7], 3, v[24:25]
	global_store_dwordx2 v[24:25], v[26:27], off
	v_add_u32_e32 v26, 64, v30
	v_mad_i64_i32 v[24:25], s[2:3], v26, s17, 0
	v_lshl_add_u64 v[24:25], v[24:25], 3, s[0:1]
	v_mad_i64_i32 v[26:27], s[2:3], v26, s16, 0
	v_max_f32_e32 v28, v125, v125
	s_mov_b64 vcc, s[6:7]
	s_cbranch_vccz .LBB123_91
; %bb.89:
	v_min_f32_e32 v29, 0, v28
	v_cvt_f64_f32_e32 v[32:33], v29
	v_lshl_add_u64 v[34:35], v[8:9], 3, v[24:25]
	global_store_dwordx2 v[34:35], v[32:33], off
	s_mov_b64 s[2:3], 0
	v_lshl_add_u64 v[26:27], v[26:27], 3, s[14:15]
	s_cbranch_execz .LBB123_92
; %bb.90:
	v_mov_b64_e32 v[28:29], s[2:3]
	s_branch .LBB123_93
.LBB123_91:
                                        ; implicit-def: $sgpr2_sgpr3
	v_lshl_add_u64 v[26:27], v[26:27], 3, s[14:15]
.LBB123_92:
	v_lshl_add_u64 v[32:33], v[26:27], 0, v[12:13]
	flat_load_dwordx2 v[32:33], v[32:33]
	v_lshl_add_u64 v[34:35], v[24:25], 0, v[12:13]
	s_waitcnt vmcnt(0) lgkmcnt(0)
	v_mul_f64 v[32:33], s[12:13], v[32:33]
	v_cvt_f32_f64_e32 v29, v[32:33]
	v_min_f32_e32 v28, v29, v28
	v_cvt_f64_f32_e32 v[28:29], v28
	global_store_dwordx2 v[34:35], v[28:29], off
	v_lshl_add_u64 v[28:29], v[0:1], 3, v[26:27]
	flat_load_dwordx2 v[28:29], v[28:29]
	s_waitcnt vmcnt(0) lgkmcnt(0)
	v_mul_f64 v[28:29], s[12:13], v[28:29]
.LBB123_93:
	v_cvt_f32_f64_e32 v28, v[28:29]
	v_max_f32_e32 v29, v124, v124
	v_min_f32_e32 v28, v28, v29
	v_cvt_f64_f32_e32 v[28:29], v28
	v_lshl_add_u64 v[32:33], v[0:1], 3, v[24:25]
	global_store_dwordx2 v[32:33], v[28:29], off
	v_max_f32_e32 v28, v123, v123
	s_mov_b64 vcc, s[6:7]
	s_cbranch_vccz .LBB123_96
; %bb.94:
	v_min_f32_e32 v29, 0, v28
	v_cvt_f64_f32_e32 v[32:33], v29
	v_lshl_add_u64 v[34:35], v[10:11], 3, v[24:25]
	global_store_dwordx2 v[34:35], v[32:33], off
	s_mov_b64 s[2:3], 0
	s_cbranch_execz .LBB123_97
; %bb.95:
	v_mov_b64_e32 v[28:29], s[2:3]
	s_branch .LBB123_98
.LBB123_96:
                                        ; implicit-def: $sgpr2_sgpr3
.LBB123_97:
	v_lshl_add_u64 v[32:33], v[26:27], 0, v[16:17]
	flat_load_dwordx2 v[32:33], v[32:33]
	v_lshl_add_u64 v[34:35], v[24:25], 0, v[16:17]
	s_waitcnt vmcnt(0) lgkmcnt(0)
	v_mul_f64 v[32:33], s[12:13], v[32:33]
	v_cvt_f32_f64_e32 v29, v[32:33]
	v_min_f32_e32 v28, v29, v28
	v_cvt_f64_f32_e32 v[28:29], v28
	global_store_dwordx2 v[34:35], v[28:29], off
	v_lshl_add_u64 v[28:29], v[2:3], 3, v[26:27]
	flat_load_dwordx2 v[28:29], v[28:29]
	s_waitcnt vmcnt(0) lgkmcnt(0)
	v_mul_f64 v[28:29], s[12:13], v[28:29]
.LBB123_98:
	v_cvt_f32_f64_e32 v28, v[28:29]
	v_max_f32_e32 v29, v122, v122
	v_min_f32_e32 v28, v28, v29
	v_cvt_f64_f32_e32 v[28:29], v28
	v_lshl_add_u64 v[32:33], v[2:3], 3, v[24:25]
	global_store_dwordx2 v[32:33], v[28:29], off
	v_max_f32_e32 v28, v121, v121
	s_mov_b64 vcc, s[6:7]
	s_cbranch_vccz .LBB123_101
; %bb.99:
	v_min_f32_e32 v29, 0, v28
	v_cvt_f64_f32_e32 v[32:33], v29
	v_lshl_add_u64 v[34:35], v[14:15], 3, v[24:25]
	global_store_dwordx2 v[34:35], v[32:33], off
	s_mov_b64 s[2:3], 0
	s_cbranch_execz .LBB123_102
; %bb.100:
	v_mov_b64_e32 v[28:29], s[2:3]
	s_branch .LBB123_103
.LBB123_101:
                                        ; implicit-def: $sgpr2_sgpr3
.LBB123_102:
	v_lshl_add_u64 v[32:33], v[26:27], 0, v[20:21]
	flat_load_dwordx2 v[32:33], v[32:33]
	v_lshl_add_u64 v[34:35], v[24:25], 0, v[20:21]
	s_waitcnt vmcnt(0) lgkmcnt(0)
	v_mul_f64 v[32:33], s[12:13], v[32:33]
	v_cvt_f32_f64_e32 v29, v[32:33]
	v_min_f32_e32 v28, v29, v28
	v_cvt_f64_f32_e32 v[28:29], v28
	global_store_dwordx2 v[34:35], v[28:29], off
	v_lshl_add_u64 v[28:29], v[4:5], 3, v[26:27]
	flat_load_dwordx2 v[28:29], v[28:29]
	s_waitcnt vmcnt(0) lgkmcnt(0)
	v_mul_f64 v[28:29], s[12:13], v[28:29]
.LBB123_103:
	v_cvt_f32_f64_e32 v28, v[28:29]
	v_max_f32_e32 v29, v120, v120
	v_min_f32_e32 v28, v28, v29
	v_cvt_f64_f32_e32 v[28:29], v28
	v_lshl_add_u64 v[32:33], v[4:5], 3, v[24:25]
	global_store_dwordx2 v[32:33], v[28:29], off
	v_max_f32_e32 v28, v119, v119
	s_mov_b64 vcc, s[6:7]
	s_cbranch_vccz .LBB123_106
; %bb.104:
	v_min_f32_e32 v29, 0, v28
	v_cvt_f64_f32_e32 v[32:33], v29
	v_lshl_add_u64 v[34:35], v[18:19], 3, v[24:25]
	global_store_dwordx2 v[34:35], v[32:33], off
	s_mov_b64 s[2:3], 0
	s_cbranch_execz .LBB123_107
; %bb.105:
	v_mov_b64_e32 v[26:27], s[2:3]
	s_branch .LBB123_108
.LBB123_106:
                                        ; implicit-def: $sgpr2_sgpr3
.LBB123_107:
	v_lshl_add_u64 v[32:33], v[26:27], 0, v[22:23]
	flat_load_dwordx2 v[32:33], v[32:33]
	v_lshl_add_u64 v[34:35], v[24:25], 0, v[22:23]
	v_lshl_add_u64 v[26:27], v[6:7], 3, v[26:27]
	s_waitcnt vmcnt(0) lgkmcnt(0)
	v_mul_f64 v[32:33], s[12:13], v[32:33]
	v_cvt_f32_f64_e32 v29, v[32:33]
	v_min_f32_e32 v28, v29, v28
	v_cvt_f64_f32_e32 v[28:29], v28
	global_store_dwordx2 v[34:35], v[28:29], off
	flat_load_dwordx2 v[26:27], v[26:27]
	s_waitcnt vmcnt(0) lgkmcnt(0)
	v_mul_f64 v[26:27], s[12:13], v[26:27]
.LBB123_108:
	v_cvt_f32_f64_e32 v26, v[26:27]
	v_max_f32_e32 v27, v118, v118
	v_min_f32_e32 v26, v26, v27
	v_cvt_f64_f32_e32 v[26:27], v26
	v_lshl_add_u64 v[24:25], v[6:7], 3, v[24:25]
	global_store_dwordx2 v[24:25], v[26:27], off
	v_add_u32_e32 v26, 0x60, v30
	v_mad_i64_i32 v[24:25], s[2:3], v26, s17, 0
	v_lshl_add_u64 v[24:25], v[24:25], 3, s[0:1]
	v_mad_i64_i32 v[26:27], s[2:3], v26, s16, 0
	v_max_f32_e32 v28, v117, v117
	s_mov_b64 vcc, s[6:7]
	s_cbranch_vccz .LBB123_111
; %bb.109:
	v_min_f32_e32 v29, 0, v28
	v_cvt_f64_f32_e32 v[32:33], v29
	v_lshl_add_u64 v[34:35], v[8:9], 3, v[24:25]
	global_store_dwordx2 v[34:35], v[32:33], off
	s_mov_b64 s[2:3], 0
	v_lshl_add_u64 v[26:27], v[26:27], 3, s[14:15]
	s_cbranch_execz .LBB123_112
; %bb.110:
	v_mov_b64_e32 v[28:29], s[2:3]
	s_branch .LBB123_113
.LBB123_111:
                                        ; implicit-def: $sgpr2_sgpr3
	v_lshl_add_u64 v[26:27], v[26:27], 3, s[14:15]
.LBB123_112:
	v_lshl_add_u64 v[32:33], v[26:27], 0, v[12:13]
	flat_load_dwordx2 v[32:33], v[32:33]
	v_lshl_add_u64 v[34:35], v[24:25], 0, v[12:13]
	s_waitcnt vmcnt(0) lgkmcnt(0)
	v_mul_f64 v[32:33], s[12:13], v[32:33]
	v_cvt_f32_f64_e32 v29, v[32:33]
	v_min_f32_e32 v28, v29, v28
	v_cvt_f64_f32_e32 v[28:29], v28
	global_store_dwordx2 v[34:35], v[28:29], off
	v_lshl_add_u64 v[28:29], v[0:1], 3, v[26:27]
	flat_load_dwordx2 v[28:29], v[28:29]
	s_waitcnt vmcnt(0) lgkmcnt(0)
	v_mul_f64 v[28:29], s[12:13], v[28:29]
.LBB123_113:
	v_cvt_f32_f64_e32 v28, v[28:29]
	v_max_f32_e32 v29, v116, v116
	v_min_f32_e32 v28, v28, v29
	v_cvt_f64_f32_e32 v[28:29], v28
	v_lshl_add_u64 v[32:33], v[0:1], 3, v[24:25]
	global_store_dwordx2 v[32:33], v[28:29], off
	v_max_f32_e32 v28, v115, v115
	s_mov_b64 vcc, s[6:7]
	s_cbranch_vccz .LBB123_116
; %bb.114:
	v_min_f32_e32 v29, 0, v28
	v_cvt_f64_f32_e32 v[32:33], v29
	v_lshl_add_u64 v[34:35], v[10:11], 3, v[24:25]
	global_store_dwordx2 v[34:35], v[32:33], off
	s_mov_b64 s[2:3], 0
	s_cbranch_execz .LBB123_117
; %bb.115:
	v_mov_b64_e32 v[28:29], s[2:3]
	s_branch .LBB123_118
.LBB123_116:
                                        ; implicit-def: $sgpr2_sgpr3
.LBB123_117:
	v_lshl_add_u64 v[32:33], v[26:27], 0, v[16:17]
	flat_load_dwordx2 v[32:33], v[32:33]
	v_lshl_add_u64 v[34:35], v[24:25], 0, v[16:17]
	s_waitcnt vmcnt(0) lgkmcnt(0)
	v_mul_f64 v[32:33], s[12:13], v[32:33]
	v_cvt_f32_f64_e32 v29, v[32:33]
	v_min_f32_e32 v28, v29, v28
	v_cvt_f64_f32_e32 v[28:29], v28
	global_store_dwordx2 v[34:35], v[28:29], off
	v_lshl_add_u64 v[28:29], v[2:3], 3, v[26:27]
	flat_load_dwordx2 v[28:29], v[28:29]
	s_waitcnt vmcnt(0) lgkmcnt(0)
	v_mul_f64 v[28:29], s[12:13], v[28:29]
.LBB123_118:
	v_cvt_f32_f64_e32 v28, v[28:29]
	v_max_f32_e32 v29, v114, v114
	v_min_f32_e32 v28, v28, v29
	v_cvt_f64_f32_e32 v[28:29], v28
	v_lshl_add_u64 v[32:33], v[2:3], 3, v[24:25]
	global_store_dwordx2 v[32:33], v[28:29], off
	v_max_f32_e32 v28, v113, v113
	s_mov_b64 vcc, s[6:7]
	s_cbranch_vccz .LBB123_121
; %bb.119:
	v_min_f32_e32 v29, 0, v28
	v_cvt_f64_f32_e32 v[32:33], v29
	v_lshl_add_u64 v[34:35], v[14:15], 3, v[24:25]
	global_store_dwordx2 v[34:35], v[32:33], off
	s_mov_b64 s[2:3], 0
	s_cbranch_execz .LBB123_122
; %bb.120:
	v_mov_b64_e32 v[28:29], s[2:3]
	s_branch .LBB123_123
.LBB123_121:
                                        ; implicit-def: $sgpr2_sgpr3
.LBB123_122:
	v_lshl_add_u64 v[32:33], v[26:27], 0, v[20:21]
	flat_load_dwordx2 v[32:33], v[32:33]
	v_lshl_add_u64 v[34:35], v[24:25], 0, v[20:21]
	s_waitcnt vmcnt(0) lgkmcnt(0)
	v_mul_f64 v[32:33], s[12:13], v[32:33]
	v_cvt_f32_f64_e32 v29, v[32:33]
	v_min_f32_e32 v28, v29, v28
	v_cvt_f64_f32_e32 v[28:29], v28
	global_store_dwordx2 v[34:35], v[28:29], off
	v_lshl_add_u64 v[28:29], v[4:5], 3, v[26:27]
	flat_load_dwordx2 v[28:29], v[28:29]
	s_waitcnt vmcnt(0) lgkmcnt(0)
	v_mul_f64 v[28:29], s[12:13], v[28:29]
.LBB123_123:
	v_cvt_f32_f64_e32 v28, v[28:29]
	v_max_f32_e32 v29, v112, v112
	v_min_f32_e32 v28, v28, v29
	v_cvt_f64_f32_e32 v[28:29], v28
	v_lshl_add_u64 v[32:33], v[4:5], 3, v[24:25]
	global_store_dwordx2 v[32:33], v[28:29], off
	v_max_f32_e32 v28, v111, v111
	s_mov_b64 vcc, s[6:7]
	s_cbranch_vccz .LBB123_126
; %bb.124:
	v_min_f32_e32 v29, 0, v28
	v_cvt_f64_f32_e32 v[32:33], v29
	v_lshl_add_u64 v[34:35], v[18:19], 3, v[24:25]
	global_store_dwordx2 v[34:35], v[32:33], off
	s_mov_b64 s[2:3], 0
	s_cbranch_execz .LBB123_127
; %bb.125:
	v_mov_b64_e32 v[26:27], s[2:3]
	s_branch .LBB123_128
.LBB123_126:
                                        ; implicit-def: $sgpr2_sgpr3
.LBB123_127:
	v_lshl_add_u64 v[32:33], v[26:27], 0, v[22:23]
	flat_load_dwordx2 v[32:33], v[32:33]
	v_lshl_add_u64 v[34:35], v[24:25], 0, v[22:23]
	v_lshl_add_u64 v[26:27], v[6:7], 3, v[26:27]
	s_waitcnt vmcnt(0) lgkmcnt(0)
	v_mul_f64 v[32:33], s[12:13], v[32:33]
	v_cvt_f32_f64_e32 v29, v[32:33]
	v_min_f32_e32 v28, v29, v28
	v_cvt_f64_f32_e32 v[28:29], v28
	global_store_dwordx2 v[34:35], v[28:29], off
	flat_load_dwordx2 v[26:27], v[26:27]
	s_waitcnt vmcnt(0) lgkmcnt(0)
	v_mul_f64 v[26:27], s[12:13], v[26:27]
.LBB123_128:
	v_cvt_f32_f64_e32 v26, v[26:27]
	v_max_f32_e32 v27, v110, v110
	v_min_f32_e32 v26, v26, v27
	v_cvt_f64_f32_e32 v[26:27], v26
	v_lshl_add_u64 v[24:25], v[6:7], 3, v[24:25]
	global_store_dwordx2 v[24:25], v[26:27], off
	v_add_u32_e32 v26, 0x80, v30
	v_mad_i64_i32 v[24:25], s[2:3], v26, s17, 0
	v_lshl_add_u64 v[24:25], v[24:25], 3, s[0:1]
	v_mad_i64_i32 v[26:27], s[2:3], v26, s16, 0
	v_max_f32_e32 v28, v109, v109
	s_mov_b64 vcc, s[6:7]
	s_cbranch_vccz .LBB123_131
; %bb.129:
	v_min_f32_e32 v29, 0, v28
	v_cvt_f64_f32_e32 v[32:33], v29
	v_lshl_add_u64 v[34:35], v[8:9], 3, v[24:25]
	global_store_dwordx2 v[34:35], v[32:33], off
	s_mov_b64 s[2:3], 0
	v_lshl_add_u64 v[26:27], v[26:27], 3, s[14:15]
	s_cbranch_execz .LBB123_132
; %bb.130:
	v_mov_b64_e32 v[28:29], s[2:3]
	s_branch .LBB123_133
.LBB123_131:
                                        ; implicit-def: $sgpr2_sgpr3
	v_lshl_add_u64 v[26:27], v[26:27], 3, s[14:15]
.LBB123_132:
	v_lshl_add_u64 v[32:33], v[26:27], 0, v[12:13]
	flat_load_dwordx2 v[32:33], v[32:33]
	v_lshl_add_u64 v[34:35], v[24:25], 0, v[12:13]
	s_waitcnt vmcnt(0) lgkmcnt(0)
	v_mul_f64 v[32:33], s[12:13], v[32:33]
	v_cvt_f32_f64_e32 v29, v[32:33]
	v_min_f32_e32 v28, v29, v28
	v_cvt_f64_f32_e32 v[28:29], v28
	global_store_dwordx2 v[34:35], v[28:29], off
	v_lshl_add_u64 v[28:29], v[0:1], 3, v[26:27]
	flat_load_dwordx2 v[28:29], v[28:29]
	s_waitcnt vmcnt(0) lgkmcnt(0)
	v_mul_f64 v[28:29], s[12:13], v[28:29]
.LBB123_133:
	v_cvt_f32_f64_e32 v28, v[28:29]
	v_max_f32_e32 v29, v108, v108
	v_min_f32_e32 v28, v28, v29
	v_cvt_f64_f32_e32 v[28:29], v28
	v_lshl_add_u64 v[32:33], v[0:1], 3, v[24:25]
	global_store_dwordx2 v[32:33], v[28:29], off
	v_max_f32_e32 v28, v107, v107
	s_mov_b64 vcc, s[6:7]
	s_cbranch_vccz .LBB123_136
; %bb.134:
	v_min_f32_e32 v29, 0, v28
	v_cvt_f64_f32_e32 v[32:33], v29
	v_lshl_add_u64 v[34:35], v[10:11], 3, v[24:25]
	global_store_dwordx2 v[34:35], v[32:33], off
	s_mov_b64 s[2:3], 0
	s_cbranch_execz .LBB123_137
; %bb.135:
	v_mov_b64_e32 v[28:29], s[2:3]
	s_branch .LBB123_138
.LBB123_136:
                                        ; implicit-def: $sgpr2_sgpr3
.LBB123_137:
	v_lshl_add_u64 v[32:33], v[26:27], 0, v[16:17]
	flat_load_dwordx2 v[32:33], v[32:33]
	v_lshl_add_u64 v[34:35], v[24:25], 0, v[16:17]
	s_waitcnt vmcnt(0) lgkmcnt(0)
	v_mul_f64 v[32:33], s[12:13], v[32:33]
	v_cvt_f32_f64_e32 v29, v[32:33]
	v_min_f32_e32 v28, v29, v28
	v_cvt_f64_f32_e32 v[28:29], v28
	global_store_dwordx2 v[34:35], v[28:29], off
	v_lshl_add_u64 v[28:29], v[2:3], 3, v[26:27]
	flat_load_dwordx2 v[28:29], v[28:29]
	s_waitcnt vmcnt(0) lgkmcnt(0)
	v_mul_f64 v[28:29], s[12:13], v[28:29]
.LBB123_138:
	v_cvt_f32_f64_e32 v28, v[28:29]
	v_max_f32_e32 v29, v106, v106
	v_min_f32_e32 v28, v28, v29
	v_cvt_f64_f32_e32 v[28:29], v28
	v_lshl_add_u64 v[32:33], v[2:3], 3, v[24:25]
	global_store_dwordx2 v[32:33], v[28:29], off
	v_max_f32_e32 v28, v105, v105
	s_mov_b64 vcc, s[6:7]
	s_cbranch_vccz .LBB123_141
; %bb.139:
	v_min_f32_e32 v29, 0, v28
	v_cvt_f64_f32_e32 v[32:33], v29
	v_lshl_add_u64 v[34:35], v[14:15], 3, v[24:25]
	global_store_dwordx2 v[34:35], v[32:33], off
	s_mov_b64 s[2:3], 0
	s_cbranch_execz .LBB123_142
; %bb.140:
	v_mov_b64_e32 v[28:29], s[2:3]
	s_branch .LBB123_143
.LBB123_141:
                                        ; implicit-def: $sgpr2_sgpr3
.LBB123_142:
	v_lshl_add_u64 v[32:33], v[26:27], 0, v[20:21]
	flat_load_dwordx2 v[32:33], v[32:33]
	v_lshl_add_u64 v[34:35], v[24:25], 0, v[20:21]
	s_waitcnt vmcnt(0) lgkmcnt(0)
	v_mul_f64 v[32:33], s[12:13], v[32:33]
	v_cvt_f32_f64_e32 v29, v[32:33]
	v_min_f32_e32 v28, v29, v28
	v_cvt_f64_f32_e32 v[28:29], v28
	global_store_dwordx2 v[34:35], v[28:29], off
	v_lshl_add_u64 v[28:29], v[4:5], 3, v[26:27]
	flat_load_dwordx2 v[28:29], v[28:29]
	s_waitcnt vmcnt(0) lgkmcnt(0)
	v_mul_f64 v[28:29], s[12:13], v[28:29]
.LBB123_143:
	v_cvt_f32_f64_e32 v28, v[28:29]
	v_max_f32_e32 v29, v104, v104
	v_min_f32_e32 v28, v28, v29
	v_cvt_f64_f32_e32 v[28:29], v28
	v_lshl_add_u64 v[32:33], v[4:5], 3, v[24:25]
	global_store_dwordx2 v[32:33], v[28:29], off
	v_max_f32_e32 v28, v103, v103
	s_mov_b64 vcc, s[6:7]
	s_cbranch_vccz .LBB123_146
; %bb.144:
	v_min_f32_e32 v29, 0, v28
	v_cvt_f64_f32_e32 v[32:33], v29
	v_lshl_add_u64 v[34:35], v[18:19], 3, v[24:25]
	global_store_dwordx2 v[34:35], v[32:33], off
	s_mov_b64 s[2:3], 0
	s_cbranch_execz .LBB123_147
; %bb.145:
	v_mov_b64_e32 v[26:27], s[2:3]
	s_branch .LBB123_148
.LBB123_146:
                                        ; implicit-def: $sgpr2_sgpr3
.LBB123_147:
	v_lshl_add_u64 v[32:33], v[26:27], 0, v[22:23]
	flat_load_dwordx2 v[32:33], v[32:33]
	v_lshl_add_u64 v[34:35], v[24:25], 0, v[22:23]
	v_lshl_add_u64 v[26:27], v[6:7], 3, v[26:27]
	s_waitcnt vmcnt(0) lgkmcnt(0)
	v_mul_f64 v[32:33], s[12:13], v[32:33]
	v_cvt_f32_f64_e32 v29, v[32:33]
	v_min_f32_e32 v28, v29, v28
	v_cvt_f64_f32_e32 v[28:29], v28
	global_store_dwordx2 v[34:35], v[28:29], off
	flat_load_dwordx2 v[26:27], v[26:27]
	s_waitcnt vmcnt(0) lgkmcnt(0)
	v_mul_f64 v[26:27], s[12:13], v[26:27]
.LBB123_148:
	v_cvt_f32_f64_e32 v26, v[26:27]
	v_max_f32_e32 v27, v102, v102
	v_min_f32_e32 v26, v26, v27
	v_cvt_f64_f32_e32 v[26:27], v26
	v_lshl_add_u64 v[24:25], v[6:7], 3, v[24:25]
	global_store_dwordx2 v[24:25], v[26:27], off
	v_add_u32_e32 v26, 0xa0, v30
	v_mad_i64_i32 v[24:25], s[2:3], v26, s17, 0
	v_lshl_add_u64 v[24:25], v[24:25], 3, s[0:1]
	v_mad_i64_i32 v[26:27], s[2:3], v26, s16, 0
	v_max_f32_e32 v28, v101, v101
	s_mov_b64 vcc, s[6:7]
	s_cbranch_vccz .LBB123_151
; %bb.149:
	v_min_f32_e32 v29, 0, v28
	v_cvt_f64_f32_e32 v[32:33], v29
	v_lshl_add_u64 v[34:35], v[8:9], 3, v[24:25]
	global_store_dwordx2 v[34:35], v[32:33], off
	s_mov_b64 s[2:3], 0
	v_lshl_add_u64 v[26:27], v[26:27], 3, s[14:15]
	s_cbranch_execz .LBB123_152
; %bb.150:
	v_mov_b64_e32 v[28:29], s[2:3]
	s_branch .LBB123_153
.LBB123_151:
                                        ; implicit-def: $sgpr2_sgpr3
	v_lshl_add_u64 v[26:27], v[26:27], 3, s[14:15]
.LBB123_152:
	v_lshl_add_u64 v[32:33], v[26:27], 0, v[12:13]
	flat_load_dwordx2 v[32:33], v[32:33]
	v_lshl_add_u64 v[34:35], v[24:25], 0, v[12:13]
	s_waitcnt vmcnt(0) lgkmcnt(0)
	v_mul_f64 v[32:33], s[12:13], v[32:33]
	v_cvt_f32_f64_e32 v29, v[32:33]
	v_min_f32_e32 v28, v29, v28
	v_cvt_f64_f32_e32 v[28:29], v28
	global_store_dwordx2 v[34:35], v[28:29], off
	v_lshl_add_u64 v[28:29], v[0:1], 3, v[26:27]
	flat_load_dwordx2 v[28:29], v[28:29]
	s_waitcnt vmcnt(0) lgkmcnt(0)
	v_mul_f64 v[28:29], s[12:13], v[28:29]
.LBB123_153:
	v_cvt_f32_f64_e32 v28, v[28:29]
	v_max_f32_e32 v29, v100, v100
	v_min_f32_e32 v28, v28, v29
	v_cvt_f64_f32_e32 v[28:29], v28
	v_lshl_add_u64 v[32:33], v[0:1], 3, v[24:25]
	global_store_dwordx2 v[32:33], v[28:29], off
	v_max_f32_e32 v28, v99, v99
	s_mov_b64 vcc, s[6:7]
	s_cbranch_vccz .LBB123_156
; %bb.154:
	v_min_f32_e32 v29, 0, v28
	v_cvt_f64_f32_e32 v[32:33], v29
	v_lshl_add_u64 v[34:35], v[10:11], 3, v[24:25]
	s_mov_b32 s4, 0
	global_store_dwordx2 v[34:35], v[32:33], off
	s_cbranch_execz .LBB123_157
; %bb.155:
	v_mov_b32_e32 v28, s4
	s_branch .LBB123_158
.LBB123_156:
                                        ; implicit-def: $sgpr4
.LBB123_157:
	v_lshl_add_u64 v[32:33], v[26:27], 0, v[16:17]
	flat_load_dwordx2 v[32:33], v[32:33]
	v_lshl_add_u64 v[34:35], v[24:25], 0, v[16:17]
	s_waitcnt vmcnt(0) lgkmcnt(0)
	v_mul_f64 v[32:33], s[12:13], v[32:33]
	v_cvt_f32_f64_e32 v29, v[32:33]
	v_min_f32_e32 v28, v29, v28
	v_cvt_f64_f32_e32 v[28:29], v28
	global_store_dwordx2 v[34:35], v[28:29], off
	v_lshl_add_u64 v[28:29], v[2:3], 3, v[26:27]
	flat_load_dwordx2 v[28:29], v[28:29]
	s_waitcnt vmcnt(0) lgkmcnt(0)
	v_mul_f64 v[28:29], s[12:13], v[28:29]
	v_cvt_f32_f64_e32 v28, v[28:29]
.LBB123_158:
	v_max_f32_e32 v29, v98, v98
	v_max_f32_e32 v28, v28, v28
	v_min_f32_e32 v28, v28, v29
	v_cvt_f64_f32_e32 v[28:29], v28
	v_lshl_add_u64 v[32:33], v[2:3], 3, v[24:25]
	global_store_dwordx2 v[32:33], v[28:29], off
	v_max_f32_e32 v28, v97, v97
	s_mov_b64 vcc, s[6:7]
	s_cbranch_vccz .LBB123_161
; %bb.159:
	v_min_f32_e32 v29, 0, v28
	v_cvt_f64_f32_e32 v[32:33], v29
	v_lshl_add_u64 v[34:35], v[14:15], 3, v[24:25]
	s_mov_b32 s4, 0
	global_store_dwordx2 v[34:35], v[32:33], off
	s_cbranch_execz .LBB123_162
; %bb.160:
	v_mov_b32_e32 v28, s4
	s_branch .LBB123_163
.LBB123_161:
                                        ; implicit-def: $sgpr4
.LBB123_162:
	v_lshl_add_u64 v[32:33], v[26:27], 0, v[20:21]
	flat_load_dwordx2 v[32:33], v[32:33]
	v_lshl_add_u64 v[34:35], v[24:25], 0, v[20:21]
	s_waitcnt vmcnt(0) lgkmcnt(0)
	v_mul_f64 v[32:33], s[12:13], v[32:33]
	v_cvt_f32_f64_e32 v29, v[32:33]
	v_min_f32_e32 v28, v29, v28
	v_cvt_f64_f32_e32 v[28:29], v28
	global_store_dwordx2 v[34:35], v[28:29], off
	v_lshl_add_u64 v[28:29], v[4:5], 3, v[26:27]
	flat_load_dwordx2 v[28:29], v[28:29]
	s_waitcnt vmcnt(0) lgkmcnt(0)
	v_mul_f64 v[28:29], s[12:13], v[28:29]
	v_cvt_f32_f64_e32 v28, v[28:29]
.LBB123_163:
	v_max_f32_e32 v29, v96, v96
	v_max_f32_e32 v28, v28, v28
	v_min_f32_e32 v28, v28, v29
	v_cvt_f64_f32_e32 v[28:29], v28
	v_lshl_add_u64 v[32:33], v[4:5], 3, v[24:25]
	global_store_dwordx2 v[32:33], v[28:29], off
	v_max_f32_e32 v28, v95, v95
	s_mov_b64 vcc, s[6:7]
	s_cbranch_vccz .LBB123_166
; %bb.164:
	v_min_f32_e32 v29, 0, v28
	v_cvt_f64_f32_e32 v[32:33], v29
	v_lshl_add_u64 v[34:35], v[18:19], 3, v[24:25]
	s_mov_b32 s4, 0
	global_store_dwordx2 v[34:35], v[32:33], off
	s_cbranch_execz .LBB123_167
; %bb.165:
	v_mov_b32_e32 v26, s4
	s_branch .LBB123_168
.LBB123_166:
                                        ; implicit-def: $sgpr4
.LBB123_167:
	v_lshl_add_u64 v[32:33], v[26:27], 0, v[22:23]
	flat_load_dwordx2 v[32:33], v[32:33]
	v_lshl_add_u64 v[34:35], v[24:25], 0, v[22:23]
	v_lshl_add_u64 v[26:27], v[6:7], 3, v[26:27]
	s_waitcnt vmcnt(0) lgkmcnt(0)
	v_mul_f64 v[32:33], s[12:13], v[32:33]
	v_cvt_f32_f64_e32 v29, v[32:33]
	v_min_f32_e32 v28, v29, v28
	v_cvt_f64_f32_e32 v[28:29], v28
	global_store_dwordx2 v[34:35], v[28:29], off
	flat_load_dwordx2 v[26:27], v[26:27]
	s_waitcnt vmcnt(0) lgkmcnt(0)
	v_mul_f64 v[26:27], s[12:13], v[26:27]
	v_cvt_f32_f64_e32 v26, v[26:27]
.LBB123_168:
	v_max_f32_e32 v27, v94, v94
	v_max_f32_e32 v26, v26, v26
	v_min_f32_e32 v26, v26, v27
	v_cvt_f64_f32_e32 v[26:27], v26
	v_lshl_add_u64 v[24:25], v[6:7], 3, v[24:25]
	global_store_dwordx2 v[24:25], v[26:27], off
	v_add_u32_e32 v26, 0xc0, v30
	v_mad_i64_i32 v[24:25], s[2:3], v26, s17, 0
	v_lshl_add_u64 v[24:25], v[24:25], 3, s[0:1]
	v_mad_i64_i32 v[26:27], s[2:3], v26, s16, 0
	v_max_f32_e32 v28, v93, v93
	s_mov_b64 vcc, s[6:7]
	s_cbranch_vccz .LBB123_171
; %bb.169:
	v_min_f32_e32 v29, 0, v28
	v_cvt_f64_f32_e32 v[32:33], v29
	v_lshl_add_u64 v[34:35], v[8:9], 3, v[24:25]
	s_mov_b32 s4, 0
	global_store_dwordx2 v[34:35], v[32:33], off
	v_lshl_add_u64 v[26:27], v[26:27], 3, s[14:15]
	s_cbranch_execz .LBB123_172
; %bb.170:
	v_mov_b32_e32 v28, s4
	s_branch .LBB123_173
.LBB123_171:
                                        ; implicit-def: $sgpr4
	v_lshl_add_u64 v[26:27], v[26:27], 3, s[14:15]
.LBB123_172:
	v_lshl_add_u64 v[32:33], v[26:27], 0, v[12:13]
	flat_load_dwordx2 v[32:33], v[32:33]
	v_lshl_add_u64 v[34:35], v[24:25], 0, v[12:13]
	s_waitcnt vmcnt(0) lgkmcnt(0)
	v_mul_f64 v[32:33], s[12:13], v[32:33]
	v_cvt_f32_f64_e32 v29, v[32:33]
	v_min_f32_e32 v28, v29, v28
	v_cvt_f64_f32_e32 v[28:29], v28
	global_store_dwordx2 v[34:35], v[28:29], off
	v_lshl_add_u64 v[28:29], v[0:1], 3, v[26:27]
	flat_load_dwordx2 v[28:29], v[28:29]
	s_waitcnt vmcnt(0) lgkmcnt(0)
	v_mul_f64 v[28:29], s[12:13], v[28:29]
	v_cvt_f32_f64_e32 v28, v[28:29]
.LBB123_173:
	v_max_f32_e32 v29, v92, v92
	v_max_f32_e32 v28, v28, v28
	v_min_f32_e32 v28, v28, v29
	v_cvt_f64_f32_e32 v[28:29], v28
	v_lshl_add_u64 v[32:33], v[0:1], 3, v[24:25]
	global_store_dwordx2 v[32:33], v[28:29], off
	v_max_f32_e32 v28, v91, v91
	s_mov_b64 vcc, s[6:7]
	s_cbranch_vccz .LBB123_176
; %bb.174:
	v_min_f32_e32 v29, 0, v28
	v_cvt_f64_f32_e32 v[32:33], v29
	v_lshl_add_u64 v[34:35], v[10:11], 3, v[24:25]
	s_mov_b32 s4, 0
	global_store_dwordx2 v[34:35], v[32:33], off
	s_cbranch_execz .LBB123_177
; %bb.175:
	v_mov_b32_e32 v28, s4
	s_branch .LBB123_178
.LBB123_176:
                                        ; implicit-def: $sgpr4
.LBB123_177:
	v_lshl_add_u64 v[32:33], v[26:27], 0, v[16:17]
	flat_load_dwordx2 v[32:33], v[32:33]
	v_lshl_add_u64 v[34:35], v[24:25], 0, v[16:17]
	s_waitcnt vmcnt(0) lgkmcnt(0)
	v_mul_f64 v[32:33], s[12:13], v[32:33]
	v_cvt_f32_f64_e32 v29, v[32:33]
	v_min_f32_e32 v28, v29, v28
	v_cvt_f64_f32_e32 v[28:29], v28
	global_store_dwordx2 v[34:35], v[28:29], off
	v_lshl_add_u64 v[28:29], v[2:3], 3, v[26:27]
	flat_load_dwordx2 v[28:29], v[28:29]
	s_waitcnt vmcnt(0) lgkmcnt(0)
	v_mul_f64 v[28:29], s[12:13], v[28:29]
	v_cvt_f32_f64_e32 v28, v[28:29]
.LBB123_178:
	v_max_f32_e32 v29, v90, v90
	v_max_f32_e32 v28, v28, v28
	v_min_f32_e32 v28, v28, v29
	v_cvt_f64_f32_e32 v[28:29], v28
	v_lshl_add_u64 v[32:33], v[2:3], 3, v[24:25]
	global_store_dwordx2 v[32:33], v[28:29], off
	v_max_f32_e32 v28, v89, v89
	s_mov_b64 vcc, s[6:7]
	s_cbranch_vccz .LBB123_181
; %bb.179:
	v_min_f32_e32 v29, 0, v28
	v_cvt_f64_f32_e32 v[32:33], v29
	v_lshl_add_u64 v[34:35], v[14:15], 3, v[24:25]
	s_mov_b32 s4, 0
	global_store_dwordx2 v[34:35], v[32:33], off
	s_cbranch_execz .LBB123_182
; %bb.180:
	v_mov_b32_e32 v28, s4
	s_branch .LBB123_183
.LBB123_181:
                                        ; implicit-def: $sgpr4
.LBB123_182:
	v_lshl_add_u64 v[32:33], v[26:27], 0, v[20:21]
	flat_load_dwordx2 v[32:33], v[32:33]
	v_lshl_add_u64 v[34:35], v[24:25], 0, v[20:21]
	s_waitcnt vmcnt(0) lgkmcnt(0)
	v_mul_f64 v[32:33], s[12:13], v[32:33]
	v_cvt_f32_f64_e32 v29, v[32:33]
	v_min_f32_e32 v28, v29, v28
	v_cvt_f64_f32_e32 v[28:29], v28
	global_store_dwordx2 v[34:35], v[28:29], off
	v_lshl_add_u64 v[28:29], v[4:5], 3, v[26:27]
	flat_load_dwordx2 v[28:29], v[28:29]
	s_waitcnt vmcnt(0) lgkmcnt(0)
	v_mul_f64 v[28:29], s[12:13], v[28:29]
	v_cvt_f32_f64_e32 v28, v[28:29]
.LBB123_183:
	v_max_f32_e32 v29, v88, v88
	v_max_f32_e32 v28, v28, v28
	v_min_f32_e32 v28, v28, v29
	v_cvt_f64_f32_e32 v[28:29], v28
	v_lshl_add_u64 v[32:33], v[4:5], 3, v[24:25]
	global_store_dwordx2 v[32:33], v[28:29], off
	v_max_f32_e32 v28, v87, v87
	s_mov_b64 vcc, s[6:7]
	s_cbranch_vccz .LBB123_186
; %bb.184:
	v_min_f32_e32 v29, 0, v28
	v_cvt_f64_f32_e32 v[32:33], v29
	v_lshl_add_u64 v[34:35], v[18:19], 3, v[24:25]
	s_mov_b32 s4, 0
	global_store_dwordx2 v[34:35], v[32:33], off
	s_cbranch_execz .LBB123_187
; %bb.185:
	v_mov_b32_e32 v26, s4
	s_branch .LBB123_188
.LBB123_186:
                                        ; implicit-def: $sgpr4
.LBB123_187:
	v_lshl_add_u64 v[32:33], v[26:27], 0, v[22:23]
	flat_load_dwordx2 v[32:33], v[32:33]
	v_lshl_add_u64 v[34:35], v[24:25], 0, v[22:23]
	v_lshl_add_u64 v[26:27], v[6:7], 3, v[26:27]
	s_waitcnt vmcnt(0) lgkmcnt(0)
	v_mul_f64 v[32:33], s[12:13], v[32:33]
	v_cvt_f32_f64_e32 v29, v[32:33]
	v_min_f32_e32 v28, v29, v28
	v_cvt_f64_f32_e32 v[28:29], v28
	global_store_dwordx2 v[34:35], v[28:29], off
	flat_load_dwordx2 v[26:27], v[26:27]
	s_waitcnt vmcnt(0) lgkmcnt(0)
	v_mul_f64 v[26:27], s[12:13], v[26:27]
	v_cvt_f32_f64_e32 v26, v[26:27]
.LBB123_188:
	v_max_f32_e32 v27, v86, v86
	v_max_f32_e32 v26, v26, v26
	v_min_f32_e32 v26, v26, v27
	v_cvt_f64_f32_e32 v[26:27], v26
	v_lshl_add_u64 v[24:25], v[6:7], 3, v[24:25]
	global_store_dwordx2 v[24:25], v[26:27], off
	v_add_u32_e32 v26, 0xe0, v30
	v_mad_i64_i32 v[24:25], s[2:3], v26, s17, 0
	v_lshl_add_u64 v[24:25], v[24:25], 3, s[0:1]
	v_mad_i64_i32 v[26:27], s[0:1], v26, s16, 0
	v_max_f32_e32 v28, v85, v85
	s_mov_b64 vcc, s[6:7]
	s_cbranch_vccz .LBB123_191
; %bb.189:
	v_min_f32_e32 v29, 0, v28
	v_cvt_f64_f32_e32 v[30:31], v29
	v_lshl_add_u64 v[8:9], v[8:9], 3, v[24:25]
	s_mov_b32 s2, 0
	global_store_dwordx2 v[8:9], v[30:31], off
	v_lshl_add_u64 v[8:9], v[26:27], 3, s[14:15]
	s_cbranch_execz .LBB123_192
; %bb.190:
	v_mov_b32_e32 v12, s2
	s_branch .LBB123_193
.LBB123_191:
                                        ; implicit-def: $sgpr2
	v_lshl_add_u64 v[8:9], v[26:27], 3, s[14:15]
.LBB123_192:
	v_lshl_add_u64 v[26:27], v[8:9], 0, v[12:13]
	flat_load_dwordx2 v[26:27], v[26:27]
	v_lshl_add_u64 v[12:13], v[24:25], 0, v[12:13]
	s_waitcnt vmcnt(0) lgkmcnt(0)
	v_mul_f64 v[26:27], s[12:13], v[26:27]
	v_cvt_f32_f64_e32 v26, v[26:27]
	v_min_f32_e32 v26, v26, v28
	v_cvt_f64_f32_e32 v[26:27], v26
	global_store_dwordx2 v[12:13], v[26:27], off
	v_lshl_add_u64 v[12:13], v[0:1], 3, v[8:9]
	flat_load_dwordx2 v[12:13], v[12:13]
	s_waitcnt vmcnt(0) lgkmcnt(0)
	v_mul_f64 v[12:13], s[12:13], v[12:13]
	v_cvt_f32_f64_e32 v12, v[12:13]
.LBB123_193:
	v_max_f32_e32 v13, v84, v84
	v_max_f32_e32 v12, v12, v12
	v_min_f32_e32 v12, v12, v13
	v_cvt_f64_f32_e32 v[12:13], v12
	v_lshl_add_u64 v[0:1], v[0:1], 3, v[24:25]
	global_store_dwordx2 v[0:1], v[12:13], off
	v_max_f32_e32 v0, v83, v83
	s_mov_b64 vcc, s[6:7]
	s_cbranch_vccz .LBB123_196
; %bb.194:
	v_min_f32_e32 v1, 0, v0
	v_cvt_f64_f32_e32 v[12:13], v1
	v_lshl_add_u64 v[10:11], v[10:11], 3, v[24:25]
	s_mov_b32 s2, 0
	global_store_dwordx2 v[10:11], v[12:13], off
	s_cbranch_execz .LBB123_197
; %bb.195:
	v_mov_b32_e32 v0, s2
	s_branch .LBB123_198
.LBB123_196:
                                        ; implicit-def: $sgpr2
.LBB123_197:
	v_lshl_add_u64 v[10:11], v[8:9], 0, v[16:17]
	flat_load_dwordx2 v[10:11], v[10:11]
	v_lshl_add_u64 v[12:13], v[24:25], 0, v[16:17]
	s_waitcnt vmcnt(0) lgkmcnt(0)
	v_mul_f64 v[10:11], s[12:13], v[10:11]
	v_cvt_f32_f64_e32 v1, v[10:11]
	v_min_f32_e32 v0, v1, v0
	v_cvt_f64_f32_e32 v[0:1], v0
	global_store_dwordx2 v[12:13], v[0:1], off
	v_lshl_add_u64 v[0:1], v[2:3], 3, v[8:9]
	flat_load_dwordx2 v[0:1], v[0:1]
	s_waitcnt vmcnt(0) lgkmcnt(0)
	v_mul_f64 v[0:1], s[12:13], v[0:1]
	v_cvt_f32_f64_e32 v0, v[0:1]
.LBB123_198:
	v_max_f32_e32 v1, v82, v82
	v_max_f32_e32 v0, v0, v0
	v_min_f32_e32 v0, v0, v1
	v_cvt_f64_f32_e32 v[0:1], v0
	v_lshl_add_u64 v[2:3], v[2:3], 3, v[24:25]
	global_store_dwordx2 v[2:3], v[0:1], off
	v_max_f32_e32 v0, v81, v81
	s_mov_b64 vcc, s[6:7]
	s_cbranch_vccz .LBB123_201
; %bb.199:
	v_min_f32_e32 v1, 0, v0
	v_cvt_f64_f32_e32 v[2:3], v1
	v_lshl_add_u64 v[10:11], v[14:15], 3, v[24:25]
	s_mov_b32 s2, 0
	global_store_dwordx2 v[10:11], v[2:3], off
	s_cbranch_execz .LBB123_202
; %bb.200:
	v_mov_b32_e32 v0, s2
	s_branch .LBB123_203
.LBB123_201:
                                        ; implicit-def: $sgpr2
.LBB123_202:
	v_lshl_add_u64 v[2:3], v[8:9], 0, v[20:21]
	flat_load_dwordx2 v[2:3], v[2:3]
	v_lshl_add_u64 v[10:11], v[24:25], 0, v[20:21]
	s_waitcnt vmcnt(0) lgkmcnt(0)
	v_mul_f64 v[2:3], s[12:13], v[2:3]
	v_cvt_f32_f64_e32 v1, v[2:3]
	v_min_f32_e32 v0, v1, v0
	v_cvt_f64_f32_e32 v[0:1], v0
	global_store_dwordx2 v[10:11], v[0:1], off
	v_lshl_add_u64 v[0:1], v[4:5], 3, v[8:9]
	flat_load_dwordx2 v[0:1], v[0:1]
	s_waitcnt vmcnt(0) lgkmcnt(0)
	v_mul_f64 v[0:1], s[12:13], v[0:1]
	v_cvt_f32_f64_e32 v0, v[0:1]
.LBB123_203:
	;; [unrolled: 37-line block ×3, first 2 shown]
	v_max_f32_e32 v1, v78, v78
	v_max_f32_e32 v0, v0, v0
	v_min_f32_e32 v0, v0, v1
	v_cvt_f64_f32_e32 v[0:1], v0
	v_lshl_add_u64 v[2:3], v[6:7], 3, v[24:25]
	global_store_dwordx2 v[2:3], v[0:1], off
	s_endpgm
	.section	.rodata,"a",@progbits
	.p2align	6, 0x0
	.amdhsa_kernel _ZN12_GLOBAL__N_120geam_min_plus_kernelId15HIP_vector_typeIdLj2EEdLi8ELi32ELi64ELi256ELi4ELi4ELi64ELi64ELi4ELc84ELc84ELb0ELb0ELb1EPKdKS4_KPdEEviiiT16_PT17_ilSA_ilS8_SA_ilPT18_ili26rocblas_geam_ex_operation_
		.amdhsa_group_segment_fixed_size 20480
		.amdhsa_private_segment_fixed_size 0
		.amdhsa_kernarg_size 136
		.amdhsa_user_sgpr_count 2
		.amdhsa_user_sgpr_dispatch_ptr 0
		.amdhsa_user_sgpr_queue_ptr 0
		.amdhsa_user_sgpr_kernarg_segment_ptr 1
		.amdhsa_user_sgpr_dispatch_id 0
		.amdhsa_user_sgpr_kernarg_preload_length 0
		.amdhsa_user_sgpr_kernarg_preload_offset 0
		.amdhsa_user_sgpr_private_segment_size 0
		.amdhsa_uses_dynamic_stack 0
		.amdhsa_enable_private_segment 0
		.amdhsa_system_sgpr_workgroup_id_x 1
		.amdhsa_system_sgpr_workgroup_id_y 0
		.amdhsa_system_sgpr_workgroup_id_z 1
		.amdhsa_system_sgpr_workgroup_info 0
		.amdhsa_system_vgpr_workitem_id 1
		.amdhsa_next_free_vgpr 160
		.amdhsa_next_free_sgpr 28
		.amdhsa_accum_offset 160
		.amdhsa_reserve_vcc 1
		.amdhsa_float_round_mode_32 0
		.amdhsa_float_round_mode_16_64 0
		.amdhsa_float_denorm_mode_32 3
		.amdhsa_float_denorm_mode_16_64 3
		.amdhsa_dx10_clamp 1
		.amdhsa_ieee_mode 1
		.amdhsa_fp16_overflow 0
		.amdhsa_tg_split 0
		.amdhsa_exception_fp_ieee_invalid_op 0
		.amdhsa_exception_fp_denorm_src 0
		.amdhsa_exception_fp_ieee_div_zero 0
		.amdhsa_exception_fp_ieee_overflow 0
		.amdhsa_exception_fp_ieee_underflow 0
		.amdhsa_exception_fp_ieee_inexact 0
		.amdhsa_exception_int_div_zero 0
	.end_amdhsa_kernel
	.section	.text._ZN12_GLOBAL__N_120geam_min_plus_kernelId15HIP_vector_typeIdLj2EEdLi8ELi32ELi64ELi256ELi4ELi4ELi64ELi64ELi4ELc84ELc84ELb0ELb0ELb1EPKdKS4_KPdEEviiiT16_PT17_ilSA_ilS8_SA_ilPT18_ili26rocblas_geam_ex_operation_,"axG",@progbits,_ZN12_GLOBAL__N_120geam_min_plus_kernelId15HIP_vector_typeIdLj2EEdLi8ELi32ELi64ELi256ELi4ELi4ELi64ELi64ELi4ELc84ELc84ELb0ELb0ELb1EPKdKS4_KPdEEviiiT16_PT17_ilSA_ilS8_SA_ilPT18_ili26rocblas_geam_ex_operation_,comdat
.Lfunc_end123:
	.size	_ZN12_GLOBAL__N_120geam_min_plus_kernelId15HIP_vector_typeIdLj2EEdLi8ELi32ELi64ELi256ELi4ELi4ELi64ELi64ELi4ELc84ELc84ELb0ELb0ELb1EPKdKS4_KPdEEviiiT16_PT17_ilSA_ilS8_SA_ilPT18_ili26rocblas_geam_ex_operation_, .Lfunc_end123-_ZN12_GLOBAL__N_120geam_min_plus_kernelId15HIP_vector_typeIdLj2EEdLi8ELi32ELi64ELi256ELi4ELi4ELi64ELi64ELi4ELc84ELc84ELb0ELb0ELb1EPKdKS4_KPdEEviiiT16_PT17_ilSA_ilS8_SA_ilPT18_ili26rocblas_geam_ex_operation_
                                        ; -- End function
	.section	.AMDGPU.csdata,"",@progbits
; Kernel info:
; codeLenInByte = 17132
; NumSgprs: 34
; NumVgprs: 160
; NumAgprs: 0
; TotalNumVgprs: 160
; ScratchSize: 0
; MemoryBound: 1
; FloatMode: 240
; IeeeMode: 1
; LDSByteSize: 20480 bytes/workgroup (compile time only)
; SGPRBlocks: 4
; VGPRBlocks: 19
; NumSGPRsForWavesPerEU: 34
; NumVGPRsForWavesPerEU: 160
; AccumOffset: 160
; Occupancy: 3
; WaveLimiterHint : 1
; COMPUTE_PGM_RSRC2:SCRATCH_EN: 0
; COMPUTE_PGM_RSRC2:USER_SGPR: 2
; COMPUTE_PGM_RSRC2:TRAP_HANDLER: 0
; COMPUTE_PGM_RSRC2:TGID_X_EN: 1
; COMPUTE_PGM_RSRC2:TGID_Y_EN: 0
; COMPUTE_PGM_RSRC2:TGID_Z_EN: 1
; COMPUTE_PGM_RSRC2:TIDIG_COMP_CNT: 1
; COMPUTE_PGM_RSRC3_GFX90A:ACCUM_OFFSET: 39
; COMPUTE_PGM_RSRC3_GFX90A:TG_SPLIT: 0
	.section	.text._ZN12_GLOBAL__N_120geam_min_plus_kernelId15HIP_vector_typeIdLj2EEdLi8ELi32ELi64ELi256ELi4ELi4ELi64ELi64ELi4ELc84ELc84ELb1ELb0ELb1EdKPKdKPdEEviiiT16_PT17_ilSA_ilS8_SA_ilPT18_ili26rocblas_geam_ex_operation_,"axG",@progbits,_ZN12_GLOBAL__N_120geam_min_plus_kernelId15HIP_vector_typeIdLj2EEdLi8ELi32ELi64ELi256ELi4ELi4ELi64ELi64ELi4ELc84ELc84ELb1ELb0ELb1EdKPKdKPdEEviiiT16_PT17_ilSA_ilS8_SA_ilPT18_ili26rocblas_geam_ex_operation_,comdat
	.globl	_ZN12_GLOBAL__N_120geam_min_plus_kernelId15HIP_vector_typeIdLj2EEdLi8ELi32ELi64ELi256ELi4ELi4ELi64ELi64ELi4ELc84ELc84ELb1ELb0ELb1EdKPKdKPdEEviiiT16_PT17_ilSA_ilS8_SA_ilPT18_ili26rocblas_geam_ex_operation_ ; -- Begin function _ZN12_GLOBAL__N_120geam_min_plus_kernelId15HIP_vector_typeIdLj2EEdLi8ELi32ELi64ELi256ELi4ELi4ELi64ELi64ELi4ELc84ELc84ELb1ELb0ELb1EdKPKdKPdEEviiiT16_PT17_ilSA_ilS8_SA_ilPT18_ili26rocblas_geam_ex_operation_
	.p2align	8
	.type	_ZN12_GLOBAL__N_120geam_min_plus_kernelId15HIP_vector_typeIdLj2EEdLi8ELi32ELi64ELi256ELi4ELi4ELi64ELi64ELi4ELc84ELc84ELb1ELb0ELb1EdKPKdKPdEEviiiT16_PT17_ilSA_ilS8_SA_ilPT18_ili26rocblas_geam_ex_operation_,@function
_ZN12_GLOBAL__N_120geam_min_plus_kernelId15HIP_vector_typeIdLj2EEdLi8ELi32ELi64ELi256ELi4ELi4ELi64ELi64ELi4ELc84ELc84ELb1ELb0ELb1EdKPKdKPdEEviiiT16_PT17_ilSA_ilS8_SA_ilPT18_ili26rocblas_geam_ex_operation_: ; @_ZN12_GLOBAL__N_120geam_min_plus_kernelId15HIP_vector_typeIdLj2EEdLi8ELi32ELi64ELi256ELi4ELi4ELi64ELi64ELi4ELc84ELc84ELb1ELb0ELb1EdKPKdKPdEEviiiT16_PT17_ilSA_ilS8_SA_ilPT18_ili26rocblas_geam_ex_operation_
; %bb.0:
	s_load_dwordx4 s[4:7], s[0:1], 0x10
	s_load_dwordx4 s[8:11], s[0:1], 0x28
	s_mov_b32 s18, s3
	s_mov_b64 s[16:17], 0
	s_waitcnt lgkmcnt(0)
	v_cmp_eq_f64_e64 s[12:13], s[4:5], 0
	s_and_b64 vcc, exec, s[12:13]
	s_cbranch_vccnz .LBB124_2
; %bb.1:
	s_mov_b32 s19, 0
	s_lshl_b64 s[4:5], s[18:19], 3
	s_add_u32 s4, s6, s4
	s_addc_u32 s5, s7, s5
	s_load_dwordx2 s[4:5], s[4:5], 0x0
	s_lshl_b64 s[6:7], s[8:9], 3
	s_waitcnt lgkmcnt(0)
	s_add_u32 s16, s4, s6
	s_addc_u32 s17, s5, s7
.LBB124_2:
	s_load_dwordx4 s[4:7], s[0:1], 0x40
	s_load_dwordx2 s[20:21], s[0:1], 0x50
	s_andn2_b64 vcc, exec, s[12:13]
	s_cbranch_vccnz .LBB124_4
; %bb.3:
	s_mov_b32 s19, 0
	s_mov_b64 s[14:15], 0
	s_cbranch_execz .LBB124_5
	s_branch .LBB124_6
.LBB124_4:
                                        ; implicit-def: $sgpr14_sgpr15
.LBB124_5:
	s_mov_b32 s19, 0
	s_lshl_b64 s[8:9], s[18:19], 3
	s_add_u32 s8, s10, s8
	s_addc_u32 s9, s11, s9
	s_load_dwordx2 s[8:9], s[8:9], 0x0
	s_waitcnt lgkmcnt(0)
	s_lshl_b64 s[4:5], s[4:5], 3
	s_add_u32 s14, s8, s4
	s_addc_u32 s15, s9, s5
.LBB124_6:
	s_load_dwordx4 s[8:11], s[0:1], 0x60
	s_waitcnt lgkmcnt(0)
	v_cmp_eq_f64_e64 s[4:5], s[6:7], 0
	s_and_b64 s[4:5], exec, s[4:5]
	s_mov_b64 s[12:13], 0
	s_mov_b64 vcc, s[4:5]
	s_cbranch_vccnz .LBB124_8
; %bb.7:
	s_lshl_b64 s[12:13], s[18:19], 3
	s_add_u32 s12, s20, s12
	s_addc_u32 s13, s21, s13
	s_load_dwordx2 s[12:13], s[12:13], 0x0
	s_lshl_b64 s[8:9], s[8:9], 3
	s_waitcnt lgkmcnt(0)
	s_add_u32 s12, s12, s8
	s_addc_u32 s13, s13, s9
.LBB124_8:
	s_load_dword s20, s[0:1], 0x38
	s_load_dword s3, s[0:1], 0x0
	;; [unrolled: 1-line block ×3, first 2 shown]
	s_lshl_b64 s[8:9], s[18:19], 3
	v_and_b32_e32 v137, 0x3ff, v0
	s_waitcnt lgkmcnt(0)
	s_ashr_i32 s21, s20, 31
	s_add_u32 s10, s10, s8
	s_addc_u32 s11, s11, s9
	s_add_i32 s3, s3, -1
	s_ashr_i32 s8, s3, 31
	s_lshr_b32 s8, s8, 26
	s_add_i32 s3, s3, s8
	s_ashr_i32 s3, s3, 6
	s_add_i32 s8, s3, 1
	v_cvt_f32_u32_e32 v1, s8
	s_not_b32 s3, s3
	v_bfe_u32 v138, v0, 10, 10
	v_lshl_add_u32 v0, v138, 3, v137
	v_rcp_iflag_f32_e32 v1, v1
	v_and_b32_e32 v74, 63, v0
	v_lshrrev_b32_e32 v18, 2, v0
	v_lshrrev_b32_e32 v145, 6, v0
	v_mul_f32_e32 v1, 0x4f7ffffe, v1
	v_cvt_u32_f32_e32 v1, v1
	v_and_b32_e32 v144, 3, v137
	v_add_u32_e32 v146, 4, v145
	v_mov_b32_e32 v78, 0x7f800000
	v_readfirstlane_b32 s9, v1
	s_mul_i32 s3, s3, s9
	s_mul_hi_u32 s3, s9, s3
	s_add_i32 s9, s9, s3
	s_mul_hi_u32 s3, s2, s9
	s_mul_i32 s9, s3, s8
	s_sub_i32 s9, s2, s9
	s_add_i32 s18, s3, 1
	s_sub_i32 s19, s9, s8
	s_cmp_ge_u32 s9, s8
	s_cselect_b32 s3, s18, s3
	s_cselect_b32 s9, s19, s9
	s_add_i32 s18, s3, 1
	s_cmp_ge_u32 s9, s8
	s_cselect_b32 s3, s18, s3
	s_mul_i32 s8, s3, s8
	s_sub_i32 s2, s2, s8
	s_lshl_b32 s19, s3, 8
	s_lshl_b32 s18, s2, 6
	v_or_b32_e32 v62, s19, v74
	v_add_u32_e32 v0, s18, v18
	v_mad_i64_i32 v[4:5], s[2:3], s20, v145, 0
	v_ashrrev_i32_e32 v63, 31, v62
	v_mad_i64_i32 v[0:1], s[2:3], v0, s22, 0
	v_lshl_add_u64 v[4:5], v[4:5], 3, s[14:15]
	v_lshlrev_b64 v[6:7], 3, v[62:63]
	v_lshl_add_u64 v[60:61], v[0:1], 3, s[16:17]
	v_lshlrev_b32_e32 v0, 3, v144
	v_mov_b32_e32 v1, 0
	v_lshl_add_u64 v[4:5], v[4:5], 0, v[6:7]
	v_lshl_add_u64 v[2:3], v[60:61], 0, v[0:1]
	flat_load_dwordx2 v[8:9], v[4:5]
	flat_load_dwordx2 v[10:11], v[4:5] offset:512
	flat_load_dwordx2 v[12:13], v[4:5] offset:1024
	flat_load_dwordx2 v[14:15], v[4:5] offset:1536
	flat_load_dwordx2 v[16:17], v[2:3]
	v_mad_i64_i32 v[4:5], s[2:3], s20, v146, 0
	v_lshl_add_u64 v[4:5], v[4:5], 3, s[14:15]
	v_lshl_add_u64 v[4:5], v[4:5], 0, v[6:7]
	flat_load_dwordx2 v[64:65], v[4:5]
	flat_load_dwordx2 v[66:67], v[4:5] offset:512
	flat_load_dwordx2 v[68:69], v[4:5] offset:1024
	;; [unrolled: 1-line block ×4, first 2 shown]
	s_load_dwordx2 s[2:3], s[10:11], 0x0
	v_lshl_or_b32 v75, v18, 5, v0
	v_lshlrev_b32_e32 v0, 3, v145
	s_mov_b32 s16, 0
	s_mov_b64 s[8:9], -1
	v_mov_b32_e32 v79, 0x7f800000
	v_mov_b32_e32 v80, 0x7f800000
	;; [unrolled: 1-line block ×40, first 2 shown]
	v_add_u32_e32 v147, 0x4000, v75
	v_lshl_add_u32 v148, v74, 5, v0
	v_mov_b32_e32 v119, 0x7f800000
	v_mov_b32_e32 v120, 0x7f800000
	;; [unrolled: 1-line block ×23, first 2 shown]
	s_waitcnt vmcnt(0) lgkmcnt(0)
	ds_write2st64_b64 v148, v[8:9], v[10:11] offset1:4
	ds_write2st64_b64 v148, v[12:13], v[14:15] offset0:8 offset1:12
	ds_write_b64 v75, v[16:17] offset:16384
	s_waitcnt lgkmcnt(0)
	s_barrier
.LBB124_9:                              ; =>This Inner Loop Header: Depth=1
	v_cndmask_b32_e64 v0, 0, 1, s[8:9]
	s_lshl_b32 s8, s16, 3
	v_cmp_ne_u32_e32 vcc, 1, v0
	v_lshl_add_u32 v0, v137, 5, s8
	v_lshl_add_u32 v20, v138, 5, s8
	ds_read_b128 v[32:35], v0 offset:16384
	ds_read_b128 v[28:31], v0 offset:16640
	;; [unrolled: 1-line block ×8, first 2 shown]
	ds_read_b128 v[150:153], v20
	ds_read_b128 v[56:59], v20 offset:1024
	ds_read_b128 v[52:55], v20 offset:2048
	;; [unrolled: 1-line block ×7, first 2 shown]
	s_waitcnt lgkmcnt(7)
	v_add_f64 v[76:77], v[34:35], v[152:153]
	v_add_f64 v[154:155], v[32:33], v[150:151]
	v_cvt_f32_f64_e32 v149, v[154:155]
	v_cvt_f32_f64_e32 v76, v[76:77]
	v_min3_f32 v143, v149, v76, v143
	v_add_f64 v[76:77], v[30:31], v[152:153]
	v_add_f64 v[154:155], v[28:29], v[150:151]
	v_cvt_f32_f64_e32 v149, v[154:155]
	v_cvt_f32_f64_e32 v76, v[76:77]
	v_min3_f32 v142, v149, v76, v142
	;; [unrolled: 5-line block ×8, first 2 shown]
	s_waitcnt lgkmcnt(6)
	v_add_f64 v[76:77], v[34:35], v[58:59]
	v_add_f64 v[150:151], v[32:33], v[56:57]
	v_cvt_f32_f64_e32 v149, v[150:151]
	v_cvt_f32_f64_e32 v76, v[76:77]
	v_min3_f32 v133, v149, v76, v133
	v_add_f64 v[76:77], v[30:31], v[58:59]
	v_add_f64 v[150:151], v[28:29], v[56:57]
	v_cvt_f32_f64_e32 v149, v[150:151]
	v_cvt_f32_f64_e32 v76, v[76:77]
	v_min3_f32 v132, v149, v76, v132
	v_add_f64 v[76:77], v[26:27], v[58:59]
	v_add_f64 v[150:151], v[24:25], v[56:57]
	v_cvt_f32_f64_e32 v149, v[150:151]
	v_cvt_f32_f64_e32 v76, v[76:77]
	v_min3_f32 v131, v149, v76, v131
	v_add_f64 v[76:77], v[18:19], v[58:59]
	v_add_f64 v[150:151], v[16:17], v[56:57]
	v_cvt_f32_f64_e32 v149, v[150:151]
	v_cvt_f32_f64_e32 v76, v[76:77]
	v_min3_f32 v130, v149, v76, v130
	v_add_f64 v[76:77], v[14:15], v[58:59]
	v_add_f64 v[150:151], v[12:13], v[56:57]
	v_cvt_f32_f64_e32 v149, v[150:151]
	v_cvt_f32_f64_e32 v76, v[76:77]
	v_min3_f32 v129, v149, v76, v129
	v_add_f64 v[76:77], v[10:11], v[58:59]
	v_add_f64 v[150:151], v[8:9], v[56:57]
	v_cvt_f32_f64_e32 v149, v[150:151]
	v_cvt_f32_f64_e32 v76, v[76:77]
	v_min3_f32 v128, v149, v76, v128
	v_add_f64 v[76:77], v[6:7], v[58:59]
	v_add_f64 v[150:151], v[4:5], v[56:57]
	v_add_f64 v[58:59], v[2:3], v[58:59]
	v_add_f64 v[56:57], v[0:1], v[56:57]
	v_cvt_f32_f64_e32 v56, v[56:57]
	v_cvt_f32_f64_e32 v57, v[58:59]
	v_min3_f32 v126, v56, v57, v126
	s_waitcnt lgkmcnt(5)
	v_add_f64 v[56:57], v[34:35], v[54:55]
	v_add_f64 v[58:59], v[32:33], v[52:53]
	v_cvt_f32_f64_e32 v58, v[58:59]
	v_cvt_f32_f64_e32 v56, v[56:57]
	v_min3_f32 v125, v58, v56, v125
	v_add_f64 v[56:57], v[30:31], v[54:55]
	v_add_f64 v[58:59], v[28:29], v[52:53]
	v_cvt_f32_f64_e32 v58, v[58:59]
	v_cvt_f32_f64_e32 v56, v[56:57]
	v_min3_f32 v124, v58, v56, v124
	v_add_f64 v[56:57], v[26:27], v[54:55]
	v_add_f64 v[58:59], v[24:25], v[52:53]
	v_cvt_f32_f64_e32 v58, v[58:59]
	v_cvt_f32_f64_e32 v56, v[56:57]
	v_min3_f32 v123, v58, v56, v123
	v_add_f64 v[56:57], v[18:19], v[54:55]
	v_add_f64 v[58:59], v[16:17], v[52:53]
	v_cvt_f32_f64_e32 v58, v[58:59]
	v_cvt_f32_f64_e32 v56, v[56:57]
	v_min3_f32 v122, v58, v56, v122
	v_add_f64 v[56:57], v[14:15], v[54:55]
	v_add_f64 v[58:59], v[12:13], v[52:53]
	v_cvt_f32_f64_e32 v58, v[58:59]
	v_cvt_f32_f64_e32 v56, v[56:57]
	v_min3_f32 v121, v58, v56, v121
	v_add_f64 v[56:57], v[10:11], v[54:55]
	v_add_f64 v[58:59], v[8:9], v[52:53]
	v_cvt_f32_f64_e32 v58, v[58:59]
	v_cvt_f32_f64_e32 v56, v[56:57]
	v_min3_f32 v120, v58, v56, v120
	v_add_f64 v[56:57], v[6:7], v[54:55]
	v_add_f64 v[58:59], v[4:5], v[52:53]
	v_add_f64 v[54:55], v[2:3], v[54:55]
	v_add_f64 v[52:53], v[0:1], v[52:53]
	v_cvt_f32_f64_e32 v52, v[52:53]
	v_cvt_f32_f64_e32 v53, v[54:55]
	v_min3_f32 v118, v52, v53, v118
	;; [unrolled: 38-line block ×5, first 2 shown]
	s_waitcnt lgkmcnt(1)
	v_add_f64 v[40:41], v[34:35], v[38:39]
	v_add_f64 v[42:43], v[32:33], v[36:37]
	v_cvt_f32_f64_e32 v42, v[42:43]
	v_cvt_f32_f64_e32 v40, v[40:41]
	v_min3_f32 v93, v42, v40, v93
	v_add_f64 v[40:41], v[30:31], v[38:39]
	v_add_f64 v[42:43], v[28:29], v[36:37]
	v_cvt_f32_f64_e32 v42, v[42:43]
	v_cvt_f32_f64_e32 v40, v[40:41]
	v_min3_f32 v92, v42, v40, v92
	;; [unrolled: 5-line block ×6, first 2 shown]
	v_add_f64 v[40:41], v[6:7], v[38:39]
	v_add_f64 v[42:43], v[4:5], v[36:37]
	;; [unrolled: 1-line block ×4, first 2 shown]
	s_waitcnt lgkmcnt(0)
	v_add_f64 v[34:35], v[34:35], v[22:23]
	v_add_f64 v[32:33], v[32:33], v[20:21]
	;; [unrolled: 1-line block ×16, first 2 shown]
	v_cvt_f32_f64_e32 v149, v[150:151]
	v_cvt_f32_f64_e32 v76, v[76:77]
	;; [unrolled: 1-line block ×30, first 2 shown]
	v_min3_f32 v127, v149, v76, v127
	v_min3_f32 v119, v58, v56, v119
	;; [unrolled: 1-line block ×15, first 2 shown]
	s_mov_b64 s[8:9], 0
	s_mov_b32 s16, 2
	s_cbranch_vccz .LBB124_9
; %bb.10:
	s_load_dword s10, s[0:1], 0x8
	v_lshlrev_b32_e32 v0, 5, v74
	v_lshl_add_u32 v0, v145, 3, v0
	ds_write_b64 v75, v[72:73] offset:18432
	ds_write2st64_b64 v0, v[64:65], v[66:67] offset0:16 offset1:20
	ds_write2st64_b64 v0, v[68:69], v[70:71] offset0:24 offset1:28
	s_waitcnt lgkmcnt(0)
	s_cmp_lt_i32 s10, 9
	s_barrier
	s_cbranch_scc1 .LBB124_17
; %bb.11:
	v_add_u32_e32 v149, 0x4800, v75
	v_or_b32_e32 v150, 0x2000, v0
	s_add_i32 s10, s10, -8
	v_lshl_add_u64 v[62:63], v[62:63], 3, s[14:15]
	s_mov_b32 s11, 8
	s_mov_b32 s14, 0
	v_mov_b32_e32 v65, 0
.LBB124_12:                             ; =>This Loop Header: Depth=1
                                        ;     Child Loop BB124_13 Depth 2
                                        ;     Child Loop BB124_15 Depth 2
	v_add_u32_e32 v3, s11, v145
	v_mad_u64_u32 v[0:1], s[8:9], v3, s20, 0
	v_mov_b32_e32 v2, v1
	v_mad_u64_u32 v[2:3], s[8:9], v3, s21, v[2:3]
	v_or_b32_e32 v64, s11, v144
	v_mov_b32_e32 v1, v2
	v_lshl_add_u64 v[66:67], v[64:65], 3, v[60:61]
	v_lshl_add_u64 v[0:1], v[0:1], 3, v[62:63]
	flat_load_dwordx2 v[68:69], v[66:67]
	flat_load_dwordx2 v[70:71], v[0:1]
	flat_load_dwordx2 v[72:73], v[0:1] offset:512
	flat_load_dwordx2 v[74:75], v[0:1] offset:1024
	;; [unrolled: 1-line block ×3, first 2 shown]
	s_mov_b64 s[8:9], -1
	s_mov_b32 s15, 0
.LBB124_13:                             ;   Parent Loop BB124_12 Depth=1
                                        ; =>  This Inner Loop Header: Depth=2
	v_cndmask_b32_e64 v0, 0, 1, s[8:9]
	s_lshl_b32 s8, s15, 3
	v_cmp_ne_u32_e32 vcc, 1, v0
	v_lshl_add_u32 v0, v137, 5, s8
	v_lshl_add_u32 v20, v138, 5, s8
	ds_read_b128 v[32:35], v0 offset:18432
	ds_read_b128 v[28:31], v0 offset:18688
	;; [unrolled: 1-line block ×16, first 2 shown]
	s_waitcnt lgkmcnt(0)
	v_add_f64 v[156:157], v[34:35], v[154:155]
	v_add_f64 v[158:159], v[32:33], v[152:153]
	v_cvt_f32_f64_e32 v64, v[158:159]
	v_cvt_f32_f64_e32 v151, v[156:157]
	v_add_f64 v[156:157], v[30:31], v[154:155]
	v_add_f64 v[158:159], v[28:29], v[152:153]
	v_min3_f32 v143, v64, v151, v143
	v_cvt_f32_f64_e32 v64, v[158:159]
	v_cvt_f32_f64_e32 v151, v[156:157]
	v_add_f64 v[156:157], v[26:27], v[154:155]
	v_add_f64 v[158:159], v[24:25], v[152:153]
	v_min3_f32 v142, v64, v151, v142
	;; [unrolled: 5-line block ×13, first 2 shown]
	v_cvt_f32_f64_e32 v64, v[154:155]
	v_cvt_f32_f64_e32 v151, v[152:153]
	v_add_f64 v[152:153], v[6:7], v[58:59]
	v_add_f64 v[154:155], v[4:5], v[56:57]
	v_add_f64 v[58:59], v[2:3], v[58:59]
	v_add_f64 v[56:57], v[0:1], v[56:57]
	v_cvt_f32_f64_e32 v56, v[56:57]
	v_cvt_f32_f64_e32 v57, v[58:59]
	v_min3_f32 v126, v56, v57, v126
	v_add_f64 v[56:57], v[34:35], v[54:55]
	v_add_f64 v[58:59], v[32:33], v[52:53]
	v_cvt_f32_f64_e32 v58, v[58:59]
	v_cvt_f32_f64_e32 v56, v[56:57]
	v_min3_f32 v125, v58, v56, v125
	v_add_f64 v[56:57], v[30:31], v[54:55]
	v_add_f64 v[58:59], v[28:29], v[52:53]
	v_cvt_f32_f64_e32 v58, v[58:59]
	v_cvt_f32_f64_e32 v56, v[56:57]
	v_min3_f32 v124, v58, v56, v124
	v_add_f64 v[56:57], v[26:27], v[54:55]
	v_add_f64 v[58:59], v[24:25], v[52:53]
	v_cvt_f32_f64_e32 v58, v[58:59]
	v_cvt_f32_f64_e32 v56, v[56:57]
	v_min3_f32 v123, v58, v56, v123
	v_add_f64 v[56:57], v[18:19], v[54:55]
	v_add_f64 v[58:59], v[16:17], v[52:53]
	v_cvt_f32_f64_e32 v58, v[58:59]
	v_cvt_f32_f64_e32 v56, v[56:57]
	v_min3_f32 v122, v58, v56, v122
	v_add_f64 v[56:57], v[14:15], v[54:55]
	v_add_f64 v[58:59], v[12:13], v[52:53]
	v_cvt_f32_f64_e32 v58, v[58:59]
	v_cvt_f32_f64_e32 v56, v[56:57]
	v_min3_f32 v121, v58, v56, v121
	v_add_f64 v[56:57], v[10:11], v[54:55]
	v_add_f64 v[58:59], v[8:9], v[52:53]
	v_cvt_f32_f64_e32 v58, v[58:59]
	v_cvt_f32_f64_e32 v56, v[56:57]
	v_min3_f32 v120, v58, v56, v120
	v_add_f64 v[56:57], v[6:7], v[54:55]
	v_add_f64 v[58:59], v[4:5], v[52:53]
	v_add_f64 v[54:55], v[2:3], v[54:55]
	v_add_f64 v[52:53], v[0:1], v[52:53]
	v_cvt_f32_f64_e32 v52, v[52:53]
	v_cvt_f32_f64_e32 v53, v[54:55]
	v_min3_f32 v118, v52, v53, v118
	v_add_f64 v[52:53], v[34:35], v[50:51]
	v_add_f64 v[54:55], v[32:33], v[48:49]
	v_cvt_f32_f64_e32 v54, v[54:55]
	v_cvt_f32_f64_e32 v52, v[52:53]
	v_min3_f32 v117, v54, v52, v117
	v_add_f64 v[52:53], v[30:31], v[50:51]
	v_add_f64 v[54:55], v[28:29], v[48:49]
	v_cvt_f32_f64_e32 v54, v[54:55]
	v_cvt_f32_f64_e32 v52, v[52:53]
	v_min3_f32 v116, v54, v52, v116
	v_add_f64 v[52:53], v[26:27], v[50:51]
	v_add_f64 v[54:55], v[24:25], v[48:49]
	v_cvt_f32_f64_e32 v54, v[54:55]
	v_cvt_f32_f64_e32 v52, v[52:53]
	v_min3_f32 v115, v54, v52, v115
	v_add_f64 v[52:53], v[18:19], v[50:51]
	v_add_f64 v[54:55], v[16:17], v[48:49]
	v_cvt_f32_f64_e32 v54, v[54:55]
	v_cvt_f32_f64_e32 v52, v[52:53]
	v_min3_f32 v114, v54, v52, v114
	v_add_f64 v[52:53], v[14:15], v[50:51]
	v_add_f64 v[54:55], v[12:13], v[48:49]
	v_cvt_f32_f64_e32 v54, v[54:55]
	v_cvt_f32_f64_e32 v52, v[52:53]
	v_min3_f32 v113, v54, v52, v113
	v_add_f64 v[52:53], v[10:11], v[50:51]
	v_add_f64 v[54:55], v[8:9], v[48:49]
	v_cvt_f32_f64_e32 v54, v[54:55]
	v_cvt_f32_f64_e32 v52, v[52:53]
	v_min3_f32 v112, v54, v52, v112
	;; [unrolled: 37-line block ×5, first 2 shown]
	v_add_f64 v[40:41], v[6:7], v[38:39]
	v_add_f64 v[42:43], v[4:5], v[36:37]
	;; [unrolled: 1-line block ×20, first 2 shown]
	v_min3_f32 v128, v64, v151, v128
	v_cvt_f32_f64_e32 v64, v[154:155]
	v_cvt_f32_f64_e32 v151, v[152:153]
	;; [unrolled: 1-line block ×30, first 2 shown]
	v_min3_f32 v127, v64, v151, v127
	v_min3_f32 v119, v58, v56, v119
	;; [unrolled: 1-line block ×15, first 2 shown]
	s_mov_b32 s15, 2
	s_mov_b64 s[8:9], 0
	s_cbranch_vccz .LBB124_13
; %bb.14:                               ;   in Loop: Header=BB124_12 Depth=1
	v_add_u32_e32 v3, s11, v146
	v_mad_u64_u32 v[0:1], s[8:9], v3, s20, 0
	v_mov_b32_e32 v2, v1
	v_mad_u64_u32 v[2:3], s[8:9], v3, s21, v[2:3]
	v_mov_b32_e32 v1, v2
	v_lshl_add_u64 v[0:1], v[0:1], 3, v[62:63]
	s_waitcnt vmcnt(0)
	ds_write_b64 v147, v[68:69]
	ds_write2st64_b64 v148, v[70:71], v[72:73] offset1:4
	ds_write2st64_b64 v148, v[74:75], v[76:77] offset0:8 offset1:12
	s_waitcnt lgkmcnt(0)
	s_barrier
	flat_load_dwordx2 v[66:67], v[66:67] offset:32
	s_nop 0
	flat_load_dwordx2 v[68:69], v[0:1]
	flat_load_dwordx2 v[70:71], v[0:1] offset:512
	flat_load_dwordx2 v[72:73], v[0:1] offset:1024
	;; [unrolled: 1-line block ×3, first 2 shown]
	s_mov_b32 s15, 0
	s_mov_b64 s[8:9], -1
.LBB124_15:                             ;   Parent Loop BB124_12 Depth=1
                                        ; =>  This Inner Loop Header: Depth=2
	v_cndmask_b32_e64 v0, 0, 1, s[8:9]
	s_lshl_b32 s8, s15, 3
	v_cmp_ne_u32_e32 vcc, 1, v0
	v_lshl_add_u32 v0, v137, 5, s8
	v_lshl_add_u32 v20, v138, 5, s8
	ds_read_b128 v[32:35], v0 offset:16384
	ds_read_b128 v[28:31], v0 offset:16640
	;; [unrolled: 1-line block ×8, first 2 shown]
	ds_read_b128 v[152:155], v20
	ds_read_b128 v[56:59], v20 offset:1024
	ds_read_b128 v[52:55], v20 offset:2048
	;; [unrolled: 1-line block ×7, first 2 shown]
	s_waitcnt lgkmcnt(0)
	v_add_f64 v[76:77], v[34:35], v[154:155]
	v_add_f64 v[156:157], v[32:33], v[152:153]
	v_cvt_f32_f64_e32 v64, v[156:157]
	v_cvt_f32_f64_e32 v76, v[76:77]
	v_min3_f32 v143, v64, v76, v143
	v_add_f64 v[76:77], v[30:31], v[154:155]
	v_add_f64 v[156:157], v[28:29], v[152:153]
	v_cvt_f32_f64_e32 v64, v[156:157]
	v_cvt_f32_f64_e32 v76, v[76:77]
	v_min3_f32 v142, v64, v76, v142
	;; [unrolled: 5-line block ×14, first 2 shown]
	v_add_f64 v[76:77], v[6:7], v[58:59]
	v_add_f64 v[152:153], v[4:5], v[56:57]
	v_add_f64 v[58:59], v[2:3], v[58:59]
	v_add_f64 v[56:57], v[0:1], v[56:57]
	v_cvt_f32_f64_e32 v56, v[56:57]
	v_cvt_f32_f64_e32 v57, v[58:59]
	v_min3_f32 v126, v56, v57, v126
	v_add_f64 v[56:57], v[34:35], v[54:55]
	v_add_f64 v[58:59], v[32:33], v[52:53]
	v_cvt_f32_f64_e32 v58, v[58:59]
	v_cvt_f32_f64_e32 v56, v[56:57]
	v_min3_f32 v125, v58, v56, v125
	v_add_f64 v[56:57], v[30:31], v[54:55]
	v_add_f64 v[58:59], v[28:29], v[52:53]
	v_cvt_f32_f64_e32 v58, v[58:59]
	v_cvt_f32_f64_e32 v56, v[56:57]
	v_min3_f32 v124, v58, v56, v124
	v_add_f64 v[56:57], v[26:27], v[54:55]
	v_add_f64 v[58:59], v[24:25], v[52:53]
	v_cvt_f32_f64_e32 v58, v[58:59]
	v_cvt_f32_f64_e32 v56, v[56:57]
	v_min3_f32 v123, v58, v56, v123
	v_add_f64 v[56:57], v[18:19], v[54:55]
	v_add_f64 v[58:59], v[16:17], v[52:53]
	v_cvt_f32_f64_e32 v58, v[58:59]
	v_cvt_f32_f64_e32 v56, v[56:57]
	v_min3_f32 v122, v58, v56, v122
	v_add_f64 v[56:57], v[14:15], v[54:55]
	v_add_f64 v[58:59], v[12:13], v[52:53]
	v_cvt_f32_f64_e32 v58, v[58:59]
	v_cvt_f32_f64_e32 v56, v[56:57]
	v_min3_f32 v121, v58, v56, v121
	v_add_f64 v[56:57], v[10:11], v[54:55]
	v_add_f64 v[58:59], v[8:9], v[52:53]
	v_cvt_f32_f64_e32 v58, v[58:59]
	v_cvt_f32_f64_e32 v56, v[56:57]
	v_min3_f32 v120, v58, v56, v120
	v_add_f64 v[56:57], v[6:7], v[54:55]
	v_add_f64 v[58:59], v[4:5], v[52:53]
	v_add_f64 v[54:55], v[2:3], v[54:55]
	v_add_f64 v[52:53], v[0:1], v[52:53]
	v_cvt_f32_f64_e32 v52, v[52:53]
	v_cvt_f32_f64_e32 v53, v[54:55]
	v_min3_f32 v118, v52, v53, v118
	v_add_f64 v[52:53], v[34:35], v[50:51]
	v_add_f64 v[54:55], v[32:33], v[48:49]
	v_cvt_f32_f64_e32 v54, v[54:55]
	v_cvt_f32_f64_e32 v52, v[52:53]
	v_min3_f32 v117, v54, v52, v117
	v_add_f64 v[52:53], v[30:31], v[50:51]
	v_add_f64 v[54:55], v[28:29], v[48:49]
	v_cvt_f32_f64_e32 v54, v[54:55]
	v_cvt_f32_f64_e32 v52, v[52:53]
	v_min3_f32 v116, v54, v52, v116
	v_add_f64 v[52:53], v[26:27], v[50:51]
	v_add_f64 v[54:55], v[24:25], v[48:49]
	v_cvt_f32_f64_e32 v54, v[54:55]
	v_cvt_f32_f64_e32 v52, v[52:53]
	v_min3_f32 v115, v54, v52, v115
	v_add_f64 v[52:53], v[18:19], v[50:51]
	v_add_f64 v[54:55], v[16:17], v[48:49]
	v_cvt_f32_f64_e32 v54, v[54:55]
	v_cvt_f32_f64_e32 v52, v[52:53]
	v_min3_f32 v114, v54, v52, v114
	v_add_f64 v[52:53], v[14:15], v[50:51]
	v_add_f64 v[54:55], v[12:13], v[48:49]
	v_cvt_f32_f64_e32 v54, v[54:55]
	v_cvt_f32_f64_e32 v52, v[52:53]
	v_min3_f32 v113, v54, v52, v113
	v_add_f64 v[52:53], v[10:11], v[50:51]
	v_add_f64 v[54:55], v[8:9], v[48:49]
	v_cvt_f32_f64_e32 v54, v[54:55]
	v_cvt_f32_f64_e32 v52, v[52:53]
	v_min3_f32 v112, v54, v52, v112
	;; [unrolled: 37-line block ×5, first 2 shown]
	v_add_f64 v[40:41], v[6:7], v[38:39]
	v_add_f64 v[42:43], v[4:5], v[36:37]
	;; [unrolled: 1-line block ×20, first 2 shown]
	v_cvt_f32_f64_e32 v64, v[152:153]
	v_cvt_f32_f64_e32 v76, v[76:77]
	;; [unrolled: 1-line block ×30, first 2 shown]
	v_min3_f32 v127, v64, v76, v127
	v_min3_f32 v119, v58, v56, v119
	;; [unrolled: 1-line block ×15, first 2 shown]
	s_mov_b32 s15, 2
	s_mov_b64 s[8:9], 0
	s_cbranch_vccz .LBB124_15
; %bb.16:                               ;   in Loop: Header=BB124_12 Depth=1
	s_add_i32 s11, s11, 8
	s_add_i32 s14, s14, 8
	s_cmp_ge_i32 s14, s10
	s_waitcnt vmcnt(0)
	ds_write_b64 v149, v[66:67]
	ds_write2st64_b64 v150, v[68:69], v[70:71] offset1:4
	ds_write2st64_b64 v150, v[72:73], v[74:75] offset0:8 offset1:12
	s_waitcnt lgkmcnt(0)
	s_barrier
	s_cbranch_scc0 .LBB124_12
.LBB124_17:
	s_mov_b32 s10, 0
	s_mov_b64 s[8:9], -1
.LBB124_18:                             ; =>This Inner Loop Header: Depth=1
	v_cndmask_b32_e64 v0, 0, 1, s[8:9]
	s_lshl_b32 s8, s10, 3
	v_cmp_ne_u32_e32 vcc, 1, v0
	v_lshl_add_u32 v0, v137, 5, s8
	v_lshl_add_u32 v20, v138, 5, s8
	ds_read_b128 v[32:35], v0 offset:18432
	ds_read_b128 v[28:31], v0 offset:18688
	;; [unrolled: 1-line block ×16, first 2 shown]
	s_waitcnt lgkmcnt(7)
	v_add_f64 v[64:65], v[34:35], v[62:63]
	v_add_f64 v[66:67], v[32:33], v[60:61]
	v_cvt_f32_f64_e32 v66, v[66:67]
	v_cvt_f32_f64_e32 v64, v[64:65]
	v_min3_f32 v143, v66, v64, v143
	v_add_f64 v[64:65], v[30:31], v[62:63]
	v_add_f64 v[66:67], v[28:29], v[60:61]
	v_cvt_f32_f64_e32 v66, v[66:67]
	v_cvt_f32_f64_e32 v64, v[64:65]
	v_min3_f32 v142, v66, v64, v142
	v_add_f64 v[64:65], v[26:27], v[62:63]
	v_add_f64 v[66:67], v[24:25], v[60:61]
	v_cvt_f32_f64_e32 v66, v[66:67]
	v_cvt_f32_f64_e32 v64, v[64:65]
	v_min3_f32 v141, v66, v64, v141
	v_add_f64 v[64:65], v[18:19], v[62:63]
	v_add_f64 v[66:67], v[16:17], v[60:61]
	v_cvt_f32_f64_e32 v66, v[66:67]
	v_cvt_f32_f64_e32 v64, v[64:65]
	v_min3_f32 v140, v66, v64, v140
	v_add_f64 v[64:65], v[14:15], v[62:63]
	v_add_f64 v[66:67], v[12:13], v[60:61]
	v_cvt_f32_f64_e32 v66, v[66:67]
	v_cvt_f32_f64_e32 v64, v[64:65]
	v_min3_f32 v139, v66, v64, v139
	v_add_f64 v[64:65], v[10:11], v[62:63]
	v_add_f64 v[66:67], v[8:9], v[60:61]
	v_cvt_f32_f64_e32 v66, v[66:67]
	v_cvt_f32_f64_e32 v64, v[64:65]
	v_min3_f32 v136, v66, v64, v136
	v_add_f64 v[64:65], v[6:7], v[62:63]
	v_add_f64 v[66:67], v[4:5], v[60:61]
	v_add_f64 v[62:63], v[2:3], v[62:63]
	v_add_f64 v[60:61], v[0:1], v[60:61]
	v_cvt_f32_f64_e32 v60, v[60:61]
	v_cvt_f32_f64_e32 v61, v[62:63]
	v_min3_f32 v134, v60, v61, v134
	s_waitcnt lgkmcnt(6)
	v_add_f64 v[60:61], v[34:35], v[58:59]
	v_add_f64 v[62:63], v[32:33], v[56:57]
	v_cvt_f32_f64_e32 v62, v[62:63]
	v_cvt_f32_f64_e32 v60, v[60:61]
	v_min3_f32 v133, v62, v60, v133
	v_add_f64 v[60:61], v[30:31], v[58:59]
	v_add_f64 v[62:63], v[28:29], v[56:57]
	v_cvt_f32_f64_e32 v62, v[62:63]
	v_cvt_f32_f64_e32 v60, v[60:61]
	v_min3_f32 v132, v62, v60, v132
	v_add_f64 v[60:61], v[26:27], v[58:59]
	v_add_f64 v[62:63], v[24:25], v[56:57]
	v_cvt_f32_f64_e32 v62, v[62:63]
	v_cvt_f32_f64_e32 v60, v[60:61]
	v_min3_f32 v131, v62, v60, v131
	v_add_f64 v[60:61], v[18:19], v[58:59]
	v_add_f64 v[62:63], v[16:17], v[56:57]
	v_cvt_f32_f64_e32 v62, v[62:63]
	v_cvt_f32_f64_e32 v60, v[60:61]
	v_min3_f32 v130, v62, v60, v130
	v_add_f64 v[60:61], v[14:15], v[58:59]
	v_add_f64 v[62:63], v[12:13], v[56:57]
	v_cvt_f32_f64_e32 v62, v[62:63]
	v_cvt_f32_f64_e32 v60, v[60:61]
	v_min3_f32 v129, v62, v60, v129
	v_add_f64 v[60:61], v[10:11], v[58:59]
	v_add_f64 v[62:63], v[8:9], v[56:57]
	v_cvt_f32_f64_e32 v62, v[62:63]
	v_cvt_f32_f64_e32 v60, v[60:61]
	v_min3_f32 v128, v62, v60, v128
	v_add_f64 v[60:61], v[6:7], v[58:59]
	v_add_f64 v[62:63], v[4:5], v[56:57]
	v_add_f64 v[58:59], v[2:3], v[58:59]
	v_add_f64 v[56:57], v[0:1], v[56:57]
	v_cvt_f32_f64_e32 v56, v[56:57]
	v_cvt_f32_f64_e32 v57, v[58:59]
	v_min3_f32 v126, v56, v57, v126
	;; [unrolled: 38-line block ×6, first 2 shown]
	s_waitcnt lgkmcnt(1)
	v_add_f64 v[40:41], v[34:35], v[38:39]
	v_add_f64 v[42:43], v[32:33], v[36:37]
	v_cvt_f32_f64_e32 v42, v[42:43]
	v_cvt_f32_f64_e32 v40, v[40:41]
	v_min3_f32 v93, v42, v40, v93
	v_add_f64 v[40:41], v[30:31], v[38:39]
	v_add_f64 v[42:43], v[28:29], v[36:37]
	v_cvt_f32_f64_e32 v42, v[42:43]
	v_cvt_f32_f64_e32 v40, v[40:41]
	v_min3_f32 v92, v42, v40, v92
	;; [unrolled: 5-line block ×6, first 2 shown]
	v_add_f64 v[40:41], v[6:7], v[38:39]
	v_add_f64 v[42:43], v[4:5], v[36:37]
	;; [unrolled: 1-line block ×4, first 2 shown]
	s_waitcnt lgkmcnt(0)
	v_add_f64 v[34:35], v[34:35], v[22:23]
	v_add_f64 v[32:33], v[32:33], v[20:21]
	;; [unrolled: 1-line block ×16, first 2 shown]
	v_cvt_f32_f64_e32 v66, v[66:67]
	v_cvt_f32_f64_e32 v64, v[64:65]
	;; [unrolled: 1-line block ×32, first 2 shown]
	v_min3_f32 v135, v66, v64, v135
	v_min3_f32 v127, v62, v60, v127
	;; [unrolled: 1-line block ×16, first 2 shown]
	s_mov_b32 s10, 2
	s_mov_b64 s[8:9], 0
	s_cbranch_vccz .LBB124_18
; %bb.19:
	s_load_dwordx2 s[8:9], s[0:1], 0x78
	s_load_dword s10, s[0:1], 0x58
	s_load_dword s11, s[0:1], 0x70
	v_add_u32_e32 v8, s18, v137
	v_add_u32_e32 v30, s19, v138
	s_waitcnt lgkmcnt(0)
	s_lshl_b64 s[0:1], s[8:9], 3
	s_add_u32 s0, s2, s0
	s_addc_u32 s1, s3, s1
	v_add_u32_e32 v0, 8, v8
	v_mad_i64_i32 v[2:3], s[2:3], v30, s11, 0
	v_ashrrev_i32_e32 v9, 31, v8
	v_ashrrev_i32_e32 v1, 31, v0
	v_lshl_add_u64 v[24:25], v[2:3], 3, s[0:1]
	v_mad_i64_i32 v[2:3], s[2:3], v30, s10, 0
	v_max_f32_e32 v4, v143, v143
	s_mov_b64 vcc, s[4:5]
	s_cbranch_vccz .LBB124_22
; %bb.20:
	v_min_f32_e32 v5, 0, v4
	v_cvt_f64_f32_e32 v[6:7], v5
	v_lshl_add_u64 v[10:11], v[8:9], 3, v[24:25]
	global_store_dwordx2 v[10:11], v[6:7], off
	s_mov_b64 s[2:3], 0
	v_lshl_add_u64 v[26:27], v[2:3], 3, s[12:13]
	v_lshlrev_b64 v[12:13], 3, v[8:9]
	s_cbranch_execz .LBB124_23
; %bb.21:
	v_mov_b64_e32 v[4:5], s[2:3]
	s_branch .LBB124_24
.LBB124_22:
                                        ; implicit-def: $sgpr2_sgpr3
	v_lshl_add_u64 v[26:27], v[2:3], 3, s[12:13]
	v_lshlrev_b64 v[12:13], 3, v[8:9]
.LBB124_23:
	v_lshl_add_u64 v[2:3], v[26:27], 0, v[12:13]
	flat_load_dwordx2 v[2:3], v[2:3]
	v_lshl_add_u64 v[6:7], v[24:25], 0, v[12:13]
	s_waitcnt vmcnt(0) lgkmcnt(0)
	v_mul_f64 v[2:3], v[2:3], s[6:7]
	v_cvt_f32_f64_e32 v2, v[2:3]
	v_min_f32_e32 v2, v2, v4
	v_cvt_f64_f32_e32 v[2:3], v2
	global_store_dwordx2 v[6:7], v[2:3], off
	v_lshl_add_u64 v[2:3], v[0:1], 3, v[26:27]
	flat_load_dwordx2 v[2:3], v[2:3]
	s_waitcnt vmcnt(0) lgkmcnt(0)
	v_mul_f64 v[4:5], v[2:3], s[6:7]
.LBB124_24:
	v_cvt_f32_f64_e32 v4, v[4:5]
	v_max_f32_e32 v5, v142, v142
	v_min_f32_e32 v4, v4, v5
	v_add_u32_e32 v10, 16, v8
	v_add_u32_e32 v2, 24, v8
	v_cvt_f64_f32_e32 v[4:5], v4
	v_lshl_add_u64 v[6:7], v[0:1], 3, v[24:25]
	v_ashrrev_i32_e32 v11, 31, v10
	v_ashrrev_i32_e32 v3, 31, v2
	global_store_dwordx2 v[6:7], v[4:5], off
	v_max_f32_e32 v4, v141, v141
	s_mov_b64 vcc, s[4:5]
	s_cbranch_vccz .LBB124_27
; %bb.25:
	v_min_f32_e32 v5, 0, v4
	v_cvt_f64_f32_e32 v[6:7], v5
	v_lshl_add_u64 v[14:15], v[10:11], 3, v[24:25]
	global_store_dwordx2 v[14:15], v[6:7], off
	s_mov_b64 s[2:3], 0
	v_lshlrev_b64 v[16:17], 3, v[10:11]
	s_cbranch_execz .LBB124_28
; %bb.26:
	v_mov_b64_e32 v[6:7], s[2:3]
	s_branch .LBB124_29
.LBB124_27:
                                        ; implicit-def: $sgpr2_sgpr3
	v_lshlrev_b64 v[16:17], 3, v[10:11]
.LBB124_28:
	v_lshl_add_u64 v[6:7], v[26:27], 0, v[16:17]
	flat_load_dwordx2 v[6:7], v[6:7]
	v_lshl_add_u64 v[14:15], v[24:25], 0, v[16:17]
	s_waitcnt vmcnt(0) lgkmcnt(0)
	v_mul_f64 v[6:7], v[6:7], s[6:7]
	v_cvt_f32_f64_e32 v5, v[6:7]
	v_min_f32_e32 v4, v5, v4
	v_cvt_f64_f32_e32 v[4:5], v4
	global_store_dwordx2 v[14:15], v[4:5], off
	v_lshl_add_u64 v[4:5], v[2:3], 3, v[26:27]
	flat_load_dwordx2 v[4:5], v[4:5]
	s_waitcnt vmcnt(0) lgkmcnt(0)
	v_mul_f64 v[6:7], v[4:5], s[6:7]
.LBB124_29:
	v_cvt_f32_f64_e32 v6, v[6:7]
	v_max_f32_e32 v7, v140, v140
	v_min_f32_e32 v6, v6, v7
	v_add_u32_e32 v14, 32, v8
	v_add_u32_e32 v4, 40, v8
	v_cvt_f64_f32_e32 v[6:7], v6
	v_lshl_add_u64 v[18:19], v[2:3], 3, v[24:25]
	v_ashrrev_i32_e32 v15, 31, v14
	v_ashrrev_i32_e32 v5, 31, v4
	global_store_dwordx2 v[18:19], v[6:7], off
	v_max_f32_e32 v6, v139, v139
	s_mov_b64 vcc, s[4:5]
	s_cbranch_vccz .LBB124_32
; %bb.30:
	v_min_f32_e32 v7, 0, v6
	v_cvt_f64_f32_e32 v[18:19], v7
	v_lshl_add_u64 v[20:21], v[14:15], 3, v[24:25]
	global_store_dwordx2 v[20:21], v[18:19], off
	s_mov_b64 s[2:3], 0
	v_lshlrev_b64 v[20:21], 3, v[14:15]
	s_cbranch_execz .LBB124_33
; %bb.31:
	v_mov_b64_e32 v[22:23], s[2:3]
	s_branch .LBB124_34
.LBB124_32:
                                        ; implicit-def: $sgpr2_sgpr3
	v_lshlrev_b64 v[20:21], 3, v[14:15]
.LBB124_33:
	v_lshl_add_u64 v[18:19], v[26:27], 0, v[20:21]
	flat_load_dwordx2 v[18:19], v[18:19]
	v_lshl_add_u64 v[22:23], v[24:25], 0, v[20:21]
	s_waitcnt vmcnt(0) lgkmcnt(0)
	v_mul_f64 v[18:19], v[18:19], s[6:7]
	v_cvt_f32_f64_e32 v7, v[18:19]
	v_min_f32_e32 v6, v7, v6
	v_cvt_f64_f32_e32 v[6:7], v6
	global_store_dwordx2 v[22:23], v[6:7], off
	v_lshl_add_u64 v[6:7], v[4:5], 3, v[26:27]
	flat_load_dwordx2 v[6:7], v[6:7]
	s_waitcnt vmcnt(0) lgkmcnt(0)
	v_mul_f64 v[22:23], v[6:7], s[6:7]
.LBB124_34:
	v_cvt_f32_f64_e32 v22, v[22:23]
	v_max_f32_e32 v23, v136, v136
	v_min_f32_e32 v22, v22, v23
	v_add_u32_e32 v18, 48, v8
	v_add_u32_e32 v6, 56, v8
	v_cvt_f64_f32_e32 v[22:23], v22
	v_lshl_add_u64 v[28:29], v[4:5], 3, v[24:25]
	v_ashrrev_i32_e32 v19, 31, v18
	v_ashrrev_i32_e32 v7, 31, v6
	global_store_dwordx2 v[28:29], v[22:23], off
	v_max_f32_e32 v28, v135, v135
	s_mov_b64 vcc, s[4:5]
	s_cbranch_vccz .LBB124_37
; %bb.35:
	v_min_f32_e32 v22, 0, v28
	v_cvt_f64_f32_e32 v[22:23], v22
	v_lshl_add_u64 v[32:33], v[18:19], 3, v[24:25]
	global_store_dwordx2 v[32:33], v[22:23], off
	s_mov_b64 s[2:3], 0
	v_lshlrev_b64 v[22:23], 3, v[18:19]
	s_cbranch_execz .LBB124_38
; %bb.36:
	v_mov_b64_e32 v[26:27], s[2:3]
	s_branch .LBB124_39
.LBB124_37:
                                        ; implicit-def: $sgpr2_sgpr3
	v_lshlrev_b64 v[22:23], 3, v[18:19]
.LBB124_38:
	v_lshl_add_u64 v[32:33], v[26:27], 0, v[22:23]
	flat_load_dwordx2 v[32:33], v[32:33]
	v_lshl_add_u64 v[34:35], v[24:25], 0, v[22:23]
	v_lshl_add_u64 v[26:27], v[6:7], 3, v[26:27]
	s_waitcnt vmcnt(0) lgkmcnt(0)
	v_mul_f64 v[32:33], v[32:33], s[6:7]
	v_cvt_f32_f64_e32 v29, v[32:33]
	v_min_f32_e32 v28, v29, v28
	v_cvt_f64_f32_e32 v[28:29], v28
	global_store_dwordx2 v[34:35], v[28:29], off
	flat_load_dwordx2 v[26:27], v[26:27]
	s_waitcnt vmcnt(0) lgkmcnt(0)
	v_mul_f64 v[26:27], v[26:27], s[6:7]
.LBB124_39:
	v_cvt_f32_f64_e32 v26, v[26:27]
	v_max_f32_e32 v27, v134, v134
	v_min_f32_e32 v26, v26, v27
	v_cvt_f64_f32_e32 v[26:27], v26
	v_lshl_add_u64 v[24:25], v[6:7], 3, v[24:25]
	global_store_dwordx2 v[24:25], v[26:27], off
	v_add_u32_e32 v26, 32, v30
	v_mad_i64_i32 v[24:25], s[2:3], v26, s11, 0
	v_lshl_add_u64 v[24:25], v[24:25], 3, s[0:1]
	v_mad_i64_i32 v[26:27], s[2:3], v26, s10, 0
	v_max_f32_e32 v28, v133, v133
	s_mov_b64 vcc, s[4:5]
	s_cbranch_vccz .LBB124_42
; %bb.40:
	v_min_f32_e32 v29, 0, v28
	v_cvt_f64_f32_e32 v[32:33], v29
	v_lshl_add_u64 v[34:35], v[8:9], 3, v[24:25]
	global_store_dwordx2 v[34:35], v[32:33], off
	s_mov_b64 s[2:3], 0
	v_lshl_add_u64 v[26:27], v[26:27], 3, s[12:13]
	s_cbranch_execz .LBB124_43
; %bb.41:
	v_mov_b64_e32 v[28:29], s[2:3]
	s_branch .LBB124_44
.LBB124_42:
                                        ; implicit-def: $sgpr2_sgpr3
	v_lshl_add_u64 v[26:27], v[26:27], 3, s[12:13]
.LBB124_43:
	v_lshl_add_u64 v[32:33], v[26:27], 0, v[12:13]
	flat_load_dwordx2 v[32:33], v[32:33]
	v_lshl_add_u64 v[34:35], v[24:25], 0, v[12:13]
	s_waitcnt vmcnt(0) lgkmcnt(0)
	v_mul_f64 v[32:33], v[32:33], s[6:7]
	v_cvt_f32_f64_e32 v29, v[32:33]
	v_min_f32_e32 v28, v29, v28
	v_cvt_f64_f32_e32 v[28:29], v28
	global_store_dwordx2 v[34:35], v[28:29], off
	v_lshl_add_u64 v[28:29], v[0:1], 3, v[26:27]
	flat_load_dwordx2 v[28:29], v[28:29]
	s_waitcnt vmcnt(0) lgkmcnt(0)
	v_mul_f64 v[28:29], v[28:29], s[6:7]
.LBB124_44:
	v_cvt_f32_f64_e32 v28, v[28:29]
	v_max_f32_e32 v29, v132, v132
	v_min_f32_e32 v28, v28, v29
	v_cvt_f64_f32_e32 v[28:29], v28
	v_lshl_add_u64 v[32:33], v[0:1], 3, v[24:25]
	global_store_dwordx2 v[32:33], v[28:29], off
	v_max_f32_e32 v28, v131, v131
	s_mov_b64 vcc, s[4:5]
	s_cbranch_vccz .LBB124_47
; %bb.45:
	v_min_f32_e32 v29, 0, v28
	v_cvt_f64_f32_e32 v[32:33], v29
	v_lshl_add_u64 v[34:35], v[10:11], 3, v[24:25]
	global_store_dwordx2 v[34:35], v[32:33], off
	s_mov_b64 s[2:3], 0
	s_cbranch_execz .LBB124_48
; %bb.46:
	v_mov_b64_e32 v[28:29], s[2:3]
	s_branch .LBB124_49
.LBB124_47:
                                        ; implicit-def: $sgpr2_sgpr3
.LBB124_48:
	v_lshl_add_u64 v[32:33], v[26:27], 0, v[16:17]
	flat_load_dwordx2 v[32:33], v[32:33]
	v_lshl_add_u64 v[34:35], v[24:25], 0, v[16:17]
	s_waitcnt vmcnt(0) lgkmcnt(0)
	v_mul_f64 v[32:33], v[32:33], s[6:7]
	v_cvt_f32_f64_e32 v29, v[32:33]
	v_min_f32_e32 v28, v29, v28
	v_cvt_f64_f32_e32 v[28:29], v28
	global_store_dwordx2 v[34:35], v[28:29], off
	v_lshl_add_u64 v[28:29], v[2:3], 3, v[26:27]
	flat_load_dwordx2 v[28:29], v[28:29]
	s_waitcnt vmcnt(0) lgkmcnt(0)
	v_mul_f64 v[28:29], v[28:29], s[6:7]
.LBB124_49:
	v_cvt_f32_f64_e32 v28, v[28:29]
	v_max_f32_e32 v29, v130, v130
	v_min_f32_e32 v28, v28, v29
	v_cvt_f64_f32_e32 v[28:29], v28
	v_lshl_add_u64 v[32:33], v[2:3], 3, v[24:25]
	global_store_dwordx2 v[32:33], v[28:29], off
	v_max_f32_e32 v28, v129, v129
	s_mov_b64 vcc, s[4:5]
	s_cbranch_vccz .LBB124_52
; %bb.50:
	v_min_f32_e32 v29, 0, v28
	v_cvt_f64_f32_e32 v[32:33], v29
	v_lshl_add_u64 v[34:35], v[14:15], 3, v[24:25]
	global_store_dwordx2 v[34:35], v[32:33], off
	s_mov_b64 s[2:3], 0
	s_cbranch_execz .LBB124_53
; %bb.51:
	v_mov_b64_e32 v[28:29], s[2:3]
	s_branch .LBB124_54
.LBB124_52:
                                        ; implicit-def: $sgpr2_sgpr3
.LBB124_53:
	v_lshl_add_u64 v[32:33], v[26:27], 0, v[20:21]
	flat_load_dwordx2 v[32:33], v[32:33]
	v_lshl_add_u64 v[34:35], v[24:25], 0, v[20:21]
	s_waitcnt vmcnt(0) lgkmcnt(0)
	v_mul_f64 v[32:33], v[32:33], s[6:7]
	v_cvt_f32_f64_e32 v29, v[32:33]
	v_min_f32_e32 v28, v29, v28
	v_cvt_f64_f32_e32 v[28:29], v28
	global_store_dwordx2 v[34:35], v[28:29], off
	v_lshl_add_u64 v[28:29], v[4:5], 3, v[26:27]
	flat_load_dwordx2 v[28:29], v[28:29]
	s_waitcnt vmcnt(0) lgkmcnt(0)
	v_mul_f64 v[28:29], v[28:29], s[6:7]
.LBB124_54:
	v_cvt_f32_f64_e32 v28, v[28:29]
	v_max_f32_e32 v29, v128, v128
	v_min_f32_e32 v28, v28, v29
	v_cvt_f64_f32_e32 v[28:29], v28
	v_lshl_add_u64 v[32:33], v[4:5], 3, v[24:25]
	global_store_dwordx2 v[32:33], v[28:29], off
	v_max_f32_e32 v28, v127, v127
	s_mov_b64 vcc, s[4:5]
	s_cbranch_vccz .LBB124_57
; %bb.55:
	v_min_f32_e32 v29, 0, v28
	v_cvt_f64_f32_e32 v[32:33], v29
	v_lshl_add_u64 v[34:35], v[18:19], 3, v[24:25]
	global_store_dwordx2 v[34:35], v[32:33], off
	s_mov_b64 s[2:3], 0
	s_cbranch_execz .LBB124_58
; %bb.56:
	v_mov_b64_e32 v[26:27], s[2:3]
	s_branch .LBB124_59
.LBB124_57:
                                        ; implicit-def: $sgpr2_sgpr3
.LBB124_58:
	v_lshl_add_u64 v[32:33], v[26:27], 0, v[22:23]
	flat_load_dwordx2 v[32:33], v[32:33]
	v_lshl_add_u64 v[34:35], v[24:25], 0, v[22:23]
	v_lshl_add_u64 v[26:27], v[6:7], 3, v[26:27]
	s_waitcnt vmcnt(0) lgkmcnt(0)
	v_mul_f64 v[32:33], v[32:33], s[6:7]
	v_cvt_f32_f64_e32 v29, v[32:33]
	v_min_f32_e32 v28, v29, v28
	v_cvt_f64_f32_e32 v[28:29], v28
	global_store_dwordx2 v[34:35], v[28:29], off
	flat_load_dwordx2 v[26:27], v[26:27]
	s_waitcnt vmcnt(0) lgkmcnt(0)
	v_mul_f64 v[26:27], v[26:27], s[6:7]
.LBB124_59:
	v_cvt_f32_f64_e32 v26, v[26:27]
	v_max_f32_e32 v27, v126, v126
	v_min_f32_e32 v26, v26, v27
	v_cvt_f64_f32_e32 v[26:27], v26
	v_lshl_add_u64 v[24:25], v[6:7], 3, v[24:25]
	global_store_dwordx2 v[24:25], v[26:27], off
	v_add_u32_e32 v26, 64, v30
	v_mad_i64_i32 v[24:25], s[2:3], v26, s11, 0
	v_lshl_add_u64 v[24:25], v[24:25], 3, s[0:1]
	v_mad_i64_i32 v[26:27], s[2:3], v26, s10, 0
	v_max_f32_e32 v28, v125, v125
	s_mov_b64 vcc, s[4:5]
	s_cbranch_vccz .LBB124_62
; %bb.60:
	v_min_f32_e32 v29, 0, v28
	v_cvt_f64_f32_e32 v[32:33], v29
	v_lshl_add_u64 v[34:35], v[8:9], 3, v[24:25]
	global_store_dwordx2 v[34:35], v[32:33], off
	s_mov_b64 s[2:3], 0
	v_lshl_add_u64 v[26:27], v[26:27], 3, s[12:13]
	s_cbranch_execz .LBB124_63
; %bb.61:
	v_mov_b64_e32 v[28:29], s[2:3]
	s_branch .LBB124_64
.LBB124_62:
                                        ; implicit-def: $sgpr2_sgpr3
	v_lshl_add_u64 v[26:27], v[26:27], 3, s[12:13]
.LBB124_63:
	v_lshl_add_u64 v[32:33], v[26:27], 0, v[12:13]
	flat_load_dwordx2 v[32:33], v[32:33]
	v_lshl_add_u64 v[34:35], v[24:25], 0, v[12:13]
	s_waitcnt vmcnt(0) lgkmcnt(0)
	v_mul_f64 v[32:33], v[32:33], s[6:7]
	v_cvt_f32_f64_e32 v29, v[32:33]
	v_min_f32_e32 v28, v29, v28
	v_cvt_f64_f32_e32 v[28:29], v28
	global_store_dwordx2 v[34:35], v[28:29], off
	v_lshl_add_u64 v[28:29], v[0:1], 3, v[26:27]
	flat_load_dwordx2 v[28:29], v[28:29]
	s_waitcnt vmcnt(0) lgkmcnt(0)
	v_mul_f64 v[28:29], v[28:29], s[6:7]
.LBB124_64:
	v_cvt_f32_f64_e32 v28, v[28:29]
	v_max_f32_e32 v29, v124, v124
	v_min_f32_e32 v28, v28, v29
	v_cvt_f64_f32_e32 v[28:29], v28
	v_lshl_add_u64 v[32:33], v[0:1], 3, v[24:25]
	global_store_dwordx2 v[32:33], v[28:29], off
	v_max_f32_e32 v28, v123, v123
	s_mov_b64 vcc, s[4:5]
	s_cbranch_vccz .LBB124_67
; %bb.65:
	v_min_f32_e32 v29, 0, v28
	v_cvt_f64_f32_e32 v[32:33], v29
	v_lshl_add_u64 v[34:35], v[10:11], 3, v[24:25]
	global_store_dwordx2 v[34:35], v[32:33], off
	s_mov_b64 s[2:3], 0
	s_cbranch_execz .LBB124_68
; %bb.66:
	v_mov_b64_e32 v[28:29], s[2:3]
	s_branch .LBB124_69
.LBB124_67:
                                        ; implicit-def: $sgpr2_sgpr3
.LBB124_68:
	v_lshl_add_u64 v[32:33], v[26:27], 0, v[16:17]
	flat_load_dwordx2 v[32:33], v[32:33]
	v_lshl_add_u64 v[34:35], v[24:25], 0, v[16:17]
	s_waitcnt vmcnt(0) lgkmcnt(0)
	v_mul_f64 v[32:33], v[32:33], s[6:7]
	v_cvt_f32_f64_e32 v29, v[32:33]
	v_min_f32_e32 v28, v29, v28
	v_cvt_f64_f32_e32 v[28:29], v28
	global_store_dwordx2 v[34:35], v[28:29], off
	v_lshl_add_u64 v[28:29], v[2:3], 3, v[26:27]
	flat_load_dwordx2 v[28:29], v[28:29]
	s_waitcnt vmcnt(0) lgkmcnt(0)
	v_mul_f64 v[28:29], v[28:29], s[6:7]
.LBB124_69:
	v_cvt_f32_f64_e32 v28, v[28:29]
	v_max_f32_e32 v29, v122, v122
	v_min_f32_e32 v28, v28, v29
	v_cvt_f64_f32_e32 v[28:29], v28
	v_lshl_add_u64 v[32:33], v[2:3], 3, v[24:25]
	global_store_dwordx2 v[32:33], v[28:29], off
	v_max_f32_e32 v28, v121, v121
	s_mov_b64 vcc, s[4:5]
	s_cbranch_vccz .LBB124_72
; %bb.70:
	v_min_f32_e32 v29, 0, v28
	v_cvt_f64_f32_e32 v[32:33], v29
	v_lshl_add_u64 v[34:35], v[14:15], 3, v[24:25]
	global_store_dwordx2 v[34:35], v[32:33], off
	s_mov_b64 s[2:3], 0
	s_cbranch_execz .LBB124_73
; %bb.71:
	v_mov_b64_e32 v[28:29], s[2:3]
	s_branch .LBB124_74
.LBB124_72:
                                        ; implicit-def: $sgpr2_sgpr3
.LBB124_73:
	v_lshl_add_u64 v[32:33], v[26:27], 0, v[20:21]
	flat_load_dwordx2 v[32:33], v[32:33]
	v_lshl_add_u64 v[34:35], v[24:25], 0, v[20:21]
	s_waitcnt vmcnt(0) lgkmcnt(0)
	v_mul_f64 v[32:33], v[32:33], s[6:7]
	v_cvt_f32_f64_e32 v29, v[32:33]
	v_min_f32_e32 v28, v29, v28
	v_cvt_f64_f32_e32 v[28:29], v28
	global_store_dwordx2 v[34:35], v[28:29], off
	v_lshl_add_u64 v[28:29], v[4:5], 3, v[26:27]
	flat_load_dwordx2 v[28:29], v[28:29]
	s_waitcnt vmcnt(0) lgkmcnt(0)
	v_mul_f64 v[28:29], v[28:29], s[6:7]
.LBB124_74:
	v_cvt_f32_f64_e32 v28, v[28:29]
	v_max_f32_e32 v29, v120, v120
	v_min_f32_e32 v28, v28, v29
	v_cvt_f64_f32_e32 v[28:29], v28
	v_lshl_add_u64 v[32:33], v[4:5], 3, v[24:25]
	global_store_dwordx2 v[32:33], v[28:29], off
	v_max_f32_e32 v28, v119, v119
	s_mov_b64 vcc, s[4:5]
	s_cbranch_vccz .LBB124_77
; %bb.75:
	v_min_f32_e32 v29, 0, v28
	v_cvt_f64_f32_e32 v[32:33], v29
	v_lshl_add_u64 v[34:35], v[18:19], 3, v[24:25]
	global_store_dwordx2 v[34:35], v[32:33], off
	s_mov_b64 s[2:3], 0
	s_cbranch_execz .LBB124_78
; %bb.76:
	v_mov_b64_e32 v[26:27], s[2:3]
	s_branch .LBB124_79
.LBB124_77:
                                        ; implicit-def: $sgpr2_sgpr3
.LBB124_78:
	v_lshl_add_u64 v[32:33], v[26:27], 0, v[22:23]
	flat_load_dwordx2 v[32:33], v[32:33]
	v_lshl_add_u64 v[34:35], v[24:25], 0, v[22:23]
	v_lshl_add_u64 v[26:27], v[6:7], 3, v[26:27]
	s_waitcnt vmcnt(0) lgkmcnt(0)
	v_mul_f64 v[32:33], v[32:33], s[6:7]
	v_cvt_f32_f64_e32 v29, v[32:33]
	v_min_f32_e32 v28, v29, v28
	v_cvt_f64_f32_e32 v[28:29], v28
	global_store_dwordx2 v[34:35], v[28:29], off
	flat_load_dwordx2 v[26:27], v[26:27]
	s_waitcnt vmcnt(0) lgkmcnt(0)
	v_mul_f64 v[26:27], v[26:27], s[6:7]
.LBB124_79:
	v_cvt_f32_f64_e32 v26, v[26:27]
	v_max_f32_e32 v27, v118, v118
	v_min_f32_e32 v26, v26, v27
	v_cvt_f64_f32_e32 v[26:27], v26
	v_lshl_add_u64 v[24:25], v[6:7], 3, v[24:25]
	global_store_dwordx2 v[24:25], v[26:27], off
	v_add_u32_e32 v26, 0x60, v30
	v_mad_i64_i32 v[24:25], s[2:3], v26, s11, 0
	v_lshl_add_u64 v[24:25], v[24:25], 3, s[0:1]
	v_mad_i64_i32 v[26:27], s[2:3], v26, s10, 0
	v_max_f32_e32 v28, v117, v117
	s_mov_b64 vcc, s[4:5]
	s_cbranch_vccz .LBB124_82
; %bb.80:
	v_min_f32_e32 v29, 0, v28
	v_cvt_f64_f32_e32 v[32:33], v29
	v_lshl_add_u64 v[34:35], v[8:9], 3, v[24:25]
	global_store_dwordx2 v[34:35], v[32:33], off
	s_mov_b64 s[2:3], 0
	v_lshl_add_u64 v[26:27], v[26:27], 3, s[12:13]
	s_cbranch_execz .LBB124_83
; %bb.81:
	v_mov_b64_e32 v[28:29], s[2:3]
	s_branch .LBB124_84
.LBB124_82:
                                        ; implicit-def: $sgpr2_sgpr3
	v_lshl_add_u64 v[26:27], v[26:27], 3, s[12:13]
.LBB124_83:
	v_lshl_add_u64 v[32:33], v[26:27], 0, v[12:13]
	flat_load_dwordx2 v[32:33], v[32:33]
	v_lshl_add_u64 v[34:35], v[24:25], 0, v[12:13]
	s_waitcnt vmcnt(0) lgkmcnt(0)
	v_mul_f64 v[32:33], v[32:33], s[6:7]
	v_cvt_f32_f64_e32 v29, v[32:33]
	v_min_f32_e32 v28, v29, v28
	v_cvt_f64_f32_e32 v[28:29], v28
	global_store_dwordx2 v[34:35], v[28:29], off
	v_lshl_add_u64 v[28:29], v[0:1], 3, v[26:27]
	flat_load_dwordx2 v[28:29], v[28:29]
	s_waitcnt vmcnt(0) lgkmcnt(0)
	v_mul_f64 v[28:29], v[28:29], s[6:7]
.LBB124_84:
	v_cvt_f32_f64_e32 v28, v[28:29]
	v_max_f32_e32 v29, v116, v116
	v_min_f32_e32 v28, v28, v29
	v_cvt_f64_f32_e32 v[28:29], v28
	v_lshl_add_u64 v[32:33], v[0:1], 3, v[24:25]
	global_store_dwordx2 v[32:33], v[28:29], off
	v_max_f32_e32 v28, v115, v115
	s_mov_b64 vcc, s[4:5]
	s_cbranch_vccz .LBB124_87
; %bb.85:
	v_min_f32_e32 v29, 0, v28
	v_cvt_f64_f32_e32 v[32:33], v29
	v_lshl_add_u64 v[34:35], v[10:11], 3, v[24:25]
	global_store_dwordx2 v[34:35], v[32:33], off
	s_mov_b64 s[2:3], 0
	s_cbranch_execz .LBB124_88
; %bb.86:
	v_mov_b64_e32 v[28:29], s[2:3]
	s_branch .LBB124_89
.LBB124_87:
                                        ; implicit-def: $sgpr2_sgpr3
.LBB124_88:
	v_lshl_add_u64 v[32:33], v[26:27], 0, v[16:17]
	flat_load_dwordx2 v[32:33], v[32:33]
	v_lshl_add_u64 v[34:35], v[24:25], 0, v[16:17]
	s_waitcnt vmcnt(0) lgkmcnt(0)
	v_mul_f64 v[32:33], v[32:33], s[6:7]
	v_cvt_f32_f64_e32 v29, v[32:33]
	v_min_f32_e32 v28, v29, v28
	v_cvt_f64_f32_e32 v[28:29], v28
	global_store_dwordx2 v[34:35], v[28:29], off
	v_lshl_add_u64 v[28:29], v[2:3], 3, v[26:27]
	flat_load_dwordx2 v[28:29], v[28:29]
	s_waitcnt vmcnt(0) lgkmcnt(0)
	v_mul_f64 v[28:29], v[28:29], s[6:7]
.LBB124_89:
	v_cvt_f32_f64_e32 v28, v[28:29]
	v_max_f32_e32 v29, v114, v114
	v_min_f32_e32 v28, v28, v29
	v_cvt_f64_f32_e32 v[28:29], v28
	v_lshl_add_u64 v[32:33], v[2:3], 3, v[24:25]
	global_store_dwordx2 v[32:33], v[28:29], off
	v_max_f32_e32 v28, v113, v113
	s_mov_b64 vcc, s[4:5]
	s_cbranch_vccz .LBB124_92
; %bb.90:
	v_min_f32_e32 v29, 0, v28
	v_cvt_f64_f32_e32 v[32:33], v29
	v_lshl_add_u64 v[34:35], v[14:15], 3, v[24:25]
	global_store_dwordx2 v[34:35], v[32:33], off
	s_mov_b64 s[2:3], 0
	s_cbranch_execz .LBB124_93
; %bb.91:
	v_mov_b64_e32 v[28:29], s[2:3]
	s_branch .LBB124_94
.LBB124_92:
                                        ; implicit-def: $sgpr2_sgpr3
.LBB124_93:
	v_lshl_add_u64 v[32:33], v[26:27], 0, v[20:21]
	flat_load_dwordx2 v[32:33], v[32:33]
	v_lshl_add_u64 v[34:35], v[24:25], 0, v[20:21]
	s_waitcnt vmcnt(0) lgkmcnt(0)
	v_mul_f64 v[32:33], v[32:33], s[6:7]
	v_cvt_f32_f64_e32 v29, v[32:33]
	v_min_f32_e32 v28, v29, v28
	v_cvt_f64_f32_e32 v[28:29], v28
	global_store_dwordx2 v[34:35], v[28:29], off
	v_lshl_add_u64 v[28:29], v[4:5], 3, v[26:27]
	flat_load_dwordx2 v[28:29], v[28:29]
	s_waitcnt vmcnt(0) lgkmcnt(0)
	v_mul_f64 v[28:29], v[28:29], s[6:7]
.LBB124_94:
	v_cvt_f32_f64_e32 v28, v[28:29]
	v_max_f32_e32 v29, v112, v112
	v_min_f32_e32 v28, v28, v29
	v_cvt_f64_f32_e32 v[28:29], v28
	v_lshl_add_u64 v[32:33], v[4:5], 3, v[24:25]
	global_store_dwordx2 v[32:33], v[28:29], off
	v_max_f32_e32 v28, v111, v111
	s_mov_b64 vcc, s[4:5]
	s_cbranch_vccz .LBB124_97
; %bb.95:
	v_min_f32_e32 v29, 0, v28
	v_cvt_f64_f32_e32 v[32:33], v29
	v_lshl_add_u64 v[34:35], v[18:19], 3, v[24:25]
	global_store_dwordx2 v[34:35], v[32:33], off
	s_mov_b64 s[2:3], 0
	s_cbranch_execz .LBB124_98
; %bb.96:
	v_mov_b64_e32 v[26:27], s[2:3]
	s_branch .LBB124_99
.LBB124_97:
                                        ; implicit-def: $sgpr2_sgpr3
.LBB124_98:
	v_lshl_add_u64 v[32:33], v[26:27], 0, v[22:23]
	flat_load_dwordx2 v[32:33], v[32:33]
	v_lshl_add_u64 v[34:35], v[24:25], 0, v[22:23]
	v_lshl_add_u64 v[26:27], v[6:7], 3, v[26:27]
	s_waitcnt vmcnt(0) lgkmcnt(0)
	v_mul_f64 v[32:33], v[32:33], s[6:7]
	v_cvt_f32_f64_e32 v29, v[32:33]
	v_min_f32_e32 v28, v29, v28
	v_cvt_f64_f32_e32 v[28:29], v28
	global_store_dwordx2 v[34:35], v[28:29], off
	flat_load_dwordx2 v[26:27], v[26:27]
	s_waitcnt vmcnt(0) lgkmcnt(0)
	v_mul_f64 v[26:27], v[26:27], s[6:7]
.LBB124_99:
	v_cvt_f32_f64_e32 v26, v[26:27]
	v_max_f32_e32 v27, v110, v110
	v_min_f32_e32 v26, v26, v27
	v_cvt_f64_f32_e32 v[26:27], v26
	v_lshl_add_u64 v[24:25], v[6:7], 3, v[24:25]
	global_store_dwordx2 v[24:25], v[26:27], off
	v_add_u32_e32 v26, 0x80, v30
	v_mad_i64_i32 v[24:25], s[2:3], v26, s11, 0
	v_lshl_add_u64 v[24:25], v[24:25], 3, s[0:1]
	v_mad_i64_i32 v[26:27], s[2:3], v26, s10, 0
	v_max_f32_e32 v28, v109, v109
	s_mov_b64 vcc, s[4:5]
	s_cbranch_vccz .LBB124_102
; %bb.100:
	v_min_f32_e32 v29, 0, v28
	v_cvt_f64_f32_e32 v[32:33], v29
	v_lshl_add_u64 v[34:35], v[8:9], 3, v[24:25]
	global_store_dwordx2 v[34:35], v[32:33], off
	s_mov_b64 s[2:3], 0
	v_lshl_add_u64 v[26:27], v[26:27], 3, s[12:13]
	s_cbranch_execz .LBB124_103
; %bb.101:
	v_mov_b64_e32 v[28:29], s[2:3]
	s_branch .LBB124_104
.LBB124_102:
                                        ; implicit-def: $sgpr2_sgpr3
	v_lshl_add_u64 v[26:27], v[26:27], 3, s[12:13]
.LBB124_103:
	v_lshl_add_u64 v[32:33], v[26:27], 0, v[12:13]
	flat_load_dwordx2 v[32:33], v[32:33]
	v_lshl_add_u64 v[34:35], v[24:25], 0, v[12:13]
	s_waitcnt vmcnt(0) lgkmcnt(0)
	v_mul_f64 v[32:33], v[32:33], s[6:7]
	v_cvt_f32_f64_e32 v29, v[32:33]
	v_min_f32_e32 v28, v29, v28
	v_cvt_f64_f32_e32 v[28:29], v28
	global_store_dwordx2 v[34:35], v[28:29], off
	v_lshl_add_u64 v[28:29], v[0:1], 3, v[26:27]
	flat_load_dwordx2 v[28:29], v[28:29]
	s_waitcnt vmcnt(0) lgkmcnt(0)
	v_mul_f64 v[28:29], v[28:29], s[6:7]
.LBB124_104:
	v_cvt_f32_f64_e32 v28, v[28:29]
	v_max_f32_e32 v29, v108, v108
	v_min_f32_e32 v28, v28, v29
	v_cvt_f64_f32_e32 v[28:29], v28
	v_lshl_add_u64 v[32:33], v[0:1], 3, v[24:25]
	global_store_dwordx2 v[32:33], v[28:29], off
	v_max_f32_e32 v28, v107, v107
	s_mov_b64 vcc, s[4:5]
	s_cbranch_vccz .LBB124_107
; %bb.105:
	v_min_f32_e32 v29, 0, v28
	v_cvt_f64_f32_e32 v[32:33], v29
	v_lshl_add_u64 v[34:35], v[10:11], 3, v[24:25]
	global_store_dwordx2 v[34:35], v[32:33], off
	s_mov_b64 s[2:3], 0
	s_cbranch_execz .LBB124_108
; %bb.106:
	v_mov_b64_e32 v[28:29], s[2:3]
	s_branch .LBB124_109
.LBB124_107:
                                        ; implicit-def: $sgpr2_sgpr3
.LBB124_108:
	v_lshl_add_u64 v[32:33], v[26:27], 0, v[16:17]
	flat_load_dwordx2 v[32:33], v[32:33]
	v_lshl_add_u64 v[34:35], v[24:25], 0, v[16:17]
	s_waitcnt vmcnt(0) lgkmcnt(0)
	v_mul_f64 v[32:33], v[32:33], s[6:7]
	v_cvt_f32_f64_e32 v29, v[32:33]
	v_min_f32_e32 v28, v29, v28
	v_cvt_f64_f32_e32 v[28:29], v28
	global_store_dwordx2 v[34:35], v[28:29], off
	v_lshl_add_u64 v[28:29], v[2:3], 3, v[26:27]
	flat_load_dwordx2 v[28:29], v[28:29]
	s_waitcnt vmcnt(0) lgkmcnt(0)
	v_mul_f64 v[28:29], v[28:29], s[6:7]
.LBB124_109:
	v_cvt_f32_f64_e32 v28, v[28:29]
	v_max_f32_e32 v29, v106, v106
	v_min_f32_e32 v28, v28, v29
	v_cvt_f64_f32_e32 v[28:29], v28
	v_lshl_add_u64 v[32:33], v[2:3], 3, v[24:25]
	global_store_dwordx2 v[32:33], v[28:29], off
	v_max_f32_e32 v28, v105, v105
	s_mov_b64 vcc, s[4:5]
	s_cbranch_vccz .LBB124_112
; %bb.110:
	v_min_f32_e32 v29, 0, v28
	v_cvt_f64_f32_e32 v[32:33], v29
	v_lshl_add_u64 v[34:35], v[14:15], 3, v[24:25]
	global_store_dwordx2 v[34:35], v[32:33], off
	s_mov_b64 s[2:3], 0
	s_cbranch_execz .LBB124_113
; %bb.111:
	v_mov_b64_e32 v[28:29], s[2:3]
	s_branch .LBB124_114
.LBB124_112:
                                        ; implicit-def: $sgpr2_sgpr3
.LBB124_113:
	v_lshl_add_u64 v[32:33], v[26:27], 0, v[20:21]
	flat_load_dwordx2 v[32:33], v[32:33]
	v_lshl_add_u64 v[34:35], v[24:25], 0, v[20:21]
	s_waitcnt vmcnt(0) lgkmcnt(0)
	v_mul_f64 v[32:33], v[32:33], s[6:7]
	v_cvt_f32_f64_e32 v29, v[32:33]
	v_min_f32_e32 v28, v29, v28
	v_cvt_f64_f32_e32 v[28:29], v28
	global_store_dwordx2 v[34:35], v[28:29], off
	v_lshl_add_u64 v[28:29], v[4:5], 3, v[26:27]
	flat_load_dwordx2 v[28:29], v[28:29]
	s_waitcnt vmcnt(0) lgkmcnt(0)
	v_mul_f64 v[28:29], v[28:29], s[6:7]
.LBB124_114:
	v_cvt_f32_f64_e32 v28, v[28:29]
	v_max_f32_e32 v29, v104, v104
	v_min_f32_e32 v28, v28, v29
	v_cvt_f64_f32_e32 v[28:29], v28
	v_lshl_add_u64 v[32:33], v[4:5], 3, v[24:25]
	global_store_dwordx2 v[32:33], v[28:29], off
	v_max_f32_e32 v28, v103, v103
	s_mov_b64 vcc, s[4:5]
	s_cbranch_vccz .LBB124_117
; %bb.115:
	v_min_f32_e32 v29, 0, v28
	v_cvt_f64_f32_e32 v[32:33], v29
	v_lshl_add_u64 v[34:35], v[18:19], 3, v[24:25]
	global_store_dwordx2 v[34:35], v[32:33], off
	s_mov_b64 s[2:3], 0
	s_cbranch_execz .LBB124_118
; %bb.116:
	v_mov_b64_e32 v[26:27], s[2:3]
	s_branch .LBB124_119
.LBB124_117:
                                        ; implicit-def: $sgpr2_sgpr3
.LBB124_118:
	v_lshl_add_u64 v[32:33], v[26:27], 0, v[22:23]
	flat_load_dwordx2 v[32:33], v[32:33]
	v_lshl_add_u64 v[34:35], v[24:25], 0, v[22:23]
	v_lshl_add_u64 v[26:27], v[6:7], 3, v[26:27]
	s_waitcnt vmcnt(0) lgkmcnt(0)
	v_mul_f64 v[32:33], v[32:33], s[6:7]
	v_cvt_f32_f64_e32 v29, v[32:33]
	v_min_f32_e32 v28, v29, v28
	v_cvt_f64_f32_e32 v[28:29], v28
	global_store_dwordx2 v[34:35], v[28:29], off
	flat_load_dwordx2 v[26:27], v[26:27]
	s_waitcnt vmcnt(0) lgkmcnt(0)
	v_mul_f64 v[26:27], v[26:27], s[6:7]
.LBB124_119:
	v_cvt_f32_f64_e32 v26, v[26:27]
	v_max_f32_e32 v27, v102, v102
	v_min_f32_e32 v26, v26, v27
	v_cvt_f64_f32_e32 v[26:27], v26
	v_lshl_add_u64 v[24:25], v[6:7], 3, v[24:25]
	global_store_dwordx2 v[24:25], v[26:27], off
	v_add_u32_e32 v26, 0xa0, v30
	v_mad_i64_i32 v[24:25], s[2:3], v26, s11, 0
	v_lshl_add_u64 v[24:25], v[24:25], 3, s[0:1]
	v_mad_i64_i32 v[26:27], s[2:3], v26, s10, 0
	v_max_f32_e32 v28, v101, v101
	s_mov_b64 vcc, s[4:5]
	s_cbranch_vccz .LBB124_122
; %bb.120:
	v_min_f32_e32 v29, 0, v28
	v_cvt_f64_f32_e32 v[32:33], v29
	v_lshl_add_u64 v[34:35], v[8:9], 3, v[24:25]
	global_store_dwordx2 v[34:35], v[32:33], off
	s_mov_b64 s[2:3], 0
	v_lshl_add_u64 v[26:27], v[26:27], 3, s[12:13]
	s_cbranch_execz .LBB124_123
; %bb.121:
	v_mov_b64_e32 v[28:29], s[2:3]
	s_branch .LBB124_124
.LBB124_122:
                                        ; implicit-def: $sgpr2_sgpr3
	v_lshl_add_u64 v[26:27], v[26:27], 3, s[12:13]
.LBB124_123:
	v_lshl_add_u64 v[32:33], v[26:27], 0, v[12:13]
	flat_load_dwordx2 v[32:33], v[32:33]
	v_lshl_add_u64 v[34:35], v[24:25], 0, v[12:13]
	s_waitcnt vmcnt(0) lgkmcnt(0)
	v_mul_f64 v[32:33], v[32:33], s[6:7]
	v_cvt_f32_f64_e32 v29, v[32:33]
	v_min_f32_e32 v28, v29, v28
	v_cvt_f64_f32_e32 v[28:29], v28
	global_store_dwordx2 v[34:35], v[28:29], off
	v_lshl_add_u64 v[28:29], v[0:1], 3, v[26:27]
	flat_load_dwordx2 v[28:29], v[28:29]
	s_waitcnt vmcnt(0) lgkmcnt(0)
	v_mul_f64 v[28:29], v[28:29], s[6:7]
.LBB124_124:
	v_cvt_f32_f64_e32 v28, v[28:29]
	v_max_f32_e32 v29, v100, v100
	v_min_f32_e32 v28, v28, v29
	v_cvt_f64_f32_e32 v[28:29], v28
	v_lshl_add_u64 v[32:33], v[0:1], 3, v[24:25]
	global_store_dwordx2 v[32:33], v[28:29], off
	v_max_f32_e32 v28, v99, v99
	s_mov_b64 vcc, s[4:5]
	s_cbranch_vccz .LBB124_127
; %bb.125:
	v_min_f32_e32 v29, 0, v28
	v_cvt_f64_f32_e32 v[32:33], v29
	v_lshl_add_u64 v[34:35], v[10:11], 3, v[24:25]
	s_mov_b32 s8, 0
	global_store_dwordx2 v[34:35], v[32:33], off
	s_cbranch_execz .LBB124_128
; %bb.126:
	v_mov_b32_e32 v28, s8
	s_branch .LBB124_129
.LBB124_127:
                                        ; implicit-def: $sgpr8
.LBB124_128:
	v_lshl_add_u64 v[32:33], v[26:27], 0, v[16:17]
	flat_load_dwordx2 v[32:33], v[32:33]
	v_lshl_add_u64 v[34:35], v[24:25], 0, v[16:17]
	s_waitcnt vmcnt(0) lgkmcnt(0)
	v_mul_f64 v[32:33], v[32:33], s[6:7]
	v_cvt_f32_f64_e32 v29, v[32:33]
	v_min_f32_e32 v28, v29, v28
	v_cvt_f64_f32_e32 v[28:29], v28
	global_store_dwordx2 v[34:35], v[28:29], off
	v_lshl_add_u64 v[28:29], v[2:3], 3, v[26:27]
	flat_load_dwordx2 v[28:29], v[28:29]
	s_waitcnt vmcnt(0) lgkmcnt(0)
	v_mul_f64 v[28:29], v[28:29], s[6:7]
	v_cvt_f32_f64_e32 v28, v[28:29]
.LBB124_129:
	v_max_f32_e32 v29, v98, v98
	v_max_f32_e32 v28, v28, v28
	v_min_f32_e32 v28, v28, v29
	v_cvt_f64_f32_e32 v[28:29], v28
	v_lshl_add_u64 v[32:33], v[2:3], 3, v[24:25]
	global_store_dwordx2 v[32:33], v[28:29], off
	v_max_f32_e32 v28, v97, v97
	s_mov_b64 vcc, s[4:5]
	s_cbranch_vccz .LBB124_132
; %bb.130:
	v_min_f32_e32 v29, 0, v28
	v_cvt_f64_f32_e32 v[32:33], v29
	v_lshl_add_u64 v[34:35], v[14:15], 3, v[24:25]
	s_mov_b32 s8, 0
	global_store_dwordx2 v[34:35], v[32:33], off
	s_cbranch_execz .LBB124_133
; %bb.131:
	v_mov_b32_e32 v28, s8
	s_branch .LBB124_134
.LBB124_132:
                                        ; implicit-def: $sgpr8
.LBB124_133:
	v_lshl_add_u64 v[32:33], v[26:27], 0, v[20:21]
	flat_load_dwordx2 v[32:33], v[32:33]
	v_lshl_add_u64 v[34:35], v[24:25], 0, v[20:21]
	s_waitcnt vmcnt(0) lgkmcnt(0)
	v_mul_f64 v[32:33], v[32:33], s[6:7]
	v_cvt_f32_f64_e32 v29, v[32:33]
	v_min_f32_e32 v28, v29, v28
	v_cvt_f64_f32_e32 v[28:29], v28
	global_store_dwordx2 v[34:35], v[28:29], off
	v_lshl_add_u64 v[28:29], v[4:5], 3, v[26:27]
	flat_load_dwordx2 v[28:29], v[28:29]
	s_waitcnt vmcnt(0) lgkmcnt(0)
	v_mul_f64 v[28:29], v[28:29], s[6:7]
	v_cvt_f32_f64_e32 v28, v[28:29]
.LBB124_134:
	v_max_f32_e32 v29, v96, v96
	v_max_f32_e32 v28, v28, v28
	v_min_f32_e32 v28, v28, v29
	v_cvt_f64_f32_e32 v[28:29], v28
	v_lshl_add_u64 v[32:33], v[4:5], 3, v[24:25]
	global_store_dwordx2 v[32:33], v[28:29], off
	v_max_f32_e32 v28, v95, v95
	s_mov_b64 vcc, s[4:5]
	s_cbranch_vccz .LBB124_137
; %bb.135:
	v_min_f32_e32 v29, 0, v28
	v_cvt_f64_f32_e32 v[32:33], v29
	v_lshl_add_u64 v[34:35], v[18:19], 3, v[24:25]
	s_mov_b32 s8, 0
	global_store_dwordx2 v[34:35], v[32:33], off
	s_cbranch_execz .LBB124_138
; %bb.136:
	v_mov_b32_e32 v26, s8
	s_branch .LBB124_139
.LBB124_137:
                                        ; implicit-def: $sgpr8
.LBB124_138:
	v_lshl_add_u64 v[32:33], v[26:27], 0, v[22:23]
	flat_load_dwordx2 v[32:33], v[32:33]
	v_lshl_add_u64 v[34:35], v[24:25], 0, v[22:23]
	v_lshl_add_u64 v[26:27], v[6:7], 3, v[26:27]
	s_waitcnt vmcnt(0) lgkmcnt(0)
	v_mul_f64 v[32:33], v[32:33], s[6:7]
	v_cvt_f32_f64_e32 v29, v[32:33]
	v_min_f32_e32 v28, v29, v28
	v_cvt_f64_f32_e32 v[28:29], v28
	global_store_dwordx2 v[34:35], v[28:29], off
	flat_load_dwordx2 v[26:27], v[26:27]
	s_waitcnt vmcnt(0) lgkmcnt(0)
	v_mul_f64 v[26:27], v[26:27], s[6:7]
	v_cvt_f32_f64_e32 v26, v[26:27]
.LBB124_139:
	v_max_f32_e32 v27, v94, v94
	v_max_f32_e32 v26, v26, v26
	v_min_f32_e32 v26, v26, v27
	v_cvt_f64_f32_e32 v[26:27], v26
	v_lshl_add_u64 v[24:25], v[6:7], 3, v[24:25]
	global_store_dwordx2 v[24:25], v[26:27], off
	v_add_u32_e32 v26, 0xc0, v30
	v_mad_i64_i32 v[24:25], s[2:3], v26, s11, 0
	v_lshl_add_u64 v[24:25], v[24:25], 3, s[0:1]
	v_mad_i64_i32 v[26:27], s[2:3], v26, s10, 0
	v_max_f32_e32 v28, v93, v93
	s_mov_b64 vcc, s[4:5]
	s_cbranch_vccz .LBB124_142
; %bb.140:
	v_min_f32_e32 v29, 0, v28
	v_cvt_f64_f32_e32 v[32:33], v29
	v_lshl_add_u64 v[34:35], v[8:9], 3, v[24:25]
	s_mov_b32 s8, 0
	global_store_dwordx2 v[34:35], v[32:33], off
	v_lshl_add_u64 v[26:27], v[26:27], 3, s[12:13]
	s_cbranch_execz .LBB124_143
; %bb.141:
	v_mov_b32_e32 v28, s8
	s_branch .LBB124_144
.LBB124_142:
                                        ; implicit-def: $sgpr8
	v_lshl_add_u64 v[26:27], v[26:27], 3, s[12:13]
.LBB124_143:
	v_lshl_add_u64 v[32:33], v[26:27], 0, v[12:13]
	flat_load_dwordx2 v[32:33], v[32:33]
	v_lshl_add_u64 v[34:35], v[24:25], 0, v[12:13]
	s_waitcnt vmcnt(0) lgkmcnt(0)
	v_mul_f64 v[32:33], v[32:33], s[6:7]
	v_cvt_f32_f64_e32 v29, v[32:33]
	v_min_f32_e32 v28, v29, v28
	v_cvt_f64_f32_e32 v[28:29], v28
	global_store_dwordx2 v[34:35], v[28:29], off
	v_lshl_add_u64 v[28:29], v[0:1], 3, v[26:27]
	flat_load_dwordx2 v[28:29], v[28:29]
	s_waitcnt vmcnt(0) lgkmcnt(0)
	v_mul_f64 v[28:29], v[28:29], s[6:7]
	v_cvt_f32_f64_e32 v28, v[28:29]
.LBB124_144:
	v_max_f32_e32 v29, v92, v92
	v_max_f32_e32 v28, v28, v28
	v_min_f32_e32 v28, v28, v29
	v_cvt_f64_f32_e32 v[28:29], v28
	v_lshl_add_u64 v[32:33], v[0:1], 3, v[24:25]
	global_store_dwordx2 v[32:33], v[28:29], off
	v_max_f32_e32 v28, v91, v91
	s_mov_b64 vcc, s[4:5]
	s_cbranch_vccz .LBB124_147
; %bb.145:
	v_min_f32_e32 v29, 0, v28
	v_cvt_f64_f32_e32 v[32:33], v29
	v_lshl_add_u64 v[34:35], v[10:11], 3, v[24:25]
	s_mov_b32 s8, 0
	global_store_dwordx2 v[34:35], v[32:33], off
	s_cbranch_execz .LBB124_148
; %bb.146:
	v_mov_b32_e32 v28, s8
	s_branch .LBB124_149
.LBB124_147:
                                        ; implicit-def: $sgpr8
.LBB124_148:
	v_lshl_add_u64 v[32:33], v[26:27], 0, v[16:17]
	flat_load_dwordx2 v[32:33], v[32:33]
	v_lshl_add_u64 v[34:35], v[24:25], 0, v[16:17]
	s_waitcnt vmcnt(0) lgkmcnt(0)
	v_mul_f64 v[32:33], v[32:33], s[6:7]
	v_cvt_f32_f64_e32 v29, v[32:33]
	v_min_f32_e32 v28, v29, v28
	v_cvt_f64_f32_e32 v[28:29], v28
	global_store_dwordx2 v[34:35], v[28:29], off
	v_lshl_add_u64 v[28:29], v[2:3], 3, v[26:27]
	flat_load_dwordx2 v[28:29], v[28:29]
	s_waitcnt vmcnt(0) lgkmcnt(0)
	v_mul_f64 v[28:29], v[28:29], s[6:7]
	v_cvt_f32_f64_e32 v28, v[28:29]
.LBB124_149:
	v_max_f32_e32 v29, v90, v90
	v_max_f32_e32 v28, v28, v28
	v_min_f32_e32 v28, v28, v29
	v_cvt_f64_f32_e32 v[28:29], v28
	v_lshl_add_u64 v[32:33], v[2:3], 3, v[24:25]
	global_store_dwordx2 v[32:33], v[28:29], off
	v_max_f32_e32 v28, v89, v89
	s_mov_b64 vcc, s[4:5]
	s_cbranch_vccz .LBB124_152
; %bb.150:
	v_min_f32_e32 v29, 0, v28
	v_cvt_f64_f32_e32 v[32:33], v29
	v_lshl_add_u64 v[34:35], v[14:15], 3, v[24:25]
	s_mov_b32 s8, 0
	global_store_dwordx2 v[34:35], v[32:33], off
	s_cbranch_execz .LBB124_153
; %bb.151:
	v_mov_b32_e32 v28, s8
	s_branch .LBB124_154
.LBB124_152:
                                        ; implicit-def: $sgpr8
.LBB124_153:
	v_lshl_add_u64 v[32:33], v[26:27], 0, v[20:21]
	flat_load_dwordx2 v[32:33], v[32:33]
	v_lshl_add_u64 v[34:35], v[24:25], 0, v[20:21]
	s_waitcnt vmcnt(0) lgkmcnt(0)
	v_mul_f64 v[32:33], v[32:33], s[6:7]
	v_cvt_f32_f64_e32 v29, v[32:33]
	v_min_f32_e32 v28, v29, v28
	v_cvt_f64_f32_e32 v[28:29], v28
	global_store_dwordx2 v[34:35], v[28:29], off
	v_lshl_add_u64 v[28:29], v[4:5], 3, v[26:27]
	flat_load_dwordx2 v[28:29], v[28:29]
	s_waitcnt vmcnt(0) lgkmcnt(0)
	v_mul_f64 v[28:29], v[28:29], s[6:7]
	v_cvt_f32_f64_e32 v28, v[28:29]
.LBB124_154:
	v_max_f32_e32 v29, v88, v88
	v_max_f32_e32 v28, v28, v28
	v_min_f32_e32 v28, v28, v29
	v_cvt_f64_f32_e32 v[28:29], v28
	v_lshl_add_u64 v[32:33], v[4:5], 3, v[24:25]
	global_store_dwordx2 v[32:33], v[28:29], off
	v_max_f32_e32 v28, v87, v87
	s_mov_b64 vcc, s[4:5]
	s_cbranch_vccz .LBB124_157
; %bb.155:
	v_min_f32_e32 v29, 0, v28
	v_cvt_f64_f32_e32 v[32:33], v29
	v_lshl_add_u64 v[34:35], v[18:19], 3, v[24:25]
	s_mov_b32 s8, 0
	global_store_dwordx2 v[34:35], v[32:33], off
	s_cbranch_execz .LBB124_158
; %bb.156:
	v_mov_b32_e32 v26, s8
	s_branch .LBB124_159
.LBB124_157:
                                        ; implicit-def: $sgpr8
.LBB124_158:
	v_lshl_add_u64 v[32:33], v[26:27], 0, v[22:23]
	flat_load_dwordx2 v[32:33], v[32:33]
	v_lshl_add_u64 v[34:35], v[24:25], 0, v[22:23]
	v_lshl_add_u64 v[26:27], v[6:7], 3, v[26:27]
	s_waitcnt vmcnt(0) lgkmcnt(0)
	v_mul_f64 v[32:33], v[32:33], s[6:7]
	v_cvt_f32_f64_e32 v29, v[32:33]
	v_min_f32_e32 v28, v29, v28
	v_cvt_f64_f32_e32 v[28:29], v28
	global_store_dwordx2 v[34:35], v[28:29], off
	flat_load_dwordx2 v[26:27], v[26:27]
	s_waitcnt vmcnt(0) lgkmcnt(0)
	v_mul_f64 v[26:27], v[26:27], s[6:7]
	v_cvt_f32_f64_e32 v26, v[26:27]
.LBB124_159:
	v_max_f32_e32 v27, v86, v86
	v_max_f32_e32 v26, v26, v26
	v_min_f32_e32 v26, v26, v27
	v_cvt_f64_f32_e32 v[26:27], v26
	v_lshl_add_u64 v[24:25], v[6:7], 3, v[24:25]
	global_store_dwordx2 v[24:25], v[26:27], off
	v_add_u32_e32 v26, 0xe0, v30
	v_mad_i64_i32 v[24:25], s[2:3], v26, s11, 0
	v_lshl_add_u64 v[24:25], v[24:25], 3, s[0:1]
	v_mad_i64_i32 v[26:27], s[0:1], v26, s10, 0
	v_max_f32_e32 v28, v85, v85
	s_mov_b64 vcc, s[4:5]
	s_cbranch_vccz .LBB124_162
; %bb.160:
	v_min_f32_e32 v29, 0, v28
	v_cvt_f64_f32_e32 v[30:31], v29
	v_lshl_add_u64 v[8:9], v[8:9], 3, v[24:25]
	s_mov_b32 s2, 0
	global_store_dwordx2 v[8:9], v[30:31], off
	v_lshl_add_u64 v[8:9], v[26:27], 3, s[12:13]
	s_cbranch_execz .LBB124_163
; %bb.161:
	v_mov_b32_e32 v12, s2
	s_branch .LBB124_164
.LBB124_162:
                                        ; implicit-def: $sgpr2
	v_lshl_add_u64 v[8:9], v[26:27], 3, s[12:13]
.LBB124_163:
	v_lshl_add_u64 v[26:27], v[8:9], 0, v[12:13]
	flat_load_dwordx2 v[26:27], v[26:27]
	v_lshl_add_u64 v[12:13], v[24:25], 0, v[12:13]
	s_waitcnt vmcnt(0) lgkmcnt(0)
	v_mul_f64 v[26:27], v[26:27], s[6:7]
	v_cvt_f32_f64_e32 v26, v[26:27]
	v_min_f32_e32 v26, v26, v28
	v_cvt_f64_f32_e32 v[26:27], v26
	global_store_dwordx2 v[12:13], v[26:27], off
	v_lshl_add_u64 v[12:13], v[0:1], 3, v[8:9]
	flat_load_dwordx2 v[12:13], v[12:13]
	s_waitcnt vmcnt(0) lgkmcnt(0)
	v_mul_f64 v[12:13], v[12:13], s[6:7]
	v_cvt_f32_f64_e32 v12, v[12:13]
.LBB124_164:
	v_max_f32_e32 v13, v84, v84
	v_max_f32_e32 v12, v12, v12
	v_min_f32_e32 v12, v12, v13
	v_cvt_f64_f32_e32 v[12:13], v12
	v_lshl_add_u64 v[0:1], v[0:1], 3, v[24:25]
	global_store_dwordx2 v[0:1], v[12:13], off
	v_max_f32_e32 v0, v83, v83
	s_mov_b64 vcc, s[4:5]
	s_cbranch_vccz .LBB124_167
; %bb.165:
	v_min_f32_e32 v1, 0, v0
	v_cvt_f64_f32_e32 v[12:13], v1
	v_lshl_add_u64 v[10:11], v[10:11], 3, v[24:25]
	s_mov_b32 s2, 0
	global_store_dwordx2 v[10:11], v[12:13], off
	s_cbranch_execz .LBB124_168
; %bb.166:
	v_mov_b32_e32 v0, s2
	s_branch .LBB124_169
.LBB124_167:
                                        ; implicit-def: $sgpr2
.LBB124_168:
	v_lshl_add_u64 v[10:11], v[8:9], 0, v[16:17]
	flat_load_dwordx2 v[10:11], v[10:11]
	v_lshl_add_u64 v[12:13], v[24:25], 0, v[16:17]
	s_waitcnt vmcnt(0) lgkmcnt(0)
	v_mul_f64 v[10:11], v[10:11], s[6:7]
	v_cvt_f32_f64_e32 v1, v[10:11]
	v_min_f32_e32 v0, v1, v0
	v_cvt_f64_f32_e32 v[0:1], v0
	global_store_dwordx2 v[12:13], v[0:1], off
	v_lshl_add_u64 v[0:1], v[2:3], 3, v[8:9]
	flat_load_dwordx2 v[0:1], v[0:1]
	s_waitcnt vmcnt(0) lgkmcnt(0)
	v_mul_f64 v[0:1], v[0:1], s[6:7]
	v_cvt_f32_f64_e32 v0, v[0:1]
.LBB124_169:
	v_max_f32_e32 v1, v82, v82
	v_max_f32_e32 v0, v0, v0
	v_min_f32_e32 v0, v0, v1
	v_cvt_f64_f32_e32 v[0:1], v0
	v_lshl_add_u64 v[2:3], v[2:3], 3, v[24:25]
	global_store_dwordx2 v[2:3], v[0:1], off
	v_max_f32_e32 v0, v81, v81
	s_mov_b64 vcc, s[4:5]
	s_cbranch_vccz .LBB124_172
; %bb.170:
	v_min_f32_e32 v1, 0, v0
	v_cvt_f64_f32_e32 v[2:3], v1
	v_lshl_add_u64 v[10:11], v[14:15], 3, v[24:25]
	s_mov_b32 s2, 0
	global_store_dwordx2 v[10:11], v[2:3], off
	s_cbranch_execz .LBB124_173
; %bb.171:
	v_mov_b32_e32 v0, s2
	s_branch .LBB124_174
.LBB124_172:
                                        ; implicit-def: $sgpr2
.LBB124_173:
	v_lshl_add_u64 v[2:3], v[8:9], 0, v[20:21]
	flat_load_dwordx2 v[2:3], v[2:3]
	v_lshl_add_u64 v[10:11], v[24:25], 0, v[20:21]
	s_waitcnt vmcnt(0) lgkmcnt(0)
	v_mul_f64 v[2:3], v[2:3], s[6:7]
	v_cvt_f32_f64_e32 v1, v[2:3]
	v_min_f32_e32 v0, v1, v0
	v_cvt_f64_f32_e32 v[0:1], v0
	global_store_dwordx2 v[10:11], v[0:1], off
	v_lshl_add_u64 v[0:1], v[4:5], 3, v[8:9]
	flat_load_dwordx2 v[0:1], v[0:1]
	s_waitcnt vmcnt(0) lgkmcnt(0)
	v_mul_f64 v[0:1], v[0:1], s[6:7]
	v_cvt_f32_f64_e32 v0, v[0:1]
.LBB124_174:
	;; [unrolled: 37-line block ×3, first 2 shown]
	v_max_f32_e32 v1, v78, v78
	v_max_f32_e32 v0, v0, v0
	v_min_f32_e32 v0, v0, v1
	v_cvt_f64_f32_e32 v[0:1], v0
	v_lshl_add_u64 v[2:3], v[6:7], 3, v[24:25]
	global_store_dwordx2 v[2:3], v[0:1], off
	s_endpgm
	.section	.rodata,"a",@progbits
	.p2align	6, 0x0
	.amdhsa_kernel _ZN12_GLOBAL__N_120geam_min_plus_kernelId15HIP_vector_typeIdLj2EEdLi8ELi32ELi64ELi256ELi4ELi4ELi64ELi64ELi4ELc84ELc84ELb1ELb0ELb1EdKPKdKPdEEviiiT16_PT17_ilSA_ilS8_SA_ilPT18_ili26rocblas_geam_ex_operation_
		.amdhsa_group_segment_fixed_size 20480
		.amdhsa_private_segment_fixed_size 0
		.amdhsa_kernarg_size 136
		.amdhsa_user_sgpr_count 2
		.amdhsa_user_sgpr_dispatch_ptr 0
		.amdhsa_user_sgpr_queue_ptr 0
		.amdhsa_user_sgpr_kernarg_segment_ptr 1
		.amdhsa_user_sgpr_dispatch_id 0
		.amdhsa_user_sgpr_kernarg_preload_length 0
		.amdhsa_user_sgpr_kernarg_preload_offset 0
		.amdhsa_user_sgpr_private_segment_size 0
		.amdhsa_uses_dynamic_stack 0
		.amdhsa_enable_private_segment 0
		.amdhsa_system_sgpr_workgroup_id_x 1
		.amdhsa_system_sgpr_workgroup_id_y 0
		.amdhsa_system_sgpr_workgroup_id_z 1
		.amdhsa_system_sgpr_workgroup_info 0
		.amdhsa_system_vgpr_workitem_id 1
		.amdhsa_next_free_vgpr 160
		.amdhsa_next_free_sgpr 23
		.amdhsa_accum_offset 160
		.amdhsa_reserve_vcc 1
		.amdhsa_float_round_mode_32 0
		.amdhsa_float_round_mode_16_64 0
		.amdhsa_float_denorm_mode_32 3
		.amdhsa_float_denorm_mode_16_64 3
		.amdhsa_dx10_clamp 1
		.amdhsa_ieee_mode 1
		.amdhsa_fp16_overflow 0
		.amdhsa_tg_split 0
		.amdhsa_exception_fp_ieee_invalid_op 0
		.amdhsa_exception_fp_denorm_src 0
		.amdhsa_exception_fp_ieee_div_zero 0
		.amdhsa_exception_fp_ieee_overflow 0
		.amdhsa_exception_fp_ieee_underflow 0
		.amdhsa_exception_fp_ieee_inexact 0
		.amdhsa_exception_int_div_zero 0
	.end_amdhsa_kernel
	.section	.text._ZN12_GLOBAL__N_120geam_min_plus_kernelId15HIP_vector_typeIdLj2EEdLi8ELi32ELi64ELi256ELi4ELi4ELi64ELi64ELi4ELc84ELc84ELb1ELb0ELb1EdKPKdKPdEEviiiT16_PT17_ilSA_ilS8_SA_ilPT18_ili26rocblas_geam_ex_operation_,"axG",@progbits,_ZN12_GLOBAL__N_120geam_min_plus_kernelId15HIP_vector_typeIdLj2EEdLi8ELi32ELi64ELi256ELi4ELi4ELi64ELi64ELi4ELc84ELc84ELb1ELb0ELb1EdKPKdKPdEEviiiT16_PT17_ilSA_ilS8_SA_ilPT18_ili26rocblas_geam_ex_operation_,comdat
.Lfunc_end124:
	.size	_ZN12_GLOBAL__N_120geam_min_plus_kernelId15HIP_vector_typeIdLj2EEdLi8ELi32ELi64ELi256ELi4ELi4ELi64ELi64ELi4ELc84ELc84ELb1ELb0ELb1EdKPKdKPdEEviiiT16_PT17_ilSA_ilS8_SA_ilPT18_ili26rocblas_geam_ex_operation_, .Lfunc_end124-_ZN12_GLOBAL__N_120geam_min_plus_kernelId15HIP_vector_typeIdLj2EEdLi8ELi32ELi64ELi256ELi4ELi4ELi64ELi64ELi4ELc84ELc84ELb1ELb0ELb1EdKPKdKPdEEviiiT16_PT17_ilSA_ilS8_SA_ilPT18_ili26rocblas_geam_ex_operation_
                                        ; -- End function
	.section	.AMDGPU.csdata,"",@progbits
; Kernel info:
; codeLenInByte = 16516
; NumSgprs: 29
; NumVgprs: 160
; NumAgprs: 0
; TotalNumVgprs: 160
; ScratchSize: 0
; MemoryBound: 0
; FloatMode: 240
; IeeeMode: 1
; LDSByteSize: 20480 bytes/workgroup (compile time only)
; SGPRBlocks: 3
; VGPRBlocks: 19
; NumSGPRsForWavesPerEU: 29
; NumVGPRsForWavesPerEU: 160
; AccumOffset: 160
; Occupancy: 3
; WaveLimiterHint : 1
; COMPUTE_PGM_RSRC2:SCRATCH_EN: 0
; COMPUTE_PGM_RSRC2:USER_SGPR: 2
; COMPUTE_PGM_RSRC2:TRAP_HANDLER: 0
; COMPUTE_PGM_RSRC2:TGID_X_EN: 1
; COMPUTE_PGM_RSRC2:TGID_Y_EN: 0
; COMPUTE_PGM_RSRC2:TGID_Z_EN: 1
; COMPUTE_PGM_RSRC2:TIDIG_COMP_CNT: 1
; COMPUTE_PGM_RSRC3_GFX90A:ACCUM_OFFSET: 39
; COMPUTE_PGM_RSRC3_GFX90A:TG_SPLIT: 0
	.section	.text._ZN12_GLOBAL__N_120geam_min_plus_kernelId15HIP_vector_typeIdLj2EEdLi8ELi32ELi64ELi256ELi4ELi4ELi64ELi64ELi4ELc84ELc84ELb0ELb0ELb1EdKPKdKPdEEviiiT16_PT17_ilSA_ilS8_SA_ilPT18_ili26rocblas_geam_ex_operation_,"axG",@progbits,_ZN12_GLOBAL__N_120geam_min_plus_kernelId15HIP_vector_typeIdLj2EEdLi8ELi32ELi64ELi256ELi4ELi4ELi64ELi64ELi4ELc84ELc84ELb0ELb0ELb1EdKPKdKPdEEviiiT16_PT17_ilSA_ilS8_SA_ilPT18_ili26rocblas_geam_ex_operation_,comdat
	.globl	_ZN12_GLOBAL__N_120geam_min_plus_kernelId15HIP_vector_typeIdLj2EEdLi8ELi32ELi64ELi256ELi4ELi4ELi64ELi64ELi4ELc84ELc84ELb0ELb0ELb1EdKPKdKPdEEviiiT16_PT17_ilSA_ilS8_SA_ilPT18_ili26rocblas_geam_ex_operation_ ; -- Begin function _ZN12_GLOBAL__N_120geam_min_plus_kernelId15HIP_vector_typeIdLj2EEdLi8ELi32ELi64ELi256ELi4ELi4ELi64ELi64ELi4ELc84ELc84ELb0ELb0ELb1EdKPKdKPdEEviiiT16_PT17_ilSA_ilS8_SA_ilPT18_ili26rocblas_geam_ex_operation_
	.p2align	8
	.type	_ZN12_GLOBAL__N_120geam_min_plus_kernelId15HIP_vector_typeIdLj2EEdLi8ELi32ELi64ELi256ELi4ELi4ELi64ELi64ELi4ELc84ELc84ELb0ELb0ELb1EdKPKdKPdEEviiiT16_PT17_ilSA_ilS8_SA_ilPT18_ili26rocblas_geam_ex_operation_,@function
_ZN12_GLOBAL__N_120geam_min_plus_kernelId15HIP_vector_typeIdLj2EEdLi8ELi32ELi64ELi256ELi4ELi4ELi64ELi64ELi4ELc84ELc84ELb0ELb0ELb1EdKPKdKPdEEviiiT16_PT17_ilSA_ilS8_SA_ilPT18_ili26rocblas_geam_ex_operation_: ; @_ZN12_GLOBAL__N_120geam_min_plus_kernelId15HIP_vector_typeIdLj2EEdLi8ELi32ELi64ELi256ELi4ELi4ELi64ELi64ELi4ELc84ELc84ELb0ELb0ELb1EdKPKdKPdEEviiiT16_PT17_ilSA_ilS8_SA_ilPT18_ili26rocblas_geam_ex_operation_
; %bb.0:
	s_load_dwordx4 s[12:15], s[0:1], 0x10
	s_load_dwordx4 s[4:7], s[0:1], 0x28
	s_mov_b32 s24, s3
	s_mov_b64 s[22:23], 0
	s_waitcnt lgkmcnt(0)
	v_cmp_eq_f64_e64 s[16:17], s[12:13], 0
	s_and_b64 vcc, exec, s[16:17]
	s_cbranch_vccnz .LBB125_2
; %bb.1:
	s_mov_b32 s25, 0
	s_lshl_b64 s[8:9], s[24:25], 3
	s_add_u32 s8, s14, s8
	s_addc_u32 s9, s15, s9
	s_load_dwordx2 s[8:9], s[8:9], 0x0
	s_lshl_b64 s[4:5], s[4:5], 3
	s_waitcnt lgkmcnt(0)
	s_add_u32 s22, s8, s4
	s_addc_u32 s23, s9, s5
.LBB125_2:
	s_load_dwordx4 s[8:11], s[0:1], 0x40
	s_load_dwordx2 s[4:5], s[0:1], 0x50
	s_andn2_b64 vcc, exec, s[16:17]
	s_cbranch_vccnz .LBB125_4
; %bb.3:
	s_mov_b32 s25, 0
	s_mov_b64 s[20:21], 0
	s_cbranch_execz .LBB125_5
	s_branch .LBB125_6
.LBB125_4:
                                        ; implicit-def: $sgpr20_sgpr21
.LBB125_5:
	s_mov_b32 s25, 0
	s_lshl_b64 s[14:15], s[24:25], 3
	s_add_u32 s6, s6, s14
	s_addc_u32 s7, s7, s15
	s_load_dwordx2 s[6:7], s[6:7], 0x0
	s_waitcnt lgkmcnt(0)
	s_lshl_b64 s[8:9], s[8:9], 3
	s_add_u32 s20, s6, s8
	s_addc_u32 s21, s7, s9
.LBB125_6:
	s_load_dwordx4 s[16:19], s[0:1], 0x60
	s_waitcnt lgkmcnt(0)
	v_cmp_eq_f64_e64 s[6:7], s[10:11], 0
	s_and_b64 s[6:7], exec, s[6:7]
	v_cmp_neq_f64_e64 s[26:27], s[12:13], 0
	s_mov_b64 s[8:9], 0
	s_mov_b64 vcc, s[6:7]
	s_cbranch_vccnz .LBB125_8
; %bb.7:
	s_lshl_b64 s[8:9], s[24:25], 3
	s_add_u32 s4, s4, s8
	s_addc_u32 s5, s5, s9
	s_load_dwordx2 s[4:5], s[4:5], 0x0
	s_lshl_b64 s[8:9], s[16:17], 3
	s_waitcnt lgkmcnt(0)
	s_add_u32 s8, s4, s8
	s_addc_u32 s9, s5, s9
.LBB125_8:
	s_load_dword s3, s[0:1], 0x0
	s_load_dword s28, s[0:1], 0x20
	s_lshl_b64 s[4:5], s[24:25], 3
	s_add_u32 s4, s18, s4
	s_addc_u32 s5, s19, s5
	s_waitcnt lgkmcnt(0)
	s_add_i32 s3, s3, -1
	s_ashr_i32 s14, s3, 31
	s_lshr_b32 s14, s14, 26
	s_add_i32 s3, s3, s14
	s_ashr_i32 s3, s3, 6
	s_add_i32 s16, s3, 1
	v_cvt_f32_u32_e32 v1, s16
	v_and_b32_e32 v135, 0x3ff, v0
	v_bfe_u32 v136, v0, 10, 10
	s_load_dwordx2 s[14:15], s[4:5], 0x0
	v_rcp_iflag_f32_e32 v1, v1
	s_not_b32 s3, s3
	v_lshl_add_u32 v4, v136, 3, v135
	v_and_b32_e32 v144, 3, v135
	v_mul_f32_e32 v0, 0x4f7ffffe, v1
	v_cvt_u32_f32_e32 v0, v0
	v_lshrrev_b32_e32 v14, 2, v4
	v_readfirstlane_b32 s4, v0
	s_mul_i32 s3, s3, s4
	s_mul_hi_u32 s3, s4, s3
	s_add_i32 s4, s4, s3
	s_mul_hi_u32 s3, s2, s4
	s_mul_i32 s4, s3, s16
	s_sub_i32 s4, s2, s4
	s_add_i32 s5, s3, 1
	s_sub_i32 s17, s4, s16
	s_cmp_ge_u32 s4, s16
	s_cselect_b32 s3, s5, s3
	s_cselect_b32 s4, s17, s4
	s_add_i32 s5, s3, 1
	s_cmp_ge_u32 s4, s16
	s_cselect_b32 s3, s5, s3
	s_mul_i32 s4, s3, s16
	s_sub_i32 s2, s2, s4
	s_lshl_b32 s16, s2, 6
	v_cndmask_b32_e64 v0, 0, 1, s[26:27]
	v_cmp_ne_u32_e64 s[4:5], 1, v0
	s_andn2_b64 vcc, exec, s[26:27]
	v_add_u32_e32 v72, s16, v14
	v_lshlrev_b32_e32 v0, 3, v144
	s_cbranch_vccnz .LBB125_10
; %bb.9:
	v_mad_i64_i32 v[2:3], s[18:19], v72, s28, 0
	v_lshl_add_u64 v[2:3], v[2:3], 3, s[22:23]
	v_mov_b32_e32 v1, 0
	v_lshl_add_u64 v[2:3], v[2:3], 0, v[0:1]
	flat_load_dwordx2 v[2:3], v[2:3]
	s_waitcnt vmcnt(0) lgkmcnt(0)
	v_mul_f64 v[2:3], v[2:3], s[12:13]
	s_branch .LBB125_11
.LBB125_10:
	v_mov_b64_e32 v[2:3], 0
.LBB125_11:
	s_load_dword s18, s[0:1], 0x38
	v_and_b32_e32 v73, 63, v4
	v_lshrrev_b32_e32 v145, 6, v4
	s_lshl_b32 s17, s3, 8
	v_or_b32_e32 v60, s17, v73
	s_waitcnt lgkmcnt(0)
	v_mad_i64_i32 v[4:5], s[2:3], s18, v145, 0
	s_ashr_i32 s19, s18, 31
	v_lshl_add_u64 v[8:9], v[4:5], 3, s[20:21]
	s_and_b64 vcc, exec, s[4:5]
	v_ashrrev_i32_e32 v61, 31, v60
	s_cbranch_vccnz .LBB125_15
; %bb.12:
	v_lshl_add_u64 v[4:5], v[60:61], 3, v[8:9]
	flat_load_dwordx2 v[6:7], v[4:5]
	flat_load_dwordx2 v[10:11], v[4:5] offset:512
	s_waitcnt vmcnt(0) lgkmcnt(0)
	v_mul_f64 v[4:5], v[6:7], s[12:13]
	v_mul_f64 v[6:7], v[10:11], s[12:13]
	s_and_b64 vcc, exec, s[4:5]
	s_cbranch_vccnz .LBB125_16
.LBB125_13:
	v_lshl_add_u64 v[8:9], v[60:61], 3, v[8:9]
	flat_load_dwordx2 v[10:11], v[8:9] offset:1024
	flat_load_dwordx2 v[12:13], v[8:9] offset:1536
	s_waitcnt vmcnt(0) lgkmcnt(0)
	v_mul_f64 v[8:9], v[10:11], s[12:13]
	v_mul_f64 v[10:11], v[12:13], s[12:13]
	s_and_b64 vcc, exec, s[4:5]
	s_cbranch_vccnz .LBB125_17
.LBB125_14:
	v_mad_i64_i32 v[12:13], s[2:3], v72, s28, 0
	v_lshl_add_u64 v[12:13], v[12:13], 3, s[22:23]
	v_mov_b32_e32 v1, 0
	v_lshl_add_u64 v[12:13], v[12:13], 0, v[0:1]
	flat_load_dwordx2 v[12:13], v[12:13] offset:32
	s_waitcnt vmcnt(0) lgkmcnt(0)
	v_mul_f64 v[62:63], v[12:13], s[12:13]
	s_branch .LBB125_18
.LBB125_15:
	v_mov_b64_e32 v[4:5], 0
	v_mov_b64_e32 v[6:7], 0
	s_and_b64 vcc, exec, s[4:5]
	s_cbranch_vccz .LBB125_13
.LBB125_16:
	v_mov_b64_e32 v[8:9], 0
	v_mov_b64_e32 v[10:11], 0
	s_and_b64 vcc, exec, s[4:5]
	s_cbranch_vccz .LBB125_14
.LBB125_17:
	v_mov_b64_e32 v[62:63], 0
.LBB125_18:
	v_add_u32_e32 v146, 4, v145
	v_mad_i64_i32 v[12:13], s[2:3], s18, v146, 0
	s_and_b64 vcc, exec, s[4:5]
	v_lshl_add_u64 v[12:13], v[12:13], 3, s[20:21]
	s_cbranch_vccnz .LBB125_21
; %bb.19:
	v_lshl_add_u64 v[16:17], v[60:61], 3, v[12:13]
	flat_load_dwordx2 v[18:19], v[16:17]
	flat_load_dwordx2 v[20:21], v[16:17] offset:512
	s_waitcnt vmcnt(0) lgkmcnt(0)
	v_mul_f64 v[64:65], v[18:19], s[12:13]
	v_mul_f64 v[66:67], v[20:21], s[12:13]
	s_and_b64 vcc, exec, s[4:5]
	s_cbranch_vccnz .LBB125_22
.LBB125_20:
	v_lshl_add_u64 v[12:13], v[60:61], 3, v[12:13]
	flat_load_dwordx2 v[16:17], v[12:13] offset:1024
	flat_load_dwordx2 v[18:19], v[12:13] offset:1536
	s_waitcnt vmcnt(0) lgkmcnt(0)
	v_mul_f64 v[68:69], v[16:17], s[12:13]
	v_mul_f64 v[70:71], v[18:19], s[12:13]
	s_branch .LBB125_23
.LBB125_21:
	v_mov_b64_e32 v[64:65], 0
	v_mov_b64_e32 v[66:67], 0
	s_and_b64 vcc, exec, s[4:5]
	s_cbranch_vccz .LBB125_20
.LBB125_22:
	v_mov_b64_e32 v[68:69], 0
	v_mov_b64_e32 v[70:71], 0
.LBB125_23:
	v_lshl_or_b32 v74, v14, 5, v0
	v_lshlrev_b32_e32 v0, 3, v145
	v_add_u32_e32 v147, 0x4000, v74
	v_lshl_add_u32 v148, v73, 5, v0
	s_mov_b32 s24, 0
	s_mov_b64 s[2:3], -1
	v_mov_b32_e32 v78, 0x7f800000
	v_mov_b32_e32 v79, 0x7f800000
	;; [unrolled: 1-line block ×64, first 2 shown]
	ds_write_b64 v74, v[2:3] offset:16384
	ds_write2st64_b64 v148, v[4:5], v[6:7] offset1:4
	ds_write2st64_b64 v148, v[8:9], v[10:11] offset0:8 offset1:12
	s_waitcnt lgkmcnt(0)
	s_barrier
.LBB125_24:                             ; =>This Inner Loop Header: Depth=1
	v_cndmask_b32_e64 v0, 0, 1, s[2:3]
	s_lshl_b32 s2, s24, 3
	v_cmp_ne_u32_e32 vcc, 1, v0
	v_lshl_add_u32 v0, v135, 5, s2
	v_lshl_add_u32 v20, v136, 5, s2
	ds_read_b128 v[32:35], v0 offset:16384
	ds_read_b128 v[28:31], v0 offset:16640
	;; [unrolled: 1-line block ×8, first 2 shown]
	ds_read_b128 v[150:153], v20
	ds_read_b128 v[56:59], v20 offset:1024
	ds_read_b128 v[52:55], v20 offset:2048
	;; [unrolled: 1-line block ×7, first 2 shown]
	s_waitcnt lgkmcnt(7)
	v_add_f64 v[76:77], v[34:35], v[152:153]
	v_add_f64 v[154:155], v[32:33], v[150:151]
	v_cvt_f32_f64_e32 v75, v[154:155]
	v_cvt_f32_f64_e32 v76, v[76:77]
	v_min3_f32 v143, v75, v76, v143
	v_add_f64 v[76:77], v[30:31], v[152:153]
	v_add_f64 v[154:155], v[28:29], v[150:151]
	v_cvt_f32_f64_e32 v75, v[154:155]
	v_cvt_f32_f64_e32 v76, v[76:77]
	v_min3_f32 v142, v75, v76, v142
	;; [unrolled: 5-line block ×8, first 2 shown]
	s_waitcnt lgkmcnt(6)
	v_add_f64 v[76:77], v[34:35], v[58:59]
	v_add_f64 v[150:151], v[32:33], v[56:57]
	v_cvt_f32_f64_e32 v75, v[150:151]
	v_cvt_f32_f64_e32 v76, v[76:77]
	v_min3_f32 v133, v75, v76, v133
	v_add_f64 v[76:77], v[30:31], v[58:59]
	v_add_f64 v[150:151], v[28:29], v[56:57]
	v_cvt_f32_f64_e32 v75, v[150:151]
	v_cvt_f32_f64_e32 v76, v[76:77]
	v_min3_f32 v132, v75, v76, v132
	v_add_f64 v[76:77], v[26:27], v[58:59]
	v_add_f64 v[150:151], v[24:25], v[56:57]
	v_cvt_f32_f64_e32 v75, v[150:151]
	v_cvt_f32_f64_e32 v76, v[76:77]
	v_min3_f32 v131, v75, v76, v131
	v_add_f64 v[76:77], v[18:19], v[58:59]
	v_add_f64 v[150:151], v[16:17], v[56:57]
	v_cvt_f32_f64_e32 v75, v[150:151]
	v_cvt_f32_f64_e32 v76, v[76:77]
	v_min3_f32 v130, v75, v76, v130
	v_add_f64 v[76:77], v[14:15], v[58:59]
	v_add_f64 v[150:151], v[12:13], v[56:57]
	v_cvt_f32_f64_e32 v75, v[150:151]
	v_cvt_f32_f64_e32 v76, v[76:77]
	v_min3_f32 v129, v75, v76, v129
	v_add_f64 v[76:77], v[10:11], v[58:59]
	v_add_f64 v[150:151], v[8:9], v[56:57]
	v_cvt_f32_f64_e32 v75, v[150:151]
	v_cvt_f32_f64_e32 v76, v[76:77]
	v_min3_f32 v128, v75, v76, v128
	v_add_f64 v[76:77], v[6:7], v[58:59]
	v_add_f64 v[150:151], v[4:5], v[56:57]
	v_add_f64 v[58:59], v[2:3], v[58:59]
	v_add_f64 v[56:57], v[0:1], v[56:57]
	v_cvt_f32_f64_e32 v56, v[56:57]
	v_cvt_f32_f64_e32 v57, v[58:59]
	v_min3_f32 v126, v56, v57, v126
	s_waitcnt lgkmcnt(5)
	v_add_f64 v[56:57], v[34:35], v[54:55]
	v_add_f64 v[58:59], v[32:33], v[52:53]
	v_cvt_f32_f64_e32 v58, v[58:59]
	v_cvt_f32_f64_e32 v56, v[56:57]
	v_min3_f32 v125, v58, v56, v125
	v_add_f64 v[56:57], v[30:31], v[54:55]
	v_add_f64 v[58:59], v[28:29], v[52:53]
	v_cvt_f32_f64_e32 v58, v[58:59]
	v_cvt_f32_f64_e32 v56, v[56:57]
	v_min3_f32 v124, v58, v56, v124
	v_add_f64 v[56:57], v[26:27], v[54:55]
	v_add_f64 v[58:59], v[24:25], v[52:53]
	v_cvt_f32_f64_e32 v58, v[58:59]
	v_cvt_f32_f64_e32 v56, v[56:57]
	v_min3_f32 v123, v58, v56, v123
	v_add_f64 v[56:57], v[18:19], v[54:55]
	v_add_f64 v[58:59], v[16:17], v[52:53]
	v_cvt_f32_f64_e32 v58, v[58:59]
	v_cvt_f32_f64_e32 v56, v[56:57]
	v_min3_f32 v122, v58, v56, v122
	v_add_f64 v[56:57], v[14:15], v[54:55]
	v_add_f64 v[58:59], v[12:13], v[52:53]
	v_cvt_f32_f64_e32 v58, v[58:59]
	v_cvt_f32_f64_e32 v56, v[56:57]
	v_min3_f32 v121, v58, v56, v121
	v_add_f64 v[56:57], v[10:11], v[54:55]
	v_add_f64 v[58:59], v[8:9], v[52:53]
	v_cvt_f32_f64_e32 v58, v[58:59]
	v_cvt_f32_f64_e32 v56, v[56:57]
	v_min3_f32 v120, v58, v56, v120
	v_add_f64 v[56:57], v[6:7], v[54:55]
	v_add_f64 v[58:59], v[4:5], v[52:53]
	v_add_f64 v[54:55], v[2:3], v[54:55]
	v_add_f64 v[52:53], v[0:1], v[52:53]
	v_cvt_f32_f64_e32 v52, v[52:53]
	v_cvt_f32_f64_e32 v53, v[54:55]
	v_min3_f32 v118, v52, v53, v118
	;; [unrolled: 38-line block ×5, first 2 shown]
	s_waitcnt lgkmcnt(1)
	v_add_f64 v[40:41], v[34:35], v[38:39]
	v_add_f64 v[42:43], v[32:33], v[36:37]
	v_cvt_f32_f64_e32 v42, v[42:43]
	v_cvt_f32_f64_e32 v40, v[40:41]
	v_min3_f32 v93, v42, v40, v93
	v_add_f64 v[40:41], v[30:31], v[38:39]
	v_add_f64 v[42:43], v[28:29], v[36:37]
	v_cvt_f32_f64_e32 v42, v[42:43]
	v_cvt_f32_f64_e32 v40, v[40:41]
	v_min3_f32 v92, v42, v40, v92
	;; [unrolled: 5-line block ×6, first 2 shown]
	v_add_f64 v[40:41], v[6:7], v[38:39]
	v_add_f64 v[42:43], v[4:5], v[36:37]
	;; [unrolled: 1-line block ×4, first 2 shown]
	s_waitcnt lgkmcnt(0)
	v_add_f64 v[34:35], v[34:35], v[22:23]
	v_add_f64 v[32:33], v[32:33], v[20:21]
	;; [unrolled: 1-line block ×16, first 2 shown]
	v_cvt_f32_f64_e32 v75, v[150:151]
	v_cvt_f32_f64_e32 v76, v[76:77]
	;; [unrolled: 1-line block ×30, first 2 shown]
	v_min3_f32 v127, v75, v76, v127
	v_min3_f32 v119, v58, v56, v119
	;; [unrolled: 1-line block ×15, first 2 shown]
	s_mov_b32 s24, 2
	s_mov_b64 s[2:3], 0
	s_cbranch_vccz .LBB125_24
; %bb.25:
	s_load_dword s25, s[0:1], 0x8
	v_lshlrev_b32_e32 v0, 5, v73
	v_lshl_add_u32 v0, v145, 3, v0
	s_mov_b32 s24, 8
	ds_write_b64 v74, v[62:63] offset:18432
	s_waitcnt lgkmcnt(0)
	s_cmp_gt_i32 s25, 8
	ds_write2st64_b64 v0, v[64:65], v[66:67] offset0:16 offset1:20
	ds_write2st64_b64 v0, v[68:69], v[70:71] offset0:24 offset1:28
	s_waitcnt lgkmcnt(0)
	s_barrier
	s_cbranch_scc0 .LBB125_48
; %bb.26:
	v_or_b32_e32 v150, 0x2000, v0
	v_mad_i64_i32 v[0:1], s[2:3], v72, s28, 0
	v_lshl_add_u64 v[62:63], v[0:1], 3, s[22:23]
	v_add_u32_e32 v149, 0x4800, v74
	s_add_i32 s25, s25, -8
	v_lshl_add_u64 v[64:65], v[62:63], 0, 32
	s_mov_b32 s22, 0
	v_mov_b32_e32 v67, 0
.LBB125_27:                             ; =>This Loop Header: Depth=1
                                        ;     Child Loop BB125_36 Depth 2
                                        ;     Child Loop BB125_46 Depth 2
	s_and_b64 vcc, exec, s[4:5]
	s_cbranch_vccnz .LBB125_29
; %bb.28:                               ;   in Loop: Header=BB125_27 Depth=1
	v_or_b32_e32 v66, s24, v144
	v_lshl_add_u64 v[0:1], v[66:67], 3, v[62:63]
	flat_load_dwordx2 v[0:1], v[0:1]
	s_waitcnt vmcnt(0) lgkmcnt(0)
	v_mul_f64 v[68:69], v[0:1], s[12:13]
	s_branch .LBB125_30
.LBB125_29:                             ;   in Loop: Header=BB125_27 Depth=1
	v_mov_b64_e32 v[68:69], 0
.LBB125_30:                             ;   in Loop: Header=BB125_27 Depth=1
	v_add_u32_e32 v3, s24, v145
	v_mad_u64_u32 v[0:1], s[2:3], v3, s18, 0
	v_mov_b32_e32 v2, v1
	v_mad_u64_u32 v[2:3], s[2:3], v3, s19, v[2:3]
	v_mov_b32_e32 v1, v2
	v_lshl_add_u64 v[0:1], v[0:1], 3, s[20:21]
	s_and_b64 vcc, exec, s[4:5]
	v_lshl_add_u64 v[0:1], v[60:61], 3, v[0:1]
	s_cbranch_vccnz .LBB125_33
; %bb.31:                               ;   in Loop: Header=BB125_27 Depth=1
	flat_load_dwordx2 v[2:3], v[0:1]
	flat_load_dwordx2 v[4:5], v[0:1] offset:512
	s_waitcnt vmcnt(0) lgkmcnt(0)
	v_mul_f64 v[70:71], v[2:3], s[12:13]
	v_mul_f64 v[72:73], v[4:5], s[12:13]
	s_and_b64 vcc, exec, s[4:5]
	s_cbranch_vccnz .LBB125_34
.LBB125_32:                             ;   in Loop: Header=BB125_27 Depth=1
	flat_load_dwordx2 v[2:3], v[0:1] offset:1024
	flat_load_dwordx2 v[4:5], v[0:1] offset:1536
	s_waitcnt vmcnt(0) lgkmcnt(0)
	v_mul_f64 v[74:75], v[2:3], s[12:13]
	v_mul_f64 v[76:77], v[4:5], s[12:13]
	s_branch .LBB125_35
.LBB125_33:                             ;   in Loop: Header=BB125_27 Depth=1
	v_mov_b64_e32 v[70:71], 0
	v_mov_b64_e32 v[72:73], 0
	s_and_b64 vcc, exec, s[4:5]
	s_cbranch_vccz .LBB125_32
.LBB125_34:                             ;   in Loop: Header=BB125_27 Depth=1
	v_mov_b64_e32 v[74:75], 0
	v_mov_b64_e32 v[76:77], 0
.LBB125_35:                             ;   in Loop: Header=BB125_27 Depth=1
	s_mov_b32 s23, 0
	s_mov_b64 s[2:3], -1
.LBB125_36:                             ;   Parent Loop BB125_27 Depth=1
                                        ; =>  This Inner Loop Header: Depth=2
	v_cndmask_b32_e64 v0, 0, 1, s[2:3]
	s_lshl_b32 s2, s23, 3
	v_cmp_ne_u32_e32 vcc, 1, v0
	v_lshl_add_u32 v0, v135, 5, s2
	v_lshl_add_u32 v20, v136, 5, s2
	ds_read_b128 v[32:35], v0 offset:18432
	ds_read_b128 v[28:31], v0 offset:18688
	;; [unrolled: 1-line block ×16, first 2 shown]
	s_waitcnt lgkmcnt(7)
	v_add_f64 v[156:157], v[34:35], v[154:155]
	v_add_f64 v[158:159], v[32:33], v[152:153]
	v_cvt_f32_f64_e32 v66, v[158:159]
	v_cvt_f32_f64_e32 v151, v[156:157]
	v_add_f64 v[156:157], v[30:31], v[154:155]
	v_add_f64 v[158:159], v[28:29], v[152:153]
	v_min3_f32 v143, v66, v151, v143
	v_cvt_f32_f64_e32 v66, v[158:159]
	v_cvt_f32_f64_e32 v151, v[156:157]
	v_add_f64 v[156:157], v[26:27], v[154:155]
	v_add_f64 v[158:159], v[24:25], v[152:153]
	v_min3_f32 v142, v66, v151, v142
	;; [unrolled: 5-line block ×7, first 2 shown]
	v_cvt_f32_f64_e32 v66, v[152:153]
	v_cvt_f32_f64_e32 v151, v[154:155]
	s_waitcnt lgkmcnt(6)
	v_add_f64 v[152:153], v[34:35], v[58:59]
	v_add_f64 v[154:155], v[32:33], v[56:57]
	v_min3_f32 v134, v66, v151, v134
	v_cvt_f32_f64_e32 v66, v[154:155]
	v_cvt_f32_f64_e32 v151, v[152:153]
	v_add_f64 v[152:153], v[30:31], v[58:59]
	v_add_f64 v[154:155], v[28:29], v[56:57]
	v_min3_f32 v133, v66, v151, v133
	v_cvt_f32_f64_e32 v66, v[154:155]
	v_cvt_f32_f64_e32 v151, v[152:153]
	;; [unrolled: 5-line block ×6, first 2 shown]
	v_add_f64 v[152:153], v[6:7], v[58:59]
	v_add_f64 v[154:155], v[4:5], v[56:57]
	v_add_f64 v[58:59], v[2:3], v[58:59]
	v_add_f64 v[56:57], v[0:1], v[56:57]
	v_cvt_f32_f64_e32 v56, v[56:57]
	v_cvt_f32_f64_e32 v57, v[58:59]
	v_min3_f32 v126, v56, v57, v126
	s_waitcnt lgkmcnt(5)
	v_add_f64 v[56:57], v[34:35], v[54:55]
	v_add_f64 v[58:59], v[32:33], v[52:53]
	v_cvt_f32_f64_e32 v58, v[58:59]
	v_cvt_f32_f64_e32 v56, v[56:57]
	v_min3_f32 v125, v58, v56, v125
	v_add_f64 v[56:57], v[30:31], v[54:55]
	v_add_f64 v[58:59], v[28:29], v[52:53]
	v_cvt_f32_f64_e32 v58, v[58:59]
	v_cvt_f32_f64_e32 v56, v[56:57]
	v_min3_f32 v124, v58, v56, v124
	v_add_f64 v[56:57], v[26:27], v[54:55]
	v_add_f64 v[58:59], v[24:25], v[52:53]
	v_cvt_f32_f64_e32 v58, v[58:59]
	v_cvt_f32_f64_e32 v56, v[56:57]
	v_min3_f32 v123, v58, v56, v123
	v_add_f64 v[56:57], v[18:19], v[54:55]
	v_add_f64 v[58:59], v[16:17], v[52:53]
	v_cvt_f32_f64_e32 v58, v[58:59]
	v_cvt_f32_f64_e32 v56, v[56:57]
	v_min3_f32 v122, v58, v56, v122
	v_add_f64 v[56:57], v[14:15], v[54:55]
	v_add_f64 v[58:59], v[12:13], v[52:53]
	v_cvt_f32_f64_e32 v58, v[58:59]
	v_cvt_f32_f64_e32 v56, v[56:57]
	v_min3_f32 v121, v58, v56, v121
	v_add_f64 v[56:57], v[10:11], v[54:55]
	v_add_f64 v[58:59], v[8:9], v[52:53]
	v_cvt_f32_f64_e32 v58, v[58:59]
	v_cvt_f32_f64_e32 v56, v[56:57]
	v_min3_f32 v120, v58, v56, v120
	v_add_f64 v[56:57], v[6:7], v[54:55]
	v_add_f64 v[58:59], v[4:5], v[52:53]
	v_add_f64 v[54:55], v[2:3], v[54:55]
	v_add_f64 v[52:53], v[0:1], v[52:53]
	v_cvt_f32_f64_e32 v52, v[52:53]
	v_cvt_f32_f64_e32 v53, v[54:55]
	v_min3_f32 v118, v52, v53, v118
	s_waitcnt lgkmcnt(4)
	v_add_f64 v[52:53], v[34:35], v[50:51]
	v_add_f64 v[54:55], v[32:33], v[48:49]
	v_cvt_f32_f64_e32 v54, v[54:55]
	v_cvt_f32_f64_e32 v52, v[52:53]
	v_min3_f32 v117, v54, v52, v117
	v_add_f64 v[52:53], v[30:31], v[50:51]
	v_add_f64 v[54:55], v[28:29], v[48:49]
	v_cvt_f32_f64_e32 v54, v[54:55]
	v_cvt_f32_f64_e32 v52, v[52:53]
	v_min3_f32 v116, v54, v52, v116
	v_add_f64 v[52:53], v[26:27], v[50:51]
	v_add_f64 v[54:55], v[24:25], v[48:49]
	v_cvt_f32_f64_e32 v54, v[54:55]
	v_cvt_f32_f64_e32 v52, v[52:53]
	v_min3_f32 v115, v54, v52, v115
	v_add_f64 v[52:53], v[18:19], v[50:51]
	v_add_f64 v[54:55], v[16:17], v[48:49]
	v_cvt_f32_f64_e32 v54, v[54:55]
	v_cvt_f32_f64_e32 v52, v[52:53]
	v_min3_f32 v114, v54, v52, v114
	v_add_f64 v[52:53], v[14:15], v[50:51]
	v_add_f64 v[54:55], v[12:13], v[48:49]
	v_cvt_f32_f64_e32 v54, v[54:55]
	v_cvt_f32_f64_e32 v52, v[52:53]
	v_min3_f32 v113, v54, v52, v113
	v_add_f64 v[52:53], v[10:11], v[50:51]
	v_add_f64 v[54:55], v[8:9], v[48:49]
	v_cvt_f32_f64_e32 v54, v[54:55]
	v_cvt_f32_f64_e32 v52, v[52:53]
	v_min3_f32 v112, v54, v52, v112
	;; [unrolled: 38-line block ×5, first 2 shown]
	v_add_f64 v[40:41], v[6:7], v[38:39]
	v_add_f64 v[42:43], v[4:5], v[36:37]
	;; [unrolled: 1-line block ×4, first 2 shown]
	s_waitcnt lgkmcnt(0)
	v_add_f64 v[34:35], v[34:35], v[22:23]
	v_add_f64 v[32:33], v[32:33], v[20:21]
	;; [unrolled: 1-line block ×16, first 2 shown]
	v_min3_f32 v128, v66, v151, v128
	v_cvt_f32_f64_e32 v66, v[154:155]
	v_cvt_f32_f64_e32 v151, v[152:153]
	;; [unrolled: 1-line block ×30, first 2 shown]
	v_min3_f32 v127, v66, v151, v127
	v_min3_f32 v119, v58, v56, v119
	;; [unrolled: 1-line block ×15, first 2 shown]
	s_mov_b32 s23, 2
	s_mov_b64 s[2:3], 0
	s_cbranch_vccz .LBB125_36
; %bb.37:                               ;   in Loop: Header=BB125_27 Depth=1
	s_and_b64 vcc, exec, s[4:5]
	ds_write_b64 v147, v[68:69]
	ds_write2st64_b64 v148, v[70:71], v[72:73] offset1:4
	ds_write2st64_b64 v148, v[74:75], v[76:77] offset0:8 offset1:12
	s_waitcnt lgkmcnt(0)
	s_barrier
	s_cbranch_vccnz .LBB125_39
; %bb.38:                               ;   in Loop: Header=BB125_27 Depth=1
	v_or_b32_e32 v66, s24, v144
	v_lshl_add_u64 v[0:1], v[66:67], 3, v[64:65]
	flat_load_dwordx2 v[0:1], v[0:1]
	s_waitcnt vmcnt(0) lgkmcnt(0)
	v_mul_f64 v[68:69], v[0:1], s[12:13]
	s_branch .LBB125_40
.LBB125_39:                             ;   in Loop: Header=BB125_27 Depth=1
	v_mov_b64_e32 v[68:69], 0
.LBB125_40:                             ;   in Loop: Header=BB125_27 Depth=1
	v_add_u32_e32 v3, s24, v146
	v_mad_u64_u32 v[0:1], s[2:3], v3, s18, 0
	v_mov_b32_e32 v2, v1
	v_mad_u64_u32 v[2:3], s[2:3], v3, s19, v[2:3]
	v_mov_b32_e32 v1, v2
	v_lshl_add_u64 v[0:1], v[0:1], 3, s[20:21]
	s_and_b64 vcc, exec, s[4:5]
	v_lshl_add_u64 v[0:1], v[60:61], 3, v[0:1]
	s_cbranch_vccnz .LBB125_43
; %bb.41:                               ;   in Loop: Header=BB125_27 Depth=1
	flat_load_dwordx2 v[2:3], v[0:1]
	flat_load_dwordx2 v[4:5], v[0:1] offset:512
	s_waitcnt vmcnt(0) lgkmcnt(0)
	v_mul_f64 v[70:71], v[2:3], s[12:13]
	v_mul_f64 v[72:73], v[4:5], s[12:13]
	s_and_b64 vcc, exec, s[4:5]
	s_cbranch_vccnz .LBB125_44
.LBB125_42:                             ;   in Loop: Header=BB125_27 Depth=1
	flat_load_dwordx2 v[2:3], v[0:1] offset:1024
	flat_load_dwordx2 v[4:5], v[0:1] offset:1536
	s_waitcnt vmcnt(0) lgkmcnt(0)
	v_mul_f64 v[74:75], v[2:3], s[12:13]
	v_mul_f64 v[76:77], v[4:5], s[12:13]
	s_branch .LBB125_45
.LBB125_43:                             ;   in Loop: Header=BB125_27 Depth=1
	v_mov_b64_e32 v[70:71], 0
	v_mov_b64_e32 v[72:73], 0
	s_and_b64 vcc, exec, s[4:5]
	s_cbranch_vccz .LBB125_42
.LBB125_44:                             ;   in Loop: Header=BB125_27 Depth=1
	v_mov_b64_e32 v[74:75], 0
	v_mov_b64_e32 v[76:77], 0
.LBB125_45:                             ;   in Loop: Header=BB125_27 Depth=1
	s_mov_b32 s23, 0
	s_mov_b64 s[2:3], -1
.LBB125_46:                             ;   Parent Loop BB125_27 Depth=1
                                        ; =>  This Inner Loop Header: Depth=2
	v_cndmask_b32_e64 v0, 0, 1, s[2:3]
	s_lshl_b32 s2, s23, 3
	v_cmp_ne_u32_e32 vcc, 1, v0
	v_lshl_add_u32 v0, v135, 5, s2
	v_lshl_add_u32 v20, v136, 5, s2
	ds_read_b128 v[32:35], v0 offset:16384
	ds_read_b128 v[28:31], v0 offset:16640
	;; [unrolled: 1-line block ×8, first 2 shown]
	ds_read_b128 v[152:155], v20
	ds_read_b128 v[56:59], v20 offset:1024
	ds_read_b128 v[52:55], v20 offset:2048
	;; [unrolled: 1-line block ×7, first 2 shown]
	s_waitcnt lgkmcnt(7)
	v_add_f64 v[156:157], v[34:35], v[154:155]
	v_add_f64 v[158:159], v[32:33], v[152:153]
	v_cvt_f32_f64_e32 v66, v[158:159]
	v_cvt_f32_f64_e32 v151, v[156:157]
	v_add_f64 v[156:157], v[30:31], v[154:155]
	v_add_f64 v[158:159], v[28:29], v[152:153]
	v_min3_f32 v143, v66, v151, v143
	v_cvt_f32_f64_e32 v66, v[158:159]
	v_cvt_f32_f64_e32 v151, v[156:157]
	v_add_f64 v[156:157], v[26:27], v[154:155]
	v_add_f64 v[158:159], v[24:25], v[152:153]
	v_min3_f32 v142, v66, v151, v142
	;; [unrolled: 5-line block ×7, first 2 shown]
	v_cvt_f32_f64_e32 v66, v[152:153]
	v_cvt_f32_f64_e32 v151, v[154:155]
	s_waitcnt lgkmcnt(6)
	v_add_f64 v[152:153], v[34:35], v[58:59]
	v_add_f64 v[154:155], v[32:33], v[56:57]
	v_min3_f32 v134, v66, v151, v134
	v_cvt_f32_f64_e32 v66, v[154:155]
	v_cvt_f32_f64_e32 v151, v[152:153]
	v_add_f64 v[152:153], v[30:31], v[58:59]
	v_add_f64 v[154:155], v[28:29], v[56:57]
	v_min3_f32 v133, v66, v151, v133
	v_cvt_f32_f64_e32 v66, v[154:155]
	v_cvt_f32_f64_e32 v151, v[152:153]
	;; [unrolled: 5-line block ×6, first 2 shown]
	v_add_f64 v[152:153], v[6:7], v[58:59]
	v_add_f64 v[154:155], v[4:5], v[56:57]
	v_add_f64 v[58:59], v[2:3], v[58:59]
	v_add_f64 v[56:57], v[0:1], v[56:57]
	v_cvt_f32_f64_e32 v56, v[56:57]
	v_cvt_f32_f64_e32 v57, v[58:59]
	v_min3_f32 v126, v56, v57, v126
	s_waitcnt lgkmcnt(5)
	v_add_f64 v[56:57], v[34:35], v[54:55]
	v_add_f64 v[58:59], v[32:33], v[52:53]
	v_cvt_f32_f64_e32 v58, v[58:59]
	v_cvt_f32_f64_e32 v56, v[56:57]
	v_min3_f32 v125, v58, v56, v125
	v_add_f64 v[56:57], v[30:31], v[54:55]
	v_add_f64 v[58:59], v[28:29], v[52:53]
	v_cvt_f32_f64_e32 v58, v[58:59]
	v_cvt_f32_f64_e32 v56, v[56:57]
	v_min3_f32 v124, v58, v56, v124
	v_add_f64 v[56:57], v[26:27], v[54:55]
	v_add_f64 v[58:59], v[24:25], v[52:53]
	v_cvt_f32_f64_e32 v58, v[58:59]
	v_cvt_f32_f64_e32 v56, v[56:57]
	v_min3_f32 v123, v58, v56, v123
	v_add_f64 v[56:57], v[18:19], v[54:55]
	v_add_f64 v[58:59], v[16:17], v[52:53]
	v_cvt_f32_f64_e32 v58, v[58:59]
	v_cvt_f32_f64_e32 v56, v[56:57]
	v_min3_f32 v122, v58, v56, v122
	v_add_f64 v[56:57], v[14:15], v[54:55]
	v_add_f64 v[58:59], v[12:13], v[52:53]
	v_cvt_f32_f64_e32 v58, v[58:59]
	v_cvt_f32_f64_e32 v56, v[56:57]
	v_min3_f32 v121, v58, v56, v121
	v_add_f64 v[56:57], v[10:11], v[54:55]
	v_add_f64 v[58:59], v[8:9], v[52:53]
	v_cvt_f32_f64_e32 v58, v[58:59]
	v_cvt_f32_f64_e32 v56, v[56:57]
	v_min3_f32 v120, v58, v56, v120
	v_add_f64 v[56:57], v[6:7], v[54:55]
	v_add_f64 v[58:59], v[4:5], v[52:53]
	v_add_f64 v[54:55], v[2:3], v[54:55]
	v_add_f64 v[52:53], v[0:1], v[52:53]
	v_cvt_f32_f64_e32 v52, v[52:53]
	v_cvt_f32_f64_e32 v53, v[54:55]
	v_min3_f32 v118, v52, v53, v118
	s_waitcnt lgkmcnt(4)
	v_add_f64 v[52:53], v[34:35], v[50:51]
	v_add_f64 v[54:55], v[32:33], v[48:49]
	v_cvt_f32_f64_e32 v54, v[54:55]
	v_cvt_f32_f64_e32 v52, v[52:53]
	v_min3_f32 v117, v54, v52, v117
	v_add_f64 v[52:53], v[30:31], v[50:51]
	v_add_f64 v[54:55], v[28:29], v[48:49]
	v_cvt_f32_f64_e32 v54, v[54:55]
	v_cvt_f32_f64_e32 v52, v[52:53]
	v_min3_f32 v116, v54, v52, v116
	v_add_f64 v[52:53], v[26:27], v[50:51]
	v_add_f64 v[54:55], v[24:25], v[48:49]
	v_cvt_f32_f64_e32 v54, v[54:55]
	v_cvt_f32_f64_e32 v52, v[52:53]
	v_min3_f32 v115, v54, v52, v115
	v_add_f64 v[52:53], v[18:19], v[50:51]
	v_add_f64 v[54:55], v[16:17], v[48:49]
	v_cvt_f32_f64_e32 v54, v[54:55]
	v_cvt_f32_f64_e32 v52, v[52:53]
	v_min3_f32 v114, v54, v52, v114
	v_add_f64 v[52:53], v[14:15], v[50:51]
	v_add_f64 v[54:55], v[12:13], v[48:49]
	v_cvt_f32_f64_e32 v54, v[54:55]
	v_cvt_f32_f64_e32 v52, v[52:53]
	v_min3_f32 v113, v54, v52, v113
	v_add_f64 v[52:53], v[10:11], v[50:51]
	v_add_f64 v[54:55], v[8:9], v[48:49]
	v_cvt_f32_f64_e32 v54, v[54:55]
	v_cvt_f32_f64_e32 v52, v[52:53]
	v_min3_f32 v112, v54, v52, v112
	;; [unrolled: 38-line block ×5, first 2 shown]
	v_add_f64 v[40:41], v[6:7], v[38:39]
	v_add_f64 v[42:43], v[4:5], v[36:37]
	v_add_f64 v[38:39], v[2:3], v[38:39]
	v_add_f64 v[36:37], v[0:1], v[36:37]
	s_waitcnt lgkmcnt(0)
	v_add_f64 v[34:35], v[34:35], v[22:23]
	v_add_f64 v[32:33], v[32:33], v[20:21]
	;; [unrolled: 1-line block ×16, first 2 shown]
	v_min3_f32 v128, v66, v151, v128
	v_cvt_f32_f64_e32 v66, v[154:155]
	v_cvt_f32_f64_e32 v151, v[152:153]
	;; [unrolled: 1-line block ×30, first 2 shown]
	v_min3_f32 v127, v66, v151, v127
	v_min3_f32 v119, v58, v56, v119
	;; [unrolled: 1-line block ×15, first 2 shown]
	s_mov_b32 s23, 2
	s_mov_b64 s[2:3], 0
	s_cbranch_vccz .LBB125_46
; %bb.47:                               ;   in Loop: Header=BB125_27 Depth=1
	s_add_i32 s24, s24, 8
	s_add_i32 s22, s22, 8
	s_cmp_ge_i32 s22, s25
	ds_write_b64 v149, v[68:69]
	ds_write2st64_b64 v150, v[70:71], v[72:73] offset1:4
	ds_write2st64_b64 v150, v[74:75], v[76:77] offset0:8 offset1:12
	s_waitcnt lgkmcnt(0)
	s_barrier
	s_cbranch_scc0 .LBB125_27
.LBB125_48:
	s_mov_b32 s4, 0
	s_mov_b64 s[2:3], -1
.LBB125_49:                             ; =>This Inner Loop Header: Depth=1
	v_cndmask_b32_e64 v0, 0, 1, s[2:3]
	s_lshl_b32 s2, s4, 3
	v_cmp_ne_u32_e32 vcc, 1, v0
	v_lshl_add_u32 v0, v135, 5, s2
	v_lshl_add_u32 v20, v136, 5, s2
	ds_read_b128 v[32:35], v0 offset:18432
	ds_read_b128 v[28:31], v0 offset:18688
	;; [unrolled: 1-line block ×16, first 2 shown]
	s_waitcnt lgkmcnt(7)
	v_add_f64 v[64:65], v[34:35], v[62:63]
	v_add_f64 v[66:67], v[32:33], v[60:61]
	v_cvt_f32_f64_e32 v66, v[66:67]
	v_cvt_f32_f64_e32 v64, v[64:65]
	v_min3_f32 v143, v66, v64, v143
	v_add_f64 v[64:65], v[30:31], v[62:63]
	v_add_f64 v[66:67], v[28:29], v[60:61]
	v_cvt_f32_f64_e32 v66, v[66:67]
	v_cvt_f32_f64_e32 v64, v[64:65]
	v_min3_f32 v142, v66, v64, v142
	v_add_f64 v[64:65], v[26:27], v[62:63]
	v_add_f64 v[66:67], v[24:25], v[60:61]
	v_cvt_f32_f64_e32 v66, v[66:67]
	v_cvt_f32_f64_e32 v64, v[64:65]
	v_min3_f32 v141, v66, v64, v141
	v_add_f64 v[64:65], v[18:19], v[62:63]
	v_add_f64 v[66:67], v[16:17], v[60:61]
	v_cvt_f32_f64_e32 v66, v[66:67]
	v_cvt_f32_f64_e32 v64, v[64:65]
	v_min3_f32 v140, v66, v64, v140
	v_add_f64 v[64:65], v[14:15], v[62:63]
	v_add_f64 v[66:67], v[12:13], v[60:61]
	v_cvt_f32_f64_e32 v66, v[66:67]
	v_cvt_f32_f64_e32 v64, v[64:65]
	v_min3_f32 v139, v66, v64, v139
	v_add_f64 v[64:65], v[10:11], v[62:63]
	v_add_f64 v[66:67], v[8:9], v[60:61]
	v_cvt_f32_f64_e32 v66, v[66:67]
	v_cvt_f32_f64_e32 v64, v[64:65]
	v_min3_f32 v138, v66, v64, v138
	v_add_f64 v[64:65], v[6:7], v[62:63]
	v_add_f64 v[66:67], v[4:5], v[60:61]
	v_add_f64 v[62:63], v[2:3], v[62:63]
	v_add_f64 v[60:61], v[0:1], v[60:61]
	v_cvt_f32_f64_e32 v60, v[60:61]
	v_cvt_f32_f64_e32 v61, v[62:63]
	v_min3_f32 v134, v60, v61, v134
	s_waitcnt lgkmcnt(6)
	v_add_f64 v[60:61], v[34:35], v[58:59]
	v_add_f64 v[62:63], v[32:33], v[56:57]
	v_cvt_f32_f64_e32 v62, v[62:63]
	v_cvt_f32_f64_e32 v60, v[60:61]
	v_min3_f32 v133, v62, v60, v133
	v_add_f64 v[60:61], v[30:31], v[58:59]
	v_add_f64 v[62:63], v[28:29], v[56:57]
	v_cvt_f32_f64_e32 v62, v[62:63]
	v_cvt_f32_f64_e32 v60, v[60:61]
	v_min3_f32 v132, v62, v60, v132
	v_add_f64 v[60:61], v[26:27], v[58:59]
	v_add_f64 v[62:63], v[24:25], v[56:57]
	v_cvt_f32_f64_e32 v62, v[62:63]
	v_cvt_f32_f64_e32 v60, v[60:61]
	v_min3_f32 v131, v62, v60, v131
	v_add_f64 v[60:61], v[18:19], v[58:59]
	v_add_f64 v[62:63], v[16:17], v[56:57]
	v_cvt_f32_f64_e32 v62, v[62:63]
	v_cvt_f32_f64_e32 v60, v[60:61]
	v_min3_f32 v130, v62, v60, v130
	v_add_f64 v[60:61], v[14:15], v[58:59]
	v_add_f64 v[62:63], v[12:13], v[56:57]
	v_cvt_f32_f64_e32 v62, v[62:63]
	v_cvt_f32_f64_e32 v60, v[60:61]
	v_min3_f32 v129, v62, v60, v129
	v_add_f64 v[60:61], v[10:11], v[58:59]
	v_add_f64 v[62:63], v[8:9], v[56:57]
	v_cvt_f32_f64_e32 v62, v[62:63]
	v_cvt_f32_f64_e32 v60, v[60:61]
	v_min3_f32 v128, v62, v60, v128
	v_add_f64 v[60:61], v[6:7], v[58:59]
	v_add_f64 v[62:63], v[4:5], v[56:57]
	v_add_f64 v[58:59], v[2:3], v[58:59]
	v_add_f64 v[56:57], v[0:1], v[56:57]
	v_cvt_f32_f64_e32 v56, v[56:57]
	v_cvt_f32_f64_e32 v57, v[58:59]
	v_min3_f32 v126, v56, v57, v126
	;; [unrolled: 38-line block ×6, first 2 shown]
	s_waitcnt lgkmcnt(1)
	v_add_f64 v[40:41], v[34:35], v[38:39]
	v_add_f64 v[42:43], v[32:33], v[36:37]
	v_cvt_f32_f64_e32 v42, v[42:43]
	v_cvt_f32_f64_e32 v40, v[40:41]
	v_min3_f32 v93, v42, v40, v93
	v_add_f64 v[40:41], v[30:31], v[38:39]
	v_add_f64 v[42:43], v[28:29], v[36:37]
	v_cvt_f32_f64_e32 v42, v[42:43]
	v_cvt_f32_f64_e32 v40, v[40:41]
	v_min3_f32 v92, v42, v40, v92
	;; [unrolled: 5-line block ×6, first 2 shown]
	v_add_f64 v[40:41], v[6:7], v[38:39]
	v_add_f64 v[42:43], v[4:5], v[36:37]
	;; [unrolled: 1-line block ×4, first 2 shown]
	s_waitcnt lgkmcnt(0)
	v_add_f64 v[34:35], v[34:35], v[22:23]
	v_add_f64 v[32:33], v[32:33], v[20:21]
	;; [unrolled: 1-line block ×16, first 2 shown]
	v_cvt_f32_f64_e32 v66, v[66:67]
	v_cvt_f32_f64_e32 v64, v[64:65]
	;; [unrolled: 1-line block ×32, first 2 shown]
	v_min3_f32 v137, v66, v64, v137
	v_min3_f32 v127, v62, v60, v127
	;; [unrolled: 1-line block ×16, first 2 shown]
	s_mov_b32 s4, 2
	s_mov_b64 s[2:3], 0
	s_cbranch_vccz .LBB125_49
; %bb.50:
	s_load_dwordx2 s[2:3], s[0:1], 0x78
	s_load_dword s12, s[0:1], 0x58
	s_load_dword s13, s[0:1], 0x70
	v_add_u32_e32 v8, s16, v135
	v_add_u32_e32 v30, s17, v136
	s_waitcnt lgkmcnt(0)
	s_lshl_b64 s[0:1], s[2:3], 3
	s_add_u32 s0, s14, s0
	s_addc_u32 s1, s15, s1
	v_add_u32_e32 v0, 8, v8
	v_mad_i64_i32 v[2:3], s[2:3], v30, s13, 0
	v_ashrrev_i32_e32 v9, 31, v8
	v_ashrrev_i32_e32 v1, 31, v0
	v_lshl_add_u64 v[24:25], v[2:3], 3, s[0:1]
	v_mad_i64_i32 v[2:3], s[2:3], v30, s12, 0
	v_max_f32_e32 v4, v143, v143
	s_mov_b64 vcc, s[6:7]
	s_cbranch_vccz .LBB125_53
; %bb.51:
	v_min_f32_e32 v5, 0, v4
	v_cvt_f64_f32_e32 v[6:7], v5
	v_lshl_add_u64 v[10:11], v[8:9], 3, v[24:25]
	global_store_dwordx2 v[10:11], v[6:7], off
	s_mov_b64 s[2:3], 0
	v_lshl_add_u64 v[26:27], v[2:3], 3, s[8:9]
	v_lshlrev_b64 v[12:13], 3, v[8:9]
	s_cbranch_execz .LBB125_54
; %bb.52:
	v_mov_b64_e32 v[4:5], s[2:3]
	s_branch .LBB125_55
.LBB125_53:
                                        ; implicit-def: $sgpr2_sgpr3
	v_lshl_add_u64 v[26:27], v[2:3], 3, s[8:9]
	v_lshlrev_b64 v[12:13], 3, v[8:9]
.LBB125_54:
	v_lshl_add_u64 v[2:3], v[26:27], 0, v[12:13]
	flat_load_dwordx2 v[2:3], v[2:3]
	v_lshl_add_u64 v[6:7], v[24:25], 0, v[12:13]
	s_waitcnt vmcnt(0) lgkmcnt(0)
	v_mul_f64 v[2:3], v[2:3], s[10:11]
	v_cvt_f32_f64_e32 v2, v[2:3]
	v_min_f32_e32 v2, v2, v4
	v_cvt_f64_f32_e32 v[2:3], v2
	global_store_dwordx2 v[6:7], v[2:3], off
	v_lshl_add_u64 v[2:3], v[0:1], 3, v[26:27]
	flat_load_dwordx2 v[2:3], v[2:3]
	s_waitcnt vmcnt(0) lgkmcnt(0)
	v_mul_f64 v[4:5], v[2:3], s[10:11]
.LBB125_55:
	v_cvt_f32_f64_e32 v4, v[4:5]
	v_max_f32_e32 v5, v142, v142
	v_min_f32_e32 v4, v4, v5
	v_add_u32_e32 v10, 16, v8
	v_add_u32_e32 v2, 24, v8
	v_cvt_f64_f32_e32 v[4:5], v4
	v_lshl_add_u64 v[6:7], v[0:1], 3, v[24:25]
	v_ashrrev_i32_e32 v11, 31, v10
	v_ashrrev_i32_e32 v3, 31, v2
	global_store_dwordx2 v[6:7], v[4:5], off
	v_max_f32_e32 v4, v141, v141
	s_mov_b64 vcc, s[6:7]
	s_cbranch_vccz .LBB125_58
; %bb.56:
	v_min_f32_e32 v5, 0, v4
	v_cvt_f64_f32_e32 v[6:7], v5
	v_lshl_add_u64 v[14:15], v[10:11], 3, v[24:25]
	global_store_dwordx2 v[14:15], v[6:7], off
	s_mov_b64 s[2:3], 0
	v_lshlrev_b64 v[16:17], 3, v[10:11]
	s_cbranch_execz .LBB125_59
; %bb.57:
	v_mov_b64_e32 v[6:7], s[2:3]
	s_branch .LBB125_60
.LBB125_58:
                                        ; implicit-def: $sgpr2_sgpr3
	v_lshlrev_b64 v[16:17], 3, v[10:11]
.LBB125_59:
	v_lshl_add_u64 v[6:7], v[26:27], 0, v[16:17]
	flat_load_dwordx2 v[6:7], v[6:7]
	v_lshl_add_u64 v[14:15], v[24:25], 0, v[16:17]
	s_waitcnt vmcnt(0) lgkmcnt(0)
	v_mul_f64 v[6:7], v[6:7], s[10:11]
	v_cvt_f32_f64_e32 v5, v[6:7]
	v_min_f32_e32 v4, v5, v4
	v_cvt_f64_f32_e32 v[4:5], v4
	global_store_dwordx2 v[14:15], v[4:5], off
	v_lshl_add_u64 v[4:5], v[2:3], 3, v[26:27]
	flat_load_dwordx2 v[4:5], v[4:5]
	s_waitcnt vmcnt(0) lgkmcnt(0)
	v_mul_f64 v[6:7], v[4:5], s[10:11]
.LBB125_60:
	v_cvt_f32_f64_e32 v6, v[6:7]
	v_max_f32_e32 v7, v140, v140
	v_min_f32_e32 v6, v6, v7
	v_add_u32_e32 v14, 32, v8
	v_add_u32_e32 v4, 40, v8
	v_cvt_f64_f32_e32 v[6:7], v6
	v_lshl_add_u64 v[18:19], v[2:3], 3, v[24:25]
	v_ashrrev_i32_e32 v15, 31, v14
	v_ashrrev_i32_e32 v5, 31, v4
	global_store_dwordx2 v[18:19], v[6:7], off
	v_max_f32_e32 v6, v139, v139
	s_mov_b64 vcc, s[6:7]
	s_cbranch_vccz .LBB125_63
; %bb.61:
	v_min_f32_e32 v7, 0, v6
	v_cvt_f64_f32_e32 v[18:19], v7
	v_lshl_add_u64 v[20:21], v[14:15], 3, v[24:25]
	global_store_dwordx2 v[20:21], v[18:19], off
	s_mov_b64 s[2:3], 0
	v_lshlrev_b64 v[20:21], 3, v[14:15]
	s_cbranch_execz .LBB125_64
; %bb.62:
	v_mov_b64_e32 v[22:23], s[2:3]
	s_branch .LBB125_65
.LBB125_63:
                                        ; implicit-def: $sgpr2_sgpr3
	v_lshlrev_b64 v[20:21], 3, v[14:15]
.LBB125_64:
	v_lshl_add_u64 v[18:19], v[26:27], 0, v[20:21]
	flat_load_dwordx2 v[18:19], v[18:19]
	v_lshl_add_u64 v[22:23], v[24:25], 0, v[20:21]
	s_waitcnt vmcnt(0) lgkmcnt(0)
	v_mul_f64 v[18:19], v[18:19], s[10:11]
	v_cvt_f32_f64_e32 v7, v[18:19]
	v_min_f32_e32 v6, v7, v6
	v_cvt_f64_f32_e32 v[6:7], v6
	global_store_dwordx2 v[22:23], v[6:7], off
	v_lshl_add_u64 v[6:7], v[4:5], 3, v[26:27]
	flat_load_dwordx2 v[6:7], v[6:7]
	s_waitcnt vmcnt(0) lgkmcnt(0)
	v_mul_f64 v[22:23], v[6:7], s[10:11]
.LBB125_65:
	v_cvt_f32_f64_e32 v22, v[22:23]
	v_max_f32_e32 v23, v138, v138
	v_min_f32_e32 v22, v22, v23
	v_add_u32_e32 v18, 48, v8
	v_add_u32_e32 v6, 56, v8
	v_cvt_f64_f32_e32 v[22:23], v22
	v_lshl_add_u64 v[28:29], v[4:5], 3, v[24:25]
	v_ashrrev_i32_e32 v19, 31, v18
	v_ashrrev_i32_e32 v7, 31, v6
	global_store_dwordx2 v[28:29], v[22:23], off
	v_max_f32_e32 v28, v137, v137
	s_mov_b64 vcc, s[6:7]
	s_cbranch_vccz .LBB125_68
; %bb.66:
	v_min_f32_e32 v22, 0, v28
	v_cvt_f64_f32_e32 v[22:23], v22
	v_lshl_add_u64 v[32:33], v[18:19], 3, v[24:25]
	global_store_dwordx2 v[32:33], v[22:23], off
	s_mov_b64 s[2:3], 0
	v_lshlrev_b64 v[22:23], 3, v[18:19]
	s_cbranch_execz .LBB125_69
; %bb.67:
	v_mov_b64_e32 v[26:27], s[2:3]
	s_branch .LBB125_70
.LBB125_68:
                                        ; implicit-def: $sgpr2_sgpr3
	v_lshlrev_b64 v[22:23], 3, v[18:19]
.LBB125_69:
	v_lshl_add_u64 v[32:33], v[26:27], 0, v[22:23]
	flat_load_dwordx2 v[32:33], v[32:33]
	v_lshl_add_u64 v[34:35], v[24:25], 0, v[22:23]
	v_lshl_add_u64 v[26:27], v[6:7], 3, v[26:27]
	s_waitcnt vmcnt(0) lgkmcnt(0)
	v_mul_f64 v[32:33], v[32:33], s[10:11]
	v_cvt_f32_f64_e32 v29, v[32:33]
	v_min_f32_e32 v28, v29, v28
	v_cvt_f64_f32_e32 v[28:29], v28
	global_store_dwordx2 v[34:35], v[28:29], off
	flat_load_dwordx2 v[26:27], v[26:27]
	s_waitcnt vmcnt(0) lgkmcnt(0)
	v_mul_f64 v[26:27], v[26:27], s[10:11]
.LBB125_70:
	v_cvt_f32_f64_e32 v26, v[26:27]
	v_max_f32_e32 v27, v134, v134
	v_min_f32_e32 v26, v26, v27
	v_cvt_f64_f32_e32 v[26:27], v26
	v_lshl_add_u64 v[24:25], v[6:7], 3, v[24:25]
	global_store_dwordx2 v[24:25], v[26:27], off
	v_add_u32_e32 v26, 32, v30
	v_mad_i64_i32 v[24:25], s[2:3], v26, s13, 0
	v_lshl_add_u64 v[24:25], v[24:25], 3, s[0:1]
	v_mad_i64_i32 v[26:27], s[2:3], v26, s12, 0
	v_max_f32_e32 v28, v133, v133
	s_mov_b64 vcc, s[6:7]
	s_cbranch_vccz .LBB125_73
; %bb.71:
	v_min_f32_e32 v29, 0, v28
	v_cvt_f64_f32_e32 v[32:33], v29
	v_lshl_add_u64 v[34:35], v[8:9], 3, v[24:25]
	global_store_dwordx2 v[34:35], v[32:33], off
	s_mov_b64 s[2:3], 0
	v_lshl_add_u64 v[26:27], v[26:27], 3, s[8:9]
	s_cbranch_execz .LBB125_74
; %bb.72:
	v_mov_b64_e32 v[28:29], s[2:3]
	s_branch .LBB125_75
.LBB125_73:
                                        ; implicit-def: $sgpr2_sgpr3
	v_lshl_add_u64 v[26:27], v[26:27], 3, s[8:9]
.LBB125_74:
	v_lshl_add_u64 v[32:33], v[26:27], 0, v[12:13]
	flat_load_dwordx2 v[32:33], v[32:33]
	v_lshl_add_u64 v[34:35], v[24:25], 0, v[12:13]
	s_waitcnt vmcnt(0) lgkmcnt(0)
	v_mul_f64 v[32:33], v[32:33], s[10:11]
	v_cvt_f32_f64_e32 v29, v[32:33]
	v_min_f32_e32 v28, v29, v28
	v_cvt_f64_f32_e32 v[28:29], v28
	global_store_dwordx2 v[34:35], v[28:29], off
	v_lshl_add_u64 v[28:29], v[0:1], 3, v[26:27]
	flat_load_dwordx2 v[28:29], v[28:29]
	s_waitcnt vmcnt(0) lgkmcnt(0)
	v_mul_f64 v[28:29], v[28:29], s[10:11]
.LBB125_75:
	v_cvt_f32_f64_e32 v28, v[28:29]
	v_max_f32_e32 v29, v132, v132
	v_min_f32_e32 v28, v28, v29
	v_cvt_f64_f32_e32 v[28:29], v28
	v_lshl_add_u64 v[32:33], v[0:1], 3, v[24:25]
	global_store_dwordx2 v[32:33], v[28:29], off
	v_max_f32_e32 v28, v131, v131
	s_mov_b64 vcc, s[6:7]
	s_cbranch_vccz .LBB125_78
; %bb.76:
	v_min_f32_e32 v29, 0, v28
	v_cvt_f64_f32_e32 v[32:33], v29
	v_lshl_add_u64 v[34:35], v[10:11], 3, v[24:25]
	global_store_dwordx2 v[34:35], v[32:33], off
	s_mov_b64 s[2:3], 0
	s_cbranch_execz .LBB125_79
; %bb.77:
	v_mov_b64_e32 v[28:29], s[2:3]
	s_branch .LBB125_80
.LBB125_78:
                                        ; implicit-def: $sgpr2_sgpr3
.LBB125_79:
	v_lshl_add_u64 v[32:33], v[26:27], 0, v[16:17]
	flat_load_dwordx2 v[32:33], v[32:33]
	v_lshl_add_u64 v[34:35], v[24:25], 0, v[16:17]
	s_waitcnt vmcnt(0) lgkmcnt(0)
	v_mul_f64 v[32:33], v[32:33], s[10:11]
	v_cvt_f32_f64_e32 v29, v[32:33]
	v_min_f32_e32 v28, v29, v28
	v_cvt_f64_f32_e32 v[28:29], v28
	global_store_dwordx2 v[34:35], v[28:29], off
	v_lshl_add_u64 v[28:29], v[2:3], 3, v[26:27]
	flat_load_dwordx2 v[28:29], v[28:29]
	s_waitcnt vmcnt(0) lgkmcnt(0)
	v_mul_f64 v[28:29], v[28:29], s[10:11]
.LBB125_80:
	v_cvt_f32_f64_e32 v28, v[28:29]
	v_max_f32_e32 v29, v130, v130
	v_min_f32_e32 v28, v28, v29
	v_cvt_f64_f32_e32 v[28:29], v28
	v_lshl_add_u64 v[32:33], v[2:3], 3, v[24:25]
	global_store_dwordx2 v[32:33], v[28:29], off
	v_max_f32_e32 v28, v129, v129
	s_mov_b64 vcc, s[6:7]
	s_cbranch_vccz .LBB125_83
; %bb.81:
	v_min_f32_e32 v29, 0, v28
	v_cvt_f64_f32_e32 v[32:33], v29
	v_lshl_add_u64 v[34:35], v[14:15], 3, v[24:25]
	global_store_dwordx2 v[34:35], v[32:33], off
	s_mov_b64 s[2:3], 0
	s_cbranch_execz .LBB125_84
; %bb.82:
	v_mov_b64_e32 v[28:29], s[2:3]
	s_branch .LBB125_85
.LBB125_83:
                                        ; implicit-def: $sgpr2_sgpr3
.LBB125_84:
	v_lshl_add_u64 v[32:33], v[26:27], 0, v[20:21]
	flat_load_dwordx2 v[32:33], v[32:33]
	v_lshl_add_u64 v[34:35], v[24:25], 0, v[20:21]
	s_waitcnt vmcnt(0) lgkmcnt(0)
	v_mul_f64 v[32:33], v[32:33], s[10:11]
	v_cvt_f32_f64_e32 v29, v[32:33]
	v_min_f32_e32 v28, v29, v28
	v_cvt_f64_f32_e32 v[28:29], v28
	global_store_dwordx2 v[34:35], v[28:29], off
	v_lshl_add_u64 v[28:29], v[4:5], 3, v[26:27]
	flat_load_dwordx2 v[28:29], v[28:29]
	s_waitcnt vmcnt(0) lgkmcnt(0)
	v_mul_f64 v[28:29], v[28:29], s[10:11]
.LBB125_85:
	v_cvt_f32_f64_e32 v28, v[28:29]
	v_max_f32_e32 v29, v128, v128
	v_min_f32_e32 v28, v28, v29
	v_cvt_f64_f32_e32 v[28:29], v28
	v_lshl_add_u64 v[32:33], v[4:5], 3, v[24:25]
	global_store_dwordx2 v[32:33], v[28:29], off
	v_max_f32_e32 v28, v127, v127
	s_mov_b64 vcc, s[6:7]
	s_cbranch_vccz .LBB125_88
; %bb.86:
	v_min_f32_e32 v29, 0, v28
	v_cvt_f64_f32_e32 v[32:33], v29
	v_lshl_add_u64 v[34:35], v[18:19], 3, v[24:25]
	global_store_dwordx2 v[34:35], v[32:33], off
	s_mov_b64 s[2:3], 0
	s_cbranch_execz .LBB125_89
; %bb.87:
	v_mov_b64_e32 v[26:27], s[2:3]
	s_branch .LBB125_90
.LBB125_88:
                                        ; implicit-def: $sgpr2_sgpr3
.LBB125_89:
	v_lshl_add_u64 v[32:33], v[26:27], 0, v[22:23]
	flat_load_dwordx2 v[32:33], v[32:33]
	v_lshl_add_u64 v[34:35], v[24:25], 0, v[22:23]
	v_lshl_add_u64 v[26:27], v[6:7], 3, v[26:27]
	s_waitcnt vmcnt(0) lgkmcnt(0)
	v_mul_f64 v[32:33], v[32:33], s[10:11]
	v_cvt_f32_f64_e32 v29, v[32:33]
	v_min_f32_e32 v28, v29, v28
	v_cvt_f64_f32_e32 v[28:29], v28
	global_store_dwordx2 v[34:35], v[28:29], off
	flat_load_dwordx2 v[26:27], v[26:27]
	s_waitcnt vmcnt(0) lgkmcnt(0)
	v_mul_f64 v[26:27], v[26:27], s[10:11]
.LBB125_90:
	v_cvt_f32_f64_e32 v26, v[26:27]
	v_max_f32_e32 v27, v126, v126
	v_min_f32_e32 v26, v26, v27
	v_cvt_f64_f32_e32 v[26:27], v26
	v_lshl_add_u64 v[24:25], v[6:7], 3, v[24:25]
	global_store_dwordx2 v[24:25], v[26:27], off
	v_add_u32_e32 v26, 64, v30
	v_mad_i64_i32 v[24:25], s[2:3], v26, s13, 0
	v_lshl_add_u64 v[24:25], v[24:25], 3, s[0:1]
	v_mad_i64_i32 v[26:27], s[2:3], v26, s12, 0
	v_max_f32_e32 v28, v125, v125
	s_mov_b64 vcc, s[6:7]
	s_cbranch_vccz .LBB125_93
; %bb.91:
	v_min_f32_e32 v29, 0, v28
	v_cvt_f64_f32_e32 v[32:33], v29
	v_lshl_add_u64 v[34:35], v[8:9], 3, v[24:25]
	global_store_dwordx2 v[34:35], v[32:33], off
	s_mov_b64 s[2:3], 0
	v_lshl_add_u64 v[26:27], v[26:27], 3, s[8:9]
	s_cbranch_execz .LBB125_94
; %bb.92:
	v_mov_b64_e32 v[28:29], s[2:3]
	s_branch .LBB125_95
.LBB125_93:
                                        ; implicit-def: $sgpr2_sgpr3
	v_lshl_add_u64 v[26:27], v[26:27], 3, s[8:9]
.LBB125_94:
	v_lshl_add_u64 v[32:33], v[26:27], 0, v[12:13]
	flat_load_dwordx2 v[32:33], v[32:33]
	v_lshl_add_u64 v[34:35], v[24:25], 0, v[12:13]
	s_waitcnt vmcnt(0) lgkmcnt(0)
	v_mul_f64 v[32:33], v[32:33], s[10:11]
	v_cvt_f32_f64_e32 v29, v[32:33]
	v_min_f32_e32 v28, v29, v28
	v_cvt_f64_f32_e32 v[28:29], v28
	global_store_dwordx2 v[34:35], v[28:29], off
	v_lshl_add_u64 v[28:29], v[0:1], 3, v[26:27]
	flat_load_dwordx2 v[28:29], v[28:29]
	s_waitcnt vmcnt(0) lgkmcnt(0)
	v_mul_f64 v[28:29], v[28:29], s[10:11]
.LBB125_95:
	v_cvt_f32_f64_e32 v28, v[28:29]
	v_max_f32_e32 v29, v124, v124
	v_min_f32_e32 v28, v28, v29
	v_cvt_f64_f32_e32 v[28:29], v28
	v_lshl_add_u64 v[32:33], v[0:1], 3, v[24:25]
	global_store_dwordx2 v[32:33], v[28:29], off
	v_max_f32_e32 v28, v123, v123
	s_mov_b64 vcc, s[6:7]
	s_cbranch_vccz .LBB125_98
; %bb.96:
	v_min_f32_e32 v29, 0, v28
	v_cvt_f64_f32_e32 v[32:33], v29
	v_lshl_add_u64 v[34:35], v[10:11], 3, v[24:25]
	global_store_dwordx2 v[34:35], v[32:33], off
	s_mov_b64 s[2:3], 0
	s_cbranch_execz .LBB125_99
; %bb.97:
	v_mov_b64_e32 v[28:29], s[2:3]
	s_branch .LBB125_100
.LBB125_98:
                                        ; implicit-def: $sgpr2_sgpr3
.LBB125_99:
	v_lshl_add_u64 v[32:33], v[26:27], 0, v[16:17]
	flat_load_dwordx2 v[32:33], v[32:33]
	v_lshl_add_u64 v[34:35], v[24:25], 0, v[16:17]
	s_waitcnt vmcnt(0) lgkmcnt(0)
	v_mul_f64 v[32:33], v[32:33], s[10:11]
	v_cvt_f32_f64_e32 v29, v[32:33]
	v_min_f32_e32 v28, v29, v28
	v_cvt_f64_f32_e32 v[28:29], v28
	global_store_dwordx2 v[34:35], v[28:29], off
	v_lshl_add_u64 v[28:29], v[2:3], 3, v[26:27]
	flat_load_dwordx2 v[28:29], v[28:29]
	s_waitcnt vmcnt(0) lgkmcnt(0)
	v_mul_f64 v[28:29], v[28:29], s[10:11]
.LBB125_100:
	v_cvt_f32_f64_e32 v28, v[28:29]
	v_max_f32_e32 v29, v122, v122
	v_min_f32_e32 v28, v28, v29
	v_cvt_f64_f32_e32 v[28:29], v28
	v_lshl_add_u64 v[32:33], v[2:3], 3, v[24:25]
	global_store_dwordx2 v[32:33], v[28:29], off
	v_max_f32_e32 v28, v121, v121
	s_mov_b64 vcc, s[6:7]
	s_cbranch_vccz .LBB125_103
; %bb.101:
	v_min_f32_e32 v29, 0, v28
	v_cvt_f64_f32_e32 v[32:33], v29
	v_lshl_add_u64 v[34:35], v[14:15], 3, v[24:25]
	global_store_dwordx2 v[34:35], v[32:33], off
	s_mov_b64 s[2:3], 0
	s_cbranch_execz .LBB125_104
; %bb.102:
	v_mov_b64_e32 v[28:29], s[2:3]
	s_branch .LBB125_105
.LBB125_103:
                                        ; implicit-def: $sgpr2_sgpr3
.LBB125_104:
	v_lshl_add_u64 v[32:33], v[26:27], 0, v[20:21]
	flat_load_dwordx2 v[32:33], v[32:33]
	v_lshl_add_u64 v[34:35], v[24:25], 0, v[20:21]
	s_waitcnt vmcnt(0) lgkmcnt(0)
	v_mul_f64 v[32:33], v[32:33], s[10:11]
	v_cvt_f32_f64_e32 v29, v[32:33]
	v_min_f32_e32 v28, v29, v28
	v_cvt_f64_f32_e32 v[28:29], v28
	global_store_dwordx2 v[34:35], v[28:29], off
	v_lshl_add_u64 v[28:29], v[4:5], 3, v[26:27]
	flat_load_dwordx2 v[28:29], v[28:29]
	s_waitcnt vmcnt(0) lgkmcnt(0)
	v_mul_f64 v[28:29], v[28:29], s[10:11]
.LBB125_105:
	v_cvt_f32_f64_e32 v28, v[28:29]
	v_max_f32_e32 v29, v120, v120
	v_min_f32_e32 v28, v28, v29
	v_cvt_f64_f32_e32 v[28:29], v28
	v_lshl_add_u64 v[32:33], v[4:5], 3, v[24:25]
	global_store_dwordx2 v[32:33], v[28:29], off
	v_max_f32_e32 v28, v119, v119
	s_mov_b64 vcc, s[6:7]
	s_cbranch_vccz .LBB125_108
; %bb.106:
	v_min_f32_e32 v29, 0, v28
	v_cvt_f64_f32_e32 v[32:33], v29
	v_lshl_add_u64 v[34:35], v[18:19], 3, v[24:25]
	global_store_dwordx2 v[34:35], v[32:33], off
	s_mov_b64 s[2:3], 0
	s_cbranch_execz .LBB125_109
; %bb.107:
	v_mov_b64_e32 v[26:27], s[2:3]
	s_branch .LBB125_110
.LBB125_108:
                                        ; implicit-def: $sgpr2_sgpr3
.LBB125_109:
	v_lshl_add_u64 v[32:33], v[26:27], 0, v[22:23]
	flat_load_dwordx2 v[32:33], v[32:33]
	v_lshl_add_u64 v[34:35], v[24:25], 0, v[22:23]
	v_lshl_add_u64 v[26:27], v[6:7], 3, v[26:27]
	s_waitcnt vmcnt(0) lgkmcnt(0)
	v_mul_f64 v[32:33], v[32:33], s[10:11]
	v_cvt_f32_f64_e32 v29, v[32:33]
	v_min_f32_e32 v28, v29, v28
	v_cvt_f64_f32_e32 v[28:29], v28
	global_store_dwordx2 v[34:35], v[28:29], off
	flat_load_dwordx2 v[26:27], v[26:27]
	s_waitcnt vmcnt(0) lgkmcnt(0)
	v_mul_f64 v[26:27], v[26:27], s[10:11]
.LBB125_110:
	v_cvt_f32_f64_e32 v26, v[26:27]
	v_max_f32_e32 v27, v118, v118
	v_min_f32_e32 v26, v26, v27
	v_cvt_f64_f32_e32 v[26:27], v26
	v_lshl_add_u64 v[24:25], v[6:7], 3, v[24:25]
	global_store_dwordx2 v[24:25], v[26:27], off
	v_add_u32_e32 v26, 0x60, v30
	v_mad_i64_i32 v[24:25], s[2:3], v26, s13, 0
	v_lshl_add_u64 v[24:25], v[24:25], 3, s[0:1]
	v_mad_i64_i32 v[26:27], s[2:3], v26, s12, 0
	v_max_f32_e32 v28, v117, v117
	s_mov_b64 vcc, s[6:7]
	s_cbranch_vccz .LBB125_113
; %bb.111:
	v_min_f32_e32 v29, 0, v28
	v_cvt_f64_f32_e32 v[32:33], v29
	v_lshl_add_u64 v[34:35], v[8:9], 3, v[24:25]
	global_store_dwordx2 v[34:35], v[32:33], off
	s_mov_b64 s[2:3], 0
	v_lshl_add_u64 v[26:27], v[26:27], 3, s[8:9]
	s_cbranch_execz .LBB125_114
; %bb.112:
	v_mov_b64_e32 v[28:29], s[2:3]
	s_branch .LBB125_115
.LBB125_113:
                                        ; implicit-def: $sgpr2_sgpr3
	v_lshl_add_u64 v[26:27], v[26:27], 3, s[8:9]
.LBB125_114:
	v_lshl_add_u64 v[32:33], v[26:27], 0, v[12:13]
	flat_load_dwordx2 v[32:33], v[32:33]
	v_lshl_add_u64 v[34:35], v[24:25], 0, v[12:13]
	s_waitcnt vmcnt(0) lgkmcnt(0)
	v_mul_f64 v[32:33], v[32:33], s[10:11]
	v_cvt_f32_f64_e32 v29, v[32:33]
	v_min_f32_e32 v28, v29, v28
	v_cvt_f64_f32_e32 v[28:29], v28
	global_store_dwordx2 v[34:35], v[28:29], off
	v_lshl_add_u64 v[28:29], v[0:1], 3, v[26:27]
	flat_load_dwordx2 v[28:29], v[28:29]
	s_waitcnt vmcnt(0) lgkmcnt(0)
	v_mul_f64 v[28:29], v[28:29], s[10:11]
.LBB125_115:
	v_cvt_f32_f64_e32 v28, v[28:29]
	v_max_f32_e32 v29, v116, v116
	v_min_f32_e32 v28, v28, v29
	v_cvt_f64_f32_e32 v[28:29], v28
	v_lshl_add_u64 v[32:33], v[0:1], 3, v[24:25]
	global_store_dwordx2 v[32:33], v[28:29], off
	v_max_f32_e32 v28, v115, v115
	s_mov_b64 vcc, s[6:7]
	s_cbranch_vccz .LBB125_118
; %bb.116:
	v_min_f32_e32 v29, 0, v28
	v_cvt_f64_f32_e32 v[32:33], v29
	v_lshl_add_u64 v[34:35], v[10:11], 3, v[24:25]
	global_store_dwordx2 v[34:35], v[32:33], off
	s_mov_b64 s[2:3], 0
	s_cbranch_execz .LBB125_119
; %bb.117:
	v_mov_b64_e32 v[28:29], s[2:3]
	s_branch .LBB125_120
.LBB125_118:
                                        ; implicit-def: $sgpr2_sgpr3
.LBB125_119:
	v_lshl_add_u64 v[32:33], v[26:27], 0, v[16:17]
	flat_load_dwordx2 v[32:33], v[32:33]
	v_lshl_add_u64 v[34:35], v[24:25], 0, v[16:17]
	s_waitcnt vmcnt(0) lgkmcnt(0)
	v_mul_f64 v[32:33], v[32:33], s[10:11]
	v_cvt_f32_f64_e32 v29, v[32:33]
	v_min_f32_e32 v28, v29, v28
	v_cvt_f64_f32_e32 v[28:29], v28
	global_store_dwordx2 v[34:35], v[28:29], off
	v_lshl_add_u64 v[28:29], v[2:3], 3, v[26:27]
	flat_load_dwordx2 v[28:29], v[28:29]
	s_waitcnt vmcnt(0) lgkmcnt(0)
	v_mul_f64 v[28:29], v[28:29], s[10:11]
.LBB125_120:
	v_cvt_f32_f64_e32 v28, v[28:29]
	v_max_f32_e32 v29, v114, v114
	v_min_f32_e32 v28, v28, v29
	v_cvt_f64_f32_e32 v[28:29], v28
	v_lshl_add_u64 v[32:33], v[2:3], 3, v[24:25]
	global_store_dwordx2 v[32:33], v[28:29], off
	v_max_f32_e32 v28, v113, v113
	s_mov_b64 vcc, s[6:7]
	s_cbranch_vccz .LBB125_123
; %bb.121:
	v_min_f32_e32 v29, 0, v28
	v_cvt_f64_f32_e32 v[32:33], v29
	v_lshl_add_u64 v[34:35], v[14:15], 3, v[24:25]
	global_store_dwordx2 v[34:35], v[32:33], off
	s_mov_b64 s[2:3], 0
	s_cbranch_execz .LBB125_124
; %bb.122:
	v_mov_b64_e32 v[28:29], s[2:3]
	s_branch .LBB125_125
.LBB125_123:
                                        ; implicit-def: $sgpr2_sgpr3
.LBB125_124:
	v_lshl_add_u64 v[32:33], v[26:27], 0, v[20:21]
	flat_load_dwordx2 v[32:33], v[32:33]
	v_lshl_add_u64 v[34:35], v[24:25], 0, v[20:21]
	s_waitcnt vmcnt(0) lgkmcnt(0)
	v_mul_f64 v[32:33], v[32:33], s[10:11]
	v_cvt_f32_f64_e32 v29, v[32:33]
	v_min_f32_e32 v28, v29, v28
	v_cvt_f64_f32_e32 v[28:29], v28
	global_store_dwordx2 v[34:35], v[28:29], off
	v_lshl_add_u64 v[28:29], v[4:5], 3, v[26:27]
	flat_load_dwordx2 v[28:29], v[28:29]
	s_waitcnt vmcnt(0) lgkmcnt(0)
	v_mul_f64 v[28:29], v[28:29], s[10:11]
.LBB125_125:
	v_cvt_f32_f64_e32 v28, v[28:29]
	v_max_f32_e32 v29, v112, v112
	v_min_f32_e32 v28, v28, v29
	v_cvt_f64_f32_e32 v[28:29], v28
	v_lshl_add_u64 v[32:33], v[4:5], 3, v[24:25]
	global_store_dwordx2 v[32:33], v[28:29], off
	v_max_f32_e32 v28, v111, v111
	s_mov_b64 vcc, s[6:7]
	s_cbranch_vccz .LBB125_128
; %bb.126:
	v_min_f32_e32 v29, 0, v28
	v_cvt_f64_f32_e32 v[32:33], v29
	v_lshl_add_u64 v[34:35], v[18:19], 3, v[24:25]
	global_store_dwordx2 v[34:35], v[32:33], off
	s_mov_b64 s[2:3], 0
	s_cbranch_execz .LBB125_129
; %bb.127:
	v_mov_b64_e32 v[26:27], s[2:3]
	s_branch .LBB125_130
.LBB125_128:
                                        ; implicit-def: $sgpr2_sgpr3
.LBB125_129:
	v_lshl_add_u64 v[32:33], v[26:27], 0, v[22:23]
	flat_load_dwordx2 v[32:33], v[32:33]
	v_lshl_add_u64 v[34:35], v[24:25], 0, v[22:23]
	v_lshl_add_u64 v[26:27], v[6:7], 3, v[26:27]
	s_waitcnt vmcnt(0) lgkmcnt(0)
	v_mul_f64 v[32:33], v[32:33], s[10:11]
	v_cvt_f32_f64_e32 v29, v[32:33]
	v_min_f32_e32 v28, v29, v28
	v_cvt_f64_f32_e32 v[28:29], v28
	global_store_dwordx2 v[34:35], v[28:29], off
	flat_load_dwordx2 v[26:27], v[26:27]
	s_waitcnt vmcnt(0) lgkmcnt(0)
	v_mul_f64 v[26:27], v[26:27], s[10:11]
.LBB125_130:
	v_cvt_f32_f64_e32 v26, v[26:27]
	v_max_f32_e32 v27, v110, v110
	v_min_f32_e32 v26, v26, v27
	v_cvt_f64_f32_e32 v[26:27], v26
	v_lshl_add_u64 v[24:25], v[6:7], 3, v[24:25]
	global_store_dwordx2 v[24:25], v[26:27], off
	v_add_u32_e32 v26, 0x80, v30
	v_mad_i64_i32 v[24:25], s[2:3], v26, s13, 0
	v_lshl_add_u64 v[24:25], v[24:25], 3, s[0:1]
	v_mad_i64_i32 v[26:27], s[2:3], v26, s12, 0
	v_max_f32_e32 v28, v109, v109
	s_mov_b64 vcc, s[6:7]
	s_cbranch_vccz .LBB125_133
; %bb.131:
	v_min_f32_e32 v29, 0, v28
	v_cvt_f64_f32_e32 v[32:33], v29
	v_lshl_add_u64 v[34:35], v[8:9], 3, v[24:25]
	global_store_dwordx2 v[34:35], v[32:33], off
	s_mov_b64 s[2:3], 0
	v_lshl_add_u64 v[26:27], v[26:27], 3, s[8:9]
	s_cbranch_execz .LBB125_134
; %bb.132:
	v_mov_b64_e32 v[28:29], s[2:3]
	s_branch .LBB125_135
.LBB125_133:
                                        ; implicit-def: $sgpr2_sgpr3
	v_lshl_add_u64 v[26:27], v[26:27], 3, s[8:9]
.LBB125_134:
	v_lshl_add_u64 v[32:33], v[26:27], 0, v[12:13]
	flat_load_dwordx2 v[32:33], v[32:33]
	v_lshl_add_u64 v[34:35], v[24:25], 0, v[12:13]
	s_waitcnt vmcnt(0) lgkmcnt(0)
	v_mul_f64 v[32:33], v[32:33], s[10:11]
	v_cvt_f32_f64_e32 v29, v[32:33]
	v_min_f32_e32 v28, v29, v28
	v_cvt_f64_f32_e32 v[28:29], v28
	global_store_dwordx2 v[34:35], v[28:29], off
	v_lshl_add_u64 v[28:29], v[0:1], 3, v[26:27]
	flat_load_dwordx2 v[28:29], v[28:29]
	s_waitcnt vmcnt(0) lgkmcnt(0)
	v_mul_f64 v[28:29], v[28:29], s[10:11]
.LBB125_135:
	v_cvt_f32_f64_e32 v28, v[28:29]
	v_max_f32_e32 v29, v108, v108
	v_min_f32_e32 v28, v28, v29
	v_cvt_f64_f32_e32 v[28:29], v28
	v_lshl_add_u64 v[32:33], v[0:1], 3, v[24:25]
	global_store_dwordx2 v[32:33], v[28:29], off
	v_max_f32_e32 v28, v107, v107
	s_mov_b64 vcc, s[6:7]
	s_cbranch_vccz .LBB125_138
; %bb.136:
	v_min_f32_e32 v29, 0, v28
	v_cvt_f64_f32_e32 v[32:33], v29
	v_lshl_add_u64 v[34:35], v[10:11], 3, v[24:25]
	global_store_dwordx2 v[34:35], v[32:33], off
	s_mov_b64 s[2:3], 0
	s_cbranch_execz .LBB125_139
; %bb.137:
	v_mov_b64_e32 v[28:29], s[2:3]
	s_branch .LBB125_140
.LBB125_138:
                                        ; implicit-def: $sgpr2_sgpr3
.LBB125_139:
	v_lshl_add_u64 v[32:33], v[26:27], 0, v[16:17]
	flat_load_dwordx2 v[32:33], v[32:33]
	v_lshl_add_u64 v[34:35], v[24:25], 0, v[16:17]
	s_waitcnt vmcnt(0) lgkmcnt(0)
	v_mul_f64 v[32:33], v[32:33], s[10:11]
	v_cvt_f32_f64_e32 v29, v[32:33]
	v_min_f32_e32 v28, v29, v28
	v_cvt_f64_f32_e32 v[28:29], v28
	global_store_dwordx2 v[34:35], v[28:29], off
	v_lshl_add_u64 v[28:29], v[2:3], 3, v[26:27]
	flat_load_dwordx2 v[28:29], v[28:29]
	s_waitcnt vmcnt(0) lgkmcnt(0)
	v_mul_f64 v[28:29], v[28:29], s[10:11]
.LBB125_140:
	v_cvt_f32_f64_e32 v28, v[28:29]
	v_max_f32_e32 v29, v106, v106
	v_min_f32_e32 v28, v28, v29
	v_cvt_f64_f32_e32 v[28:29], v28
	v_lshl_add_u64 v[32:33], v[2:3], 3, v[24:25]
	global_store_dwordx2 v[32:33], v[28:29], off
	v_max_f32_e32 v28, v105, v105
	s_mov_b64 vcc, s[6:7]
	s_cbranch_vccz .LBB125_143
; %bb.141:
	v_min_f32_e32 v29, 0, v28
	v_cvt_f64_f32_e32 v[32:33], v29
	v_lshl_add_u64 v[34:35], v[14:15], 3, v[24:25]
	global_store_dwordx2 v[34:35], v[32:33], off
	s_mov_b64 s[2:3], 0
	s_cbranch_execz .LBB125_144
; %bb.142:
	v_mov_b64_e32 v[28:29], s[2:3]
	s_branch .LBB125_145
.LBB125_143:
                                        ; implicit-def: $sgpr2_sgpr3
.LBB125_144:
	v_lshl_add_u64 v[32:33], v[26:27], 0, v[20:21]
	flat_load_dwordx2 v[32:33], v[32:33]
	v_lshl_add_u64 v[34:35], v[24:25], 0, v[20:21]
	s_waitcnt vmcnt(0) lgkmcnt(0)
	v_mul_f64 v[32:33], v[32:33], s[10:11]
	v_cvt_f32_f64_e32 v29, v[32:33]
	v_min_f32_e32 v28, v29, v28
	v_cvt_f64_f32_e32 v[28:29], v28
	global_store_dwordx2 v[34:35], v[28:29], off
	v_lshl_add_u64 v[28:29], v[4:5], 3, v[26:27]
	flat_load_dwordx2 v[28:29], v[28:29]
	s_waitcnt vmcnt(0) lgkmcnt(0)
	v_mul_f64 v[28:29], v[28:29], s[10:11]
.LBB125_145:
	v_cvt_f32_f64_e32 v28, v[28:29]
	v_max_f32_e32 v29, v104, v104
	v_min_f32_e32 v28, v28, v29
	v_cvt_f64_f32_e32 v[28:29], v28
	v_lshl_add_u64 v[32:33], v[4:5], 3, v[24:25]
	global_store_dwordx2 v[32:33], v[28:29], off
	v_max_f32_e32 v28, v103, v103
	s_mov_b64 vcc, s[6:7]
	s_cbranch_vccz .LBB125_148
; %bb.146:
	v_min_f32_e32 v29, 0, v28
	v_cvt_f64_f32_e32 v[32:33], v29
	v_lshl_add_u64 v[34:35], v[18:19], 3, v[24:25]
	global_store_dwordx2 v[34:35], v[32:33], off
	s_mov_b64 s[2:3], 0
	s_cbranch_execz .LBB125_149
; %bb.147:
	v_mov_b64_e32 v[26:27], s[2:3]
	s_branch .LBB125_150
.LBB125_148:
                                        ; implicit-def: $sgpr2_sgpr3
.LBB125_149:
	v_lshl_add_u64 v[32:33], v[26:27], 0, v[22:23]
	flat_load_dwordx2 v[32:33], v[32:33]
	v_lshl_add_u64 v[34:35], v[24:25], 0, v[22:23]
	v_lshl_add_u64 v[26:27], v[6:7], 3, v[26:27]
	s_waitcnt vmcnt(0) lgkmcnt(0)
	v_mul_f64 v[32:33], v[32:33], s[10:11]
	v_cvt_f32_f64_e32 v29, v[32:33]
	v_min_f32_e32 v28, v29, v28
	v_cvt_f64_f32_e32 v[28:29], v28
	global_store_dwordx2 v[34:35], v[28:29], off
	flat_load_dwordx2 v[26:27], v[26:27]
	s_waitcnt vmcnt(0) lgkmcnt(0)
	v_mul_f64 v[26:27], v[26:27], s[10:11]
.LBB125_150:
	v_cvt_f32_f64_e32 v26, v[26:27]
	v_max_f32_e32 v27, v102, v102
	v_min_f32_e32 v26, v26, v27
	v_cvt_f64_f32_e32 v[26:27], v26
	v_lshl_add_u64 v[24:25], v[6:7], 3, v[24:25]
	global_store_dwordx2 v[24:25], v[26:27], off
	v_add_u32_e32 v26, 0xa0, v30
	v_mad_i64_i32 v[24:25], s[2:3], v26, s13, 0
	v_lshl_add_u64 v[24:25], v[24:25], 3, s[0:1]
	v_mad_i64_i32 v[26:27], s[2:3], v26, s12, 0
	v_max_f32_e32 v28, v101, v101
	s_mov_b64 vcc, s[6:7]
	s_cbranch_vccz .LBB125_153
; %bb.151:
	v_min_f32_e32 v29, 0, v28
	v_cvt_f64_f32_e32 v[32:33], v29
	v_lshl_add_u64 v[34:35], v[8:9], 3, v[24:25]
	global_store_dwordx2 v[34:35], v[32:33], off
	s_mov_b64 s[2:3], 0
	v_lshl_add_u64 v[26:27], v[26:27], 3, s[8:9]
	s_cbranch_execz .LBB125_154
; %bb.152:
	v_mov_b64_e32 v[28:29], s[2:3]
	s_branch .LBB125_155
.LBB125_153:
                                        ; implicit-def: $sgpr2_sgpr3
	v_lshl_add_u64 v[26:27], v[26:27], 3, s[8:9]
.LBB125_154:
	v_lshl_add_u64 v[32:33], v[26:27], 0, v[12:13]
	flat_load_dwordx2 v[32:33], v[32:33]
	v_lshl_add_u64 v[34:35], v[24:25], 0, v[12:13]
	s_waitcnt vmcnt(0) lgkmcnt(0)
	v_mul_f64 v[32:33], v[32:33], s[10:11]
	v_cvt_f32_f64_e32 v29, v[32:33]
	v_min_f32_e32 v28, v29, v28
	v_cvt_f64_f32_e32 v[28:29], v28
	global_store_dwordx2 v[34:35], v[28:29], off
	v_lshl_add_u64 v[28:29], v[0:1], 3, v[26:27]
	flat_load_dwordx2 v[28:29], v[28:29]
	s_waitcnt vmcnt(0) lgkmcnt(0)
	v_mul_f64 v[28:29], v[28:29], s[10:11]
.LBB125_155:
	v_cvt_f32_f64_e32 v28, v[28:29]
	v_max_f32_e32 v29, v100, v100
	v_min_f32_e32 v28, v28, v29
	v_cvt_f64_f32_e32 v[28:29], v28
	v_lshl_add_u64 v[32:33], v[0:1], 3, v[24:25]
	global_store_dwordx2 v[32:33], v[28:29], off
	v_max_f32_e32 v28, v99, v99
	s_mov_b64 vcc, s[6:7]
	s_cbranch_vccz .LBB125_158
; %bb.156:
	v_min_f32_e32 v29, 0, v28
	v_cvt_f64_f32_e32 v[32:33], v29
	v_lshl_add_u64 v[34:35], v[10:11], 3, v[24:25]
	s_mov_b32 s4, 0
	global_store_dwordx2 v[34:35], v[32:33], off
	s_cbranch_execz .LBB125_159
; %bb.157:
	v_mov_b32_e32 v28, s4
	s_branch .LBB125_160
.LBB125_158:
                                        ; implicit-def: $sgpr4
.LBB125_159:
	v_lshl_add_u64 v[32:33], v[26:27], 0, v[16:17]
	flat_load_dwordx2 v[32:33], v[32:33]
	v_lshl_add_u64 v[34:35], v[24:25], 0, v[16:17]
	s_waitcnt vmcnt(0) lgkmcnt(0)
	v_mul_f64 v[32:33], v[32:33], s[10:11]
	v_cvt_f32_f64_e32 v29, v[32:33]
	v_min_f32_e32 v28, v29, v28
	v_cvt_f64_f32_e32 v[28:29], v28
	global_store_dwordx2 v[34:35], v[28:29], off
	v_lshl_add_u64 v[28:29], v[2:3], 3, v[26:27]
	flat_load_dwordx2 v[28:29], v[28:29]
	s_waitcnt vmcnt(0) lgkmcnt(0)
	v_mul_f64 v[28:29], v[28:29], s[10:11]
	v_cvt_f32_f64_e32 v28, v[28:29]
.LBB125_160:
	v_max_f32_e32 v29, v98, v98
	v_max_f32_e32 v28, v28, v28
	v_min_f32_e32 v28, v28, v29
	v_cvt_f64_f32_e32 v[28:29], v28
	v_lshl_add_u64 v[32:33], v[2:3], 3, v[24:25]
	global_store_dwordx2 v[32:33], v[28:29], off
	v_max_f32_e32 v28, v97, v97
	s_mov_b64 vcc, s[6:7]
	s_cbranch_vccz .LBB125_163
; %bb.161:
	v_min_f32_e32 v29, 0, v28
	v_cvt_f64_f32_e32 v[32:33], v29
	v_lshl_add_u64 v[34:35], v[14:15], 3, v[24:25]
	s_mov_b32 s4, 0
	global_store_dwordx2 v[34:35], v[32:33], off
	s_cbranch_execz .LBB125_164
; %bb.162:
	v_mov_b32_e32 v28, s4
	s_branch .LBB125_165
.LBB125_163:
                                        ; implicit-def: $sgpr4
.LBB125_164:
	v_lshl_add_u64 v[32:33], v[26:27], 0, v[20:21]
	flat_load_dwordx2 v[32:33], v[32:33]
	v_lshl_add_u64 v[34:35], v[24:25], 0, v[20:21]
	s_waitcnt vmcnt(0) lgkmcnt(0)
	v_mul_f64 v[32:33], v[32:33], s[10:11]
	v_cvt_f32_f64_e32 v29, v[32:33]
	v_min_f32_e32 v28, v29, v28
	v_cvt_f64_f32_e32 v[28:29], v28
	global_store_dwordx2 v[34:35], v[28:29], off
	v_lshl_add_u64 v[28:29], v[4:5], 3, v[26:27]
	flat_load_dwordx2 v[28:29], v[28:29]
	s_waitcnt vmcnt(0) lgkmcnt(0)
	v_mul_f64 v[28:29], v[28:29], s[10:11]
	v_cvt_f32_f64_e32 v28, v[28:29]
.LBB125_165:
	v_max_f32_e32 v29, v96, v96
	v_max_f32_e32 v28, v28, v28
	v_min_f32_e32 v28, v28, v29
	v_cvt_f64_f32_e32 v[28:29], v28
	v_lshl_add_u64 v[32:33], v[4:5], 3, v[24:25]
	global_store_dwordx2 v[32:33], v[28:29], off
	v_max_f32_e32 v28, v95, v95
	s_mov_b64 vcc, s[6:7]
	s_cbranch_vccz .LBB125_168
; %bb.166:
	v_min_f32_e32 v29, 0, v28
	v_cvt_f64_f32_e32 v[32:33], v29
	v_lshl_add_u64 v[34:35], v[18:19], 3, v[24:25]
	s_mov_b32 s4, 0
	global_store_dwordx2 v[34:35], v[32:33], off
	s_cbranch_execz .LBB125_169
; %bb.167:
	v_mov_b32_e32 v26, s4
	s_branch .LBB125_170
.LBB125_168:
                                        ; implicit-def: $sgpr4
.LBB125_169:
	v_lshl_add_u64 v[32:33], v[26:27], 0, v[22:23]
	flat_load_dwordx2 v[32:33], v[32:33]
	v_lshl_add_u64 v[34:35], v[24:25], 0, v[22:23]
	v_lshl_add_u64 v[26:27], v[6:7], 3, v[26:27]
	s_waitcnt vmcnt(0) lgkmcnt(0)
	v_mul_f64 v[32:33], v[32:33], s[10:11]
	v_cvt_f32_f64_e32 v29, v[32:33]
	v_min_f32_e32 v28, v29, v28
	v_cvt_f64_f32_e32 v[28:29], v28
	global_store_dwordx2 v[34:35], v[28:29], off
	flat_load_dwordx2 v[26:27], v[26:27]
	s_waitcnt vmcnt(0) lgkmcnt(0)
	v_mul_f64 v[26:27], v[26:27], s[10:11]
	v_cvt_f32_f64_e32 v26, v[26:27]
.LBB125_170:
	v_max_f32_e32 v27, v94, v94
	v_max_f32_e32 v26, v26, v26
	v_min_f32_e32 v26, v26, v27
	v_cvt_f64_f32_e32 v[26:27], v26
	v_lshl_add_u64 v[24:25], v[6:7], 3, v[24:25]
	global_store_dwordx2 v[24:25], v[26:27], off
	v_add_u32_e32 v26, 0xc0, v30
	v_mad_i64_i32 v[24:25], s[2:3], v26, s13, 0
	v_lshl_add_u64 v[24:25], v[24:25], 3, s[0:1]
	v_mad_i64_i32 v[26:27], s[2:3], v26, s12, 0
	v_max_f32_e32 v28, v93, v93
	s_mov_b64 vcc, s[6:7]
	s_cbranch_vccz .LBB125_173
; %bb.171:
	v_min_f32_e32 v29, 0, v28
	v_cvt_f64_f32_e32 v[32:33], v29
	v_lshl_add_u64 v[34:35], v[8:9], 3, v[24:25]
	s_mov_b32 s4, 0
	global_store_dwordx2 v[34:35], v[32:33], off
	v_lshl_add_u64 v[26:27], v[26:27], 3, s[8:9]
	s_cbranch_execz .LBB125_174
; %bb.172:
	v_mov_b32_e32 v28, s4
	s_branch .LBB125_175
.LBB125_173:
                                        ; implicit-def: $sgpr4
	v_lshl_add_u64 v[26:27], v[26:27], 3, s[8:9]
.LBB125_174:
	v_lshl_add_u64 v[32:33], v[26:27], 0, v[12:13]
	flat_load_dwordx2 v[32:33], v[32:33]
	v_lshl_add_u64 v[34:35], v[24:25], 0, v[12:13]
	s_waitcnt vmcnt(0) lgkmcnt(0)
	v_mul_f64 v[32:33], v[32:33], s[10:11]
	v_cvt_f32_f64_e32 v29, v[32:33]
	v_min_f32_e32 v28, v29, v28
	v_cvt_f64_f32_e32 v[28:29], v28
	global_store_dwordx2 v[34:35], v[28:29], off
	v_lshl_add_u64 v[28:29], v[0:1], 3, v[26:27]
	flat_load_dwordx2 v[28:29], v[28:29]
	s_waitcnt vmcnt(0) lgkmcnt(0)
	v_mul_f64 v[28:29], v[28:29], s[10:11]
	v_cvt_f32_f64_e32 v28, v[28:29]
.LBB125_175:
	v_max_f32_e32 v29, v92, v92
	v_max_f32_e32 v28, v28, v28
	v_min_f32_e32 v28, v28, v29
	v_cvt_f64_f32_e32 v[28:29], v28
	v_lshl_add_u64 v[32:33], v[0:1], 3, v[24:25]
	global_store_dwordx2 v[32:33], v[28:29], off
	v_max_f32_e32 v28, v91, v91
	s_mov_b64 vcc, s[6:7]
	s_cbranch_vccz .LBB125_178
; %bb.176:
	v_min_f32_e32 v29, 0, v28
	v_cvt_f64_f32_e32 v[32:33], v29
	v_lshl_add_u64 v[34:35], v[10:11], 3, v[24:25]
	s_mov_b32 s4, 0
	global_store_dwordx2 v[34:35], v[32:33], off
	s_cbranch_execz .LBB125_179
; %bb.177:
	v_mov_b32_e32 v28, s4
	s_branch .LBB125_180
.LBB125_178:
                                        ; implicit-def: $sgpr4
.LBB125_179:
	v_lshl_add_u64 v[32:33], v[26:27], 0, v[16:17]
	flat_load_dwordx2 v[32:33], v[32:33]
	v_lshl_add_u64 v[34:35], v[24:25], 0, v[16:17]
	s_waitcnt vmcnt(0) lgkmcnt(0)
	v_mul_f64 v[32:33], v[32:33], s[10:11]
	v_cvt_f32_f64_e32 v29, v[32:33]
	v_min_f32_e32 v28, v29, v28
	v_cvt_f64_f32_e32 v[28:29], v28
	global_store_dwordx2 v[34:35], v[28:29], off
	v_lshl_add_u64 v[28:29], v[2:3], 3, v[26:27]
	flat_load_dwordx2 v[28:29], v[28:29]
	s_waitcnt vmcnt(0) lgkmcnt(0)
	v_mul_f64 v[28:29], v[28:29], s[10:11]
	v_cvt_f32_f64_e32 v28, v[28:29]
.LBB125_180:
	v_max_f32_e32 v29, v90, v90
	v_max_f32_e32 v28, v28, v28
	v_min_f32_e32 v28, v28, v29
	v_cvt_f64_f32_e32 v[28:29], v28
	v_lshl_add_u64 v[32:33], v[2:3], 3, v[24:25]
	global_store_dwordx2 v[32:33], v[28:29], off
	v_max_f32_e32 v28, v89, v89
	s_mov_b64 vcc, s[6:7]
	s_cbranch_vccz .LBB125_183
; %bb.181:
	v_min_f32_e32 v29, 0, v28
	v_cvt_f64_f32_e32 v[32:33], v29
	v_lshl_add_u64 v[34:35], v[14:15], 3, v[24:25]
	s_mov_b32 s4, 0
	global_store_dwordx2 v[34:35], v[32:33], off
	s_cbranch_execz .LBB125_184
; %bb.182:
	v_mov_b32_e32 v28, s4
	s_branch .LBB125_185
.LBB125_183:
                                        ; implicit-def: $sgpr4
.LBB125_184:
	v_lshl_add_u64 v[32:33], v[26:27], 0, v[20:21]
	flat_load_dwordx2 v[32:33], v[32:33]
	v_lshl_add_u64 v[34:35], v[24:25], 0, v[20:21]
	s_waitcnt vmcnt(0) lgkmcnt(0)
	v_mul_f64 v[32:33], v[32:33], s[10:11]
	v_cvt_f32_f64_e32 v29, v[32:33]
	v_min_f32_e32 v28, v29, v28
	v_cvt_f64_f32_e32 v[28:29], v28
	global_store_dwordx2 v[34:35], v[28:29], off
	v_lshl_add_u64 v[28:29], v[4:5], 3, v[26:27]
	flat_load_dwordx2 v[28:29], v[28:29]
	s_waitcnt vmcnt(0) lgkmcnt(0)
	v_mul_f64 v[28:29], v[28:29], s[10:11]
	v_cvt_f32_f64_e32 v28, v[28:29]
.LBB125_185:
	v_max_f32_e32 v29, v88, v88
	v_max_f32_e32 v28, v28, v28
	v_min_f32_e32 v28, v28, v29
	v_cvt_f64_f32_e32 v[28:29], v28
	v_lshl_add_u64 v[32:33], v[4:5], 3, v[24:25]
	global_store_dwordx2 v[32:33], v[28:29], off
	v_max_f32_e32 v28, v87, v87
	s_mov_b64 vcc, s[6:7]
	s_cbranch_vccz .LBB125_188
; %bb.186:
	v_min_f32_e32 v29, 0, v28
	v_cvt_f64_f32_e32 v[32:33], v29
	v_lshl_add_u64 v[34:35], v[18:19], 3, v[24:25]
	s_mov_b32 s4, 0
	global_store_dwordx2 v[34:35], v[32:33], off
	s_cbranch_execz .LBB125_189
; %bb.187:
	v_mov_b32_e32 v26, s4
	s_branch .LBB125_190
.LBB125_188:
                                        ; implicit-def: $sgpr4
.LBB125_189:
	v_lshl_add_u64 v[32:33], v[26:27], 0, v[22:23]
	flat_load_dwordx2 v[32:33], v[32:33]
	v_lshl_add_u64 v[34:35], v[24:25], 0, v[22:23]
	v_lshl_add_u64 v[26:27], v[6:7], 3, v[26:27]
	s_waitcnt vmcnt(0) lgkmcnt(0)
	v_mul_f64 v[32:33], v[32:33], s[10:11]
	v_cvt_f32_f64_e32 v29, v[32:33]
	v_min_f32_e32 v28, v29, v28
	v_cvt_f64_f32_e32 v[28:29], v28
	global_store_dwordx2 v[34:35], v[28:29], off
	flat_load_dwordx2 v[26:27], v[26:27]
	s_waitcnt vmcnt(0) lgkmcnt(0)
	v_mul_f64 v[26:27], v[26:27], s[10:11]
	v_cvt_f32_f64_e32 v26, v[26:27]
.LBB125_190:
	v_max_f32_e32 v27, v86, v86
	v_max_f32_e32 v26, v26, v26
	v_min_f32_e32 v26, v26, v27
	v_cvt_f64_f32_e32 v[26:27], v26
	v_lshl_add_u64 v[24:25], v[6:7], 3, v[24:25]
	global_store_dwordx2 v[24:25], v[26:27], off
	v_add_u32_e32 v26, 0xe0, v30
	v_mad_i64_i32 v[24:25], s[2:3], v26, s13, 0
	v_lshl_add_u64 v[24:25], v[24:25], 3, s[0:1]
	v_mad_i64_i32 v[26:27], s[0:1], v26, s12, 0
	v_max_f32_e32 v28, v85, v85
	s_mov_b64 vcc, s[6:7]
	s_cbranch_vccz .LBB125_193
; %bb.191:
	v_min_f32_e32 v29, 0, v28
	v_cvt_f64_f32_e32 v[30:31], v29
	v_lshl_add_u64 v[8:9], v[8:9], 3, v[24:25]
	s_mov_b32 s2, 0
	global_store_dwordx2 v[8:9], v[30:31], off
	v_lshl_add_u64 v[8:9], v[26:27], 3, s[8:9]
	s_cbranch_execz .LBB125_194
; %bb.192:
	v_mov_b32_e32 v12, s2
	s_branch .LBB125_195
.LBB125_193:
                                        ; implicit-def: $sgpr2
	v_lshl_add_u64 v[8:9], v[26:27], 3, s[8:9]
.LBB125_194:
	v_lshl_add_u64 v[26:27], v[8:9], 0, v[12:13]
	flat_load_dwordx2 v[26:27], v[26:27]
	v_lshl_add_u64 v[12:13], v[24:25], 0, v[12:13]
	s_waitcnt vmcnt(0) lgkmcnt(0)
	v_mul_f64 v[26:27], v[26:27], s[10:11]
	v_cvt_f32_f64_e32 v26, v[26:27]
	v_min_f32_e32 v26, v26, v28
	v_cvt_f64_f32_e32 v[26:27], v26
	global_store_dwordx2 v[12:13], v[26:27], off
	v_lshl_add_u64 v[12:13], v[0:1], 3, v[8:9]
	flat_load_dwordx2 v[12:13], v[12:13]
	s_waitcnt vmcnt(0) lgkmcnt(0)
	v_mul_f64 v[12:13], v[12:13], s[10:11]
	v_cvt_f32_f64_e32 v12, v[12:13]
.LBB125_195:
	v_max_f32_e32 v13, v84, v84
	v_max_f32_e32 v12, v12, v12
	v_min_f32_e32 v12, v12, v13
	v_cvt_f64_f32_e32 v[12:13], v12
	v_lshl_add_u64 v[0:1], v[0:1], 3, v[24:25]
	global_store_dwordx2 v[0:1], v[12:13], off
	v_max_f32_e32 v0, v83, v83
	s_mov_b64 vcc, s[6:7]
	s_cbranch_vccz .LBB125_198
; %bb.196:
	v_min_f32_e32 v1, 0, v0
	v_cvt_f64_f32_e32 v[12:13], v1
	v_lshl_add_u64 v[10:11], v[10:11], 3, v[24:25]
	s_mov_b32 s2, 0
	global_store_dwordx2 v[10:11], v[12:13], off
	s_cbranch_execz .LBB125_199
; %bb.197:
	v_mov_b32_e32 v0, s2
	s_branch .LBB125_200
.LBB125_198:
                                        ; implicit-def: $sgpr2
.LBB125_199:
	v_lshl_add_u64 v[10:11], v[8:9], 0, v[16:17]
	flat_load_dwordx2 v[10:11], v[10:11]
	v_lshl_add_u64 v[12:13], v[24:25], 0, v[16:17]
	s_waitcnt vmcnt(0) lgkmcnt(0)
	v_mul_f64 v[10:11], v[10:11], s[10:11]
	v_cvt_f32_f64_e32 v1, v[10:11]
	v_min_f32_e32 v0, v1, v0
	v_cvt_f64_f32_e32 v[0:1], v0
	global_store_dwordx2 v[12:13], v[0:1], off
	v_lshl_add_u64 v[0:1], v[2:3], 3, v[8:9]
	flat_load_dwordx2 v[0:1], v[0:1]
	s_waitcnt vmcnt(0) lgkmcnt(0)
	v_mul_f64 v[0:1], v[0:1], s[10:11]
	v_cvt_f32_f64_e32 v0, v[0:1]
.LBB125_200:
	v_max_f32_e32 v1, v82, v82
	v_max_f32_e32 v0, v0, v0
	v_min_f32_e32 v0, v0, v1
	v_cvt_f64_f32_e32 v[0:1], v0
	v_lshl_add_u64 v[2:3], v[2:3], 3, v[24:25]
	global_store_dwordx2 v[2:3], v[0:1], off
	v_max_f32_e32 v0, v81, v81
	s_mov_b64 vcc, s[6:7]
	s_cbranch_vccz .LBB125_203
; %bb.201:
	v_min_f32_e32 v1, 0, v0
	v_cvt_f64_f32_e32 v[2:3], v1
	v_lshl_add_u64 v[10:11], v[14:15], 3, v[24:25]
	s_mov_b32 s2, 0
	global_store_dwordx2 v[10:11], v[2:3], off
	s_cbranch_execz .LBB125_204
; %bb.202:
	v_mov_b32_e32 v0, s2
	s_branch .LBB125_205
.LBB125_203:
                                        ; implicit-def: $sgpr2
.LBB125_204:
	v_lshl_add_u64 v[2:3], v[8:9], 0, v[20:21]
	flat_load_dwordx2 v[2:3], v[2:3]
	v_lshl_add_u64 v[10:11], v[24:25], 0, v[20:21]
	s_waitcnt vmcnt(0) lgkmcnt(0)
	v_mul_f64 v[2:3], v[2:3], s[10:11]
	v_cvt_f32_f64_e32 v1, v[2:3]
	v_min_f32_e32 v0, v1, v0
	v_cvt_f64_f32_e32 v[0:1], v0
	global_store_dwordx2 v[10:11], v[0:1], off
	v_lshl_add_u64 v[0:1], v[4:5], 3, v[8:9]
	flat_load_dwordx2 v[0:1], v[0:1]
	s_waitcnt vmcnt(0) lgkmcnt(0)
	v_mul_f64 v[0:1], v[0:1], s[10:11]
	v_cvt_f32_f64_e32 v0, v[0:1]
.LBB125_205:
	;; [unrolled: 37-line block ×3, first 2 shown]
	v_max_f32_e32 v1, v78, v78
	v_max_f32_e32 v0, v0, v0
	v_min_f32_e32 v0, v0, v1
	v_cvt_f64_f32_e32 v[0:1], v0
	v_lshl_add_u64 v[2:3], v[6:7], 3, v[24:25]
	global_store_dwordx2 v[2:3], v[0:1], off
	s_endpgm
	.section	.rodata,"a",@progbits
	.p2align	6, 0x0
	.amdhsa_kernel _ZN12_GLOBAL__N_120geam_min_plus_kernelId15HIP_vector_typeIdLj2EEdLi8ELi32ELi64ELi256ELi4ELi4ELi64ELi64ELi4ELc84ELc84ELb0ELb0ELb1EdKPKdKPdEEviiiT16_PT17_ilSA_ilS8_SA_ilPT18_ili26rocblas_geam_ex_operation_
		.amdhsa_group_segment_fixed_size 20480
		.amdhsa_private_segment_fixed_size 0
		.amdhsa_kernarg_size 136
		.amdhsa_user_sgpr_count 2
		.amdhsa_user_sgpr_dispatch_ptr 0
		.amdhsa_user_sgpr_queue_ptr 0
		.amdhsa_user_sgpr_kernarg_segment_ptr 1
		.amdhsa_user_sgpr_dispatch_id 0
		.amdhsa_user_sgpr_kernarg_preload_length 0
		.amdhsa_user_sgpr_kernarg_preload_offset 0
		.amdhsa_user_sgpr_private_segment_size 0
		.amdhsa_uses_dynamic_stack 0
		.amdhsa_enable_private_segment 0
		.amdhsa_system_sgpr_workgroup_id_x 1
		.amdhsa_system_sgpr_workgroup_id_y 0
		.amdhsa_system_sgpr_workgroup_id_z 1
		.amdhsa_system_sgpr_workgroup_info 0
		.amdhsa_system_vgpr_workitem_id 1
		.amdhsa_next_free_vgpr 160
		.amdhsa_next_free_sgpr 29
		.amdhsa_accum_offset 160
		.amdhsa_reserve_vcc 1
		.amdhsa_float_round_mode_32 0
		.amdhsa_float_round_mode_16_64 0
		.amdhsa_float_denorm_mode_32 3
		.amdhsa_float_denorm_mode_16_64 3
		.amdhsa_dx10_clamp 1
		.amdhsa_ieee_mode 1
		.amdhsa_fp16_overflow 0
		.amdhsa_tg_split 0
		.amdhsa_exception_fp_ieee_invalid_op 0
		.amdhsa_exception_fp_denorm_src 0
		.amdhsa_exception_fp_ieee_div_zero 0
		.amdhsa_exception_fp_ieee_overflow 0
		.amdhsa_exception_fp_ieee_underflow 0
		.amdhsa_exception_fp_ieee_inexact 0
		.amdhsa_exception_int_div_zero 0
	.end_amdhsa_kernel
	.section	.text._ZN12_GLOBAL__N_120geam_min_plus_kernelId15HIP_vector_typeIdLj2EEdLi8ELi32ELi64ELi256ELi4ELi4ELi64ELi64ELi4ELc84ELc84ELb0ELb0ELb1EdKPKdKPdEEviiiT16_PT17_ilSA_ilS8_SA_ilPT18_ili26rocblas_geam_ex_operation_,"axG",@progbits,_ZN12_GLOBAL__N_120geam_min_plus_kernelId15HIP_vector_typeIdLj2EEdLi8ELi32ELi64ELi256ELi4ELi4ELi64ELi64ELi4ELc84ELc84ELb0ELb0ELb1EdKPKdKPdEEviiiT16_PT17_ilSA_ilS8_SA_ilPT18_ili26rocblas_geam_ex_operation_,comdat
.Lfunc_end125:
	.size	_ZN12_GLOBAL__N_120geam_min_plus_kernelId15HIP_vector_typeIdLj2EEdLi8ELi32ELi64ELi256ELi4ELi4ELi64ELi64ELi4ELc84ELc84ELb0ELb0ELb1EdKPKdKPdEEviiiT16_PT17_ilSA_ilS8_SA_ilPT18_ili26rocblas_geam_ex_operation_, .Lfunc_end125-_ZN12_GLOBAL__N_120geam_min_plus_kernelId15HIP_vector_typeIdLj2EEdLi8ELi32ELi64ELi256ELi4ELi4ELi64ELi64ELi4ELc84ELc84ELb0ELb0ELb1EdKPKdKPdEEviiiT16_PT17_ilSA_ilS8_SA_ilPT18_ili26rocblas_geam_ex_operation_
                                        ; -- End function
	.section	.AMDGPU.csdata,"",@progbits
; Kernel info:
; codeLenInByte = 17120
; NumSgprs: 35
; NumVgprs: 160
; NumAgprs: 0
; TotalNumVgprs: 160
; ScratchSize: 0
; MemoryBound: 1
; FloatMode: 240
; IeeeMode: 1
; LDSByteSize: 20480 bytes/workgroup (compile time only)
; SGPRBlocks: 4
; VGPRBlocks: 19
; NumSGPRsForWavesPerEU: 35
; NumVGPRsForWavesPerEU: 160
; AccumOffset: 160
; Occupancy: 3
; WaveLimiterHint : 1
; COMPUTE_PGM_RSRC2:SCRATCH_EN: 0
; COMPUTE_PGM_RSRC2:USER_SGPR: 2
; COMPUTE_PGM_RSRC2:TRAP_HANDLER: 0
; COMPUTE_PGM_RSRC2:TGID_X_EN: 1
; COMPUTE_PGM_RSRC2:TGID_Y_EN: 0
; COMPUTE_PGM_RSRC2:TGID_Z_EN: 1
; COMPUTE_PGM_RSRC2:TIDIG_COMP_CNT: 1
; COMPUTE_PGM_RSRC3_GFX90A:ACCUM_OFFSET: 39
; COMPUTE_PGM_RSRC3_GFX90A:TG_SPLIT: 0
	.section	.text._ZN12_GLOBAL__N_120geam_min_plus_kernelId15HIP_vector_typeIdLj2EEdLi8ELi32ELi64ELi256ELi4ELi4ELi64ELi64ELi4ELc84ELc84ELb0ELb1ELb1EPKdKS4_KPdEEviiiT16_PT17_ilSA_ilS8_SA_ilPT18_ili26rocblas_geam_ex_operation_,"axG",@progbits,_ZN12_GLOBAL__N_120geam_min_plus_kernelId15HIP_vector_typeIdLj2EEdLi8ELi32ELi64ELi256ELi4ELi4ELi64ELi64ELi4ELc84ELc84ELb0ELb1ELb1EPKdKS4_KPdEEviiiT16_PT17_ilSA_ilS8_SA_ilPT18_ili26rocblas_geam_ex_operation_,comdat
	.globl	_ZN12_GLOBAL__N_120geam_min_plus_kernelId15HIP_vector_typeIdLj2EEdLi8ELi32ELi64ELi256ELi4ELi4ELi64ELi64ELi4ELc84ELc84ELb0ELb1ELb1EPKdKS4_KPdEEviiiT16_PT17_ilSA_ilS8_SA_ilPT18_ili26rocblas_geam_ex_operation_ ; -- Begin function _ZN12_GLOBAL__N_120geam_min_plus_kernelId15HIP_vector_typeIdLj2EEdLi8ELi32ELi64ELi256ELi4ELi4ELi64ELi64ELi4ELc84ELc84ELb0ELb1ELb1EPKdKS4_KPdEEviiiT16_PT17_ilSA_ilS8_SA_ilPT18_ili26rocblas_geam_ex_operation_
	.p2align	8
	.type	_ZN12_GLOBAL__N_120geam_min_plus_kernelId15HIP_vector_typeIdLj2EEdLi8ELi32ELi64ELi256ELi4ELi4ELi64ELi64ELi4ELc84ELc84ELb0ELb1ELb1EPKdKS4_KPdEEviiiT16_PT17_ilSA_ilS8_SA_ilPT18_ili26rocblas_geam_ex_operation_,@function
_ZN12_GLOBAL__N_120geam_min_plus_kernelId15HIP_vector_typeIdLj2EEdLi8ELi32ELi64ELi256ELi4ELi4ELi64ELi64ELi4ELc84ELc84ELb0ELb1ELb1EPKdKS4_KPdEEviiiT16_PT17_ilSA_ilS8_SA_ilPT18_ili26rocblas_geam_ex_operation_: ; @_ZN12_GLOBAL__N_120geam_min_plus_kernelId15HIP_vector_typeIdLj2EEdLi8ELi32ELi64ELi256ELi4ELi4ELi64ELi64ELi4ELc84ELc84ELb0ELb1ELb1EPKdKS4_KPdEEviiiT16_PT17_ilSA_ilS8_SA_ilPT18_ili26rocblas_geam_ex_operation_
; %bb.0:
	s_load_dwordx4 s[12:15], s[0:1], 0x10
	s_load_dwordx4 s[4:7], s[0:1], 0x28
	s_mov_b32 s8, s3
	s_mov_b32 s9, 0
	s_lshl_b64 s[16:17], s[8:9], 3
	s_waitcnt lgkmcnt(0)
	s_add_u32 s20, s12, s16
	s_load_dwordx4 s[8:11], s[0:1], 0x40
	s_addc_u32 s21, s13, s17
	s_load_dwordx2 s[18:19], s[20:21], 0x0
	s_load_dwordx2 s[12:13], s[0:1], 0x50
	s_mov_b64 s[30:31], 0
	s_mov_b64 s[34:35], 0
	s_waitcnt lgkmcnt(0)
	s_add_u32 s10, s10, s16
	v_cmp_eq_f64_e64 s[28:29], s[18:19], 0
	s_addc_u32 s11, s11, s17
	v_cmp_neq_f64_e64 s[20:21], s[18:19], 0
	s_and_b64 vcc, exec, s[28:29]
	s_cbranch_vccnz .LBB126_2
; %bb.1:
	s_add_u32 s14, s14, s16
	s_addc_u32 s15, s15, s17
	s_load_dwordx2 s[14:15], s[14:15], 0x0
	s_lshl_b64 s[4:5], s[4:5], 3
	s_waitcnt lgkmcnt(0)
	s_add_u32 s34, s14, s4
	s_addc_u32 s35, s15, s5
.LBB126_2:
	s_load_dwordx2 s[24:25], s[10:11], 0x0
	s_andn2_b64 vcc, exec, s[20:21]
	s_cbranch_vccnz .LBB126_4
; %bb.3:
	s_add_u32 s4, s6, s16
	s_addc_u32 s5, s7, s17
	s_load_dwordx2 s[4:5], s[4:5], 0x0
	s_lshl_b64 s[6:7], s[8:9], 3
	s_waitcnt lgkmcnt(0)
	s_add_u32 s30, s4, s6
	s_addc_u32 s31, s5, s7
.LBB126_4:
	s_load_dwordx4 s[4:7], s[0:1], 0x60
	s_waitcnt lgkmcnt(0)
	v_cmp_eq_f64_e64 s[8:9], s[24:25], 0
	s_mov_b64 s[26:27], 0
	v_cmp_neq_f64_e64 s[14:15], s[24:25], 0
	s_and_b64 vcc, exec, s[8:9]
	s_cbranch_vccnz .LBB126_6
; %bb.5:
	s_add_u32 s8, s12, s16
	s_addc_u32 s9, s13, s17
	s_load_dwordx2 s[8:9], s[8:9], 0x0
	s_lshl_b64 s[4:5], s[4:5], 3
	s_waitcnt lgkmcnt(0)
	s_add_u32 s26, s8, s4
	s_addc_u32 s27, s9, s5
.LBB126_6:
	s_load_dwordx4 s[20:23], s[0:1], 0x0
	s_load_dword s40, s[0:1], 0x20
	s_add_u32 s4, s6, s16
	s_addc_u32 s5, s7, s17
	v_and_b32_e32 v132, 0x3ff, v0
	s_waitcnt lgkmcnt(0)
	s_add_i32 s7, s20, -1
	s_ashr_i32 s3, s7, 31
	s_lshr_b32 s3, s3, 26
	s_add_i32 s3, s7, s3
	s_ashr_i32 s3, s3, 6
	s_add_i32 s8, s3, 1
	v_cvt_f32_u32_e32 v1, s8
	v_bfe_u32 v133, v0, 10, 10
	s_load_dwordx2 s[16:17], s[4:5], 0x0
	s_not_b32 s3, s3
	v_rcp_iflag_f32_e32 v0, v1
	v_lshl_add_u32 v4, v133, 3, v132
	v_lshrrev_b32_e32 v14, 2, v4
	v_and_b32_e32 v144, 3, v132
	v_mul_f32_e32 v0, 0x4f7ffffe, v0
	v_cvt_u32_f32_e32 v0, v0
	v_cmp_le_i32_e32 vcc, s22, v144
	v_mov_b32_e32 v5, 0x7fefffff
	v_readfirstlane_b32 s4, v0
	s_mul_i32 s3, s3, s4
	s_mul_hi_u32 s3, s4, s3
	s_add_i32 s4, s4, s3
	s_mul_hi_u32 s3, s2, s4
	s_mul_i32 s4, s3, s8
	s_sub_i32 s4, s2, s4
	s_add_i32 s5, s3, 1
	s_sub_i32 s6, s4, s8
	s_cmp_ge_u32 s4, s8
	s_cselect_b32 s3, s5, s3
	s_cselect_b32 s4, s6, s4
	s_add_i32 s5, s3, 1
	s_cmp_ge_u32 s4, s8
	s_cselect_b32 s6, s5, s3
	s_mul_i32 s3, s6, s8
	s_sub_i32 s2, s2, s3
	s_lshl_b32 s23, s2, 6
	v_add_u32_e32 v0, s23, v14
	v_cmp_le_i32_e64 s[2:3], s20, v0
	s_or_b64 vcc, vcc, s[2:3]
	s_or_b64 s[4:5], s[28:29], vcc
	v_min_i32_e32 v72, s7, v0
	v_cndmask_b32_e32 v3, 0, v5, vcc
	s_xor_b64 s[8:9], s[4:5], -1
	v_cndmask_b32_e64 v2, 0, -1, vcc
	v_lshlrev_b32_e32 v0, 3, v144
	s_and_saveexec_b64 s[4:5], s[8:9]
	s_cbranch_execz .LBB126_8
; %bb.7:
	v_mad_i64_i32 v[2:3], s[8:9], v72, s40, 0
	v_lshl_add_u64 v[2:3], v[2:3], 3, s[34:35]
	v_mov_b32_e32 v1, 0
	v_lshl_add_u64 v[2:3], v[2:3], 0, v[0:1]
	flat_load_dwordx2 v[2:3], v[2:3]
	s_waitcnt vmcnt(0) lgkmcnt(0)
	v_mul_f64 v[2:3], s[18:19], v[2:3]
.LBB126_8:
	s_or_b64 exec, exec, s[4:5]
	s_load_dword s36, s[0:1], 0x38
	v_lshrrev_b32_e32 v145, 6, v4
	s_add_i32 s37, s22, -1
	v_and_b32_e32 v73, 63, v4
	s_lshl_b32 s33, s6, 8
	v_min_i32_e32 v1, s37, v145
	v_or_b32_e32 v60, s33, v73
	s_waitcnt lgkmcnt(0)
	v_mad_i64_i32 v[6:7], s[4:5], s36, v1, 0
	v_cmp_le_i32_e32 vcc, s22, v145
	v_cmp_le_i32_e64 s[4:5], s21, v60
	s_or_b64 s[6:7], s[4:5], vcc
	s_or_b64 s[8:9], s[28:29], s[6:7]
	v_lshl_add_u64 v[12:13], v[6:7], 3, s[30:31]
	v_cndmask_b32_e64 v5, 0, v5, s[6:7]
	s_xor_b64 s[8:9], s[8:9], -1
	v_cndmask_b32_e64 v4, 0, -1, s[6:7]
	v_ashrrev_i32_e32 v61, 31, v60
	s_and_saveexec_b64 s[6:7], s[8:9]
	s_cbranch_execz .LBB126_10
; %bb.9:
	v_lshl_add_u64 v[4:5], v[60:61], 3, v[12:13]
	flat_load_dwordx2 v[4:5], v[4:5]
	s_waitcnt vmcnt(0) lgkmcnt(0)
	v_mul_f64 v[4:5], s[18:19], v[4:5]
.LBB126_10:
	s_or_b64 exec, exec, s[6:7]
	v_or_b32_e32 v1, 64, v60
	v_cmp_le_i32_e64 s[6:7], s21, v1
	s_or_b64 s[8:9], s[6:7], vcc
	v_mov_b32_e32 v1, 0x7fefffff
	s_or_b64 s[10:11], s[28:29], s[8:9]
	v_cndmask_b32_e64 v7, 0, v1, s[8:9]
	s_xor_b64 s[10:11], s[10:11], -1
	v_cndmask_b32_e64 v6, 0, -1, s[8:9]
	s_and_saveexec_b64 s[8:9], s[10:11]
	s_cbranch_execz .LBB126_12
; %bb.11:
	v_lshl_add_u64 v[6:7], v[60:61], 3, v[12:13]
	flat_load_dwordx2 v[6:7], v[6:7] offset:512
	s_waitcnt vmcnt(0) lgkmcnt(0)
	v_mul_f64 v[6:7], s[18:19], v[6:7]
.LBB126_12:
	s_or_b64 exec, exec, s[8:9]
	v_or_b32_e32 v8, 0x80, v60
	v_cmp_le_i32_e64 s[8:9], s21, v8
	s_or_b64 s[10:11], s[8:9], vcc
	s_or_b64 s[12:13], s[28:29], s[10:11]
	v_cndmask_b32_e64 v9, 0, v1, s[10:11]
	s_xor_b64 s[12:13], s[12:13], -1
	v_cndmask_b32_e64 v8, 0, -1, s[10:11]
	s_and_saveexec_b64 s[10:11], s[12:13]
	s_cbranch_execz .LBB126_14
; %bb.13:
	v_lshl_add_u64 v[8:9], v[60:61], 3, v[12:13]
	flat_load_dwordx2 v[8:9], v[8:9] offset:1024
	s_waitcnt vmcnt(0) lgkmcnt(0)
	v_mul_f64 v[8:9], s[18:19], v[8:9]
.LBB126_14:
	s_or_b64 exec, exec, s[10:11]
	v_or_b32_e32 v1, 0xc0, v60
	v_cmp_le_i32_e64 s[10:11], s21, v1
	s_or_b64 vcc, s[10:11], vcc
	v_mov_b32_e32 v1, 0x7fefffff
	s_or_b64 s[12:13], s[28:29], vcc
	v_cndmask_b32_e32 v11, 0, v1, vcc
	s_xor_b64 s[38:39], s[12:13], -1
	v_cndmask_b32_e64 v10, 0, -1, vcc
	s_and_saveexec_b64 s[12:13], s[38:39]
	s_cbranch_execz .LBB126_16
; %bb.15:
	v_lshl_add_u64 v[10:11], v[60:61], 3, v[12:13]
	flat_load_dwordx2 v[10:11], v[10:11] offset:1536
	s_waitcnt vmcnt(0) lgkmcnt(0)
	v_mul_f64 v[10:11], s[18:19], v[10:11]
.LBB126_16:
	s_or_b64 exec, exec, s[12:13]
	v_or_b32_e32 v12, 4, v144
	v_cmp_le_i32_e32 vcc, s22, v12
	s_or_b64 vcc, vcc, s[2:3]
	s_or_b64 s[12:13], s[28:29], vcc
	v_cndmask_b32_e32 v63, 0, v1, vcc
	s_xor_b64 s[38:39], s[12:13], -1
	v_cndmask_b32_e64 v62, 0, -1, vcc
	s_and_saveexec_b64 s[12:13], s[38:39]
	s_cbranch_execz .LBB126_18
; %bb.17:
	v_mad_i64_i32 v[12:13], s[38:39], v72, s40, 0
	v_lshl_add_u64 v[12:13], v[12:13], 3, s[34:35]
	v_mov_b32_e32 v1, 0
	v_lshl_add_u64 v[12:13], v[12:13], 0, v[0:1]
	flat_load_dwordx2 v[12:13], v[12:13] offset:32
	s_waitcnt vmcnt(0) lgkmcnt(0)
	v_mul_f64 v[62:63], s[18:19], v[12:13]
.LBB126_18:
	s_or_b64 exec, exec, s[12:13]
	v_add_u32_e32 v1, 4, v145
	v_cmp_le_i32_e32 vcc, s22, v1
	v_min_i32_e32 v1, s37, v1
	v_mad_i64_i32 v[12:13], s[12:13], s36, v1, 0
	s_or_b64 s[12:13], s[4:5], vcc
	v_mov_b32_e32 v1, 0x7fefffff
	s_or_b64 s[38:39], s[28:29], s[12:13]
	v_lshl_add_u64 v[12:13], v[12:13], 3, s[30:31]
	v_cndmask_b32_e64 v65, 0, v1, s[12:13]
	s_xor_b64 s[38:39], s[38:39], -1
	v_cndmask_b32_e64 v64, 0, -1, s[12:13]
	s_and_saveexec_b64 s[12:13], s[38:39]
	s_cbranch_execz .LBB126_20
; %bb.19:
	v_lshl_add_u64 v[16:17], v[60:61], 3, v[12:13]
	flat_load_dwordx2 v[16:17], v[16:17]
	s_waitcnt vmcnt(0) lgkmcnt(0)
	v_mul_f64 v[64:65], s[18:19], v[16:17]
.LBB126_20:
	s_or_b64 exec, exec, s[12:13]
	s_or_b64 s[12:13], s[6:7], vcc
	s_or_b64 s[38:39], s[28:29], s[12:13]
	v_cndmask_b32_e64 v67, 0, v1, s[12:13]
	s_xor_b64 s[38:39], s[38:39], -1
	v_cndmask_b32_e64 v66, 0, -1, s[12:13]
	s_and_saveexec_b64 s[12:13], s[38:39]
	s_cbranch_execz .LBB126_22
; %bb.21:
	v_lshl_add_u64 v[16:17], v[60:61], 3, v[12:13]
	flat_load_dwordx2 v[16:17], v[16:17] offset:512
	s_waitcnt vmcnt(0) lgkmcnt(0)
	v_mul_f64 v[66:67], s[18:19], v[16:17]
.LBB126_22:
	s_or_b64 exec, exec, s[12:13]
	s_or_b64 s[12:13], s[8:9], vcc
	v_mov_b32_e32 v1, 0x7fefffff
	s_or_b64 s[38:39], s[28:29], s[12:13]
	v_cndmask_b32_e64 v69, 0, v1, s[12:13]
	s_xor_b64 s[38:39], s[38:39], -1
	v_cndmask_b32_e64 v68, 0, -1, s[12:13]
	s_and_saveexec_b64 s[12:13], s[38:39]
	s_cbranch_execz .LBB126_24
; %bb.23:
	v_lshl_add_u64 v[16:17], v[60:61], 3, v[12:13]
	flat_load_dwordx2 v[16:17], v[16:17] offset:1024
	s_waitcnt vmcnt(0) lgkmcnt(0)
	v_mul_f64 v[68:69], s[18:19], v[16:17]
.LBB126_24:
	s_or_b64 exec, exec, s[12:13]
	s_or_b64 vcc, s[10:11], vcc
	s_or_b64 s[12:13], s[28:29], vcc
	v_cndmask_b32_e32 v71, 0, v1, vcc
	s_xor_b64 s[42:43], s[12:13], -1
	s_mov_b32 s38, 0
	v_cndmask_b32_e64 v70, 0, -1, vcc
	s_and_saveexec_b64 s[12:13], s[42:43]
	s_cbranch_execz .LBB126_26
; %bb.25:
	v_lshl_add_u64 v[12:13], v[60:61], 3, v[12:13]
	flat_load_dwordx2 v[12:13], v[12:13] offset:1536
	s_waitcnt vmcnt(0) lgkmcnt(0)
	v_mul_f64 v[70:71], s[18:19], v[12:13]
.LBB126_26:
	s_or_b64 exec, exec, s[12:13]
	v_lshl_or_b32 v74, v14, 5, v0
	v_lshlrev_b32_e32 v0, 3, v145
	v_add_u32_e32 v146, 0x4000, v74
	v_lshl_add_u32 v147, v73, 5, v0
	s_mov_b64 s[12:13], -1
	v_mov_b32_e32 v78, 0x7f800000
	v_mov_b32_e32 v79, 0x7f800000
	;; [unrolled: 1-line block ×64, first 2 shown]
	ds_write_b64 v74, v[2:3] offset:16384
	ds_write2st64_b64 v147, v[4:5], v[6:7] offset1:4
	ds_write2st64_b64 v147, v[8:9], v[10:11] offset0:8 offset1:12
	s_waitcnt lgkmcnt(0)
	s_barrier
.LBB126_27:                             ; =>This Inner Loop Header: Depth=1
	v_cndmask_b32_e64 v0, 0, 1, s[12:13]
	s_lshl_b32 s12, s38, 3
	v_cmp_ne_u32_e32 vcc, 1, v0
	v_lshl_add_u32 v0, v132, 5, s12
	v_lshl_add_u32 v20, v133, 5, s12
	ds_read_b128 v[32:35], v0 offset:16384
	ds_read_b128 v[28:31], v0 offset:16640
	;; [unrolled: 1-line block ×8, first 2 shown]
	ds_read_b128 v[148:151], v20
	ds_read_b128 v[56:59], v20 offset:1024
	ds_read_b128 v[52:55], v20 offset:2048
	ds_read_b128 v[48:51], v20 offset:3072
	ds_read_b128 v[44:47], v20 offset:4096
	ds_read_b128 v[40:43], v20 offset:5120
	ds_read_b128 v[36:39], v20 offset:6144
	ds_read_b128 v[20:23], v20 offset:7168
	s_waitcnt lgkmcnt(7)
	v_add_f64 v[76:77], v[34:35], v[150:151]
	v_add_f64 v[152:153], v[32:33], v[148:149]
	v_cvt_f32_f64_e32 v75, v[152:153]
	v_cvt_f32_f64_e32 v76, v[76:77]
	v_min3_f32 v143, v75, v76, v143
	v_add_f64 v[76:77], v[30:31], v[150:151]
	v_add_f64 v[152:153], v[28:29], v[148:149]
	v_cvt_f32_f64_e32 v75, v[152:153]
	v_cvt_f32_f64_e32 v76, v[76:77]
	v_min3_f32 v142, v75, v76, v142
	;; [unrolled: 5-line block ×8, first 2 shown]
	s_waitcnt lgkmcnt(6)
	v_add_f64 v[76:77], v[34:35], v[58:59]
	v_add_f64 v[148:149], v[32:33], v[56:57]
	v_cvt_f32_f64_e32 v75, v[148:149]
	v_cvt_f32_f64_e32 v76, v[76:77]
	v_min3_f32 v135, v75, v76, v135
	v_add_f64 v[76:77], v[30:31], v[58:59]
	v_add_f64 v[148:149], v[28:29], v[56:57]
	v_cvt_f32_f64_e32 v75, v[148:149]
	v_cvt_f32_f64_e32 v76, v[76:77]
	v_min3_f32 v134, v75, v76, v134
	v_add_f64 v[76:77], v[26:27], v[58:59]
	v_add_f64 v[148:149], v[24:25], v[56:57]
	v_cvt_f32_f64_e32 v75, v[148:149]
	v_cvt_f32_f64_e32 v76, v[76:77]
	v_min3_f32 v131, v75, v76, v131
	v_add_f64 v[76:77], v[18:19], v[58:59]
	v_add_f64 v[148:149], v[16:17], v[56:57]
	v_cvt_f32_f64_e32 v75, v[148:149]
	v_cvt_f32_f64_e32 v76, v[76:77]
	v_min3_f32 v130, v75, v76, v130
	v_add_f64 v[76:77], v[14:15], v[58:59]
	v_add_f64 v[148:149], v[12:13], v[56:57]
	v_cvt_f32_f64_e32 v75, v[148:149]
	v_cvt_f32_f64_e32 v76, v[76:77]
	v_min3_f32 v129, v75, v76, v129
	v_add_f64 v[76:77], v[10:11], v[58:59]
	v_add_f64 v[148:149], v[8:9], v[56:57]
	v_cvt_f32_f64_e32 v75, v[148:149]
	v_cvt_f32_f64_e32 v76, v[76:77]
	v_min3_f32 v128, v75, v76, v128
	v_add_f64 v[76:77], v[6:7], v[58:59]
	v_add_f64 v[148:149], v[4:5], v[56:57]
	v_add_f64 v[58:59], v[2:3], v[58:59]
	v_add_f64 v[56:57], v[0:1], v[56:57]
	v_cvt_f32_f64_e32 v56, v[56:57]
	v_cvt_f32_f64_e32 v57, v[58:59]
	v_min3_f32 v126, v56, v57, v126
	s_waitcnt lgkmcnt(5)
	v_add_f64 v[56:57], v[34:35], v[54:55]
	v_add_f64 v[58:59], v[32:33], v[52:53]
	v_cvt_f32_f64_e32 v58, v[58:59]
	v_cvt_f32_f64_e32 v56, v[56:57]
	v_min3_f32 v125, v58, v56, v125
	v_add_f64 v[56:57], v[30:31], v[54:55]
	v_add_f64 v[58:59], v[28:29], v[52:53]
	v_cvt_f32_f64_e32 v58, v[58:59]
	v_cvt_f32_f64_e32 v56, v[56:57]
	v_min3_f32 v124, v58, v56, v124
	v_add_f64 v[56:57], v[26:27], v[54:55]
	v_add_f64 v[58:59], v[24:25], v[52:53]
	v_cvt_f32_f64_e32 v58, v[58:59]
	v_cvt_f32_f64_e32 v56, v[56:57]
	v_min3_f32 v123, v58, v56, v123
	v_add_f64 v[56:57], v[18:19], v[54:55]
	v_add_f64 v[58:59], v[16:17], v[52:53]
	v_cvt_f32_f64_e32 v58, v[58:59]
	v_cvt_f32_f64_e32 v56, v[56:57]
	v_min3_f32 v122, v58, v56, v122
	v_add_f64 v[56:57], v[14:15], v[54:55]
	v_add_f64 v[58:59], v[12:13], v[52:53]
	v_cvt_f32_f64_e32 v58, v[58:59]
	v_cvt_f32_f64_e32 v56, v[56:57]
	v_min3_f32 v121, v58, v56, v121
	v_add_f64 v[56:57], v[10:11], v[54:55]
	v_add_f64 v[58:59], v[8:9], v[52:53]
	v_cvt_f32_f64_e32 v58, v[58:59]
	v_cvt_f32_f64_e32 v56, v[56:57]
	v_min3_f32 v120, v58, v56, v120
	v_add_f64 v[56:57], v[6:7], v[54:55]
	v_add_f64 v[58:59], v[4:5], v[52:53]
	v_add_f64 v[54:55], v[2:3], v[54:55]
	v_add_f64 v[52:53], v[0:1], v[52:53]
	v_cvt_f32_f64_e32 v52, v[52:53]
	v_cvt_f32_f64_e32 v53, v[54:55]
	v_min3_f32 v118, v52, v53, v118
	;; [unrolled: 38-line block ×5, first 2 shown]
	s_waitcnt lgkmcnt(1)
	v_add_f64 v[40:41], v[34:35], v[38:39]
	v_add_f64 v[42:43], v[32:33], v[36:37]
	v_cvt_f32_f64_e32 v42, v[42:43]
	v_cvt_f32_f64_e32 v40, v[40:41]
	v_min3_f32 v93, v42, v40, v93
	v_add_f64 v[40:41], v[30:31], v[38:39]
	v_add_f64 v[42:43], v[28:29], v[36:37]
	v_cvt_f32_f64_e32 v42, v[42:43]
	v_cvt_f32_f64_e32 v40, v[40:41]
	v_min3_f32 v92, v42, v40, v92
	;; [unrolled: 5-line block ×6, first 2 shown]
	v_add_f64 v[40:41], v[6:7], v[38:39]
	v_add_f64 v[42:43], v[4:5], v[36:37]
	;; [unrolled: 1-line block ×4, first 2 shown]
	s_waitcnt lgkmcnt(0)
	v_add_f64 v[34:35], v[34:35], v[22:23]
	v_add_f64 v[32:33], v[32:33], v[20:21]
	v_add_f64 v[30:31], v[30:31], v[22:23]
	v_add_f64 v[28:29], v[28:29], v[20:21]
	v_add_f64 v[26:27], v[26:27], v[22:23]
	v_add_f64 v[24:25], v[24:25], v[20:21]
	v_add_f64 v[18:19], v[18:19], v[22:23]
	v_add_f64 v[16:17], v[16:17], v[20:21]
	v_add_f64 v[14:15], v[14:15], v[22:23]
	v_add_f64 v[12:13], v[12:13], v[20:21]
	v_add_f64 v[10:11], v[10:11], v[22:23]
	v_add_f64 v[8:9], v[8:9], v[20:21]
	v_add_f64 v[6:7], v[6:7], v[22:23]
	v_add_f64 v[4:5], v[4:5], v[20:21]
	v_add_f64 v[2:3], v[2:3], v[22:23]
	v_add_f64 v[0:1], v[0:1], v[20:21]
	v_cvt_f32_f64_e32 v75, v[148:149]
	v_cvt_f32_f64_e32 v76, v[76:77]
	;; [unrolled: 1-line block ×30, first 2 shown]
	v_min3_f32 v127, v75, v76, v127
	v_min3_f32 v119, v58, v56, v119
	;; [unrolled: 1-line block ×15, first 2 shown]
	s_mov_b32 s38, 2
	s_mov_b64 s[12:13], 0
	s_cbranch_vccz .LBB126_27
; %bb.28:
	v_lshlrev_b32_e32 v0, 5, v73
	v_lshl_add_u32 v0, v145, 3, v0
	s_cmp_gt_i32 s22, 8
	s_mov_b32 s38, 8
	ds_write_b64 v74, v[62:63] offset:18432
	ds_write2st64_b64 v0, v[64:65], v[66:67] offset0:16 offset1:20
	ds_write2st64_b64 v0, v[68:69], v[70:71] offset0:24 offset1:28
	s_waitcnt lgkmcnt(0)
	s_barrier
	s_cbranch_scc0 .LBB126_55
; %bb.29:
	v_or_b32_e32 v149, 0x2000, v0
	v_mad_i64_i32 v[0:1], s[12:13], v72, s40, 0
	v_lshl_add_u64 v[62:63], v[0:1], 3, s[34:35]
	v_add_u32_e32 v148, 0x4800, v74
	s_add_i32 s39, s22, -8
	v_lshl_add_u64 v[64:65], v[62:63], 0, 32
	s_mov_b32 s34, 0
	v_mov_b32_e32 v150, 0x7fefffff
	v_mov_b32_e32 v67, 0
.LBB126_30:                             ; =>This Loop Header: Depth=1
                                        ;     Child Loop BB126_41 Depth 2
                                        ;     Child Loop BB126_53 Depth 2
	v_or_b32_e32 v66, s38, v144
	v_cmp_le_i32_e32 vcc, s22, v66
	s_or_b64 vcc, vcc, s[2:3]
	s_or_b64 s[12:13], s[28:29], vcc
	v_cndmask_b32_e32 v69, 0, v150, vcc
	s_xor_b64 s[40:41], s[12:13], -1
	v_cndmask_b32_e64 v68, 0, -1, vcc
	s_and_saveexec_b64 s[12:13], s[40:41]
	s_cbranch_execz .LBB126_32
; %bb.31:                               ;   in Loop: Header=BB126_30 Depth=1
	v_lshl_add_u64 v[0:1], v[66:67], 3, v[62:63]
	flat_load_dwordx2 v[0:1], v[0:1]
	s_waitcnt vmcnt(0) lgkmcnt(0)
	v_mul_f64 v[68:69], s[18:19], v[0:1]
.LBB126_32:                             ;   in Loop: Header=BB126_30 Depth=1
	s_or_b64 exec, exec, s[12:13]
	v_add_u32_e32 v0, s38, v145
	v_cmp_le_i32_e32 vcc, s22, v0
	v_min_i32_e32 v0, s37, v0
	v_mad_i64_i32 v[0:1], s[12:13], v0, s36, 0
	s_or_b64 s[12:13], s[4:5], vcc
	v_lshl_add_u64 v[0:1], v[0:1], 3, s[30:31]
	s_or_b64 s[40:41], s[28:29], s[12:13]
	v_cndmask_b32_e64 v71, 0, v150, s[12:13]
	s_xor_b64 s[40:41], s[40:41], -1
	v_cndmask_b32_e64 v70, 0, -1, s[12:13]
	v_lshl_add_u64 v[0:1], v[60:61], 3, v[0:1]
	s_and_saveexec_b64 s[12:13], s[40:41]
	s_cbranch_execz .LBB126_34
; %bb.33:                               ;   in Loop: Header=BB126_30 Depth=1
	flat_load_dwordx2 v[2:3], v[0:1]
	s_waitcnt vmcnt(0) lgkmcnt(0)
	v_mul_f64 v[70:71], s[18:19], v[2:3]
.LBB126_34:                             ;   in Loop: Header=BB126_30 Depth=1
	s_or_b64 exec, exec, s[12:13]
	s_or_b64 s[12:13], s[6:7], vcc
	s_or_b64 s[40:41], s[28:29], s[12:13]
	v_cndmask_b32_e64 v73, 0, v150, s[12:13]
	s_xor_b64 s[40:41], s[40:41], -1
	v_cndmask_b32_e64 v72, 0, -1, s[12:13]
	s_and_saveexec_b64 s[12:13], s[40:41]
	s_cbranch_execz .LBB126_36
; %bb.35:                               ;   in Loop: Header=BB126_30 Depth=1
	flat_load_dwordx2 v[2:3], v[0:1] offset:512
	s_waitcnt vmcnt(0) lgkmcnt(0)
	v_mul_f64 v[72:73], s[18:19], v[2:3]
.LBB126_36:                             ;   in Loop: Header=BB126_30 Depth=1
	s_or_b64 exec, exec, s[12:13]
	s_or_b64 s[12:13], s[8:9], vcc
	s_or_b64 s[40:41], s[28:29], s[12:13]
	v_cndmask_b32_e64 v75, 0, v150, s[12:13]
	s_xor_b64 s[40:41], s[40:41], -1
	v_cndmask_b32_e64 v74, 0, -1, s[12:13]
	s_and_saveexec_b64 s[12:13], s[40:41]
	s_cbranch_execz .LBB126_38
; %bb.37:                               ;   in Loop: Header=BB126_30 Depth=1
	flat_load_dwordx2 v[2:3], v[0:1] offset:1024
	s_waitcnt vmcnt(0) lgkmcnt(0)
	v_mul_f64 v[74:75], s[18:19], v[2:3]
.LBB126_38:                             ;   in Loop: Header=BB126_30 Depth=1
	s_or_b64 exec, exec, s[12:13]
	s_or_b64 vcc, s[10:11], vcc
	s_or_b64 s[12:13], s[28:29], vcc
	v_cndmask_b32_e32 v77, 0, v150, vcc
	s_xor_b64 s[40:41], s[12:13], -1
	v_cndmask_b32_e64 v76, 0, -1, vcc
	s_and_saveexec_b64 s[12:13], s[40:41]
	s_cbranch_execz .LBB126_40
; %bb.39:                               ;   in Loop: Header=BB126_30 Depth=1
	flat_load_dwordx2 v[0:1], v[0:1] offset:1536
	s_waitcnt vmcnt(0) lgkmcnt(0)
	v_mul_f64 v[76:77], s[18:19], v[0:1]
.LBB126_40:                             ;   in Loop: Header=BB126_30 Depth=1
	s_or_b64 exec, exec, s[12:13]
	s_mov_b32 s35, 0
	s_mov_b64 s[12:13], -1
.LBB126_41:                             ;   Parent Loop BB126_30 Depth=1
                                        ; =>  This Inner Loop Header: Depth=2
	v_cndmask_b32_e64 v0, 0, 1, s[12:13]
	s_lshl_b32 s12, s35, 3
	v_cmp_ne_u32_e32 vcc, 1, v0
	v_lshl_add_u32 v0, v132, 5, s12
	v_lshl_add_u32 v20, v133, 5, s12
	ds_read_b128 v[32:35], v0 offset:18432
	ds_read_b128 v[28:31], v0 offset:18688
	;; [unrolled: 1-line block ×16, first 2 shown]
	s_waitcnt lgkmcnt(7)
	v_add_f64 v[156:157], v[34:35], v[154:155]
	v_add_f64 v[158:159], v[32:33], v[152:153]
	v_cvt_f32_f64_e32 v151, v[158:159]
	v_cvt_f32_f64_e32 v156, v[156:157]
	v_min3_f32 v143, v151, v156, v143
	v_add_f64 v[156:157], v[30:31], v[154:155]
	v_add_f64 v[158:159], v[28:29], v[152:153]
	v_cvt_f32_f64_e32 v151, v[158:159]
	v_cvt_f32_f64_e32 v156, v[156:157]
	v_min3_f32 v142, v151, v156, v142
	;; [unrolled: 5-line block ×6, first 2 shown]
	v_add_f64 v[156:157], v[6:7], v[154:155]
	v_add_f64 v[158:159], v[4:5], v[152:153]
	v_cvt_f32_f64_e32 v151, v[158:159]
	v_cvt_f32_f64_e32 v156, v[156:157]
	v_add_f64 v[154:155], v[2:3], v[154:155]
	v_add_f64 v[152:153], v[0:1], v[152:153]
	v_min3_f32 v137, v151, v156, v137
	v_cvt_f32_f64_e32 v151, v[152:153]
	v_cvt_f32_f64_e32 v152, v[154:155]
	v_min3_f32 v136, v151, v152, v136
	s_waitcnt lgkmcnt(6)
	v_add_f64 v[152:153], v[34:35], v[58:59]
	v_add_f64 v[154:155], v[32:33], v[56:57]
	v_cvt_f32_f64_e32 v151, v[154:155]
	v_cvt_f32_f64_e32 v152, v[152:153]
	v_min3_f32 v135, v151, v152, v135
	v_add_f64 v[152:153], v[30:31], v[58:59]
	v_add_f64 v[154:155], v[28:29], v[56:57]
	v_cvt_f32_f64_e32 v151, v[154:155]
	v_cvt_f32_f64_e32 v152, v[152:153]
	v_min3_f32 v134, v151, v152, v134
	v_add_f64 v[152:153], v[26:27], v[58:59]
	v_add_f64 v[154:155], v[24:25], v[56:57]
	v_cvt_f32_f64_e32 v151, v[154:155]
	v_cvt_f32_f64_e32 v152, v[152:153]
	v_min3_f32 v131, v151, v152, v131
	v_add_f64 v[152:153], v[18:19], v[58:59]
	v_add_f64 v[154:155], v[16:17], v[56:57]
	v_cvt_f32_f64_e32 v151, v[154:155]
	v_cvt_f32_f64_e32 v152, v[152:153]
	v_min3_f32 v130, v151, v152, v130
	v_add_f64 v[152:153], v[14:15], v[58:59]
	v_add_f64 v[154:155], v[12:13], v[56:57]
	v_cvt_f32_f64_e32 v151, v[154:155]
	v_cvt_f32_f64_e32 v152, v[152:153]
	v_min3_f32 v129, v151, v152, v129
	v_add_f64 v[152:153], v[10:11], v[58:59]
	v_add_f64 v[154:155], v[8:9], v[56:57]
	v_cvt_f32_f64_e32 v151, v[154:155]
	v_cvt_f32_f64_e32 v152, v[152:153]
	v_min3_f32 v128, v151, v152, v128
	v_add_f64 v[152:153], v[6:7], v[58:59]
	v_add_f64 v[154:155], v[4:5], v[56:57]
	v_add_f64 v[58:59], v[2:3], v[58:59]
	v_add_f64 v[56:57], v[0:1], v[56:57]
	v_cvt_f32_f64_e32 v56, v[56:57]
	v_cvt_f32_f64_e32 v57, v[58:59]
	v_min3_f32 v126, v56, v57, v126
	s_waitcnt lgkmcnt(5)
	v_add_f64 v[56:57], v[34:35], v[54:55]
	v_add_f64 v[58:59], v[32:33], v[52:53]
	v_cvt_f32_f64_e32 v58, v[58:59]
	v_cvt_f32_f64_e32 v56, v[56:57]
	v_min3_f32 v125, v58, v56, v125
	v_add_f64 v[56:57], v[30:31], v[54:55]
	v_add_f64 v[58:59], v[28:29], v[52:53]
	v_cvt_f32_f64_e32 v58, v[58:59]
	v_cvt_f32_f64_e32 v56, v[56:57]
	v_min3_f32 v124, v58, v56, v124
	v_add_f64 v[56:57], v[26:27], v[54:55]
	v_add_f64 v[58:59], v[24:25], v[52:53]
	v_cvt_f32_f64_e32 v58, v[58:59]
	v_cvt_f32_f64_e32 v56, v[56:57]
	v_min3_f32 v123, v58, v56, v123
	v_add_f64 v[56:57], v[18:19], v[54:55]
	v_add_f64 v[58:59], v[16:17], v[52:53]
	v_cvt_f32_f64_e32 v58, v[58:59]
	v_cvt_f32_f64_e32 v56, v[56:57]
	v_min3_f32 v122, v58, v56, v122
	v_add_f64 v[56:57], v[14:15], v[54:55]
	v_add_f64 v[58:59], v[12:13], v[52:53]
	v_cvt_f32_f64_e32 v58, v[58:59]
	v_cvt_f32_f64_e32 v56, v[56:57]
	v_min3_f32 v121, v58, v56, v121
	v_add_f64 v[56:57], v[10:11], v[54:55]
	v_add_f64 v[58:59], v[8:9], v[52:53]
	v_cvt_f32_f64_e32 v58, v[58:59]
	v_cvt_f32_f64_e32 v56, v[56:57]
	v_min3_f32 v120, v58, v56, v120
	v_add_f64 v[56:57], v[6:7], v[54:55]
	v_add_f64 v[58:59], v[4:5], v[52:53]
	v_add_f64 v[54:55], v[2:3], v[54:55]
	v_add_f64 v[52:53], v[0:1], v[52:53]
	v_cvt_f32_f64_e32 v52, v[52:53]
	v_cvt_f32_f64_e32 v53, v[54:55]
	v_min3_f32 v118, v52, v53, v118
	s_waitcnt lgkmcnt(4)
	v_add_f64 v[52:53], v[34:35], v[50:51]
	v_add_f64 v[54:55], v[32:33], v[48:49]
	v_cvt_f32_f64_e32 v54, v[54:55]
	v_cvt_f32_f64_e32 v52, v[52:53]
	v_min3_f32 v117, v54, v52, v117
	v_add_f64 v[52:53], v[30:31], v[50:51]
	v_add_f64 v[54:55], v[28:29], v[48:49]
	v_cvt_f32_f64_e32 v54, v[54:55]
	v_cvt_f32_f64_e32 v52, v[52:53]
	v_min3_f32 v116, v54, v52, v116
	v_add_f64 v[52:53], v[26:27], v[50:51]
	v_add_f64 v[54:55], v[24:25], v[48:49]
	v_cvt_f32_f64_e32 v54, v[54:55]
	v_cvt_f32_f64_e32 v52, v[52:53]
	v_min3_f32 v115, v54, v52, v115
	v_add_f64 v[52:53], v[18:19], v[50:51]
	v_add_f64 v[54:55], v[16:17], v[48:49]
	v_cvt_f32_f64_e32 v54, v[54:55]
	v_cvt_f32_f64_e32 v52, v[52:53]
	v_min3_f32 v114, v54, v52, v114
	v_add_f64 v[52:53], v[14:15], v[50:51]
	v_add_f64 v[54:55], v[12:13], v[48:49]
	v_cvt_f32_f64_e32 v54, v[54:55]
	v_cvt_f32_f64_e32 v52, v[52:53]
	v_min3_f32 v113, v54, v52, v113
	v_add_f64 v[52:53], v[10:11], v[50:51]
	v_add_f64 v[54:55], v[8:9], v[48:49]
	v_cvt_f32_f64_e32 v54, v[54:55]
	v_cvt_f32_f64_e32 v52, v[52:53]
	v_min3_f32 v112, v54, v52, v112
	v_add_f64 v[52:53], v[6:7], v[50:51]
	v_add_f64 v[54:55], v[4:5], v[48:49]
	v_add_f64 v[50:51], v[2:3], v[50:51]
	v_add_f64 v[48:49], v[0:1], v[48:49]
	v_cvt_f32_f64_e32 v48, v[48:49]
	v_cvt_f32_f64_e32 v49, v[50:51]
	v_min3_f32 v110, v48, v49, v110
	s_waitcnt lgkmcnt(3)
	v_add_f64 v[48:49], v[34:35], v[46:47]
	v_add_f64 v[50:51], v[32:33], v[44:45]
	v_cvt_f32_f64_e32 v50, v[50:51]
	v_cvt_f32_f64_e32 v48, v[48:49]
	v_min3_f32 v109, v50, v48, v109
	v_add_f64 v[48:49], v[30:31], v[46:47]
	v_add_f64 v[50:51], v[28:29], v[44:45]
	v_cvt_f32_f64_e32 v50, v[50:51]
	v_cvt_f32_f64_e32 v48, v[48:49]
	v_min3_f32 v108, v50, v48, v108
	v_add_f64 v[48:49], v[26:27], v[46:47]
	v_add_f64 v[50:51], v[24:25], v[44:45]
	v_cvt_f32_f64_e32 v50, v[50:51]
	v_cvt_f32_f64_e32 v48, v[48:49]
	v_min3_f32 v107, v50, v48, v107
	v_add_f64 v[48:49], v[18:19], v[46:47]
	v_add_f64 v[50:51], v[16:17], v[44:45]
	v_cvt_f32_f64_e32 v50, v[50:51]
	v_cvt_f32_f64_e32 v48, v[48:49]
	v_min3_f32 v106, v50, v48, v106
	v_add_f64 v[48:49], v[14:15], v[46:47]
	v_add_f64 v[50:51], v[12:13], v[44:45]
	v_cvt_f32_f64_e32 v50, v[50:51]
	v_cvt_f32_f64_e32 v48, v[48:49]
	v_min3_f32 v105, v50, v48, v105
	v_add_f64 v[48:49], v[10:11], v[46:47]
	v_add_f64 v[50:51], v[8:9], v[44:45]
	v_cvt_f32_f64_e32 v50, v[50:51]
	v_cvt_f32_f64_e32 v48, v[48:49]
	v_min3_f32 v104, v50, v48, v104
	v_add_f64 v[48:49], v[6:7], v[46:47]
	v_add_f64 v[50:51], v[4:5], v[44:45]
	v_add_f64 v[46:47], v[2:3], v[46:47]
	v_add_f64 v[44:45], v[0:1], v[44:45]
	v_cvt_f32_f64_e32 v44, v[44:45]
	v_cvt_f32_f64_e32 v45, v[46:47]
	v_min3_f32 v102, v44, v45, v102
	s_waitcnt lgkmcnt(2)
	v_add_f64 v[44:45], v[34:35], v[42:43]
	v_add_f64 v[46:47], v[32:33], v[40:41]
	v_cvt_f32_f64_e32 v46, v[46:47]
	v_cvt_f32_f64_e32 v44, v[44:45]
	v_min3_f32 v101, v46, v44, v101
	v_add_f64 v[44:45], v[30:31], v[42:43]
	v_add_f64 v[46:47], v[28:29], v[40:41]
	v_cvt_f32_f64_e32 v46, v[46:47]
	v_cvt_f32_f64_e32 v44, v[44:45]
	v_min3_f32 v100, v46, v44, v100
	v_add_f64 v[44:45], v[26:27], v[42:43]
	v_add_f64 v[46:47], v[24:25], v[40:41]
	v_cvt_f32_f64_e32 v46, v[46:47]
	v_cvt_f32_f64_e32 v44, v[44:45]
	v_min3_f32 v99, v46, v44, v99
	v_add_f64 v[44:45], v[18:19], v[42:43]
	v_add_f64 v[46:47], v[16:17], v[40:41]
	v_cvt_f32_f64_e32 v46, v[46:47]
	v_cvt_f32_f64_e32 v44, v[44:45]
	v_min3_f32 v98, v46, v44, v98
	v_add_f64 v[44:45], v[14:15], v[42:43]
	v_add_f64 v[46:47], v[12:13], v[40:41]
	v_cvt_f32_f64_e32 v46, v[46:47]
	v_cvt_f32_f64_e32 v44, v[44:45]
	v_min3_f32 v97, v46, v44, v97
	v_add_f64 v[44:45], v[10:11], v[42:43]
	v_add_f64 v[46:47], v[8:9], v[40:41]
	v_cvt_f32_f64_e32 v46, v[46:47]
	v_cvt_f32_f64_e32 v44, v[44:45]
	v_min3_f32 v96, v46, v44, v96
	v_add_f64 v[44:45], v[6:7], v[42:43]
	v_add_f64 v[46:47], v[4:5], v[40:41]
	v_add_f64 v[42:43], v[2:3], v[42:43]
	v_add_f64 v[40:41], v[0:1], v[40:41]
	v_cvt_f32_f64_e32 v40, v[40:41]
	v_cvt_f32_f64_e32 v41, v[42:43]
	v_min3_f32 v94, v40, v41, v94
	s_waitcnt lgkmcnt(1)
	v_add_f64 v[40:41], v[34:35], v[38:39]
	v_add_f64 v[42:43], v[32:33], v[36:37]
	v_cvt_f32_f64_e32 v42, v[42:43]
	v_cvt_f32_f64_e32 v40, v[40:41]
	v_min3_f32 v93, v42, v40, v93
	v_add_f64 v[40:41], v[30:31], v[38:39]
	v_add_f64 v[42:43], v[28:29], v[36:37]
	v_cvt_f32_f64_e32 v42, v[42:43]
	v_cvt_f32_f64_e32 v40, v[40:41]
	v_min3_f32 v92, v42, v40, v92
	v_add_f64 v[40:41], v[26:27], v[38:39]
	v_add_f64 v[42:43], v[24:25], v[36:37]
	v_cvt_f32_f64_e32 v42, v[42:43]
	v_cvt_f32_f64_e32 v40, v[40:41]
	v_min3_f32 v91, v42, v40, v91
	v_add_f64 v[40:41], v[18:19], v[38:39]
	v_add_f64 v[42:43], v[16:17], v[36:37]
	v_cvt_f32_f64_e32 v42, v[42:43]
	v_cvt_f32_f64_e32 v40, v[40:41]
	v_min3_f32 v90, v42, v40, v90
	v_add_f64 v[40:41], v[14:15], v[38:39]
	v_add_f64 v[42:43], v[12:13], v[36:37]
	v_cvt_f32_f64_e32 v42, v[42:43]
	v_cvt_f32_f64_e32 v40, v[40:41]
	v_min3_f32 v89, v42, v40, v89
	v_add_f64 v[40:41], v[10:11], v[38:39]
	v_add_f64 v[42:43], v[8:9], v[36:37]
	v_cvt_f32_f64_e32 v42, v[42:43]
	v_cvt_f32_f64_e32 v40, v[40:41]
	v_min3_f32 v88, v42, v40, v88
	v_add_f64 v[40:41], v[6:7], v[38:39]
	v_add_f64 v[42:43], v[4:5], v[36:37]
	v_add_f64 v[38:39], v[2:3], v[38:39]
	v_add_f64 v[36:37], v[0:1], v[36:37]
	s_waitcnt lgkmcnt(0)
	v_add_f64 v[34:35], v[34:35], v[22:23]
	v_add_f64 v[32:33], v[32:33], v[20:21]
	;; [unrolled: 1-line block ×16, first 2 shown]
	v_cvt_f32_f64_e32 v151, v[154:155]
	v_cvt_f32_f64_e32 v152, v[152:153]
	v_cvt_f32_f64_e32 v58, v[58:59]
	v_cvt_f32_f64_e32 v56, v[56:57]
	v_cvt_f32_f64_e32 v54, v[54:55]
	v_cvt_f32_f64_e32 v52, v[52:53]
	v_cvt_f32_f64_e32 v50, v[50:51]
	v_cvt_f32_f64_e32 v48, v[48:49]
	v_cvt_f32_f64_e32 v46, v[46:47]
	v_cvt_f32_f64_e32 v44, v[44:45]
	v_cvt_f32_f64_e32 v42, v[42:43]
	v_cvt_f32_f64_e32 v40, v[40:41]
	v_cvt_f32_f64_e32 v36, v[36:37]
	v_cvt_f32_f64_e32 v37, v[38:39]
	v_cvt_f32_f64_e32 v32, v[32:33]
	v_cvt_f32_f64_e32 v33, v[34:35]
	v_cvt_f32_f64_e32 v28, v[28:29]
	v_cvt_f32_f64_e32 v29, v[30:31]
	v_cvt_f32_f64_e32 v24, v[24:25]
	v_cvt_f32_f64_e32 v25, v[26:27]
	v_cvt_f32_f64_e32 v16, v[16:17]
	v_cvt_f32_f64_e32 v17, v[18:19]
	v_cvt_f32_f64_e32 v12, v[12:13]
	v_cvt_f32_f64_e32 v13, v[14:15]
	v_cvt_f32_f64_e32 v8, v[8:9]
	v_cvt_f32_f64_e32 v9, v[10:11]
	v_cvt_f32_f64_e32 v4, v[4:5]
	v_cvt_f32_f64_e32 v5, v[6:7]
	v_cvt_f32_f64_e32 v0, v[0:1]
	v_cvt_f32_f64_e32 v1, v[2:3]
	v_min3_f32 v127, v151, v152, v127
	v_min3_f32 v119, v58, v56, v119
	;; [unrolled: 1-line block ×15, first 2 shown]
	s_mov_b32 s35, 2
	s_mov_b64 s[12:13], 0
	s_cbranch_vccz .LBB126_41
; %bb.42:                               ;   in Loop: Header=BB126_30 Depth=1
	v_or_b32_e32 v0, 4, v66
	v_cmp_le_i32_e32 vcc, s22, v0
	s_or_b64 vcc, vcc, s[2:3]
	s_or_b64 s[12:13], s[28:29], vcc
	ds_write_b64 v146, v[68:69]
	ds_write2st64_b64 v147, v[70:71], v[72:73] offset1:4
	ds_write2st64_b64 v147, v[74:75], v[76:77] offset0:8 offset1:12
	v_cndmask_b32_e32 v69, 0, v150, vcc
	s_xor_b64 s[40:41], s[12:13], -1
	v_cndmask_b32_e64 v68, 0, -1, vcc
	s_waitcnt lgkmcnt(0)
	s_barrier
	s_and_saveexec_b64 s[12:13], s[40:41]
	s_cbranch_execz .LBB126_44
; %bb.43:                               ;   in Loop: Header=BB126_30 Depth=1
	v_lshl_add_u64 v[0:1], v[66:67], 3, v[64:65]
	flat_load_dwordx2 v[0:1], v[0:1]
	s_waitcnt vmcnt(0) lgkmcnt(0)
	v_mul_f64 v[68:69], s[18:19], v[0:1]
.LBB126_44:                             ;   in Loop: Header=BB126_30 Depth=1
	s_or_b64 exec, exec, s[12:13]
	v_add3_u32 v0, v145, s38, 4
	v_cmp_le_i32_e32 vcc, s22, v0
	v_min_i32_e32 v0, s37, v0
	v_mad_i64_i32 v[0:1], s[12:13], v0, s36, 0
	s_or_b64 s[12:13], s[4:5], vcc
	v_lshl_add_u64 v[0:1], v[0:1], 3, s[30:31]
	s_or_b64 s[40:41], s[28:29], s[12:13]
	v_cndmask_b32_e64 v71, 0, v150, s[12:13]
	s_xor_b64 s[40:41], s[40:41], -1
	v_cndmask_b32_e64 v70, 0, -1, s[12:13]
	v_lshl_add_u64 v[0:1], v[60:61], 3, v[0:1]
	s_and_saveexec_b64 s[12:13], s[40:41]
	s_cbranch_execz .LBB126_46
; %bb.45:                               ;   in Loop: Header=BB126_30 Depth=1
	flat_load_dwordx2 v[2:3], v[0:1]
	s_waitcnt vmcnt(0) lgkmcnt(0)
	v_mul_f64 v[70:71], s[18:19], v[2:3]
.LBB126_46:                             ;   in Loop: Header=BB126_30 Depth=1
	s_or_b64 exec, exec, s[12:13]
	s_or_b64 s[12:13], s[6:7], vcc
	s_or_b64 s[40:41], s[28:29], s[12:13]
	v_cndmask_b32_e64 v73, 0, v150, s[12:13]
	s_xor_b64 s[40:41], s[40:41], -1
	v_cndmask_b32_e64 v72, 0, -1, s[12:13]
	s_and_saveexec_b64 s[12:13], s[40:41]
	s_cbranch_execz .LBB126_48
; %bb.47:                               ;   in Loop: Header=BB126_30 Depth=1
	flat_load_dwordx2 v[2:3], v[0:1] offset:512
	s_waitcnt vmcnt(0) lgkmcnt(0)
	v_mul_f64 v[72:73], s[18:19], v[2:3]
.LBB126_48:                             ;   in Loop: Header=BB126_30 Depth=1
	s_or_b64 exec, exec, s[12:13]
	s_or_b64 s[12:13], s[8:9], vcc
	s_or_b64 s[40:41], s[28:29], s[12:13]
	v_cndmask_b32_e64 v75, 0, v150, s[12:13]
	s_xor_b64 s[40:41], s[40:41], -1
	v_cndmask_b32_e64 v74, 0, -1, s[12:13]
	s_and_saveexec_b64 s[12:13], s[40:41]
	s_cbranch_execz .LBB126_50
; %bb.49:                               ;   in Loop: Header=BB126_30 Depth=1
	flat_load_dwordx2 v[2:3], v[0:1] offset:1024
	s_waitcnt vmcnt(0) lgkmcnt(0)
	v_mul_f64 v[74:75], s[18:19], v[2:3]
.LBB126_50:                             ;   in Loop: Header=BB126_30 Depth=1
	s_or_b64 exec, exec, s[12:13]
	s_or_b64 vcc, s[10:11], vcc
	s_or_b64 s[12:13], s[28:29], vcc
	v_cndmask_b32_e32 v77, 0, v150, vcc
	s_xor_b64 s[40:41], s[12:13], -1
	v_cndmask_b32_e64 v76, 0, -1, vcc
	s_and_saveexec_b64 s[12:13], s[40:41]
	s_cbranch_execz .LBB126_52
; %bb.51:                               ;   in Loop: Header=BB126_30 Depth=1
	flat_load_dwordx2 v[0:1], v[0:1] offset:1536
	s_waitcnt vmcnt(0) lgkmcnt(0)
	v_mul_f64 v[76:77], s[18:19], v[0:1]
.LBB126_52:                             ;   in Loop: Header=BB126_30 Depth=1
	s_or_b64 exec, exec, s[12:13]
	s_mov_b32 s35, 0
	s_mov_b64 s[12:13], -1
.LBB126_53:                             ;   Parent Loop BB126_30 Depth=1
                                        ; =>  This Inner Loop Header: Depth=2
	v_cndmask_b32_e64 v0, 0, 1, s[12:13]
	s_lshl_b32 s12, s35, 3
	v_cmp_ne_u32_e32 vcc, 1, v0
	v_lshl_add_u32 v0, v132, 5, s12
	v_lshl_add_u32 v20, v133, 5, s12
	ds_read_b128 v[32:35], v0 offset:16384
	ds_read_b128 v[28:31], v0 offset:16640
	;; [unrolled: 1-line block ×8, first 2 shown]
	ds_read_b128 v[152:155], v20
	ds_read_b128 v[56:59], v20 offset:1024
	ds_read_b128 v[52:55], v20 offset:2048
	;; [unrolled: 1-line block ×7, first 2 shown]
	s_waitcnt lgkmcnt(7)
	v_add_f64 v[156:157], v[34:35], v[154:155]
	v_add_f64 v[158:159], v[32:33], v[152:153]
	v_cvt_f32_f64_e32 v66, v[158:159]
	v_cvt_f32_f64_e32 v151, v[156:157]
	v_add_f64 v[156:157], v[30:31], v[154:155]
	v_add_f64 v[158:159], v[28:29], v[152:153]
	v_min3_f32 v143, v66, v151, v143
	v_cvt_f32_f64_e32 v66, v[158:159]
	v_cvt_f32_f64_e32 v151, v[156:157]
	v_add_f64 v[156:157], v[26:27], v[154:155]
	v_add_f64 v[158:159], v[24:25], v[152:153]
	v_min3_f32 v142, v66, v151, v142
	;; [unrolled: 5-line block ×7, first 2 shown]
	v_cvt_f32_f64_e32 v66, v[152:153]
	v_cvt_f32_f64_e32 v151, v[154:155]
	s_waitcnt lgkmcnt(6)
	v_add_f64 v[152:153], v[34:35], v[58:59]
	v_add_f64 v[154:155], v[32:33], v[56:57]
	v_min3_f32 v136, v66, v151, v136
	v_cvt_f32_f64_e32 v66, v[154:155]
	v_cvt_f32_f64_e32 v151, v[152:153]
	v_add_f64 v[152:153], v[30:31], v[58:59]
	v_add_f64 v[154:155], v[28:29], v[56:57]
	v_min3_f32 v135, v66, v151, v135
	v_cvt_f32_f64_e32 v66, v[154:155]
	v_cvt_f32_f64_e32 v151, v[152:153]
	;; [unrolled: 5-line block ×6, first 2 shown]
	v_add_f64 v[152:153], v[6:7], v[58:59]
	v_add_f64 v[154:155], v[4:5], v[56:57]
	v_add_f64 v[58:59], v[2:3], v[58:59]
	v_add_f64 v[56:57], v[0:1], v[56:57]
	v_cvt_f32_f64_e32 v56, v[56:57]
	v_cvt_f32_f64_e32 v57, v[58:59]
	v_min3_f32 v126, v56, v57, v126
	s_waitcnt lgkmcnt(5)
	v_add_f64 v[56:57], v[34:35], v[54:55]
	v_add_f64 v[58:59], v[32:33], v[52:53]
	v_cvt_f32_f64_e32 v58, v[58:59]
	v_cvt_f32_f64_e32 v56, v[56:57]
	v_min3_f32 v125, v58, v56, v125
	v_add_f64 v[56:57], v[30:31], v[54:55]
	v_add_f64 v[58:59], v[28:29], v[52:53]
	v_cvt_f32_f64_e32 v58, v[58:59]
	v_cvt_f32_f64_e32 v56, v[56:57]
	v_min3_f32 v124, v58, v56, v124
	v_add_f64 v[56:57], v[26:27], v[54:55]
	v_add_f64 v[58:59], v[24:25], v[52:53]
	v_cvt_f32_f64_e32 v58, v[58:59]
	v_cvt_f32_f64_e32 v56, v[56:57]
	v_min3_f32 v123, v58, v56, v123
	v_add_f64 v[56:57], v[18:19], v[54:55]
	v_add_f64 v[58:59], v[16:17], v[52:53]
	v_cvt_f32_f64_e32 v58, v[58:59]
	v_cvt_f32_f64_e32 v56, v[56:57]
	v_min3_f32 v122, v58, v56, v122
	v_add_f64 v[56:57], v[14:15], v[54:55]
	v_add_f64 v[58:59], v[12:13], v[52:53]
	v_cvt_f32_f64_e32 v58, v[58:59]
	v_cvt_f32_f64_e32 v56, v[56:57]
	v_min3_f32 v121, v58, v56, v121
	v_add_f64 v[56:57], v[10:11], v[54:55]
	v_add_f64 v[58:59], v[8:9], v[52:53]
	v_cvt_f32_f64_e32 v58, v[58:59]
	v_cvt_f32_f64_e32 v56, v[56:57]
	v_min3_f32 v120, v58, v56, v120
	v_add_f64 v[56:57], v[6:7], v[54:55]
	v_add_f64 v[58:59], v[4:5], v[52:53]
	v_add_f64 v[54:55], v[2:3], v[54:55]
	v_add_f64 v[52:53], v[0:1], v[52:53]
	v_cvt_f32_f64_e32 v52, v[52:53]
	v_cvt_f32_f64_e32 v53, v[54:55]
	v_min3_f32 v118, v52, v53, v118
	s_waitcnt lgkmcnt(4)
	v_add_f64 v[52:53], v[34:35], v[50:51]
	v_add_f64 v[54:55], v[32:33], v[48:49]
	v_cvt_f32_f64_e32 v54, v[54:55]
	v_cvt_f32_f64_e32 v52, v[52:53]
	v_min3_f32 v117, v54, v52, v117
	v_add_f64 v[52:53], v[30:31], v[50:51]
	v_add_f64 v[54:55], v[28:29], v[48:49]
	v_cvt_f32_f64_e32 v54, v[54:55]
	v_cvt_f32_f64_e32 v52, v[52:53]
	v_min3_f32 v116, v54, v52, v116
	v_add_f64 v[52:53], v[26:27], v[50:51]
	v_add_f64 v[54:55], v[24:25], v[48:49]
	v_cvt_f32_f64_e32 v54, v[54:55]
	v_cvt_f32_f64_e32 v52, v[52:53]
	v_min3_f32 v115, v54, v52, v115
	v_add_f64 v[52:53], v[18:19], v[50:51]
	v_add_f64 v[54:55], v[16:17], v[48:49]
	v_cvt_f32_f64_e32 v54, v[54:55]
	v_cvt_f32_f64_e32 v52, v[52:53]
	v_min3_f32 v114, v54, v52, v114
	v_add_f64 v[52:53], v[14:15], v[50:51]
	v_add_f64 v[54:55], v[12:13], v[48:49]
	v_cvt_f32_f64_e32 v54, v[54:55]
	v_cvt_f32_f64_e32 v52, v[52:53]
	v_min3_f32 v113, v54, v52, v113
	v_add_f64 v[52:53], v[10:11], v[50:51]
	v_add_f64 v[54:55], v[8:9], v[48:49]
	v_cvt_f32_f64_e32 v54, v[54:55]
	v_cvt_f32_f64_e32 v52, v[52:53]
	v_min3_f32 v112, v54, v52, v112
	;; [unrolled: 38-line block ×5, first 2 shown]
	v_add_f64 v[40:41], v[6:7], v[38:39]
	v_add_f64 v[42:43], v[4:5], v[36:37]
	v_add_f64 v[38:39], v[2:3], v[38:39]
	v_add_f64 v[36:37], v[0:1], v[36:37]
	s_waitcnt lgkmcnt(0)
	v_add_f64 v[34:35], v[34:35], v[22:23]
	v_add_f64 v[32:33], v[32:33], v[20:21]
	;; [unrolled: 1-line block ×16, first 2 shown]
	v_min3_f32 v128, v66, v151, v128
	v_cvt_f32_f64_e32 v66, v[154:155]
	v_cvt_f32_f64_e32 v151, v[152:153]
	;; [unrolled: 1-line block ×30, first 2 shown]
	v_min3_f32 v127, v66, v151, v127
	v_min3_f32 v119, v58, v56, v119
	;; [unrolled: 1-line block ×15, first 2 shown]
	s_mov_b32 s35, 2
	s_mov_b64 s[12:13], 0
	s_cbranch_vccz .LBB126_53
; %bb.54:                               ;   in Loop: Header=BB126_30 Depth=1
	s_add_i32 s38, s38, 8
	s_add_i32 s34, s34, 8
	s_cmp_ge_i32 s34, s39
	ds_write_b64 v148, v[68:69]
	ds_write2st64_b64 v149, v[70:71], v[72:73] offset1:4
	ds_write2st64_b64 v149, v[74:75], v[76:77] offset0:8 offset1:12
	s_waitcnt lgkmcnt(0)
	s_barrier
	s_cbranch_scc0 .LBB126_30
.LBB126_55:
	s_mov_b32 s4, 0
	s_mov_b64 s[2:3], -1
.LBB126_56:                             ; =>This Inner Loop Header: Depth=1
	v_cndmask_b32_e64 v0, 0, 1, s[2:3]
	s_lshl_b32 s2, s4, 3
	v_cmp_ne_u32_e32 vcc, 1, v0
	v_lshl_add_u32 v0, v132, 5, s2
	v_lshl_add_u32 v20, v133, 5, s2
	ds_read_b128 v[32:35], v0 offset:18432
	ds_read_b128 v[28:31], v0 offset:18688
	;; [unrolled: 1-line block ×16, first 2 shown]
	s_waitcnt lgkmcnt(7)
	v_add_f64 v[64:65], v[34:35], v[62:63]
	v_add_f64 v[66:67], v[32:33], v[60:61]
	v_cvt_f32_f64_e32 v66, v[66:67]
	v_cvt_f32_f64_e32 v64, v[64:65]
	v_min3_f32 v143, v66, v64, v143
	v_add_f64 v[64:65], v[30:31], v[62:63]
	v_add_f64 v[66:67], v[28:29], v[60:61]
	v_cvt_f32_f64_e32 v66, v[66:67]
	v_cvt_f32_f64_e32 v64, v[64:65]
	v_min3_f32 v142, v66, v64, v142
	v_add_f64 v[64:65], v[26:27], v[62:63]
	v_add_f64 v[66:67], v[24:25], v[60:61]
	v_cvt_f32_f64_e32 v66, v[66:67]
	v_cvt_f32_f64_e32 v64, v[64:65]
	v_min3_f32 v141, v66, v64, v141
	v_add_f64 v[64:65], v[18:19], v[62:63]
	v_add_f64 v[66:67], v[16:17], v[60:61]
	v_cvt_f32_f64_e32 v66, v[66:67]
	v_cvt_f32_f64_e32 v64, v[64:65]
	v_min3_f32 v140, v66, v64, v140
	v_add_f64 v[64:65], v[14:15], v[62:63]
	v_add_f64 v[66:67], v[12:13], v[60:61]
	v_cvt_f32_f64_e32 v66, v[66:67]
	v_cvt_f32_f64_e32 v64, v[64:65]
	v_min3_f32 v139, v66, v64, v139
	v_add_f64 v[64:65], v[10:11], v[62:63]
	v_add_f64 v[66:67], v[8:9], v[60:61]
	v_cvt_f32_f64_e32 v66, v[66:67]
	v_cvt_f32_f64_e32 v64, v[64:65]
	v_min3_f32 v138, v66, v64, v138
	v_add_f64 v[64:65], v[6:7], v[62:63]
	v_add_f64 v[66:67], v[4:5], v[60:61]
	v_add_f64 v[62:63], v[2:3], v[62:63]
	v_add_f64 v[60:61], v[0:1], v[60:61]
	v_cvt_f32_f64_e32 v60, v[60:61]
	v_cvt_f32_f64_e32 v61, v[62:63]
	v_min3_f32 v136, v60, v61, v136
	s_waitcnt lgkmcnt(6)
	v_add_f64 v[60:61], v[34:35], v[58:59]
	v_add_f64 v[62:63], v[32:33], v[56:57]
	v_cvt_f32_f64_e32 v62, v[62:63]
	v_cvt_f32_f64_e32 v60, v[60:61]
	v_min3_f32 v135, v62, v60, v135
	v_add_f64 v[60:61], v[30:31], v[58:59]
	v_add_f64 v[62:63], v[28:29], v[56:57]
	v_cvt_f32_f64_e32 v62, v[62:63]
	v_cvt_f32_f64_e32 v60, v[60:61]
	v_min3_f32 v134, v62, v60, v134
	v_add_f64 v[60:61], v[26:27], v[58:59]
	v_add_f64 v[62:63], v[24:25], v[56:57]
	v_cvt_f32_f64_e32 v62, v[62:63]
	v_cvt_f32_f64_e32 v60, v[60:61]
	v_min3_f32 v131, v62, v60, v131
	v_add_f64 v[60:61], v[18:19], v[58:59]
	v_add_f64 v[62:63], v[16:17], v[56:57]
	v_cvt_f32_f64_e32 v62, v[62:63]
	v_cvt_f32_f64_e32 v60, v[60:61]
	v_min3_f32 v130, v62, v60, v130
	v_add_f64 v[60:61], v[14:15], v[58:59]
	v_add_f64 v[62:63], v[12:13], v[56:57]
	v_cvt_f32_f64_e32 v62, v[62:63]
	v_cvt_f32_f64_e32 v60, v[60:61]
	v_min3_f32 v129, v62, v60, v129
	v_add_f64 v[60:61], v[10:11], v[58:59]
	v_add_f64 v[62:63], v[8:9], v[56:57]
	v_cvt_f32_f64_e32 v62, v[62:63]
	v_cvt_f32_f64_e32 v60, v[60:61]
	v_min3_f32 v128, v62, v60, v128
	v_add_f64 v[60:61], v[6:7], v[58:59]
	v_add_f64 v[62:63], v[4:5], v[56:57]
	v_add_f64 v[58:59], v[2:3], v[58:59]
	v_add_f64 v[56:57], v[0:1], v[56:57]
	v_cvt_f32_f64_e32 v56, v[56:57]
	v_cvt_f32_f64_e32 v57, v[58:59]
	v_min3_f32 v126, v56, v57, v126
	;; [unrolled: 38-line block ×6, first 2 shown]
	s_waitcnt lgkmcnt(1)
	v_add_f64 v[40:41], v[34:35], v[38:39]
	v_add_f64 v[42:43], v[32:33], v[36:37]
	v_cvt_f32_f64_e32 v42, v[42:43]
	v_cvt_f32_f64_e32 v40, v[40:41]
	v_min3_f32 v93, v42, v40, v93
	v_add_f64 v[40:41], v[30:31], v[38:39]
	v_add_f64 v[42:43], v[28:29], v[36:37]
	v_cvt_f32_f64_e32 v42, v[42:43]
	v_cvt_f32_f64_e32 v40, v[40:41]
	v_min3_f32 v92, v42, v40, v92
	;; [unrolled: 5-line block ×6, first 2 shown]
	v_add_f64 v[40:41], v[6:7], v[38:39]
	v_add_f64 v[42:43], v[4:5], v[36:37]
	;; [unrolled: 1-line block ×4, first 2 shown]
	s_waitcnt lgkmcnt(0)
	v_add_f64 v[34:35], v[34:35], v[22:23]
	v_add_f64 v[32:33], v[32:33], v[20:21]
	;; [unrolled: 1-line block ×16, first 2 shown]
	v_cvt_f32_f64_e32 v66, v[66:67]
	v_cvt_f32_f64_e32 v64, v[64:65]
	;; [unrolled: 1-line block ×32, first 2 shown]
	v_min3_f32 v137, v66, v64, v137
	v_min3_f32 v127, v62, v60, v127
	;; [unrolled: 1-line block ×16, first 2 shown]
	s_mov_b32 s4, 2
	s_mov_b64 s[2:3], 0
	s_cbranch_vccz .LBB126_56
; %bb.57:
	s_load_dwordx2 s[2:3], s[0:1], 0x78
	s_load_dword s31, s[0:1], 0x58
	s_load_dword s30, s[0:1], 0x70
	v_add_u32_e32 v22, s33, v133
	v_add_u32_e32 v0, s23, v132
	s_waitcnt lgkmcnt(0)
	s_lshl_b64 s[0:1], s[2:3], 3
	s_add_u32 s22, s16, s0
	s_addc_u32 s23, s17, s1
	v_mad_i64_i32 v[2:3], s[0:1], v22, s31, 0
	v_lshl_add_u64 v[18:19], v[2:3], 3, s[26:27]
	v_mad_i64_i32 v[2:3], s[0:1], v22, s30, 0
	v_cmp_gt_i32_e64 s[2:3], s20, v0
	v_cmp_gt_i32_e64 s[18:19], s21, v22
	v_lshl_add_u64 v[16:17], v[2:3], 3, s[22:23]
	v_cndmask_b32_e64 v2, 0, 1, s[14:15]
	v_ashrrev_i32_e32 v1, 31, v0
	s_and_b64 s[6:7], s[2:3], s[18:19]
	v_cmp_ne_u32_e64 s[0:1], 1, v2
	s_and_saveexec_b64 s[4:5], s[6:7]
	s_cbranch_execz .LBB126_62
; %bb.58:
	s_and_b64 vcc, exec, s[0:1]
	s_cbranch_vccnz .LBB126_60
; %bb.59:
	v_lshl_add_u64 v[2:3], v[0:1], 3, v[18:19]
	flat_load_dwordx2 v[2:3], v[2:3]
	s_waitcnt vmcnt(0) lgkmcnt(0)
	v_mul_f64 v[2:3], s[24:25], v[2:3]
	s_branch .LBB126_61
.LBB126_60:
	v_mov_b64_e32 v[2:3], 0
.LBB126_61:
	v_cvt_f32_f64_e32 v2, v[2:3]
	v_max_f32_e32 v3, v143, v143
	v_min_f32_e32 v2, v2, v3
	v_cvt_f64_f32_e32 v[2:3], v2
	v_lshl_add_u64 v[4:5], v[0:1], 3, v[16:17]
	global_store_dwordx2 v[4:5], v[2:3], off
.LBB126_62:
	s_or_b64 exec, exec, s[4:5]
	v_add_u32_e32 v2, 8, v0
	v_cmp_gt_i32_e64 s[4:5], s20, v2
	v_ashrrev_i32_e32 v3, 31, v2
	s_and_b64 s[8:9], s[4:5], s[18:19]
	s_and_saveexec_b64 s[6:7], s[8:9]
	s_cbranch_execz .LBB126_67
; %bb.63:
	s_and_b64 vcc, exec, s[0:1]
	s_cbranch_vccnz .LBB126_65
; %bb.64:
	v_lshl_add_u64 v[4:5], v[2:3], 3, v[18:19]
	flat_load_dwordx2 v[4:5], v[4:5]
	s_waitcnt vmcnt(0) lgkmcnt(0)
	v_mul_f64 v[4:5], s[24:25], v[4:5]
	s_branch .LBB126_66
.LBB126_65:
	v_mov_b64_e32 v[4:5], 0
.LBB126_66:
	v_cvt_f32_f64_e32 v4, v[4:5]
	v_max_f32_e32 v5, v142, v142
	v_min_f32_e32 v4, v4, v5
	v_cvt_f64_f32_e32 v[4:5], v4
	v_lshl_add_u64 v[6:7], v[2:3], 3, v[16:17]
	global_store_dwordx2 v[6:7], v[4:5], off
.LBB126_67:
	s_or_b64 exec, exec, s[6:7]
	v_add_u32_e32 v4, 16, v0
	v_cmp_gt_i32_e64 s[6:7], s20, v4
	v_ashrrev_i32_e32 v5, 31, v4
	s_and_b64 s[10:11], s[6:7], s[18:19]
	;; [unrolled: 26-line block ×7, first 2 shown]
	s_and_saveexec_b64 s[18:19], s[28:29]
	s_cbranch_execz .LBB126_97
; %bb.93:
	s_and_b64 vcc, exec, s[0:1]
	s_cbranch_vccnz .LBB126_95
; %bb.94:
	v_lshl_add_u64 v[18:19], v[14:15], 3, v[18:19]
	flat_load_dwordx2 v[18:19], v[18:19]
	s_waitcnt vmcnt(0) lgkmcnt(0)
	v_mul_f64 v[18:19], s[24:25], v[18:19]
	s_branch .LBB126_96
.LBB126_95:
	v_mov_b64_e32 v[18:19], 0
.LBB126_96:
	v_cvt_f32_f64_e32 v18, v[18:19]
	v_max_f32_e32 v19, v136, v136
	v_min_f32_e32 v18, v18, v19
	v_cvt_f64_f32_e32 v[18:19], v18
	v_lshl_add_u64 v[16:17], v[14:15], 3, v[16:17]
	global_store_dwordx2 v[16:17], v[18:19], off
.LBB126_97:
	s_or_b64 exec, exec, s[18:19]
	v_add_u32_e32 v20, 32, v22
	v_mad_i64_i32 v[16:17], s[28:29], v20, s31, 0
	v_cmp_gt_i32_e64 s[18:19], s21, v20
	v_lshl_add_u64 v[18:19], v[16:17], 3, s[26:27]
	v_mad_i64_i32 v[16:17], s[28:29], v20, s30, 0
	v_lshl_add_u64 v[16:17], v[16:17], 3, s[22:23]
	s_and_b64 s[34:35], s[2:3], s[18:19]
	s_and_saveexec_b64 s[28:29], s[34:35]
	s_cbranch_execnz .LBB126_105
; %bb.98:
	s_or_b64 exec, exec, s[28:29]
	s_and_b64 s[34:35], s[4:5], s[18:19]
	s_and_saveexec_b64 s[28:29], s[34:35]
	s_cbranch_execnz .LBB126_109
.LBB126_99:
	s_or_b64 exec, exec, s[28:29]
	s_and_b64 s[34:35], s[6:7], s[18:19]
	s_and_saveexec_b64 s[28:29], s[34:35]
	s_cbranch_execnz .LBB126_113
.LBB126_100:
	s_or_b64 exec, exec, s[28:29]
	s_and_b64 s[34:35], s[8:9], s[18:19]
	s_and_saveexec_b64 s[28:29], s[34:35]
	s_cbranch_execnz .LBB126_117
.LBB126_101:
	s_or_b64 exec, exec, s[28:29]
	s_and_b64 s[34:35], s[10:11], s[18:19]
	s_and_saveexec_b64 s[28:29], s[34:35]
	s_cbranch_execnz .LBB126_121
.LBB126_102:
	s_or_b64 exec, exec, s[28:29]
	s_and_b64 s[34:35], s[12:13], s[18:19]
	s_and_saveexec_b64 s[28:29], s[34:35]
	s_cbranch_execnz .LBB126_125
.LBB126_103:
	s_or_b64 exec, exec, s[28:29]
	s_and_b64 s[34:35], s[14:15], s[18:19]
	s_and_saveexec_b64 s[28:29], s[34:35]
	s_cbranch_execnz .LBB126_129
.LBB126_104:
	s_or_b64 exec, exec, s[28:29]
	s_and_b64 s[28:29], s[16:17], s[18:19]
	s_and_saveexec_b64 s[18:19], s[28:29]
	s_cbranch_execnz .LBB126_133
	s_branch .LBB126_137
.LBB126_105:
	s_and_b64 vcc, exec, s[0:1]
	s_cbranch_vccnz .LBB126_107
; %bb.106:
	v_lshl_add_u64 v[20:21], v[0:1], 3, v[18:19]
	flat_load_dwordx2 v[20:21], v[20:21]
	s_waitcnt vmcnt(0) lgkmcnt(0)
	v_mul_f64 v[20:21], s[24:25], v[20:21]
	s_branch .LBB126_108
.LBB126_107:
	v_mov_b64_e32 v[20:21], 0
.LBB126_108:
	v_cvt_f32_f64_e32 v20, v[20:21]
	v_max_f32_e32 v21, v135, v135
	v_min_f32_e32 v20, v20, v21
	v_cvt_f64_f32_e32 v[20:21], v20
	v_lshl_add_u64 v[24:25], v[0:1], 3, v[16:17]
	global_store_dwordx2 v[24:25], v[20:21], off
	s_or_b64 exec, exec, s[28:29]
	s_and_b64 s[34:35], s[4:5], s[18:19]
	s_and_saveexec_b64 s[28:29], s[34:35]
	s_cbranch_execz .LBB126_99
.LBB126_109:
	s_and_b64 vcc, exec, s[0:1]
	s_cbranch_vccnz .LBB126_111
; %bb.110:
	v_lshl_add_u64 v[20:21], v[2:3], 3, v[18:19]
	flat_load_dwordx2 v[20:21], v[20:21]
	s_waitcnt vmcnt(0) lgkmcnt(0)
	v_mul_f64 v[20:21], s[24:25], v[20:21]
	s_branch .LBB126_112
.LBB126_111:
	v_mov_b64_e32 v[20:21], 0
.LBB126_112:
	v_cvt_f32_f64_e32 v20, v[20:21]
	v_max_f32_e32 v21, v134, v134
	v_min_f32_e32 v20, v20, v21
	v_cvt_f64_f32_e32 v[20:21], v20
	v_lshl_add_u64 v[24:25], v[2:3], 3, v[16:17]
	global_store_dwordx2 v[24:25], v[20:21], off
	s_or_b64 exec, exec, s[28:29]
	s_and_b64 s[34:35], s[6:7], s[18:19]
	s_and_saveexec_b64 s[28:29], s[34:35]
	s_cbranch_execz .LBB126_100
.LBB126_113:
	s_and_b64 vcc, exec, s[0:1]
	s_cbranch_vccnz .LBB126_115
; %bb.114:
	v_lshl_add_u64 v[20:21], v[4:5], 3, v[18:19]
	flat_load_dwordx2 v[20:21], v[20:21]
	s_waitcnt vmcnt(0) lgkmcnt(0)
	v_mul_f64 v[20:21], s[24:25], v[20:21]
	s_branch .LBB126_116
.LBB126_115:
	v_mov_b64_e32 v[20:21], 0
.LBB126_116:
	v_cvt_f32_f64_e32 v20, v[20:21]
	v_max_f32_e32 v21, v131, v131
	v_min_f32_e32 v20, v20, v21
	v_cvt_f64_f32_e32 v[20:21], v20
	v_lshl_add_u64 v[24:25], v[4:5], 3, v[16:17]
	global_store_dwordx2 v[24:25], v[20:21], off
	s_or_b64 exec, exec, s[28:29]
	s_and_b64 s[34:35], s[8:9], s[18:19]
	s_and_saveexec_b64 s[28:29], s[34:35]
	s_cbranch_execz .LBB126_101
.LBB126_117:
	s_and_b64 vcc, exec, s[0:1]
	s_cbranch_vccnz .LBB126_119
; %bb.118:
	v_lshl_add_u64 v[20:21], v[6:7], 3, v[18:19]
	flat_load_dwordx2 v[20:21], v[20:21]
	s_waitcnt vmcnt(0) lgkmcnt(0)
	v_mul_f64 v[20:21], s[24:25], v[20:21]
	s_branch .LBB126_120
.LBB126_119:
	v_mov_b64_e32 v[20:21], 0
.LBB126_120:
	v_cvt_f32_f64_e32 v20, v[20:21]
	v_max_f32_e32 v21, v130, v130
	v_min_f32_e32 v20, v20, v21
	v_cvt_f64_f32_e32 v[20:21], v20
	v_lshl_add_u64 v[24:25], v[6:7], 3, v[16:17]
	global_store_dwordx2 v[24:25], v[20:21], off
	s_or_b64 exec, exec, s[28:29]
	s_and_b64 s[34:35], s[10:11], s[18:19]
	s_and_saveexec_b64 s[28:29], s[34:35]
	s_cbranch_execz .LBB126_102
.LBB126_121:
	s_and_b64 vcc, exec, s[0:1]
	s_cbranch_vccnz .LBB126_123
; %bb.122:
	v_lshl_add_u64 v[20:21], v[8:9], 3, v[18:19]
	flat_load_dwordx2 v[20:21], v[20:21]
	s_waitcnt vmcnt(0) lgkmcnt(0)
	v_mul_f64 v[20:21], s[24:25], v[20:21]
	s_branch .LBB126_124
.LBB126_123:
	v_mov_b64_e32 v[20:21], 0
.LBB126_124:
	v_cvt_f32_f64_e32 v20, v[20:21]
	v_max_f32_e32 v21, v129, v129
	v_min_f32_e32 v20, v20, v21
	v_cvt_f64_f32_e32 v[20:21], v20
	v_lshl_add_u64 v[24:25], v[8:9], 3, v[16:17]
	global_store_dwordx2 v[24:25], v[20:21], off
	s_or_b64 exec, exec, s[28:29]
	s_and_b64 s[34:35], s[12:13], s[18:19]
	s_and_saveexec_b64 s[28:29], s[34:35]
	s_cbranch_execz .LBB126_103
.LBB126_125:
	s_and_b64 vcc, exec, s[0:1]
	s_cbranch_vccnz .LBB126_127
; %bb.126:
	v_lshl_add_u64 v[20:21], v[10:11], 3, v[18:19]
	flat_load_dwordx2 v[20:21], v[20:21]
	s_waitcnt vmcnt(0) lgkmcnt(0)
	v_mul_f64 v[20:21], s[24:25], v[20:21]
	s_branch .LBB126_128
.LBB126_127:
	v_mov_b64_e32 v[20:21], 0
.LBB126_128:
	v_cvt_f32_f64_e32 v20, v[20:21]
	v_max_f32_e32 v21, v128, v128
	v_min_f32_e32 v20, v20, v21
	v_cvt_f64_f32_e32 v[20:21], v20
	v_lshl_add_u64 v[24:25], v[10:11], 3, v[16:17]
	global_store_dwordx2 v[24:25], v[20:21], off
	s_or_b64 exec, exec, s[28:29]
	s_and_b64 s[34:35], s[14:15], s[18:19]
	s_and_saveexec_b64 s[28:29], s[34:35]
	s_cbranch_execz .LBB126_104
.LBB126_129:
	s_and_b64 vcc, exec, s[0:1]
	s_cbranch_vccnz .LBB126_131
; %bb.130:
	v_lshl_add_u64 v[20:21], v[12:13], 3, v[18:19]
	flat_load_dwordx2 v[20:21], v[20:21]
	s_waitcnt vmcnt(0) lgkmcnt(0)
	v_mul_f64 v[20:21], s[24:25], v[20:21]
	s_branch .LBB126_132
.LBB126_131:
	v_mov_b64_e32 v[20:21], 0
.LBB126_132:
	v_cvt_f32_f64_e32 v20, v[20:21]
	v_max_f32_e32 v21, v127, v127
	v_min_f32_e32 v20, v20, v21
	v_cvt_f64_f32_e32 v[20:21], v20
	v_lshl_add_u64 v[24:25], v[12:13], 3, v[16:17]
	global_store_dwordx2 v[24:25], v[20:21], off
	s_or_b64 exec, exec, s[28:29]
	s_and_b64 s[28:29], s[16:17], s[18:19]
	s_and_saveexec_b64 s[18:19], s[28:29]
	s_cbranch_execz .LBB126_137
.LBB126_133:
	s_and_b64 vcc, exec, s[0:1]
	s_cbranch_vccnz .LBB126_135
; %bb.134:
	v_lshl_add_u64 v[18:19], v[14:15], 3, v[18:19]
	flat_load_dwordx2 v[18:19], v[18:19]
	s_waitcnt vmcnt(0) lgkmcnt(0)
	v_mul_f64 v[18:19], s[24:25], v[18:19]
	s_branch .LBB126_136
.LBB126_135:
	v_mov_b64_e32 v[18:19], 0
.LBB126_136:
	v_cvt_f32_f64_e32 v18, v[18:19]
	v_max_f32_e32 v19, v126, v126
	v_min_f32_e32 v18, v18, v19
	v_cvt_f64_f32_e32 v[18:19], v18
	v_lshl_add_u64 v[16:17], v[14:15], 3, v[16:17]
	global_store_dwordx2 v[16:17], v[18:19], off
.LBB126_137:
	s_or_b64 exec, exec, s[18:19]
	v_add_u32_e32 v20, 64, v22
	v_mad_i64_i32 v[16:17], s[28:29], v20, s31, 0
	v_cmp_gt_i32_e64 s[18:19], s21, v20
	v_lshl_add_u64 v[18:19], v[16:17], 3, s[26:27]
	v_mad_i64_i32 v[16:17], s[28:29], v20, s30, 0
	v_lshl_add_u64 v[16:17], v[16:17], 3, s[22:23]
	s_and_b64 s[34:35], s[2:3], s[18:19]
	s_and_saveexec_b64 s[28:29], s[34:35]
	s_cbranch_execnz .LBB126_145
; %bb.138:
	s_or_b64 exec, exec, s[28:29]
	s_and_b64 s[34:35], s[4:5], s[18:19]
	s_and_saveexec_b64 s[28:29], s[34:35]
	s_cbranch_execnz .LBB126_149
.LBB126_139:
	s_or_b64 exec, exec, s[28:29]
	s_and_b64 s[34:35], s[6:7], s[18:19]
	s_and_saveexec_b64 s[28:29], s[34:35]
	s_cbranch_execnz .LBB126_153
.LBB126_140:
	s_or_b64 exec, exec, s[28:29]
	s_and_b64 s[34:35], s[8:9], s[18:19]
	s_and_saveexec_b64 s[28:29], s[34:35]
	s_cbranch_execnz .LBB126_157
.LBB126_141:
	s_or_b64 exec, exec, s[28:29]
	s_and_b64 s[34:35], s[10:11], s[18:19]
	s_and_saveexec_b64 s[28:29], s[34:35]
	s_cbranch_execnz .LBB126_161
.LBB126_142:
	s_or_b64 exec, exec, s[28:29]
	s_and_b64 s[34:35], s[12:13], s[18:19]
	s_and_saveexec_b64 s[28:29], s[34:35]
	s_cbranch_execnz .LBB126_165
.LBB126_143:
	s_or_b64 exec, exec, s[28:29]
	s_and_b64 s[34:35], s[14:15], s[18:19]
	s_and_saveexec_b64 s[28:29], s[34:35]
	s_cbranch_execnz .LBB126_169
.LBB126_144:
	s_or_b64 exec, exec, s[28:29]
	s_and_b64 s[28:29], s[16:17], s[18:19]
	s_and_saveexec_b64 s[18:19], s[28:29]
	s_cbranch_execnz .LBB126_173
	s_branch .LBB126_177
.LBB126_145:
	s_and_b64 vcc, exec, s[0:1]
	s_cbranch_vccnz .LBB126_147
; %bb.146:
	v_lshl_add_u64 v[20:21], v[0:1], 3, v[18:19]
	flat_load_dwordx2 v[20:21], v[20:21]
	s_waitcnt vmcnt(0) lgkmcnt(0)
	v_mul_f64 v[20:21], s[24:25], v[20:21]
	s_branch .LBB126_148
.LBB126_147:
	v_mov_b64_e32 v[20:21], 0
.LBB126_148:
	v_cvt_f32_f64_e32 v20, v[20:21]
	v_max_f32_e32 v21, v125, v125
	v_min_f32_e32 v20, v20, v21
	v_cvt_f64_f32_e32 v[20:21], v20
	v_lshl_add_u64 v[24:25], v[0:1], 3, v[16:17]
	global_store_dwordx2 v[24:25], v[20:21], off
	s_or_b64 exec, exec, s[28:29]
	s_and_b64 s[34:35], s[4:5], s[18:19]
	s_and_saveexec_b64 s[28:29], s[34:35]
	s_cbranch_execz .LBB126_139
.LBB126_149:
	s_and_b64 vcc, exec, s[0:1]
	s_cbranch_vccnz .LBB126_151
; %bb.150:
	v_lshl_add_u64 v[20:21], v[2:3], 3, v[18:19]
	flat_load_dwordx2 v[20:21], v[20:21]
	s_waitcnt vmcnt(0) lgkmcnt(0)
	v_mul_f64 v[20:21], s[24:25], v[20:21]
	s_branch .LBB126_152
.LBB126_151:
	v_mov_b64_e32 v[20:21], 0
.LBB126_152:
	v_cvt_f32_f64_e32 v20, v[20:21]
	v_max_f32_e32 v21, v124, v124
	v_min_f32_e32 v20, v20, v21
	v_cvt_f64_f32_e32 v[20:21], v20
	v_lshl_add_u64 v[24:25], v[2:3], 3, v[16:17]
	global_store_dwordx2 v[24:25], v[20:21], off
	s_or_b64 exec, exec, s[28:29]
	s_and_b64 s[34:35], s[6:7], s[18:19]
	s_and_saveexec_b64 s[28:29], s[34:35]
	s_cbranch_execz .LBB126_140
.LBB126_153:
	s_and_b64 vcc, exec, s[0:1]
	s_cbranch_vccnz .LBB126_155
; %bb.154:
	v_lshl_add_u64 v[20:21], v[4:5], 3, v[18:19]
	flat_load_dwordx2 v[20:21], v[20:21]
	s_waitcnt vmcnt(0) lgkmcnt(0)
	v_mul_f64 v[20:21], s[24:25], v[20:21]
	s_branch .LBB126_156
.LBB126_155:
	v_mov_b64_e32 v[20:21], 0
.LBB126_156:
	v_cvt_f32_f64_e32 v20, v[20:21]
	v_max_f32_e32 v21, v123, v123
	v_min_f32_e32 v20, v20, v21
	v_cvt_f64_f32_e32 v[20:21], v20
	v_lshl_add_u64 v[24:25], v[4:5], 3, v[16:17]
	global_store_dwordx2 v[24:25], v[20:21], off
	s_or_b64 exec, exec, s[28:29]
	s_and_b64 s[34:35], s[8:9], s[18:19]
	s_and_saveexec_b64 s[28:29], s[34:35]
	s_cbranch_execz .LBB126_141
.LBB126_157:
	s_and_b64 vcc, exec, s[0:1]
	s_cbranch_vccnz .LBB126_159
; %bb.158:
	v_lshl_add_u64 v[20:21], v[6:7], 3, v[18:19]
	flat_load_dwordx2 v[20:21], v[20:21]
	s_waitcnt vmcnt(0) lgkmcnt(0)
	v_mul_f64 v[20:21], s[24:25], v[20:21]
	s_branch .LBB126_160
.LBB126_159:
	v_mov_b64_e32 v[20:21], 0
.LBB126_160:
	v_cvt_f32_f64_e32 v20, v[20:21]
	v_max_f32_e32 v21, v122, v122
	v_min_f32_e32 v20, v20, v21
	v_cvt_f64_f32_e32 v[20:21], v20
	v_lshl_add_u64 v[24:25], v[6:7], 3, v[16:17]
	global_store_dwordx2 v[24:25], v[20:21], off
	s_or_b64 exec, exec, s[28:29]
	s_and_b64 s[34:35], s[10:11], s[18:19]
	s_and_saveexec_b64 s[28:29], s[34:35]
	s_cbranch_execz .LBB126_142
.LBB126_161:
	s_and_b64 vcc, exec, s[0:1]
	s_cbranch_vccnz .LBB126_163
; %bb.162:
	v_lshl_add_u64 v[20:21], v[8:9], 3, v[18:19]
	flat_load_dwordx2 v[20:21], v[20:21]
	s_waitcnt vmcnt(0) lgkmcnt(0)
	v_mul_f64 v[20:21], s[24:25], v[20:21]
	s_branch .LBB126_164
.LBB126_163:
	v_mov_b64_e32 v[20:21], 0
.LBB126_164:
	v_cvt_f32_f64_e32 v20, v[20:21]
	v_max_f32_e32 v21, v121, v121
	v_min_f32_e32 v20, v20, v21
	v_cvt_f64_f32_e32 v[20:21], v20
	v_lshl_add_u64 v[24:25], v[8:9], 3, v[16:17]
	global_store_dwordx2 v[24:25], v[20:21], off
	s_or_b64 exec, exec, s[28:29]
	s_and_b64 s[34:35], s[12:13], s[18:19]
	s_and_saveexec_b64 s[28:29], s[34:35]
	s_cbranch_execz .LBB126_143
.LBB126_165:
	s_and_b64 vcc, exec, s[0:1]
	s_cbranch_vccnz .LBB126_167
; %bb.166:
	v_lshl_add_u64 v[20:21], v[10:11], 3, v[18:19]
	flat_load_dwordx2 v[20:21], v[20:21]
	s_waitcnt vmcnt(0) lgkmcnt(0)
	v_mul_f64 v[20:21], s[24:25], v[20:21]
	s_branch .LBB126_168
.LBB126_167:
	v_mov_b64_e32 v[20:21], 0
.LBB126_168:
	v_cvt_f32_f64_e32 v20, v[20:21]
	v_max_f32_e32 v21, v120, v120
	v_min_f32_e32 v20, v20, v21
	v_cvt_f64_f32_e32 v[20:21], v20
	v_lshl_add_u64 v[24:25], v[10:11], 3, v[16:17]
	global_store_dwordx2 v[24:25], v[20:21], off
	s_or_b64 exec, exec, s[28:29]
	s_and_b64 s[34:35], s[14:15], s[18:19]
	s_and_saveexec_b64 s[28:29], s[34:35]
	s_cbranch_execz .LBB126_144
.LBB126_169:
	s_and_b64 vcc, exec, s[0:1]
	s_cbranch_vccnz .LBB126_171
; %bb.170:
	v_lshl_add_u64 v[20:21], v[12:13], 3, v[18:19]
	flat_load_dwordx2 v[20:21], v[20:21]
	s_waitcnt vmcnt(0) lgkmcnt(0)
	v_mul_f64 v[20:21], s[24:25], v[20:21]
	s_branch .LBB126_172
.LBB126_171:
	v_mov_b64_e32 v[20:21], 0
.LBB126_172:
	v_cvt_f32_f64_e32 v20, v[20:21]
	v_max_f32_e32 v21, v119, v119
	v_min_f32_e32 v20, v20, v21
	v_cvt_f64_f32_e32 v[20:21], v20
	v_lshl_add_u64 v[24:25], v[12:13], 3, v[16:17]
	global_store_dwordx2 v[24:25], v[20:21], off
	s_or_b64 exec, exec, s[28:29]
	s_and_b64 s[28:29], s[16:17], s[18:19]
	s_and_saveexec_b64 s[18:19], s[28:29]
	s_cbranch_execz .LBB126_177
.LBB126_173:
	s_and_b64 vcc, exec, s[0:1]
	s_cbranch_vccnz .LBB126_175
; %bb.174:
	v_lshl_add_u64 v[18:19], v[14:15], 3, v[18:19]
	flat_load_dwordx2 v[18:19], v[18:19]
	s_waitcnt vmcnt(0) lgkmcnt(0)
	v_mul_f64 v[18:19], s[24:25], v[18:19]
	s_branch .LBB126_176
.LBB126_175:
	v_mov_b64_e32 v[18:19], 0
.LBB126_176:
	v_cvt_f32_f64_e32 v18, v[18:19]
	v_max_f32_e32 v19, v118, v118
	v_min_f32_e32 v18, v18, v19
	v_cvt_f64_f32_e32 v[18:19], v18
	v_lshl_add_u64 v[16:17], v[14:15], 3, v[16:17]
	global_store_dwordx2 v[16:17], v[18:19], off
.LBB126_177:
	s_or_b64 exec, exec, s[18:19]
	v_add_u32_e32 v20, 0x60, v22
	v_mad_i64_i32 v[16:17], s[28:29], v20, s31, 0
	v_cmp_gt_i32_e64 s[18:19], s21, v20
	v_lshl_add_u64 v[18:19], v[16:17], 3, s[26:27]
	v_mad_i64_i32 v[16:17], s[28:29], v20, s30, 0
	v_lshl_add_u64 v[16:17], v[16:17], 3, s[22:23]
	s_and_b64 s[34:35], s[2:3], s[18:19]
	s_and_saveexec_b64 s[28:29], s[34:35]
	s_cbranch_execnz .LBB126_185
; %bb.178:
	s_or_b64 exec, exec, s[28:29]
	s_and_b64 s[34:35], s[4:5], s[18:19]
	s_and_saveexec_b64 s[28:29], s[34:35]
	s_cbranch_execnz .LBB126_189
.LBB126_179:
	s_or_b64 exec, exec, s[28:29]
	s_and_b64 s[34:35], s[6:7], s[18:19]
	s_and_saveexec_b64 s[28:29], s[34:35]
	s_cbranch_execnz .LBB126_193
.LBB126_180:
	s_or_b64 exec, exec, s[28:29]
	s_and_b64 s[34:35], s[8:9], s[18:19]
	s_and_saveexec_b64 s[28:29], s[34:35]
	s_cbranch_execnz .LBB126_197
.LBB126_181:
	s_or_b64 exec, exec, s[28:29]
	s_and_b64 s[34:35], s[10:11], s[18:19]
	s_and_saveexec_b64 s[28:29], s[34:35]
	s_cbranch_execnz .LBB126_201
.LBB126_182:
	s_or_b64 exec, exec, s[28:29]
	s_and_b64 s[34:35], s[12:13], s[18:19]
	s_and_saveexec_b64 s[28:29], s[34:35]
	s_cbranch_execnz .LBB126_205
.LBB126_183:
	s_or_b64 exec, exec, s[28:29]
	s_and_b64 s[34:35], s[14:15], s[18:19]
	s_and_saveexec_b64 s[28:29], s[34:35]
	s_cbranch_execnz .LBB126_209
.LBB126_184:
	s_or_b64 exec, exec, s[28:29]
	s_and_b64 s[28:29], s[16:17], s[18:19]
	s_and_saveexec_b64 s[18:19], s[28:29]
	s_cbranch_execnz .LBB126_213
	s_branch .LBB126_217
.LBB126_185:
	s_and_b64 vcc, exec, s[0:1]
	s_cbranch_vccnz .LBB126_187
; %bb.186:
	v_lshl_add_u64 v[20:21], v[0:1], 3, v[18:19]
	flat_load_dwordx2 v[20:21], v[20:21]
	s_waitcnt vmcnt(0) lgkmcnt(0)
	v_mul_f64 v[20:21], s[24:25], v[20:21]
	s_branch .LBB126_188
.LBB126_187:
	v_mov_b64_e32 v[20:21], 0
.LBB126_188:
	v_cvt_f32_f64_e32 v20, v[20:21]
	v_max_f32_e32 v21, v117, v117
	v_min_f32_e32 v20, v20, v21
	v_cvt_f64_f32_e32 v[20:21], v20
	v_lshl_add_u64 v[24:25], v[0:1], 3, v[16:17]
	global_store_dwordx2 v[24:25], v[20:21], off
	s_or_b64 exec, exec, s[28:29]
	s_and_b64 s[34:35], s[4:5], s[18:19]
	s_and_saveexec_b64 s[28:29], s[34:35]
	s_cbranch_execz .LBB126_179
.LBB126_189:
	s_and_b64 vcc, exec, s[0:1]
	s_cbranch_vccnz .LBB126_191
; %bb.190:
	v_lshl_add_u64 v[20:21], v[2:3], 3, v[18:19]
	flat_load_dwordx2 v[20:21], v[20:21]
	s_waitcnt vmcnt(0) lgkmcnt(0)
	v_mul_f64 v[20:21], s[24:25], v[20:21]
	s_branch .LBB126_192
.LBB126_191:
	v_mov_b64_e32 v[20:21], 0
.LBB126_192:
	v_cvt_f32_f64_e32 v20, v[20:21]
	v_max_f32_e32 v21, v116, v116
	v_min_f32_e32 v20, v20, v21
	v_cvt_f64_f32_e32 v[20:21], v20
	v_lshl_add_u64 v[24:25], v[2:3], 3, v[16:17]
	global_store_dwordx2 v[24:25], v[20:21], off
	s_or_b64 exec, exec, s[28:29]
	s_and_b64 s[34:35], s[6:7], s[18:19]
	s_and_saveexec_b64 s[28:29], s[34:35]
	s_cbranch_execz .LBB126_180
.LBB126_193:
	s_and_b64 vcc, exec, s[0:1]
	s_cbranch_vccnz .LBB126_195
; %bb.194:
	v_lshl_add_u64 v[20:21], v[4:5], 3, v[18:19]
	flat_load_dwordx2 v[20:21], v[20:21]
	s_waitcnt vmcnt(0) lgkmcnt(0)
	v_mul_f64 v[20:21], s[24:25], v[20:21]
	s_branch .LBB126_196
.LBB126_195:
	v_mov_b64_e32 v[20:21], 0
.LBB126_196:
	v_cvt_f32_f64_e32 v20, v[20:21]
	v_max_f32_e32 v21, v115, v115
	v_min_f32_e32 v20, v20, v21
	v_cvt_f64_f32_e32 v[20:21], v20
	v_lshl_add_u64 v[24:25], v[4:5], 3, v[16:17]
	global_store_dwordx2 v[24:25], v[20:21], off
	s_or_b64 exec, exec, s[28:29]
	s_and_b64 s[34:35], s[8:9], s[18:19]
	s_and_saveexec_b64 s[28:29], s[34:35]
	s_cbranch_execz .LBB126_181
.LBB126_197:
	s_and_b64 vcc, exec, s[0:1]
	s_cbranch_vccnz .LBB126_199
; %bb.198:
	v_lshl_add_u64 v[20:21], v[6:7], 3, v[18:19]
	flat_load_dwordx2 v[20:21], v[20:21]
	s_waitcnt vmcnt(0) lgkmcnt(0)
	v_mul_f64 v[20:21], s[24:25], v[20:21]
	s_branch .LBB126_200
.LBB126_199:
	v_mov_b64_e32 v[20:21], 0
.LBB126_200:
	v_cvt_f32_f64_e32 v20, v[20:21]
	v_max_f32_e32 v21, v114, v114
	v_min_f32_e32 v20, v20, v21
	v_cvt_f64_f32_e32 v[20:21], v20
	v_lshl_add_u64 v[24:25], v[6:7], 3, v[16:17]
	global_store_dwordx2 v[24:25], v[20:21], off
	s_or_b64 exec, exec, s[28:29]
	s_and_b64 s[34:35], s[10:11], s[18:19]
	s_and_saveexec_b64 s[28:29], s[34:35]
	s_cbranch_execz .LBB126_182
.LBB126_201:
	s_and_b64 vcc, exec, s[0:1]
	s_cbranch_vccnz .LBB126_203
; %bb.202:
	v_lshl_add_u64 v[20:21], v[8:9], 3, v[18:19]
	flat_load_dwordx2 v[20:21], v[20:21]
	s_waitcnt vmcnt(0) lgkmcnt(0)
	v_mul_f64 v[20:21], s[24:25], v[20:21]
	s_branch .LBB126_204
.LBB126_203:
	v_mov_b64_e32 v[20:21], 0
.LBB126_204:
	v_cvt_f32_f64_e32 v20, v[20:21]
	v_max_f32_e32 v21, v113, v113
	v_min_f32_e32 v20, v20, v21
	v_cvt_f64_f32_e32 v[20:21], v20
	v_lshl_add_u64 v[24:25], v[8:9], 3, v[16:17]
	global_store_dwordx2 v[24:25], v[20:21], off
	s_or_b64 exec, exec, s[28:29]
	s_and_b64 s[34:35], s[12:13], s[18:19]
	s_and_saveexec_b64 s[28:29], s[34:35]
	s_cbranch_execz .LBB126_183
.LBB126_205:
	s_and_b64 vcc, exec, s[0:1]
	s_cbranch_vccnz .LBB126_207
; %bb.206:
	v_lshl_add_u64 v[20:21], v[10:11], 3, v[18:19]
	flat_load_dwordx2 v[20:21], v[20:21]
	s_waitcnt vmcnt(0) lgkmcnt(0)
	v_mul_f64 v[20:21], s[24:25], v[20:21]
	s_branch .LBB126_208
.LBB126_207:
	v_mov_b64_e32 v[20:21], 0
.LBB126_208:
	v_cvt_f32_f64_e32 v20, v[20:21]
	v_max_f32_e32 v21, v112, v112
	v_min_f32_e32 v20, v20, v21
	v_cvt_f64_f32_e32 v[20:21], v20
	v_lshl_add_u64 v[24:25], v[10:11], 3, v[16:17]
	global_store_dwordx2 v[24:25], v[20:21], off
	s_or_b64 exec, exec, s[28:29]
	s_and_b64 s[34:35], s[14:15], s[18:19]
	s_and_saveexec_b64 s[28:29], s[34:35]
	s_cbranch_execz .LBB126_184
.LBB126_209:
	s_and_b64 vcc, exec, s[0:1]
	s_cbranch_vccnz .LBB126_211
; %bb.210:
	v_lshl_add_u64 v[20:21], v[12:13], 3, v[18:19]
	flat_load_dwordx2 v[20:21], v[20:21]
	s_waitcnt vmcnt(0) lgkmcnt(0)
	v_mul_f64 v[20:21], s[24:25], v[20:21]
	s_branch .LBB126_212
.LBB126_211:
	v_mov_b64_e32 v[20:21], 0
.LBB126_212:
	v_cvt_f32_f64_e32 v20, v[20:21]
	v_max_f32_e32 v21, v111, v111
	v_min_f32_e32 v20, v20, v21
	v_cvt_f64_f32_e32 v[20:21], v20
	v_lshl_add_u64 v[24:25], v[12:13], 3, v[16:17]
	global_store_dwordx2 v[24:25], v[20:21], off
	s_or_b64 exec, exec, s[28:29]
	s_and_b64 s[28:29], s[16:17], s[18:19]
	s_and_saveexec_b64 s[18:19], s[28:29]
	s_cbranch_execz .LBB126_217
.LBB126_213:
	s_and_b64 vcc, exec, s[0:1]
	s_cbranch_vccnz .LBB126_215
; %bb.214:
	v_lshl_add_u64 v[18:19], v[14:15], 3, v[18:19]
	flat_load_dwordx2 v[18:19], v[18:19]
	s_waitcnt vmcnt(0) lgkmcnt(0)
	v_mul_f64 v[18:19], s[24:25], v[18:19]
	s_branch .LBB126_216
.LBB126_215:
	v_mov_b64_e32 v[18:19], 0
.LBB126_216:
	v_cvt_f32_f64_e32 v18, v[18:19]
	v_max_f32_e32 v19, v110, v110
	v_min_f32_e32 v18, v18, v19
	v_cvt_f64_f32_e32 v[18:19], v18
	v_lshl_add_u64 v[16:17], v[14:15], 3, v[16:17]
	global_store_dwordx2 v[16:17], v[18:19], off
.LBB126_217:
	s_or_b64 exec, exec, s[18:19]
	v_add_u32_e32 v20, 0x80, v22
	v_mad_i64_i32 v[16:17], s[28:29], v20, s31, 0
	v_cmp_gt_i32_e64 s[18:19], s21, v20
	v_lshl_add_u64 v[18:19], v[16:17], 3, s[26:27]
	v_mad_i64_i32 v[16:17], s[28:29], v20, s30, 0
	v_lshl_add_u64 v[16:17], v[16:17], 3, s[22:23]
	s_and_b64 s[34:35], s[2:3], s[18:19]
	s_and_saveexec_b64 s[28:29], s[34:35]
	s_cbranch_execnz .LBB126_225
; %bb.218:
	s_or_b64 exec, exec, s[28:29]
	s_and_b64 s[34:35], s[4:5], s[18:19]
	s_and_saveexec_b64 s[28:29], s[34:35]
	s_cbranch_execnz .LBB126_229
.LBB126_219:
	s_or_b64 exec, exec, s[28:29]
	s_and_b64 s[34:35], s[6:7], s[18:19]
	s_and_saveexec_b64 s[28:29], s[34:35]
	s_cbranch_execnz .LBB126_233
.LBB126_220:
	s_or_b64 exec, exec, s[28:29]
	s_and_b64 s[34:35], s[8:9], s[18:19]
	s_and_saveexec_b64 s[28:29], s[34:35]
	s_cbranch_execnz .LBB126_237
.LBB126_221:
	s_or_b64 exec, exec, s[28:29]
	s_and_b64 s[34:35], s[10:11], s[18:19]
	s_and_saveexec_b64 s[28:29], s[34:35]
	s_cbranch_execnz .LBB126_241
.LBB126_222:
	s_or_b64 exec, exec, s[28:29]
	s_and_b64 s[34:35], s[12:13], s[18:19]
	s_and_saveexec_b64 s[28:29], s[34:35]
	s_cbranch_execnz .LBB126_245
.LBB126_223:
	s_or_b64 exec, exec, s[28:29]
	s_and_b64 s[34:35], s[14:15], s[18:19]
	s_and_saveexec_b64 s[28:29], s[34:35]
	s_cbranch_execnz .LBB126_249
.LBB126_224:
	s_or_b64 exec, exec, s[28:29]
	s_and_b64 s[28:29], s[16:17], s[18:19]
	s_and_saveexec_b64 s[18:19], s[28:29]
	s_cbranch_execnz .LBB126_253
	s_branch .LBB126_257
.LBB126_225:
	s_and_b64 vcc, exec, s[0:1]
	s_cbranch_vccnz .LBB126_227
; %bb.226:
	v_lshl_add_u64 v[20:21], v[0:1], 3, v[18:19]
	flat_load_dwordx2 v[20:21], v[20:21]
	s_waitcnt vmcnt(0) lgkmcnt(0)
	v_mul_f64 v[20:21], s[24:25], v[20:21]
	s_branch .LBB126_228
.LBB126_227:
	v_mov_b64_e32 v[20:21], 0
.LBB126_228:
	v_cvt_f32_f64_e32 v20, v[20:21]
	v_max_f32_e32 v21, v109, v109
	v_min_f32_e32 v20, v20, v21
	v_cvt_f64_f32_e32 v[20:21], v20
	v_lshl_add_u64 v[24:25], v[0:1], 3, v[16:17]
	global_store_dwordx2 v[24:25], v[20:21], off
	s_or_b64 exec, exec, s[28:29]
	s_and_b64 s[34:35], s[4:5], s[18:19]
	s_and_saveexec_b64 s[28:29], s[34:35]
	s_cbranch_execz .LBB126_219
.LBB126_229:
	s_and_b64 vcc, exec, s[0:1]
	s_cbranch_vccnz .LBB126_231
; %bb.230:
	v_lshl_add_u64 v[20:21], v[2:3], 3, v[18:19]
	flat_load_dwordx2 v[20:21], v[20:21]
	s_waitcnt vmcnt(0) lgkmcnt(0)
	v_mul_f64 v[20:21], s[24:25], v[20:21]
	s_branch .LBB126_232
.LBB126_231:
	v_mov_b64_e32 v[20:21], 0
.LBB126_232:
	v_cvt_f32_f64_e32 v20, v[20:21]
	v_max_f32_e32 v21, v108, v108
	v_min_f32_e32 v20, v20, v21
	v_cvt_f64_f32_e32 v[20:21], v20
	v_lshl_add_u64 v[24:25], v[2:3], 3, v[16:17]
	global_store_dwordx2 v[24:25], v[20:21], off
	s_or_b64 exec, exec, s[28:29]
	s_and_b64 s[34:35], s[6:7], s[18:19]
	s_and_saveexec_b64 s[28:29], s[34:35]
	s_cbranch_execz .LBB126_220
.LBB126_233:
	s_and_b64 vcc, exec, s[0:1]
	s_cbranch_vccnz .LBB126_235
; %bb.234:
	v_lshl_add_u64 v[20:21], v[4:5], 3, v[18:19]
	flat_load_dwordx2 v[20:21], v[20:21]
	s_waitcnt vmcnt(0) lgkmcnt(0)
	v_mul_f64 v[20:21], s[24:25], v[20:21]
	s_branch .LBB126_236
.LBB126_235:
	v_mov_b64_e32 v[20:21], 0
.LBB126_236:
	v_cvt_f32_f64_e32 v20, v[20:21]
	v_max_f32_e32 v21, v107, v107
	v_min_f32_e32 v20, v20, v21
	v_cvt_f64_f32_e32 v[20:21], v20
	v_lshl_add_u64 v[24:25], v[4:5], 3, v[16:17]
	global_store_dwordx2 v[24:25], v[20:21], off
	s_or_b64 exec, exec, s[28:29]
	s_and_b64 s[34:35], s[8:9], s[18:19]
	s_and_saveexec_b64 s[28:29], s[34:35]
	s_cbranch_execz .LBB126_221
.LBB126_237:
	s_and_b64 vcc, exec, s[0:1]
	s_cbranch_vccnz .LBB126_239
; %bb.238:
	v_lshl_add_u64 v[20:21], v[6:7], 3, v[18:19]
	flat_load_dwordx2 v[20:21], v[20:21]
	s_waitcnt vmcnt(0) lgkmcnt(0)
	v_mul_f64 v[20:21], s[24:25], v[20:21]
	s_branch .LBB126_240
.LBB126_239:
	v_mov_b64_e32 v[20:21], 0
.LBB126_240:
	v_cvt_f32_f64_e32 v20, v[20:21]
	v_max_f32_e32 v21, v106, v106
	v_min_f32_e32 v20, v20, v21
	v_cvt_f64_f32_e32 v[20:21], v20
	v_lshl_add_u64 v[24:25], v[6:7], 3, v[16:17]
	global_store_dwordx2 v[24:25], v[20:21], off
	s_or_b64 exec, exec, s[28:29]
	s_and_b64 s[34:35], s[10:11], s[18:19]
	s_and_saveexec_b64 s[28:29], s[34:35]
	s_cbranch_execz .LBB126_222
.LBB126_241:
	s_and_b64 vcc, exec, s[0:1]
	s_cbranch_vccnz .LBB126_243
; %bb.242:
	v_lshl_add_u64 v[20:21], v[8:9], 3, v[18:19]
	flat_load_dwordx2 v[20:21], v[20:21]
	s_waitcnt vmcnt(0) lgkmcnt(0)
	v_mul_f64 v[20:21], s[24:25], v[20:21]
	s_branch .LBB126_244
.LBB126_243:
	v_mov_b64_e32 v[20:21], 0
.LBB126_244:
	v_cvt_f32_f64_e32 v20, v[20:21]
	v_max_f32_e32 v21, v105, v105
	v_min_f32_e32 v20, v20, v21
	v_cvt_f64_f32_e32 v[20:21], v20
	v_lshl_add_u64 v[24:25], v[8:9], 3, v[16:17]
	global_store_dwordx2 v[24:25], v[20:21], off
	s_or_b64 exec, exec, s[28:29]
	s_and_b64 s[34:35], s[12:13], s[18:19]
	s_and_saveexec_b64 s[28:29], s[34:35]
	s_cbranch_execz .LBB126_223
.LBB126_245:
	s_and_b64 vcc, exec, s[0:1]
	s_cbranch_vccnz .LBB126_247
; %bb.246:
	v_lshl_add_u64 v[20:21], v[10:11], 3, v[18:19]
	flat_load_dwordx2 v[20:21], v[20:21]
	s_waitcnt vmcnt(0) lgkmcnt(0)
	v_mul_f64 v[20:21], s[24:25], v[20:21]
	s_branch .LBB126_248
.LBB126_247:
	v_mov_b64_e32 v[20:21], 0
.LBB126_248:
	v_cvt_f32_f64_e32 v20, v[20:21]
	v_max_f32_e32 v21, v104, v104
	v_min_f32_e32 v20, v20, v21
	v_cvt_f64_f32_e32 v[20:21], v20
	v_lshl_add_u64 v[24:25], v[10:11], 3, v[16:17]
	global_store_dwordx2 v[24:25], v[20:21], off
	s_or_b64 exec, exec, s[28:29]
	s_and_b64 s[34:35], s[14:15], s[18:19]
	s_and_saveexec_b64 s[28:29], s[34:35]
	s_cbranch_execz .LBB126_224
.LBB126_249:
	s_and_b64 vcc, exec, s[0:1]
	s_cbranch_vccnz .LBB126_251
; %bb.250:
	v_lshl_add_u64 v[20:21], v[12:13], 3, v[18:19]
	flat_load_dwordx2 v[20:21], v[20:21]
	s_waitcnt vmcnt(0) lgkmcnt(0)
	v_mul_f64 v[20:21], s[24:25], v[20:21]
	s_branch .LBB126_252
.LBB126_251:
	v_mov_b64_e32 v[20:21], 0
.LBB126_252:
	v_cvt_f32_f64_e32 v20, v[20:21]
	v_max_f32_e32 v21, v103, v103
	v_min_f32_e32 v20, v20, v21
	v_cvt_f64_f32_e32 v[20:21], v20
	v_lshl_add_u64 v[24:25], v[12:13], 3, v[16:17]
	global_store_dwordx2 v[24:25], v[20:21], off
	s_or_b64 exec, exec, s[28:29]
	s_and_b64 s[28:29], s[16:17], s[18:19]
	s_and_saveexec_b64 s[18:19], s[28:29]
	s_cbranch_execz .LBB126_257
.LBB126_253:
	s_and_b64 vcc, exec, s[0:1]
	s_cbranch_vccnz .LBB126_255
; %bb.254:
	v_lshl_add_u64 v[18:19], v[14:15], 3, v[18:19]
	flat_load_dwordx2 v[18:19], v[18:19]
	s_waitcnt vmcnt(0) lgkmcnt(0)
	v_mul_f64 v[18:19], s[24:25], v[18:19]
	s_branch .LBB126_256
.LBB126_255:
	v_mov_b64_e32 v[18:19], 0
.LBB126_256:
	v_cvt_f32_f64_e32 v18, v[18:19]
	v_max_f32_e32 v19, v102, v102
	v_min_f32_e32 v18, v18, v19
	v_cvt_f64_f32_e32 v[18:19], v18
	v_lshl_add_u64 v[16:17], v[14:15], 3, v[16:17]
	global_store_dwordx2 v[16:17], v[18:19], off
.LBB126_257:
	s_or_b64 exec, exec, s[18:19]
	v_add_u32_e32 v20, 0xa0, v22
	v_mad_i64_i32 v[16:17], s[28:29], v20, s31, 0
	v_cmp_gt_i32_e64 s[18:19], s21, v20
	v_lshl_add_u64 v[18:19], v[16:17], 3, s[26:27]
	v_mad_i64_i32 v[16:17], s[28:29], v20, s30, 0
	v_lshl_add_u64 v[16:17], v[16:17], 3, s[22:23]
	s_and_b64 s[34:35], s[2:3], s[18:19]
	s_and_saveexec_b64 s[28:29], s[34:35]
	s_cbranch_execnz .LBB126_265
; %bb.258:
	s_or_b64 exec, exec, s[28:29]
	s_and_b64 s[34:35], s[4:5], s[18:19]
	s_and_saveexec_b64 s[28:29], s[34:35]
	s_cbranch_execnz .LBB126_269
.LBB126_259:
	s_or_b64 exec, exec, s[28:29]
	s_and_b64 s[34:35], s[6:7], s[18:19]
	s_and_saveexec_b64 s[28:29], s[34:35]
	s_cbranch_execnz .LBB126_273
.LBB126_260:
	s_or_b64 exec, exec, s[28:29]
	s_and_b64 s[34:35], s[8:9], s[18:19]
	s_and_saveexec_b64 s[28:29], s[34:35]
	s_cbranch_execnz .LBB126_277
.LBB126_261:
	s_or_b64 exec, exec, s[28:29]
	s_and_b64 s[34:35], s[10:11], s[18:19]
	s_and_saveexec_b64 s[28:29], s[34:35]
	s_cbranch_execnz .LBB126_281
.LBB126_262:
	s_or_b64 exec, exec, s[28:29]
	s_and_b64 s[34:35], s[12:13], s[18:19]
	s_and_saveexec_b64 s[28:29], s[34:35]
	s_cbranch_execnz .LBB126_285
.LBB126_263:
	s_or_b64 exec, exec, s[28:29]
	s_and_b64 s[34:35], s[14:15], s[18:19]
	s_and_saveexec_b64 s[28:29], s[34:35]
	s_cbranch_execnz .LBB126_289
.LBB126_264:
	s_or_b64 exec, exec, s[28:29]
	s_and_b64 s[28:29], s[16:17], s[18:19]
	s_and_saveexec_b64 s[18:19], s[28:29]
	s_cbranch_execnz .LBB126_293
	s_branch .LBB126_297
.LBB126_265:
	s_and_b64 vcc, exec, s[0:1]
	s_cbranch_vccnz .LBB126_267
; %bb.266:
	v_lshl_add_u64 v[20:21], v[0:1], 3, v[18:19]
	flat_load_dwordx2 v[20:21], v[20:21]
	s_waitcnt vmcnt(0) lgkmcnt(0)
	v_mul_f64 v[20:21], s[24:25], v[20:21]
	s_branch .LBB126_268
.LBB126_267:
	v_mov_b64_e32 v[20:21], 0
.LBB126_268:
	v_cvt_f32_f64_e32 v20, v[20:21]
	v_max_f32_e32 v21, v101, v101
	v_min_f32_e32 v20, v20, v21
	v_cvt_f64_f32_e32 v[20:21], v20
	v_lshl_add_u64 v[24:25], v[0:1], 3, v[16:17]
	global_store_dwordx2 v[24:25], v[20:21], off
	s_or_b64 exec, exec, s[28:29]
	s_and_b64 s[34:35], s[4:5], s[18:19]
	s_and_saveexec_b64 s[28:29], s[34:35]
	s_cbranch_execz .LBB126_259
.LBB126_269:
	s_and_b64 vcc, exec, s[0:1]
	s_cbranch_vccnz .LBB126_271
; %bb.270:
	v_lshl_add_u64 v[20:21], v[2:3], 3, v[18:19]
	flat_load_dwordx2 v[20:21], v[20:21]
	s_waitcnt vmcnt(0) lgkmcnt(0)
	v_mul_f64 v[20:21], s[24:25], v[20:21]
	s_branch .LBB126_272
.LBB126_271:
	v_mov_b64_e32 v[20:21], 0
.LBB126_272:
	v_cvt_f32_f64_e32 v20, v[20:21]
	v_max_f32_e32 v21, v100, v100
	v_min_f32_e32 v20, v20, v21
	v_cvt_f64_f32_e32 v[20:21], v20
	v_lshl_add_u64 v[24:25], v[2:3], 3, v[16:17]
	global_store_dwordx2 v[24:25], v[20:21], off
	s_or_b64 exec, exec, s[28:29]
	s_and_b64 s[34:35], s[6:7], s[18:19]
	s_and_saveexec_b64 s[28:29], s[34:35]
	s_cbranch_execz .LBB126_260
.LBB126_273:
	s_and_b64 vcc, exec, s[0:1]
	s_cbranch_vccnz .LBB126_275
; %bb.274:
	v_lshl_add_u64 v[20:21], v[4:5], 3, v[18:19]
	flat_load_dwordx2 v[20:21], v[20:21]
	s_waitcnt vmcnt(0) lgkmcnt(0)
	v_mul_f64 v[20:21], s[24:25], v[20:21]
	s_branch .LBB126_276
.LBB126_275:
	v_mov_b64_e32 v[20:21], 0
.LBB126_276:
	v_cvt_f32_f64_e32 v20, v[20:21]
	v_max_f32_e32 v21, v99, v99
	v_min_f32_e32 v20, v20, v21
	v_cvt_f64_f32_e32 v[20:21], v20
	v_lshl_add_u64 v[24:25], v[4:5], 3, v[16:17]
	global_store_dwordx2 v[24:25], v[20:21], off
	s_or_b64 exec, exec, s[28:29]
	s_and_b64 s[34:35], s[8:9], s[18:19]
	s_and_saveexec_b64 s[28:29], s[34:35]
	s_cbranch_execz .LBB126_261
.LBB126_277:
	s_and_b64 vcc, exec, s[0:1]
	s_cbranch_vccnz .LBB126_279
; %bb.278:
	v_lshl_add_u64 v[20:21], v[6:7], 3, v[18:19]
	flat_load_dwordx2 v[20:21], v[20:21]
	s_waitcnt vmcnt(0) lgkmcnt(0)
	v_mul_f64 v[20:21], s[24:25], v[20:21]
	s_branch .LBB126_280
.LBB126_279:
	v_mov_b64_e32 v[20:21], 0
.LBB126_280:
	v_cvt_f32_f64_e32 v20, v[20:21]
	v_max_f32_e32 v21, v98, v98
	v_min_f32_e32 v20, v20, v21
	v_cvt_f64_f32_e32 v[20:21], v20
	v_lshl_add_u64 v[24:25], v[6:7], 3, v[16:17]
	global_store_dwordx2 v[24:25], v[20:21], off
	s_or_b64 exec, exec, s[28:29]
	s_and_b64 s[34:35], s[10:11], s[18:19]
	s_and_saveexec_b64 s[28:29], s[34:35]
	s_cbranch_execz .LBB126_262
.LBB126_281:
	s_and_b64 vcc, exec, s[0:1]
	s_cbranch_vccnz .LBB126_283
; %bb.282:
	v_lshl_add_u64 v[20:21], v[8:9], 3, v[18:19]
	flat_load_dwordx2 v[20:21], v[20:21]
	s_waitcnt vmcnt(0) lgkmcnt(0)
	v_mul_f64 v[20:21], s[24:25], v[20:21]
	s_branch .LBB126_284
.LBB126_283:
	v_mov_b64_e32 v[20:21], 0
.LBB126_284:
	v_cvt_f32_f64_e32 v20, v[20:21]
	v_max_f32_e32 v21, v97, v97
	v_min_f32_e32 v20, v20, v21
	v_cvt_f64_f32_e32 v[20:21], v20
	v_lshl_add_u64 v[24:25], v[8:9], 3, v[16:17]
	global_store_dwordx2 v[24:25], v[20:21], off
	s_or_b64 exec, exec, s[28:29]
	s_and_b64 s[34:35], s[12:13], s[18:19]
	s_and_saveexec_b64 s[28:29], s[34:35]
	s_cbranch_execz .LBB126_263
.LBB126_285:
	s_and_b64 vcc, exec, s[0:1]
	s_cbranch_vccnz .LBB126_287
; %bb.286:
	v_lshl_add_u64 v[20:21], v[10:11], 3, v[18:19]
	flat_load_dwordx2 v[20:21], v[20:21]
	s_waitcnt vmcnt(0) lgkmcnt(0)
	v_mul_f64 v[20:21], s[24:25], v[20:21]
	s_branch .LBB126_288
.LBB126_287:
	v_mov_b64_e32 v[20:21], 0
.LBB126_288:
	v_cvt_f32_f64_e32 v20, v[20:21]
	v_max_f32_e32 v21, v96, v96
	v_min_f32_e32 v20, v20, v21
	v_cvt_f64_f32_e32 v[20:21], v20
	v_lshl_add_u64 v[24:25], v[10:11], 3, v[16:17]
	global_store_dwordx2 v[24:25], v[20:21], off
	s_or_b64 exec, exec, s[28:29]
	s_and_b64 s[34:35], s[14:15], s[18:19]
	s_and_saveexec_b64 s[28:29], s[34:35]
	s_cbranch_execz .LBB126_264
.LBB126_289:
	s_and_b64 vcc, exec, s[0:1]
	s_cbranch_vccnz .LBB126_291
; %bb.290:
	v_lshl_add_u64 v[20:21], v[12:13], 3, v[18:19]
	flat_load_dwordx2 v[20:21], v[20:21]
	s_waitcnt vmcnt(0) lgkmcnt(0)
	v_mul_f64 v[20:21], s[24:25], v[20:21]
	s_branch .LBB126_292
.LBB126_291:
	v_mov_b64_e32 v[20:21], 0
.LBB126_292:
	v_cvt_f32_f64_e32 v20, v[20:21]
	v_max_f32_e32 v21, v95, v95
	v_min_f32_e32 v20, v20, v21
	v_cvt_f64_f32_e32 v[20:21], v20
	v_lshl_add_u64 v[24:25], v[12:13], 3, v[16:17]
	global_store_dwordx2 v[24:25], v[20:21], off
	s_or_b64 exec, exec, s[28:29]
	s_and_b64 s[28:29], s[16:17], s[18:19]
	s_and_saveexec_b64 s[18:19], s[28:29]
	s_cbranch_execz .LBB126_297
.LBB126_293:
	s_and_b64 vcc, exec, s[0:1]
	s_cbranch_vccnz .LBB126_295
; %bb.294:
	v_lshl_add_u64 v[18:19], v[14:15], 3, v[18:19]
	flat_load_dwordx2 v[18:19], v[18:19]
	s_waitcnt vmcnt(0) lgkmcnt(0)
	v_mul_f64 v[18:19], s[24:25], v[18:19]
	s_branch .LBB126_296
.LBB126_295:
	v_mov_b64_e32 v[18:19], 0
.LBB126_296:
	v_cvt_f32_f64_e32 v18, v[18:19]
	v_max_f32_e32 v19, v94, v94
	v_min_f32_e32 v18, v18, v19
	v_cvt_f64_f32_e32 v[18:19], v18
	v_lshl_add_u64 v[16:17], v[14:15], 3, v[16:17]
	global_store_dwordx2 v[16:17], v[18:19], off
.LBB126_297:
	s_or_b64 exec, exec, s[18:19]
	v_add_u32_e32 v20, 0xc0, v22
	v_mad_i64_i32 v[16:17], s[28:29], v20, s31, 0
	v_cmp_gt_i32_e64 s[18:19], s21, v20
	v_lshl_add_u64 v[18:19], v[16:17], 3, s[26:27]
	v_mad_i64_i32 v[16:17], s[28:29], v20, s30, 0
	v_lshl_add_u64 v[16:17], v[16:17], 3, s[22:23]
	s_and_b64 s[34:35], s[2:3], s[18:19]
	s_and_saveexec_b64 s[28:29], s[34:35]
	s_cbranch_execnz .LBB126_305
; %bb.298:
	s_or_b64 exec, exec, s[28:29]
	s_and_b64 s[34:35], s[4:5], s[18:19]
	s_and_saveexec_b64 s[28:29], s[34:35]
	s_cbranch_execnz .LBB126_309
.LBB126_299:
	s_or_b64 exec, exec, s[28:29]
	s_and_b64 s[34:35], s[6:7], s[18:19]
	s_and_saveexec_b64 s[28:29], s[34:35]
	s_cbranch_execnz .LBB126_313
.LBB126_300:
	s_or_b64 exec, exec, s[28:29]
	s_and_b64 s[34:35], s[8:9], s[18:19]
	s_and_saveexec_b64 s[28:29], s[34:35]
	s_cbranch_execnz .LBB126_317
.LBB126_301:
	s_or_b64 exec, exec, s[28:29]
	s_and_b64 s[34:35], s[10:11], s[18:19]
	s_and_saveexec_b64 s[28:29], s[34:35]
	s_cbranch_execnz .LBB126_321
.LBB126_302:
	s_or_b64 exec, exec, s[28:29]
	s_and_b64 s[34:35], s[12:13], s[18:19]
	s_and_saveexec_b64 s[28:29], s[34:35]
	s_cbranch_execnz .LBB126_325
.LBB126_303:
	s_or_b64 exec, exec, s[28:29]
	s_and_b64 s[34:35], s[14:15], s[18:19]
	s_and_saveexec_b64 s[28:29], s[34:35]
	s_cbranch_execnz .LBB126_329
.LBB126_304:
	s_or_b64 exec, exec, s[28:29]
	s_and_b64 s[28:29], s[16:17], s[18:19]
	s_and_saveexec_b64 s[18:19], s[28:29]
	s_cbranch_execnz .LBB126_333
	s_branch .LBB126_337
.LBB126_305:
	s_and_b64 vcc, exec, s[0:1]
	s_cbranch_vccnz .LBB126_307
; %bb.306:
	v_lshl_add_u64 v[20:21], v[0:1], 3, v[18:19]
	flat_load_dwordx2 v[20:21], v[20:21]
	s_waitcnt vmcnt(0) lgkmcnt(0)
	v_mul_f64 v[20:21], s[24:25], v[20:21]
	s_branch .LBB126_308
.LBB126_307:
	v_mov_b64_e32 v[20:21], 0
.LBB126_308:
	v_cvt_f32_f64_e32 v20, v[20:21]
	v_max_f32_e32 v21, v93, v93
	v_min_f32_e32 v20, v20, v21
	v_cvt_f64_f32_e32 v[20:21], v20
	v_lshl_add_u64 v[24:25], v[0:1], 3, v[16:17]
	global_store_dwordx2 v[24:25], v[20:21], off
	s_or_b64 exec, exec, s[28:29]
	s_and_b64 s[34:35], s[4:5], s[18:19]
	s_and_saveexec_b64 s[28:29], s[34:35]
	s_cbranch_execz .LBB126_299
.LBB126_309:
	s_and_b64 vcc, exec, s[0:1]
	s_cbranch_vccnz .LBB126_311
; %bb.310:
	v_lshl_add_u64 v[20:21], v[2:3], 3, v[18:19]
	flat_load_dwordx2 v[20:21], v[20:21]
	s_waitcnt vmcnt(0) lgkmcnt(0)
	v_mul_f64 v[20:21], s[24:25], v[20:21]
	s_branch .LBB126_312
.LBB126_311:
	v_mov_b64_e32 v[20:21], 0
.LBB126_312:
	v_cvt_f32_f64_e32 v20, v[20:21]
	v_max_f32_e32 v21, v92, v92
	v_min_f32_e32 v20, v20, v21
	v_cvt_f64_f32_e32 v[20:21], v20
	v_lshl_add_u64 v[24:25], v[2:3], 3, v[16:17]
	global_store_dwordx2 v[24:25], v[20:21], off
	s_or_b64 exec, exec, s[28:29]
	s_and_b64 s[34:35], s[6:7], s[18:19]
	s_and_saveexec_b64 s[28:29], s[34:35]
	s_cbranch_execz .LBB126_300
.LBB126_313:
	s_and_b64 vcc, exec, s[0:1]
	s_cbranch_vccnz .LBB126_315
; %bb.314:
	v_lshl_add_u64 v[20:21], v[4:5], 3, v[18:19]
	flat_load_dwordx2 v[20:21], v[20:21]
	s_waitcnt vmcnt(0) lgkmcnt(0)
	v_mul_f64 v[20:21], s[24:25], v[20:21]
	s_branch .LBB126_316
.LBB126_315:
	v_mov_b64_e32 v[20:21], 0
.LBB126_316:
	v_cvt_f32_f64_e32 v20, v[20:21]
	v_max_f32_e32 v21, v91, v91
	v_min_f32_e32 v20, v20, v21
	v_cvt_f64_f32_e32 v[20:21], v20
	v_lshl_add_u64 v[24:25], v[4:5], 3, v[16:17]
	global_store_dwordx2 v[24:25], v[20:21], off
	s_or_b64 exec, exec, s[28:29]
	s_and_b64 s[34:35], s[8:9], s[18:19]
	s_and_saveexec_b64 s[28:29], s[34:35]
	s_cbranch_execz .LBB126_301
.LBB126_317:
	s_and_b64 vcc, exec, s[0:1]
	s_cbranch_vccnz .LBB126_319
; %bb.318:
	v_lshl_add_u64 v[20:21], v[6:7], 3, v[18:19]
	flat_load_dwordx2 v[20:21], v[20:21]
	s_waitcnt vmcnt(0) lgkmcnt(0)
	v_mul_f64 v[20:21], s[24:25], v[20:21]
	s_branch .LBB126_320
.LBB126_319:
	v_mov_b64_e32 v[20:21], 0
.LBB126_320:
	v_cvt_f32_f64_e32 v20, v[20:21]
	v_max_f32_e32 v21, v90, v90
	v_min_f32_e32 v20, v20, v21
	v_cvt_f64_f32_e32 v[20:21], v20
	v_lshl_add_u64 v[24:25], v[6:7], 3, v[16:17]
	global_store_dwordx2 v[24:25], v[20:21], off
	s_or_b64 exec, exec, s[28:29]
	s_and_b64 s[34:35], s[10:11], s[18:19]
	s_and_saveexec_b64 s[28:29], s[34:35]
	s_cbranch_execz .LBB126_302
.LBB126_321:
	s_and_b64 vcc, exec, s[0:1]
	s_cbranch_vccnz .LBB126_323
; %bb.322:
	v_lshl_add_u64 v[20:21], v[8:9], 3, v[18:19]
	flat_load_dwordx2 v[20:21], v[20:21]
	s_waitcnt vmcnt(0) lgkmcnt(0)
	v_mul_f64 v[20:21], s[24:25], v[20:21]
	s_branch .LBB126_324
.LBB126_323:
	v_mov_b64_e32 v[20:21], 0
.LBB126_324:
	v_cvt_f32_f64_e32 v20, v[20:21]
	v_max_f32_e32 v21, v89, v89
	v_min_f32_e32 v20, v20, v21
	v_cvt_f64_f32_e32 v[20:21], v20
	v_lshl_add_u64 v[24:25], v[8:9], 3, v[16:17]
	global_store_dwordx2 v[24:25], v[20:21], off
	s_or_b64 exec, exec, s[28:29]
	s_and_b64 s[34:35], s[12:13], s[18:19]
	s_and_saveexec_b64 s[28:29], s[34:35]
	s_cbranch_execz .LBB126_303
.LBB126_325:
	s_and_b64 vcc, exec, s[0:1]
	s_cbranch_vccnz .LBB126_327
; %bb.326:
	v_lshl_add_u64 v[20:21], v[10:11], 3, v[18:19]
	flat_load_dwordx2 v[20:21], v[20:21]
	s_waitcnt vmcnt(0) lgkmcnt(0)
	v_mul_f64 v[20:21], s[24:25], v[20:21]
	s_branch .LBB126_328
.LBB126_327:
	v_mov_b64_e32 v[20:21], 0
.LBB126_328:
	v_cvt_f32_f64_e32 v20, v[20:21]
	v_max_f32_e32 v21, v88, v88
	v_min_f32_e32 v20, v20, v21
	v_cvt_f64_f32_e32 v[20:21], v20
	v_lshl_add_u64 v[24:25], v[10:11], 3, v[16:17]
	global_store_dwordx2 v[24:25], v[20:21], off
	s_or_b64 exec, exec, s[28:29]
	s_and_b64 s[34:35], s[14:15], s[18:19]
	s_and_saveexec_b64 s[28:29], s[34:35]
	s_cbranch_execz .LBB126_304
.LBB126_329:
	s_and_b64 vcc, exec, s[0:1]
	s_cbranch_vccnz .LBB126_331
; %bb.330:
	v_lshl_add_u64 v[20:21], v[12:13], 3, v[18:19]
	flat_load_dwordx2 v[20:21], v[20:21]
	s_waitcnt vmcnt(0) lgkmcnt(0)
	v_mul_f64 v[20:21], s[24:25], v[20:21]
	s_branch .LBB126_332
.LBB126_331:
	v_mov_b64_e32 v[20:21], 0
.LBB126_332:
	v_cvt_f32_f64_e32 v20, v[20:21]
	v_max_f32_e32 v21, v87, v87
	v_min_f32_e32 v20, v20, v21
	v_cvt_f64_f32_e32 v[20:21], v20
	v_lshl_add_u64 v[24:25], v[12:13], 3, v[16:17]
	global_store_dwordx2 v[24:25], v[20:21], off
	s_or_b64 exec, exec, s[28:29]
	s_and_b64 s[28:29], s[16:17], s[18:19]
	s_and_saveexec_b64 s[18:19], s[28:29]
	s_cbranch_execz .LBB126_337
.LBB126_333:
	s_and_b64 vcc, exec, s[0:1]
	s_cbranch_vccnz .LBB126_335
; %bb.334:
	v_lshl_add_u64 v[18:19], v[14:15], 3, v[18:19]
	flat_load_dwordx2 v[18:19], v[18:19]
	s_waitcnt vmcnt(0) lgkmcnt(0)
	v_mul_f64 v[18:19], s[24:25], v[18:19]
	s_branch .LBB126_336
.LBB126_335:
	v_mov_b64_e32 v[18:19], 0
.LBB126_336:
	v_cvt_f32_f64_e32 v18, v[18:19]
	v_max_f32_e32 v19, v86, v86
	v_min_f32_e32 v18, v18, v19
	v_cvt_f64_f32_e32 v[18:19], v18
	v_lshl_add_u64 v[16:17], v[14:15], 3, v[16:17]
	global_store_dwordx2 v[16:17], v[18:19], off
.LBB126_337:
	s_or_b64 exec, exec, s[18:19]
	v_add_u32_e32 v20, 0xe0, v22
	v_cmp_gt_i32_e64 s[18:19], s21, v20
	v_mad_i64_i32 v[16:17], s[20:21], v20, s31, 0
	v_lshl_add_u64 v[18:19], v[16:17], 3, s[26:27]
	v_mad_i64_i32 v[16:17], s[20:21], v20, s30, 0
	v_lshl_add_u64 v[16:17], v[16:17], 3, s[22:23]
	s_and_b64 s[20:21], s[2:3], s[18:19]
	s_and_saveexec_b64 s[2:3], s[20:21]
	s_cbranch_execnz .LBB126_346
; %bb.338:
	s_or_b64 exec, exec, s[2:3]
	s_and_b64 s[4:5], s[4:5], s[18:19]
	s_and_saveexec_b64 s[2:3], s[4:5]
	s_cbranch_execnz .LBB126_350
.LBB126_339:
	s_or_b64 exec, exec, s[2:3]
	s_and_b64 s[4:5], s[6:7], s[18:19]
	s_and_saveexec_b64 s[2:3], s[4:5]
	s_cbranch_execnz .LBB126_354
.LBB126_340:
	s_or_b64 exec, exec, s[2:3]
	s_and_b64 s[4:5], s[8:9], s[18:19]
	s_and_saveexec_b64 s[2:3], s[4:5]
	s_cbranch_execnz .LBB126_358
.LBB126_341:
	s_or_b64 exec, exec, s[2:3]
	s_and_b64 s[4:5], s[10:11], s[18:19]
	s_and_saveexec_b64 s[2:3], s[4:5]
	s_cbranch_execnz .LBB126_362
.LBB126_342:
	s_or_b64 exec, exec, s[2:3]
	s_and_b64 s[4:5], s[12:13], s[18:19]
	s_and_saveexec_b64 s[2:3], s[4:5]
	s_cbranch_execnz .LBB126_366
.LBB126_343:
	s_or_b64 exec, exec, s[2:3]
	s_and_b64 s[4:5], s[14:15], s[18:19]
	s_and_saveexec_b64 s[2:3], s[4:5]
	s_cbranch_execnz .LBB126_370
.LBB126_344:
	s_or_b64 exec, exec, s[2:3]
	s_and_b64 s[2:3], s[16:17], s[18:19]
	s_and_saveexec_b64 s[4:5], s[2:3]
	s_cbranch_execnz .LBB126_374
.LBB126_345:
	s_endpgm
.LBB126_346:
	s_and_b64 vcc, exec, s[0:1]
	s_cbranch_vccnz .LBB126_348
; %bb.347:
	v_lshl_add_u64 v[20:21], v[0:1], 3, v[18:19]
	flat_load_dwordx2 v[20:21], v[20:21]
	s_waitcnt vmcnt(0) lgkmcnt(0)
	v_mul_f64 v[20:21], s[24:25], v[20:21]
	v_cvt_f32_f64_e32 v20, v[20:21]
	s_branch .LBB126_349
.LBB126_348:
	v_mov_b32_e32 v20, 0
.LBB126_349:
	v_max_f32_e32 v21, v85, v85
	v_max_f32_e32 v20, v20, v20
	v_min_f32_e32 v20, v20, v21
	v_cvt_f64_f32_e32 v[20:21], v20
	v_lshl_add_u64 v[0:1], v[0:1], 3, v[16:17]
	global_store_dwordx2 v[0:1], v[20:21], off
	s_or_b64 exec, exec, s[2:3]
	s_and_b64 s[4:5], s[4:5], s[18:19]
	s_and_saveexec_b64 s[2:3], s[4:5]
	s_cbranch_execz .LBB126_339
.LBB126_350:
	s_and_b64 vcc, exec, s[0:1]
	s_cbranch_vccnz .LBB126_352
; %bb.351:
	v_lshl_add_u64 v[0:1], v[2:3], 3, v[18:19]
	flat_load_dwordx2 v[0:1], v[0:1]
	s_waitcnt vmcnt(0) lgkmcnt(0)
	v_mul_f64 v[0:1], s[24:25], v[0:1]
	v_cvt_f32_f64_e32 v0, v[0:1]
	s_branch .LBB126_353
.LBB126_352:
	v_mov_b32_e32 v0, 0
.LBB126_353:
	v_max_f32_e32 v1, v84, v84
	v_max_f32_e32 v0, v0, v0
	v_min_f32_e32 v0, v0, v1
	v_cvt_f64_f32_e32 v[0:1], v0
	v_lshl_add_u64 v[2:3], v[2:3], 3, v[16:17]
	global_store_dwordx2 v[2:3], v[0:1], off
	s_or_b64 exec, exec, s[2:3]
	s_and_b64 s[4:5], s[6:7], s[18:19]
	s_and_saveexec_b64 s[2:3], s[4:5]
	s_cbranch_execz .LBB126_340
.LBB126_354:
	s_and_b64 vcc, exec, s[0:1]
	s_cbranch_vccnz .LBB126_356
; %bb.355:
	v_lshl_add_u64 v[0:1], v[4:5], 3, v[18:19]
	flat_load_dwordx2 v[0:1], v[0:1]
	s_waitcnt vmcnt(0) lgkmcnt(0)
	v_mul_f64 v[0:1], s[24:25], v[0:1]
	v_cvt_f32_f64_e32 v0, v[0:1]
	s_branch .LBB126_357
.LBB126_356:
	v_mov_b32_e32 v0, 0
.LBB126_357:
	v_max_f32_e32 v1, v83, v83
	v_max_f32_e32 v0, v0, v0
	v_min_f32_e32 v0, v0, v1
	v_cvt_f64_f32_e32 v[0:1], v0
	v_lshl_add_u64 v[2:3], v[4:5], 3, v[16:17]
	global_store_dwordx2 v[2:3], v[0:1], off
	s_or_b64 exec, exec, s[2:3]
	s_and_b64 s[4:5], s[8:9], s[18:19]
	s_and_saveexec_b64 s[2:3], s[4:5]
	s_cbranch_execz .LBB126_341
.LBB126_358:
	s_and_b64 vcc, exec, s[0:1]
	s_cbranch_vccnz .LBB126_360
; %bb.359:
	v_lshl_add_u64 v[0:1], v[6:7], 3, v[18:19]
	flat_load_dwordx2 v[0:1], v[0:1]
	s_waitcnt vmcnt(0) lgkmcnt(0)
	v_mul_f64 v[0:1], s[24:25], v[0:1]
	v_cvt_f32_f64_e32 v0, v[0:1]
	s_branch .LBB126_361
.LBB126_360:
	v_mov_b32_e32 v0, 0
.LBB126_361:
	v_max_f32_e32 v1, v82, v82
	v_max_f32_e32 v0, v0, v0
	v_min_f32_e32 v0, v0, v1
	v_cvt_f64_f32_e32 v[0:1], v0
	v_lshl_add_u64 v[2:3], v[6:7], 3, v[16:17]
	global_store_dwordx2 v[2:3], v[0:1], off
	s_or_b64 exec, exec, s[2:3]
	s_and_b64 s[4:5], s[10:11], s[18:19]
	s_and_saveexec_b64 s[2:3], s[4:5]
	s_cbranch_execz .LBB126_342
.LBB126_362:
	s_and_b64 vcc, exec, s[0:1]
	s_cbranch_vccnz .LBB126_364
; %bb.363:
	v_lshl_add_u64 v[0:1], v[8:9], 3, v[18:19]
	flat_load_dwordx2 v[0:1], v[0:1]
	s_waitcnt vmcnt(0) lgkmcnt(0)
	v_mul_f64 v[0:1], s[24:25], v[0:1]
	v_cvt_f32_f64_e32 v0, v[0:1]
	s_branch .LBB126_365
.LBB126_364:
	v_mov_b32_e32 v0, 0
.LBB126_365:
	v_max_f32_e32 v1, v81, v81
	v_max_f32_e32 v0, v0, v0
	v_min_f32_e32 v0, v0, v1
	v_cvt_f64_f32_e32 v[0:1], v0
	v_lshl_add_u64 v[2:3], v[8:9], 3, v[16:17]
	global_store_dwordx2 v[2:3], v[0:1], off
	s_or_b64 exec, exec, s[2:3]
	s_and_b64 s[4:5], s[12:13], s[18:19]
	s_and_saveexec_b64 s[2:3], s[4:5]
	s_cbranch_execz .LBB126_343
.LBB126_366:
	s_and_b64 vcc, exec, s[0:1]
	s_cbranch_vccnz .LBB126_368
; %bb.367:
	v_lshl_add_u64 v[0:1], v[10:11], 3, v[18:19]
	flat_load_dwordx2 v[0:1], v[0:1]
	s_waitcnt vmcnt(0) lgkmcnt(0)
	v_mul_f64 v[0:1], s[24:25], v[0:1]
	v_cvt_f32_f64_e32 v0, v[0:1]
	s_branch .LBB126_369
.LBB126_368:
	v_mov_b32_e32 v0, 0
.LBB126_369:
	v_max_f32_e32 v1, v80, v80
	v_max_f32_e32 v0, v0, v0
	v_min_f32_e32 v0, v0, v1
	v_cvt_f64_f32_e32 v[0:1], v0
	v_lshl_add_u64 v[2:3], v[10:11], 3, v[16:17]
	global_store_dwordx2 v[2:3], v[0:1], off
	s_or_b64 exec, exec, s[2:3]
	s_and_b64 s[4:5], s[14:15], s[18:19]
	s_and_saveexec_b64 s[2:3], s[4:5]
	s_cbranch_execz .LBB126_344
.LBB126_370:
	s_and_b64 vcc, exec, s[0:1]
	s_cbranch_vccnz .LBB126_372
; %bb.371:
	v_lshl_add_u64 v[0:1], v[12:13], 3, v[18:19]
	flat_load_dwordx2 v[0:1], v[0:1]
	s_waitcnt vmcnt(0) lgkmcnt(0)
	v_mul_f64 v[0:1], s[24:25], v[0:1]
	v_cvt_f32_f64_e32 v0, v[0:1]
	s_branch .LBB126_373
.LBB126_372:
	v_mov_b32_e32 v0, 0
.LBB126_373:
	v_max_f32_e32 v1, v79, v79
	v_max_f32_e32 v0, v0, v0
	v_min_f32_e32 v0, v0, v1
	v_cvt_f64_f32_e32 v[0:1], v0
	v_lshl_add_u64 v[2:3], v[12:13], 3, v[16:17]
	global_store_dwordx2 v[2:3], v[0:1], off
	s_or_b64 exec, exec, s[2:3]
	s_and_b64 s[2:3], s[16:17], s[18:19]
	s_and_saveexec_b64 s[4:5], s[2:3]
	s_cbranch_execz .LBB126_345
.LBB126_374:
	s_and_b64 vcc, exec, s[0:1]
	s_cbranch_vccnz .LBB126_376
; %bb.375:
	v_lshl_add_u64 v[0:1], v[14:15], 3, v[18:19]
	flat_load_dwordx2 v[0:1], v[0:1]
	s_waitcnt vmcnt(0) lgkmcnt(0)
	v_mul_f64 v[0:1], s[24:25], v[0:1]
	v_cvt_f32_f64_e32 v0, v[0:1]
	s_branch .LBB126_377
.LBB126_376:
	v_mov_b32_e32 v0, 0
.LBB126_377:
	v_max_f32_e32 v1, v78, v78
	v_max_f32_e32 v0, v0, v0
	v_min_f32_e32 v0, v0, v1
	v_cvt_f64_f32_e32 v[0:1], v0
	v_lshl_add_u64 v[2:3], v[14:15], 3, v[16:17]
	global_store_dwordx2 v[2:3], v[0:1], off
	s_endpgm
	.section	.rodata,"a",@progbits
	.p2align	6, 0x0
	.amdhsa_kernel _ZN12_GLOBAL__N_120geam_min_plus_kernelId15HIP_vector_typeIdLj2EEdLi8ELi32ELi64ELi256ELi4ELi4ELi64ELi64ELi4ELc84ELc84ELb0ELb1ELb1EPKdKS4_KPdEEviiiT16_PT17_ilSA_ilS8_SA_ilPT18_ili26rocblas_geam_ex_operation_
		.amdhsa_group_segment_fixed_size 20480
		.amdhsa_private_segment_fixed_size 0
		.amdhsa_kernarg_size 136
		.amdhsa_user_sgpr_count 2
		.amdhsa_user_sgpr_dispatch_ptr 0
		.amdhsa_user_sgpr_queue_ptr 0
		.amdhsa_user_sgpr_kernarg_segment_ptr 1
		.amdhsa_user_sgpr_dispatch_id 0
		.amdhsa_user_sgpr_kernarg_preload_length 0
		.amdhsa_user_sgpr_kernarg_preload_offset 0
		.amdhsa_user_sgpr_private_segment_size 0
		.amdhsa_uses_dynamic_stack 0
		.amdhsa_enable_private_segment 0
		.amdhsa_system_sgpr_workgroup_id_x 1
		.amdhsa_system_sgpr_workgroup_id_y 0
		.amdhsa_system_sgpr_workgroup_id_z 1
		.amdhsa_system_sgpr_workgroup_info 0
		.amdhsa_system_vgpr_workitem_id 1
		.amdhsa_next_free_vgpr 160
		.amdhsa_next_free_sgpr 44
		.amdhsa_accum_offset 160
		.amdhsa_reserve_vcc 1
		.amdhsa_float_round_mode_32 0
		.amdhsa_float_round_mode_16_64 0
		.amdhsa_float_denorm_mode_32 3
		.amdhsa_float_denorm_mode_16_64 3
		.amdhsa_dx10_clamp 1
		.amdhsa_ieee_mode 1
		.amdhsa_fp16_overflow 0
		.amdhsa_tg_split 0
		.amdhsa_exception_fp_ieee_invalid_op 0
		.amdhsa_exception_fp_denorm_src 0
		.amdhsa_exception_fp_ieee_div_zero 0
		.amdhsa_exception_fp_ieee_overflow 0
		.amdhsa_exception_fp_ieee_underflow 0
		.amdhsa_exception_fp_ieee_inexact 0
		.amdhsa_exception_int_div_zero 0
	.end_amdhsa_kernel
	.section	.text._ZN12_GLOBAL__N_120geam_min_plus_kernelId15HIP_vector_typeIdLj2EEdLi8ELi32ELi64ELi256ELi4ELi4ELi64ELi64ELi4ELc84ELc84ELb0ELb1ELb1EPKdKS4_KPdEEviiiT16_PT17_ilSA_ilS8_SA_ilPT18_ili26rocblas_geam_ex_operation_,"axG",@progbits,_ZN12_GLOBAL__N_120geam_min_plus_kernelId15HIP_vector_typeIdLj2EEdLi8ELi32ELi64ELi256ELi4ELi4ELi64ELi64ELi4ELc84ELc84ELb0ELb1ELb1EPKdKS4_KPdEEviiiT16_PT17_ilSA_ilS8_SA_ilPT18_ili26rocblas_geam_ex_operation_,comdat
.Lfunc_end126:
	.size	_ZN12_GLOBAL__N_120geam_min_plus_kernelId15HIP_vector_typeIdLj2EEdLi8ELi32ELi64ELi256ELi4ELi4ELi64ELi64ELi4ELc84ELc84ELb0ELb1ELb1EPKdKS4_KPdEEviiiT16_PT17_ilSA_ilS8_SA_ilPT18_ili26rocblas_geam_ex_operation_, .Lfunc_end126-_ZN12_GLOBAL__N_120geam_min_plus_kernelId15HIP_vector_typeIdLj2EEdLi8ELi32ELi64ELi256ELi4ELi4ELi64ELi64ELi4ELc84ELc84ELb0ELb1ELb1EPKdKS4_KPdEEviiiT16_PT17_ilSA_ilS8_SA_ilPT18_ili26rocblas_geam_ex_operation_
                                        ; -- End function
	.section	.AMDGPU.csdata,"",@progbits
; Kernel info:
; codeLenInByte = 19152
; NumSgprs: 50
; NumVgprs: 160
; NumAgprs: 0
; TotalNumVgprs: 160
; ScratchSize: 0
; MemoryBound: 0
; FloatMode: 240
; IeeeMode: 1
; LDSByteSize: 20480 bytes/workgroup (compile time only)
; SGPRBlocks: 6
; VGPRBlocks: 19
; NumSGPRsForWavesPerEU: 50
; NumVGPRsForWavesPerEU: 160
; AccumOffset: 160
; Occupancy: 3
; WaveLimiterHint : 1
; COMPUTE_PGM_RSRC2:SCRATCH_EN: 0
; COMPUTE_PGM_RSRC2:USER_SGPR: 2
; COMPUTE_PGM_RSRC2:TRAP_HANDLER: 0
; COMPUTE_PGM_RSRC2:TGID_X_EN: 1
; COMPUTE_PGM_RSRC2:TGID_Y_EN: 0
; COMPUTE_PGM_RSRC2:TGID_Z_EN: 1
; COMPUTE_PGM_RSRC2:TIDIG_COMP_CNT: 1
; COMPUTE_PGM_RSRC3_GFX90A:ACCUM_OFFSET: 39
; COMPUTE_PGM_RSRC3_GFX90A:TG_SPLIT: 0
	.section	.text._ZN12_GLOBAL__N_120geam_min_plus_kernelId15HIP_vector_typeIdLj2EEdLi8ELi32ELi64ELi256ELi4ELi4ELi64ELi64ELi4ELc84ELc84ELb1ELb1ELb1EdKPKdKPdEEviiiT16_PT17_ilSA_ilS8_SA_ilPT18_ili26rocblas_geam_ex_operation_,"axG",@progbits,_ZN12_GLOBAL__N_120geam_min_plus_kernelId15HIP_vector_typeIdLj2EEdLi8ELi32ELi64ELi256ELi4ELi4ELi64ELi64ELi4ELc84ELc84ELb1ELb1ELb1EdKPKdKPdEEviiiT16_PT17_ilSA_ilS8_SA_ilPT18_ili26rocblas_geam_ex_operation_,comdat
	.globl	_ZN12_GLOBAL__N_120geam_min_plus_kernelId15HIP_vector_typeIdLj2EEdLi8ELi32ELi64ELi256ELi4ELi4ELi64ELi64ELi4ELc84ELc84ELb1ELb1ELb1EdKPKdKPdEEviiiT16_PT17_ilSA_ilS8_SA_ilPT18_ili26rocblas_geam_ex_operation_ ; -- Begin function _ZN12_GLOBAL__N_120geam_min_plus_kernelId15HIP_vector_typeIdLj2EEdLi8ELi32ELi64ELi256ELi4ELi4ELi64ELi64ELi4ELc84ELc84ELb1ELb1ELb1EdKPKdKPdEEviiiT16_PT17_ilSA_ilS8_SA_ilPT18_ili26rocblas_geam_ex_operation_
	.p2align	8
	.type	_ZN12_GLOBAL__N_120geam_min_plus_kernelId15HIP_vector_typeIdLj2EEdLi8ELi32ELi64ELi256ELi4ELi4ELi64ELi64ELi4ELc84ELc84ELb1ELb1ELb1EdKPKdKPdEEviiiT16_PT17_ilSA_ilS8_SA_ilPT18_ili26rocblas_geam_ex_operation_,@function
_ZN12_GLOBAL__N_120geam_min_plus_kernelId15HIP_vector_typeIdLj2EEdLi8ELi32ELi64ELi256ELi4ELi4ELi64ELi64ELi4ELc84ELc84ELb1ELb1ELb1EdKPKdKPdEEviiiT16_PT17_ilSA_ilS8_SA_ilPT18_ili26rocblas_geam_ex_operation_: ; @_ZN12_GLOBAL__N_120geam_min_plus_kernelId15HIP_vector_typeIdLj2EEdLi8ELi32ELi64ELi256ELi4ELi4ELi64ELi64ELi4ELc84ELc84ELb1ELb1ELb1EdKPKdKPdEEviiiT16_PT17_ilSA_ilS8_SA_ilPT18_ili26rocblas_geam_ex_operation_
; %bb.0:
	s_load_dwordx4 s[8:11], s[0:1], 0x10
	s_load_dwordx4 s[4:7], s[0:1], 0x28
	s_mov_b32 s12, s3
	s_mov_b64 s[18:19], 0
	s_waitcnt lgkmcnt(0)
	v_cmp_eq_f64_e64 s[14:15], s[8:9], 0
	s_and_b64 vcc, exec, s[14:15]
	s_cbranch_vccnz .LBB127_2
; %bb.1:
	s_mov_b32 s13, 0
	s_lshl_b64 s[8:9], s[12:13], 3
	s_add_u32 s8, s10, s8
	s_addc_u32 s9, s11, s9
	s_load_dwordx2 s[8:9], s[8:9], 0x0
	s_lshl_b64 s[4:5], s[4:5], 3
	s_waitcnt lgkmcnt(0)
	s_add_u32 s18, s8, s4
	s_addc_u32 s19, s9, s5
.LBB127_2:
	s_load_dwordx4 s[20:23], s[0:1], 0x40
	s_load_dwordx2 s[8:9], s[0:1], 0x50
	s_andn2_b64 vcc, exec, s[14:15]
	s_cbranch_vccnz .LBB127_4
; %bb.3:
	s_mov_b32 s13, 0
	s_mov_b64 s[14:15], 0
	s_cbranch_execz .LBB127_5
	s_branch .LBB127_6
.LBB127_4:
                                        ; implicit-def: $sgpr14_sgpr15
.LBB127_5:
	s_mov_b32 s13, 0
	s_lshl_b64 s[4:5], s[12:13], 3
	s_add_u32 s4, s6, s4
	s_addc_u32 s5, s7, s5
	s_load_dwordx2 s[4:5], s[4:5], 0x0
	s_waitcnt lgkmcnt(0)
	s_lshl_b64 s[6:7], s[20:21], 3
	s_add_u32 s14, s4, s6
	s_addc_u32 s15, s5, s7
.LBB127_6:
	s_load_dwordx4 s[4:7], s[0:1], 0x60
	s_waitcnt lgkmcnt(0)
	v_cmp_eq_f64_e64 s[16:17], s[22:23], 0
	s_mov_b64 s[20:21], 0
	v_cmp_neq_f64_e64 s[10:11], s[22:23], 0
	s_and_b64 vcc, exec, s[16:17]
	s_cbranch_vccnz .LBB127_8
; %bb.7:
	s_lshl_b64 s[16:17], s[12:13], 3
	s_add_u32 s8, s8, s16
	s_addc_u32 s9, s9, s17
	s_load_dwordx2 s[8:9], s[8:9], 0x0
	s_lshl_b64 s[4:5], s[4:5], 3
	s_waitcnt lgkmcnt(0)
	s_add_u32 s20, s8, s4
	s_addc_u32 s21, s9, s5
.LBB127_8:
	s_load_dwordx4 s[24:27], s[0:1], 0x0
	s_load_dword s36, s[0:1], 0x20
	s_lshl_b64 s[4:5], s[12:13], 3
	s_add_u32 s6, s6, s4
	s_addc_u32 s7, s7, s5
	s_waitcnt lgkmcnt(0)
	s_add_i32 s3, s24, -1
	s_ashr_i32 s4, s3, 31
	s_lshr_b32 s4, s4, 26
	s_add_i32 s3, s3, s4
	s_ashr_i32 s3, s3, 6
	s_add_i32 s8, s3, 1
	v_cvt_f32_u32_e32 v1, s8
	v_and_b32_e32 v134, 0x3ff, v0
	v_bfe_u32 v135, v0, 10, 10
	s_load_dwordx2 s[12:13], s[6:7], 0x0
	v_rcp_iflag_f32_e32 v1, v1
	s_not_b32 s3, s3
	v_lshl_add_u32 v4, v135, 3, v134
	v_lshrrev_b32_e32 v14, 2, v4
	v_mul_f32_e32 v0, 0x4f7ffffe, v1
	v_cvt_u32_f32_e32 v0, v0
	s_mov_b32 s4, -1
	v_and_b32_e32 v144, 3, v134
	s_mov_b32 s5, 0x7fefffff
	v_readfirstlane_b32 s6, v0
	s_mul_i32 s3, s3, s6
	s_mul_hi_u32 s3, s6, s3
	s_add_i32 s6, s6, s3
	s_mul_hi_u32 s3, s2, s6
	s_mul_i32 s6, s3, s8
	s_sub_i32 s6, s2, s6
	s_add_i32 s7, s3, 1
	s_sub_i32 s9, s6, s8
	s_cmp_ge_u32 s6, s8
	s_cselect_b32 s3, s7, s3
	s_cselect_b32 s6, s9, s6
	s_add_i32 s7, s3, 1
	s_cmp_ge_u32 s6, s8
	s_cselect_b32 s6, s7, s3
	s_mul_i32 s3, s6, s8
	s_sub_i32 s2, s2, s3
	s_lshl_b32 s27, s2, 6
	v_add_u32_e32 v72, s27, v14
	v_cmp_le_i32_e64 s[2:3], s24, v72
	v_cmp_gt_i32_e32 vcc, s26, v144
	s_xor_b64 s[16:17], s[2:3], -1
	s_and_b64 s[8:9], vcc, s[16:17]
	v_mov_b64_e32 v[2:3], s[4:5]
	v_lshlrev_b32_e32 v0, 3, v144
	s_and_saveexec_b64 s[2:3], s[8:9]
	s_cbranch_execz .LBB127_10
; %bb.9:
	v_mad_i64_i32 v[2:3], s[8:9], v72, s36, 0
	v_lshl_add_u64 v[2:3], v[2:3], 3, s[18:19]
	v_mov_b32_e32 v1, 0
	v_lshl_add_u64 v[2:3], v[2:3], 0, v[0:1]
	flat_load_dwordx2 v[2:3], v[2:3]
.LBB127_10:
	s_or_b64 exec, exec, s[2:3]
	s_load_dword s34, s[0:1], 0x38
	v_and_b32_e32 v73, 63, v4
	v_lshrrev_b32_e32 v145, 6, v4
	s_lshl_b32 s33, s6, 8
	v_or_b32_e32 v60, s33, v73
	s_waitcnt lgkmcnt(0)
	v_mad_i64_i32 v[4:5], s[2:3], s34, v145, 0
	v_cmp_le_i32_e32 vcc, s26, v145
	v_cmp_le_i32_e64 s[2:3], s25, v60
	s_or_b64 s[6:7], s[2:3], vcc
	v_lshl_add_u64 v[12:13], v[4:5], 3, s[14:15]
	s_xor_b64 s[6:7], s[6:7], -1
	v_mov_b64_e32 v[4:5], s[4:5]
	v_ashrrev_i32_e32 v61, 31, v60
	s_and_saveexec_b64 s[4:5], s[6:7]
	s_cbranch_execz .LBB127_12
; %bb.11:
	v_lshl_add_u64 v[4:5], v[60:61], 3, v[12:13]
	flat_load_dwordx2 v[4:5], v[4:5]
.LBB127_12:
	s_or_b64 exec, exec, s[4:5]
	v_or_b32_e32 v1, 64, v60
	v_cmp_le_i32_e64 s[4:5], s25, v1
	s_mov_b32 s8, -1
	s_or_b64 s[6:7], s[4:5], vcc
	s_mov_b32 s9, 0x7fefffff
	s_xor_b64 s[28:29], s[6:7], -1
	v_mov_b64_e32 v[6:7], s[8:9]
	s_and_saveexec_b64 s[6:7], s[28:29]
	s_cbranch_execz .LBB127_14
; %bb.13:
	v_lshl_add_u64 v[6:7], v[60:61], 3, v[12:13]
	flat_load_dwordx2 v[6:7], v[6:7] offset:512
.LBB127_14:
	s_or_b64 exec, exec, s[6:7]
	v_or_b32_e32 v1, 0x80, v60
	v_cmp_le_i32_e64 s[6:7], s25, v1
	s_or_b64 s[28:29], s[6:7], vcc
	s_ashr_i32 s35, s34, 31
	s_xor_b64 s[28:29], s[28:29], -1
	v_mov_b64_e32 v[8:9], s[8:9]
	s_and_saveexec_b64 s[8:9], s[28:29]
	s_cbranch_execz .LBB127_16
; %bb.15:
	v_lshl_add_u64 v[8:9], v[60:61], 3, v[12:13]
	flat_load_dwordx2 v[8:9], v[8:9] offset:1024
.LBB127_16:
	s_or_b64 exec, exec, s[8:9]
	v_or_b32_e32 v1, 0xc0, v60
	v_cmp_le_i32_e64 s[8:9], s25, v1
	s_or_b64 s[28:29], s[8:9], vcc
	s_xor_b64 s[38:39], s[28:29], -1
	s_mov_b32 s28, -1
	s_mov_b32 s29, 0x7fefffff
	v_mov_b64_e32 v[10:11], s[28:29]
	s_and_saveexec_b64 s[30:31], s[38:39]
	s_cbranch_execz .LBB127_18
; %bb.17:
	v_lshl_add_u64 v[10:11], v[60:61], 3, v[12:13]
	flat_load_dwordx2 v[10:11], v[10:11] offset:1536
.LBB127_18:
	s_or_b64 exec, exec, s[30:31]
	v_or_b32_e32 v1, 4, v144
	v_cmp_gt_i32_e32 vcc, s26, v1
	s_and_b64 s[30:31], vcc, s[16:17]
	v_mov_b64_e32 v[62:63], s[28:29]
	s_and_saveexec_b64 s[28:29], s[30:31]
	s_cbranch_execz .LBB127_20
; %bb.19:
	v_mad_i64_i32 v[12:13], s[30:31], v72, s36, 0
	v_lshl_add_u64 v[12:13], v[12:13], 3, s[18:19]
	v_mov_b32_e32 v1, 0
	v_lshl_add_u64 v[12:13], v[12:13], 0, v[0:1]
	flat_load_dwordx2 v[62:63], v[12:13] offset:32
.LBB127_20:
	s_or_b64 exec, exec, s[28:29]
	v_add_u32_e32 v1, 4, v145
	v_cmp_le_i32_e32 vcc, s26, v1
	v_mad_i64_i32 v[12:13], s[28:29], s34, v1, 0
	s_or_b64 s[28:29], s[2:3], vcc
	s_xor_b64 s[38:39], s[28:29], -1
	s_mov_b32 s28, -1
	s_mov_b32 s29, 0x7fefffff
	v_lshl_add_u64 v[12:13], v[12:13], 3, s[14:15]
	v_mov_b64_e32 v[64:65], s[28:29]
	s_and_saveexec_b64 s[30:31], s[38:39]
	s_cbranch_execz .LBB127_22
; %bb.21:
	v_lshl_add_u64 v[16:17], v[60:61], 3, v[12:13]
	flat_load_dwordx2 v[64:65], v[16:17]
.LBB127_22:
	s_or_b64 exec, exec, s[30:31]
	s_or_b64 s[30:31], s[4:5], vcc
	s_xor_b64 s[30:31], s[30:31], -1
	v_mov_b64_e32 v[66:67], s[28:29]
	s_and_saveexec_b64 s[28:29], s[30:31]
	s_cbranch_execz .LBB127_24
; %bb.23:
	v_lshl_add_u64 v[16:17], v[60:61], 3, v[12:13]
	flat_load_dwordx2 v[66:67], v[16:17] offset:512
.LBB127_24:
	s_or_b64 exec, exec, s[28:29]
	s_or_b64 s[28:29], s[6:7], vcc
	s_xor_b64 s[38:39], s[28:29], -1
	s_mov_b32 s28, -1
	s_mov_b32 s29, 0x7fefffff
	v_mov_b64_e32 v[68:69], s[28:29]
	s_and_saveexec_b64 s[30:31], s[38:39]
	s_cbranch_execz .LBB127_26
; %bb.25:
	v_lshl_add_u64 v[16:17], v[60:61], 3, v[12:13]
	flat_load_dwordx2 v[68:69], v[16:17] offset:1024
.LBB127_26:
	s_or_b64 exec, exec, s[30:31]
	s_or_b64 s[30:31], s[8:9], vcc
	s_xor_b64 s[30:31], s[30:31], -1
	v_mov_b64_e32 v[70:71], s[28:29]
	s_and_saveexec_b64 s[28:29], s[30:31]
	s_cbranch_execz .LBB127_28
; %bb.27:
	v_lshl_add_u64 v[12:13], v[60:61], 3, v[12:13]
	flat_load_dwordx2 v[70:71], v[12:13] offset:1536
.LBB127_28:
	s_or_b64 exec, exec, s[28:29]
	v_lshl_or_b32 v74, v14, 5, v0
	v_lshlrev_b32_e32 v0, 3, v145
	v_add_u32_e32 v146, 0x4000, v74
	v_lshl_add_u32 v147, v73, 5, v0
	s_mov_b32 s30, 0
	s_mov_b64 s[28:29], -1
	v_mov_b32_e32 v78, 0x7f800000
	v_mov_b32_e32 v79, 0x7f800000
	;; [unrolled: 1-line block ×64, first 2 shown]
	s_waitcnt vmcnt(0)
	ds_write_b64 v74, v[2:3] offset:16384
	s_waitcnt lgkmcnt(0)
	ds_write2st64_b64 v147, v[4:5], v[6:7] offset1:4
	ds_write2st64_b64 v147, v[8:9], v[10:11] offset0:8 offset1:12
	s_waitcnt lgkmcnt(0)
	s_barrier
.LBB127_29:                             ; =>This Inner Loop Header: Depth=1
	v_cndmask_b32_e64 v0, 0, 1, s[28:29]
	s_lshl_b32 s28, s30, 3
	v_cmp_ne_u32_e32 vcc, 1, v0
	v_lshl_add_u32 v0, v134, 5, s28
	v_lshl_add_u32 v20, v135, 5, s28
	ds_read_b128 v[32:35], v0 offset:16384
	ds_read_b128 v[28:31], v0 offset:16640
	;; [unrolled: 1-line block ×8, first 2 shown]
	ds_read_b128 v[148:151], v20
	ds_read_b128 v[56:59], v20 offset:1024
	ds_read_b128 v[52:55], v20 offset:2048
	;; [unrolled: 1-line block ×7, first 2 shown]
	s_waitcnt lgkmcnt(7)
	v_add_f64 v[76:77], v[34:35], v[150:151]
	v_add_f64 v[152:153], v[32:33], v[148:149]
	v_cvt_f32_f64_e32 v75, v[152:153]
	v_cvt_f32_f64_e32 v76, v[76:77]
	v_min3_f32 v143, v75, v76, v143
	v_add_f64 v[76:77], v[30:31], v[150:151]
	v_add_f64 v[152:153], v[28:29], v[148:149]
	v_cvt_f32_f64_e32 v75, v[152:153]
	v_cvt_f32_f64_e32 v76, v[76:77]
	v_min3_f32 v142, v75, v76, v142
	;; [unrolled: 5-line block ×8, first 2 shown]
	s_waitcnt lgkmcnt(6)
	v_add_f64 v[76:77], v[34:35], v[58:59]
	v_add_f64 v[148:149], v[32:33], v[56:57]
	v_cvt_f32_f64_e32 v75, v[148:149]
	v_cvt_f32_f64_e32 v76, v[76:77]
	v_min3_f32 v133, v75, v76, v133
	v_add_f64 v[76:77], v[30:31], v[58:59]
	v_add_f64 v[148:149], v[28:29], v[56:57]
	v_cvt_f32_f64_e32 v75, v[148:149]
	v_cvt_f32_f64_e32 v76, v[76:77]
	v_min3_f32 v132, v75, v76, v132
	v_add_f64 v[76:77], v[26:27], v[58:59]
	v_add_f64 v[148:149], v[24:25], v[56:57]
	v_cvt_f32_f64_e32 v75, v[148:149]
	v_cvt_f32_f64_e32 v76, v[76:77]
	v_min3_f32 v131, v75, v76, v131
	v_add_f64 v[76:77], v[18:19], v[58:59]
	v_add_f64 v[148:149], v[16:17], v[56:57]
	v_cvt_f32_f64_e32 v75, v[148:149]
	v_cvt_f32_f64_e32 v76, v[76:77]
	v_min3_f32 v130, v75, v76, v130
	v_add_f64 v[76:77], v[14:15], v[58:59]
	v_add_f64 v[148:149], v[12:13], v[56:57]
	v_cvt_f32_f64_e32 v75, v[148:149]
	v_cvt_f32_f64_e32 v76, v[76:77]
	v_min3_f32 v129, v75, v76, v129
	v_add_f64 v[76:77], v[10:11], v[58:59]
	v_add_f64 v[148:149], v[8:9], v[56:57]
	v_cvt_f32_f64_e32 v75, v[148:149]
	v_cvt_f32_f64_e32 v76, v[76:77]
	v_min3_f32 v128, v75, v76, v128
	v_add_f64 v[76:77], v[6:7], v[58:59]
	v_add_f64 v[148:149], v[4:5], v[56:57]
	v_add_f64 v[58:59], v[2:3], v[58:59]
	v_add_f64 v[56:57], v[0:1], v[56:57]
	v_cvt_f32_f64_e32 v56, v[56:57]
	v_cvt_f32_f64_e32 v57, v[58:59]
	v_min3_f32 v126, v56, v57, v126
	s_waitcnt lgkmcnt(5)
	v_add_f64 v[56:57], v[34:35], v[54:55]
	v_add_f64 v[58:59], v[32:33], v[52:53]
	v_cvt_f32_f64_e32 v58, v[58:59]
	v_cvt_f32_f64_e32 v56, v[56:57]
	v_min3_f32 v125, v58, v56, v125
	v_add_f64 v[56:57], v[30:31], v[54:55]
	v_add_f64 v[58:59], v[28:29], v[52:53]
	v_cvt_f32_f64_e32 v58, v[58:59]
	v_cvt_f32_f64_e32 v56, v[56:57]
	v_min3_f32 v124, v58, v56, v124
	v_add_f64 v[56:57], v[26:27], v[54:55]
	v_add_f64 v[58:59], v[24:25], v[52:53]
	v_cvt_f32_f64_e32 v58, v[58:59]
	v_cvt_f32_f64_e32 v56, v[56:57]
	v_min3_f32 v123, v58, v56, v123
	v_add_f64 v[56:57], v[18:19], v[54:55]
	v_add_f64 v[58:59], v[16:17], v[52:53]
	v_cvt_f32_f64_e32 v58, v[58:59]
	v_cvt_f32_f64_e32 v56, v[56:57]
	v_min3_f32 v122, v58, v56, v122
	v_add_f64 v[56:57], v[14:15], v[54:55]
	v_add_f64 v[58:59], v[12:13], v[52:53]
	v_cvt_f32_f64_e32 v58, v[58:59]
	v_cvt_f32_f64_e32 v56, v[56:57]
	v_min3_f32 v121, v58, v56, v121
	v_add_f64 v[56:57], v[10:11], v[54:55]
	v_add_f64 v[58:59], v[8:9], v[52:53]
	v_cvt_f32_f64_e32 v58, v[58:59]
	v_cvt_f32_f64_e32 v56, v[56:57]
	v_min3_f32 v120, v58, v56, v120
	v_add_f64 v[56:57], v[6:7], v[54:55]
	v_add_f64 v[58:59], v[4:5], v[52:53]
	v_add_f64 v[54:55], v[2:3], v[54:55]
	v_add_f64 v[52:53], v[0:1], v[52:53]
	v_cvt_f32_f64_e32 v52, v[52:53]
	v_cvt_f32_f64_e32 v53, v[54:55]
	v_min3_f32 v118, v52, v53, v118
	;; [unrolled: 38-line block ×5, first 2 shown]
	s_waitcnt lgkmcnt(1)
	v_add_f64 v[40:41], v[34:35], v[38:39]
	v_add_f64 v[42:43], v[32:33], v[36:37]
	v_cvt_f32_f64_e32 v42, v[42:43]
	v_cvt_f32_f64_e32 v40, v[40:41]
	v_min3_f32 v93, v42, v40, v93
	v_add_f64 v[40:41], v[30:31], v[38:39]
	v_add_f64 v[42:43], v[28:29], v[36:37]
	v_cvt_f32_f64_e32 v42, v[42:43]
	v_cvt_f32_f64_e32 v40, v[40:41]
	v_min3_f32 v92, v42, v40, v92
	;; [unrolled: 5-line block ×6, first 2 shown]
	v_add_f64 v[40:41], v[6:7], v[38:39]
	v_add_f64 v[42:43], v[4:5], v[36:37]
	;; [unrolled: 1-line block ×4, first 2 shown]
	s_waitcnt lgkmcnt(0)
	v_add_f64 v[34:35], v[34:35], v[22:23]
	v_add_f64 v[32:33], v[32:33], v[20:21]
	v_add_f64 v[30:31], v[30:31], v[22:23]
	v_add_f64 v[28:29], v[28:29], v[20:21]
	v_add_f64 v[26:27], v[26:27], v[22:23]
	v_add_f64 v[24:25], v[24:25], v[20:21]
	v_add_f64 v[18:19], v[18:19], v[22:23]
	v_add_f64 v[16:17], v[16:17], v[20:21]
	v_add_f64 v[14:15], v[14:15], v[22:23]
	v_add_f64 v[12:13], v[12:13], v[20:21]
	v_add_f64 v[10:11], v[10:11], v[22:23]
	v_add_f64 v[8:9], v[8:9], v[20:21]
	v_add_f64 v[6:7], v[6:7], v[22:23]
	v_add_f64 v[4:5], v[4:5], v[20:21]
	v_add_f64 v[2:3], v[2:3], v[22:23]
	v_add_f64 v[0:1], v[0:1], v[20:21]
	v_cvt_f32_f64_e32 v75, v[148:149]
	v_cvt_f32_f64_e32 v76, v[76:77]
	v_cvt_f32_f64_e32 v58, v[58:59]
	v_cvt_f32_f64_e32 v56, v[56:57]
	v_cvt_f32_f64_e32 v54, v[54:55]
	v_cvt_f32_f64_e32 v52, v[52:53]
	v_cvt_f32_f64_e32 v50, v[50:51]
	v_cvt_f32_f64_e32 v48, v[48:49]
	v_cvt_f32_f64_e32 v46, v[46:47]
	v_cvt_f32_f64_e32 v44, v[44:45]
	v_cvt_f32_f64_e32 v42, v[42:43]
	v_cvt_f32_f64_e32 v40, v[40:41]
	v_cvt_f32_f64_e32 v36, v[36:37]
	v_cvt_f32_f64_e32 v37, v[38:39]
	v_cvt_f32_f64_e32 v32, v[32:33]
	v_cvt_f32_f64_e32 v33, v[34:35]
	v_cvt_f32_f64_e32 v28, v[28:29]
	v_cvt_f32_f64_e32 v29, v[30:31]
	v_cvt_f32_f64_e32 v24, v[24:25]
	v_cvt_f32_f64_e32 v25, v[26:27]
	v_cvt_f32_f64_e32 v16, v[16:17]
	v_cvt_f32_f64_e32 v17, v[18:19]
	v_cvt_f32_f64_e32 v12, v[12:13]
	v_cvt_f32_f64_e32 v13, v[14:15]
	v_cvt_f32_f64_e32 v8, v[8:9]
	v_cvt_f32_f64_e32 v9, v[10:11]
	v_cvt_f32_f64_e32 v4, v[4:5]
	v_cvt_f32_f64_e32 v5, v[6:7]
	v_cvt_f32_f64_e32 v0, v[0:1]
	v_cvt_f32_f64_e32 v1, v[2:3]
	v_min3_f32 v127, v75, v76, v127
	v_min3_f32 v119, v58, v56, v119
	;; [unrolled: 1-line block ×15, first 2 shown]
	s_mov_b32 s30, 2
	s_mov_b64 s[28:29], 0
	s_cbranch_vccz .LBB127_29
; %bb.30:
	v_lshlrev_b32_e32 v0, 5, v73
	v_lshl_add_u32 v0, v145, 3, v0
	s_cmp_gt_i32 s26, 8
	s_mov_b32 s30, 8
	ds_write_b64 v74, v[62:63] offset:18432
	ds_write2st64_b64 v0, v[64:65], v[66:67] offset0:16 offset1:20
	ds_write2st64_b64 v0, v[68:69], v[70:71] offset0:24 offset1:28
	s_waitcnt lgkmcnt(0)
	s_barrier
	s_cbranch_scc0 .LBB127_57
; %bb.31:
	v_or_b32_e32 v149, 0x2000, v0
	v_mad_i64_i32 v[0:1], s[28:29], v72, s36, 0
	v_lshl_add_u64 v[62:63], v[0:1], 3, s[18:19]
	s_mov_b32 s18, -1
	v_add_u32_e32 v148, 0x4800, v74
	s_add_i32 s31, s26, -8
	v_lshl_add_u64 v[64:65], v[62:63], 0, 32
	s_mov_b32 s36, 0
	s_mov_b32 s19, 0x7fefffff
	v_mov_b32_e32 v67, 0
.LBB127_32:                             ; =>This Loop Header: Depth=1
                                        ;     Child Loop BB127_43 Depth 2
                                        ;     Child Loop BB127_55 Depth 2
	v_or_b32_e32 v66, s30, v144
	v_cmp_gt_i32_e32 vcc, s26, v66
	s_and_b64 s[38:39], vcc, s[16:17]
	v_mov_b64_e32 v[68:69], s[18:19]
	s_and_saveexec_b64 s[28:29], s[38:39]
	s_cbranch_execz .LBB127_34
; %bb.33:                               ;   in Loop: Header=BB127_32 Depth=1
	v_lshl_add_u64 v[0:1], v[66:67], 3, v[62:63]
	flat_load_dwordx2 v[68:69], v[0:1]
.LBB127_34:                             ;   in Loop: Header=BB127_32 Depth=1
	s_or_b64 exec, exec, s[28:29]
	v_add_u32_e32 v3, s30, v145
	v_mad_u64_u32 v[0:1], s[28:29], v3, s34, 0
	v_mov_b32_e32 v2, v1
	v_cmp_le_i32_e32 vcc, s26, v3
	v_mad_u64_u32 v[2:3], s[28:29], v3, s35, v[2:3]
	v_mov_b32_e32 v1, v2
	v_lshl_add_u64 v[0:1], v[0:1], 3, s[14:15]
	s_or_b64 s[28:29], s[2:3], vcc
	s_xor_b64 s[38:39], s[28:29], -1
	v_mov_b64_e32 v[70:71], s[18:19]
	v_lshl_add_u64 v[0:1], v[60:61], 3, v[0:1]
	s_and_saveexec_b64 s[28:29], s[38:39]
	s_cbranch_execz .LBB127_36
; %bb.35:                               ;   in Loop: Header=BB127_32 Depth=1
	flat_load_dwordx2 v[70:71], v[0:1]
.LBB127_36:                             ;   in Loop: Header=BB127_32 Depth=1
	s_or_b64 exec, exec, s[28:29]
	s_or_b64 s[28:29], s[4:5], vcc
	s_xor_b64 s[38:39], s[28:29], -1
	v_mov_b64_e32 v[72:73], s[18:19]
	s_and_saveexec_b64 s[28:29], s[38:39]
	s_cbranch_execz .LBB127_38
; %bb.37:                               ;   in Loop: Header=BB127_32 Depth=1
	flat_load_dwordx2 v[72:73], v[0:1] offset:512
.LBB127_38:                             ;   in Loop: Header=BB127_32 Depth=1
	s_or_b64 exec, exec, s[28:29]
	s_or_b64 s[28:29], s[6:7], vcc
	s_xor_b64 s[38:39], s[28:29], -1
	v_mov_b64_e32 v[74:75], s[18:19]
	s_and_saveexec_b64 s[28:29], s[38:39]
	s_cbranch_execz .LBB127_40
; %bb.39:                               ;   in Loop: Header=BB127_32 Depth=1
	flat_load_dwordx2 v[74:75], v[0:1] offset:1024
.LBB127_40:                             ;   in Loop: Header=BB127_32 Depth=1
	;; [unrolled: 9-line block ×3, first 2 shown]
	s_or_b64 exec, exec, s[28:29]
	s_mov_b32 s37, 0
	s_mov_b64 s[28:29], -1
.LBB127_43:                             ;   Parent Loop BB127_32 Depth=1
                                        ; =>  This Inner Loop Header: Depth=2
	v_cndmask_b32_e64 v0, 0, 1, s[28:29]
	s_lshl_b32 s28, s37, 3
	v_cmp_ne_u32_e32 vcc, 1, v0
	v_lshl_add_u32 v0, v134, 5, s28
	v_lshl_add_u32 v20, v135, 5, s28
	ds_read_b128 v[32:35], v0 offset:18432
	ds_read_b128 v[28:31], v0 offset:18688
	;; [unrolled: 1-line block ×16, first 2 shown]
	s_waitcnt lgkmcnt(0)
	v_add_f64 v[154:155], v[34:35], v[152:153]
	v_add_f64 v[156:157], v[32:33], v[150:151]
	v_cvt_f32_f64_e32 v156, v[156:157]
	v_cvt_f32_f64_e32 v154, v[154:155]
	v_min3_f32 v143, v156, v154, v143
	v_add_f64 v[154:155], v[30:31], v[152:153]
	v_add_f64 v[156:157], v[28:29], v[150:151]
	v_cvt_f32_f64_e32 v156, v[156:157]
	v_cvt_f32_f64_e32 v154, v[154:155]
	v_min3_f32 v142, v156, v154, v142
	v_add_f64 v[154:155], v[26:27], v[152:153]
	v_add_f64 v[156:157], v[24:25], v[150:151]
	v_cvt_f32_f64_e32 v156, v[156:157]
	v_cvt_f32_f64_e32 v154, v[154:155]
	v_min3_f32 v141, v156, v154, v141
	v_add_f64 v[154:155], v[18:19], v[152:153]
	v_add_f64 v[156:157], v[16:17], v[150:151]
	v_cvt_f32_f64_e32 v156, v[156:157]
	v_cvt_f32_f64_e32 v154, v[154:155]
	v_min3_f32 v140, v156, v154, v140
	v_add_f64 v[154:155], v[14:15], v[152:153]
	v_add_f64 v[156:157], v[12:13], v[150:151]
	v_cvt_f32_f64_e32 v156, v[156:157]
	v_cvt_f32_f64_e32 v154, v[154:155]
	v_min3_f32 v139, v156, v154, v139
	v_add_f64 v[154:155], v[10:11], v[152:153]
	v_add_f64 v[156:157], v[8:9], v[150:151]
	v_cvt_f32_f64_e32 v156, v[156:157]
	v_cvt_f32_f64_e32 v154, v[154:155]
	v_min3_f32 v138, v156, v154, v138
	v_add_f64 v[154:155], v[6:7], v[152:153]
	v_add_f64 v[156:157], v[4:5], v[150:151]
	v_add_f64 v[152:153], v[2:3], v[152:153]
	v_add_f64 v[150:151], v[0:1], v[150:151]
	v_cvt_f32_f64_e32 v150, v[150:151]
	v_cvt_f32_f64_e32 v151, v[152:153]
	v_min3_f32 v136, v150, v151, v136
	v_add_f64 v[150:151], v[34:35], v[58:59]
	v_add_f64 v[152:153], v[32:33], v[56:57]
	v_cvt_f32_f64_e32 v152, v[152:153]
	v_cvt_f32_f64_e32 v150, v[150:151]
	v_min3_f32 v133, v152, v150, v133
	v_add_f64 v[150:151], v[30:31], v[58:59]
	v_add_f64 v[152:153], v[28:29], v[56:57]
	v_cvt_f32_f64_e32 v152, v[152:153]
	v_cvt_f32_f64_e32 v150, v[150:151]
	v_min3_f32 v132, v152, v150, v132
	v_add_f64 v[150:151], v[26:27], v[58:59]
	v_add_f64 v[152:153], v[24:25], v[56:57]
	v_cvt_f32_f64_e32 v152, v[152:153]
	v_cvt_f32_f64_e32 v150, v[150:151]
	v_min3_f32 v131, v152, v150, v131
	v_add_f64 v[150:151], v[18:19], v[58:59]
	v_add_f64 v[152:153], v[16:17], v[56:57]
	v_cvt_f32_f64_e32 v152, v[152:153]
	v_cvt_f32_f64_e32 v150, v[150:151]
	v_min3_f32 v130, v152, v150, v130
	v_add_f64 v[150:151], v[14:15], v[58:59]
	v_add_f64 v[152:153], v[12:13], v[56:57]
	v_cvt_f32_f64_e32 v152, v[152:153]
	v_cvt_f32_f64_e32 v150, v[150:151]
	v_min3_f32 v129, v152, v150, v129
	v_add_f64 v[150:151], v[10:11], v[58:59]
	v_add_f64 v[152:153], v[8:9], v[56:57]
	v_cvt_f32_f64_e32 v152, v[152:153]
	v_cvt_f32_f64_e32 v150, v[150:151]
	v_min3_f32 v128, v152, v150, v128
	v_add_f64 v[150:151], v[6:7], v[58:59]
	v_add_f64 v[152:153], v[4:5], v[56:57]
	v_add_f64 v[58:59], v[2:3], v[58:59]
	v_add_f64 v[56:57], v[0:1], v[56:57]
	v_cvt_f32_f64_e32 v56, v[56:57]
	v_cvt_f32_f64_e32 v57, v[58:59]
	v_min3_f32 v126, v56, v57, v126
	v_add_f64 v[56:57], v[34:35], v[54:55]
	v_add_f64 v[58:59], v[32:33], v[52:53]
	v_cvt_f32_f64_e32 v58, v[58:59]
	v_cvt_f32_f64_e32 v56, v[56:57]
	v_min3_f32 v125, v58, v56, v125
	v_add_f64 v[56:57], v[30:31], v[54:55]
	v_add_f64 v[58:59], v[28:29], v[52:53]
	v_cvt_f32_f64_e32 v58, v[58:59]
	v_cvt_f32_f64_e32 v56, v[56:57]
	v_min3_f32 v124, v58, v56, v124
	v_add_f64 v[56:57], v[26:27], v[54:55]
	v_add_f64 v[58:59], v[24:25], v[52:53]
	v_cvt_f32_f64_e32 v58, v[58:59]
	v_cvt_f32_f64_e32 v56, v[56:57]
	v_min3_f32 v123, v58, v56, v123
	v_add_f64 v[56:57], v[18:19], v[54:55]
	v_add_f64 v[58:59], v[16:17], v[52:53]
	v_cvt_f32_f64_e32 v58, v[58:59]
	v_cvt_f32_f64_e32 v56, v[56:57]
	v_min3_f32 v122, v58, v56, v122
	v_add_f64 v[56:57], v[14:15], v[54:55]
	v_add_f64 v[58:59], v[12:13], v[52:53]
	v_cvt_f32_f64_e32 v58, v[58:59]
	v_cvt_f32_f64_e32 v56, v[56:57]
	v_min3_f32 v121, v58, v56, v121
	v_add_f64 v[56:57], v[10:11], v[54:55]
	v_add_f64 v[58:59], v[8:9], v[52:53]
	v_cvt_f32_f64_e32 v58, v[58:59]
	v_cvt_f32_f64_e32 v56, v[56:57]
	v_min3_f32 v120, v58, v56, v120
	v_add_f64 v[56:57], v[6:7], v[54:55]
	v_add_f64 v[58:59], v[4:5], v[52:53]
	v_add_f64 v[54:55], v[2:3], v[54:55]
	v_add_f64 v[52:53], v[0:1], v[52:53]
	v_cvt_f32_f64_e32 v52, v[52:53]
	v_cvt_f32_f64_e32 v53, v[54:55]
	v_min3_f32 v118, v52, v53, v118
	v_add_f64 v[52:53], v[34:35], v[50:51]
	v_add_f64 v[54:55], v[32:33], v[48:49]
	v_cvt_f32_f64_e32 v54, v[54:55]
	v_cvt_f32_f64_e32 v52, v[52:53]
	v_min3_f32 v117, v54, v52, v117
	v_add_f64 v[52:53], v[30:31], v[50:51]
	v_add_f64 v[54:55], v[28:29], v[48:49]
	v_cvt_f32_f64_e32 v54, v[54:55]
	v_cvt_f32_f64_e32 v52, v[52:53]
	v_min3_f32 v116, v54, v52, v116
	v_add_f64 v[52:53], v[26:27], v[50:51]
	v_add_f64 v[54:55], v[24:25], v[48:49]
	v_cvt_f32_f64_e32 v54, v[54:55]
	v_cvt_f32_f64_e32 v52, v[52:53]
	v_min3_f32 v115, v54, v52, v115
	v_add_f64 v[52:53], v[18:19], v[50:51]
	v_add_f64 v[54:55], v[16:17], v[48:49]
	v_cvt_f32_f64_e32 v54, v[54:55]
	v_cvt_f32_f64_e32 v52, v[52:53]
	v_min3_f32 v114, v54, v52, v114
	v_add_f64 v[52:53], v[14:15], v[50:51]
	v_add_f64 v[54:55], v[12:13], v[48:49]
	v_cvt_f32_f64_e32 v54, v[54:55]
	v_cvt_f32_f64_e32 v52, v[52:53]
	v_min3_f32 v113, v54, v52, v113
	v_add_f64 v[52:53], v[10:11], v[50:51]
	v_add_f64 v[54:55], v[8:9], v[48:49]
	v_cvt_f32_f64_e32 v54, v[54:55]
	v_cvt_f32_f64_e32 v52, v[52:53]
	v_min3_f32 v112, v54, v52, v112
	v_add_f64 v[52:53], v[6:7], v[50:51]
	v_add_f64 v[54:55], v[4:5], v[48:49]
	v_add_f64 v[50:51], v[2:3], v[50:51]
	v_add_f64 v[48:49], v[0:1], v[48:49]
	v_cvt_f32_f64_e32 v48, v[48:49]
	v_cvt_f32_f64_e32 v49, v[50:51]
	v_min3_f32 v110, v48, v49, v110
	v_add_f64 v[48:49], v[34:35], v[46:47]
	v_add_f64 v[50:51], v[32:33], v[44:45]
	v_cvt_f32_f64_e32 v50, v[50:51]
	v_cvt_f32_f64_e32 v48, v[48:49]
	v_min3_f32 v109, v50, v48, v109
	v_add_f64 v[48:49], v[30:31], v[46:47]
	v_add_f64 v[50:51], v[28:29], v[44:45]
	v_cvt_f32_f64_e32 v50, v[50:51]
	v_cvt_f32_f64_e32 v48, v[48:49]
	v_min3_f32 v108, v50, v48, v108
	v_add_f64 v[48:49], v[26:27], v[46:47]
	v_add_f64 v[50:51], v[24:25], v[44:45]
	v_cvt_f32_f64_e32 v50, v[50:51]
	v_cvt_f32_f64_e32 v48, v[48:49]
	v_min3_f32 v107, v50, v48, v107
	v_add_f64 v[48:49], v[18:19], v[46:47]
	v_add_f64 v[50:51], v[16:17], v[44:45]
	v_cvt_f32_f64_e32 v50, v[50:51]
	v_cvt_f32_f64_e32 v48, v[48:49]
	v_min3_f32 v106, v50, v48, v106
	v_add_f64 v[48:49], v[14:15], v[46:47]
	v_add_f64 v[50:51], v[12:13], v[44:45]
	v_cvt_f32_f64_e32 v50, v[50:51]
	v_cvt_f32_f64_e32 v48, v[48:49]
	v_min3_f32 v105, v50, v48, v105
	v_add_f64 v[48:49], v[10:11], v[46:47]
	v_add_f64 v[50:51], v[8:9], v[44:45]
	v_cvt_f32_f64_e32 v50, v[50:51]
	v_cvt_f32_f64_e32 v48, v[48:49]
	v_min3_f32 v104, v50, v48, v104
	v_add_f64 v[48:49], v[6:7], v[46:47]
	v_add_f64 v[50:51], v[4:5], v[44:45]
	v_add_f64 v[46:47], v[2:3], v[46:47]
	v_add_f64 v[44:45], v[0:1], v[44:45]
	v_cvt_f32_f64_e32 v44, v[44:45]
	v_cvt_f32_f64_e32 v45, v[46:47]
	v_min3_f32 v102, v44, v45, v102
	v_add_f64 v[44:45], v[34:35], v[42:43]
	v_add_f64 v[46:47], v[32:33], v[40:41]
	v_cvt_f32_f64_e32 v46, v[46:47]
	v_cvt_f32_f64_e32 v44, v[44:45]
	v_min3_f32 v101, v46, v44, v101
	v_add_f64 v[44:45], v[30:31], v[42:43]
	v_add_f64 v[46:47], v[28:29], v[40:41]
	v_cvt_f32_f64_e32 v46, v[46:47]
	v_cvt_f32_f64_e32 v44, v[44:45]
	v_min3_f32 v100, v46, v44, v100
	v_add_f64 v[44:45], v[26:27], v[42:43]
	v_add_f64 v[46:47], v[24:25], v[40:41]
	v_cvt_f32_f64_e32 v46, v[46:47]
	v_cvt_f32_f64_e32 v44, v[44:45]
	v_min3_f32 v99, v46, v44, v99
	v_add_f64 v[44:45], v[18:19], v[42:43]
	v_add_f64 v[46:47], v[16:17], v[40:41]
	v_cvt_f32_f64_e32 v46, v[46:47]
	v_cvt_f32_f64_e32 v44, v[44:45]
	v_min3_f32 v98, v46, v44, v98
	v_add_f64 v[44:45], v[14:15], v[42:43]
	v_add_f64 v[46:47], v[12:13], v[40:41]
	v_cvt_f32_f64_e32 v46, v[46:47]
	v_cvt_f32_f64_e32 v44, v[44:45]
	v_min3_f32 v97, v46, v44, v97
	v_add_f64 v[44:45], v[10:11], v[42:43]
	v_add_f64 v[46:47], v[8:9], v[40:41]
	v_cvt_f32_f64_e32 v46, v[46:47]
	v_cvt_f32_f64_e32 v44, v[44:45]
	v_min3_f32 v96, v46, v44, v96
	v_add_f64 v[44:45], v[6:7], v[42:43]
	v_add_f64 v[46:47], v[4:5], v[40:41]
	v_add_f64 v[42:43], v[2:3], v[42:43]
	v_add_f64 v[40:41], v[0:1], v[40:41]
	v_cvt_f32_f64_e32 v40, v[40:41]
	v_cvt_f32_f64_e32 v41, v[42:43]
	v_min3_f32 v94, v40, v41, v94
	v_add_f64 v[40:41], v[34:35], v[38:39]
	v_add_f64 v[42:43], v[32:33], v[36:37]
	v_cvt_f32_f64_e32 v42, v[42:43]
	v_cvt_f32_f64_e32 v40, v[40:41]
	v_min3_f32 v93, v42, v40, v93
	v_add_f64 v[40:41], v[30:31], v[38:39]
	v_add_f64 v[42:43], v[28:29], v[36:37]
	v_cvt_f32_f64_e32 v42, v[42:43]
	v_cvt_f32_f64_e32 v40, v[40:41]
	v_min3_f32 v92, v42, v40, v92
	;; [unrolled: 5-line block ×6, first 2 shown]
	v_add_f64 v[40:41], v[6:7], v[38:39]
	v_add_f64 v[42:43], v[4:5], v[36:37]
	;; [unrolled: 1-line block ×20, first 2 shown]
	v_cvt_f32_f64_e32 v156, v[156:157]
	v_cvt_f32_f64_e32 v154, v[154:155]
	;; [unrolled: 1-line block ×32, first 2 shown]
	v_min3_f32 v137, v156, v154, v137
	v_min3_f32 v127, v152, v150, v127
	;; [unrolled: 1-line block ×16, first 2 shown]
	s_mov_b32 s37, 2
	s_mov_b64 s[28:29], 0
	s_cbranch_vccz .LBB127_43
; %bb.44:                               ;   in Loop: Header=BB127_32 Depth=1
	v_or_b32_e32 v0, 4, v66
	v_cmp_gt_i32_e32 vcc, s26, v0
	s_waitcnt vmcnt(0)
	ds_write_b64 v146, v[68:69]
	ds_write2st64_b64 v147, v[70:71], v[72:73] offset1:4
	ds_write2st64_b64 v147, v[74:75], v[76:77] offset0:8 offset1:12
	s_and_b64 s[38:39], vcc, s[16:17]
	v_mov_b64_e32 v[68:69], s[18:19]
	s_waitcnt lgkmcnt(0)
	s_barrier
	s_and_saveexec_b64 s[28:29], s[38:39]
	s_cbranch_execz .LBB127_46
; %bb.45:                               ;   in Loop: Header=BB127_32 Depth=1
	v_lshl_add_u64 v[0:1], v[66:67], 3, v[64:65]
	flat_load_dwordx2 v[68:69], v[0:1]
.LBB127_46:                             ;   in Loop: Header=BB127_32 Depth=1
	s_or_b64 exec, exec, s[28:29]
	v_add3_u32 v3, v145, s30, 4
	v_mad_u64_u32 v[0:1], s[28:29], v3, s34, 0
	v_mov_b32_e32 v2, v1
	v_cmp_le_i32_e32 vcc, s26, v3
	v_mad_u64_u32 v[2:3], s[28:29], v3, s35, v[2:3]
	v_mov_b32_e32 v1, v2
	v_lshl_add_u64 v[0:1], v[0:1], 3, s[14:15]
	s_or_b64 s[28:29], s[2:3], vcc
	s_xor_b64 s[38:39], s[28:29], -1
	v_mov_b64_e32 v[70:71], s[18:19]
	v_lshl_add_u64 v[0:1], v[60:61], 3, v[0:1]
	s_and_saveexec_b64 s[28:29], s[38:39]
	s_cbranch_execz .LBB127_48
; %bb.47:                               ;   in Loop: Header=BB127_32 Depth=1
	flat_load_dwordx2 v[70:71], v[0:1]
.LBB127_48:                             ;   in Loop: Header=BB127_32 Depth=1
	s_or_b64 exec, exec, s[28:29]
	s_or_b64 s[28:29], s[4:5], vcc
	s_xor_b64 s[38:39], s[28:29], -1
	v_mov_b64_e32 v[72:73], s[18:19]
	s_and_saveexec_b64 s[28:29], s[38:39]
	s_cbranch_execz .LBB127_50
; %bb.49:                               ;   in Loop: Header=BB127_32 Depth=1
	flat_load_dwordx2 v[72:73], v[0:1] offset:512
.LBB127_50:                             ;   in Loop: Header=BB127_32 Depth=1
	s_or_b64 exec, exec, s[28:29]
	s_or_b64 s[28:29], s[6:7], vcc
	s_xor_b64 s[38:39], s[28:29], -1
	v_mov_b64_e32 v[74:75], s[18:19]
	s_and_saveexec_b64 s[28:29], s[38:39]
	s_cbranch_execz .LBB127_52
; %bb.51:                               ;   in Loop: Header=BB127_32 Depth=1
	flat_load_dwordx2 v[74:75], v[0:1] offset:1024
.LBB127_52:                             ;   in Loop: Header=BB127_32 Depth=1
	;; [unrolled: 9-line block ×3, first 2 shown]
	s_or_b64 exec, exec, s[28:29]
	s_mov_b32 s37, 0
	s_mov_b64 s[28:29], -1
.LBB127_55:                             ;   Parent Loop BB127_32 Depth=1
                                        ; =>  This Inner Loop Header: Depth=2
	v_cndmask_b32_e64 v0, 0, 1, s[28:29]
	s_lshl_b32 s28, s37, 3
	v_cmp_ne_u32_e32 vcc, 1, v0
	v_lshl_add_u32 v0, v134, 5, s28
	v_lshl_add_u32 v20, v135, 5, s28
	ds_read_b128 v[32:35], v0 offset:16384
	ds_read_b128 v[28:31], v0 offset:16640
	;; [unrolled: 1-line block ×8, first 2 shown]
	ds_read_b128 v[150:153], v20
	ds_read_b128 v[56:59], v20 offset:1024
	ds_read_b128 v[52:55], v20 offset:2048
	;; [unrolled: 1-line block ×7, first 2 shown]
	s_waitcnt lgkmcnt(0)
	v_add_f64 v[154:155], v[34:35], v[152:153]
	v_add_f64 v[156:157], v[32:33], v[150:151]
	v_cvt_f32_f64_e32 v66, v[156:157]
	v_cvt_f32_f64_e32 v154, v[154:155]
	v_min3_f32 v143, v66, v154, v143
	v_add_f64 v[154:155], v[30:31], v[152:153]
	v_add_f64 v[156:157], v[28:29], v[150:151]
	v_cvt_f32_f64_e32 v66, v[156:157]
	v_cvt_f32_f64_e32 v154, v[154:155]
	v_min3_f32 v142, v66, v154, v142
	;; [unrolled: 5-line block ×6, first 2 shown]
	v_add_f64 v[154:155], v[6:7], v[152:153]
	v_add_f64 v[156:157], v[4:5], v[150:151]
	v_cvt_f32_f64_e32 v66, v[156:157]
	v_cvt_f32_f64_e32 v154, v[154:155]
	v_add_f64 v[152:153], v[2:3], v[152:153]
	v_add_f64 v[150:151], v[0:1], v[150:151]
	v_min3_f32 v137, v66, v154, v137
	v_cvt_f32_f64_e32 v66, v[150:151]
	v_cvt_f32_f64_e32 v150, v[152:153]
	v_min3_f32 v136, v66, v150, v136
	v_add_f64 v[150:151], v[34:35], v[58:59]
	v_add_f64 v[152:153], v[32:33], v[56:57]
	v_cvt_f32_f64_e32 v66, v[152:153]
	v_cvt_f32_f64_e32 v150, v[150:151]
	v_min3_f32 v133, v66, v150, v133
	v_add_f64 v[150:151], v[30:31], v[58:59]
	v_add_f64 v[152:153], v[28:29], v[56:57]
	v_cvt_f32_f64_e32 v66, v[152:153]
	v_cvt_f32_f64_e32 v150, v[150:151]
	v_min3_f32 v132, v66, v150, v132
	v_add_f64 v[150:151], v[26:27], v[58:59]
	v_add_f64 v[152:153], v[24:25], v[56:57]
	v_cvt_f32_f64_e32 v66, v[152:153]
	v_cvt_f32_f64_e32 v150, v[150:151]
	v_min3_f32 v131, v66, v150, v131
	v_add_f64 v[150:151], v[18:19], v[58:59]
	v_add_f64 v[152:153], v[16:17], v[56:57]
	v_cvt_f32_f64_e32 v66, v[152:153]
	v_cvt_f32_f64_e32 v150, v[150:151]
	v_min3_f32 v130, v66, v150, v130
	v_add_f64 v[150:151], v[14:15], v[58:59]
	v_add_f64 v[152:153], v[12:13], v[56:57]
	v_cvt_f32_f64_e32 v66, v[152:153]
	v_cvt_f32_f64_e32 v150, v[150:151]
	v_min3_f32 v129, v66, v150, v129
	v_add_f64 v[150:151], v[10:11], v[58:59]
	v_add_f64 v[152:153], v[8:9], v[56:57]
	v_cvt_f32_f64_e32 v66, v[152:153]
	v_cvt_f32_f64_e32 v150, v[150:151]
	v_min3_f32 v128, v66, v150, v128
	v_add_f64 v[150:151], v[6:7], v[58:59]
	v_add_f64 v[152:153], v[4:5], v[56:57]
	v_add_f64 v[58:59], v[2:3], v[58:59]
	v_add_f64 v[56:57], v[0:1], v[56:57]
	v_cvt_f32_f64_e32 v56, v[56:57]
	v_cvt_f32_f64_e32 v57, v[58:59]
	v_min3_f32 v126, v56, v57, v126
	v_add_f64 v[56:57], v[34:35], v[54:55]
	v_add_f64 v[58:59], v[32:33], v[52:53]
	v_cvt_f32_f64_e32 v58, v[58:59]
	v_cvt_f32_f64_e32 v56, v[56:57]
	v_min3_f32 v125, v58, v56, v125
	v_add_f64 v[56:57], v[30:31], v[54:55]
	v_add_f64 v[58:59], v[28:29], v[52:53]
	v_cvt_f32_f64_e32 v58, v[58:59]
	v_cvt_f32_f64_e32 v56, v[56:57]
	v_min3_f32 v124, v58, v56, v124
	v_add_f64 v[56:57], v[26:27], v[54:55]
	v_add_f64 v[58:59], v[24:25], v[52:53]
	v_cvt_f32_f64_e32 v58, v[58:59]
	v_cvt_f32_f64_e32 v56, v[56:57]
	v_min3_f32 v123, v58, v56, v123
	v_add_f64 v[56:57], v[18:19], v[54:55]
	v_add_f64 v[58:59], v[16:17], v[52:53]
	v_cvt_f32_f64_e32 v58, v[58:59]
	v_cvt_f32_f64_e32 v56, v[56:57]
	v_min3_f32 v122, v58, v56, v122
	v_add_f64 v[56:57], v[14:15], v[54:55]
	v_add_f64 v[58:59], v[12:13], v[52:53]
	v_cvt_f32_f64_e32 v58, v[58:59]
	v_cvt_f32_f64_e32 v56, v[56:57]
	v_min3_f32 v121, v58, v56, v121
	v_add_f64 v[56:57], v[10:11], v[54:55]
	v_add_f64 v[58:59], v[8:9], v[52:53]
	v_cvt_f32_f64_e32 v58, v[58:59]
	v_cvt_f32_f64_e32 v56, v[56:57]
	v_min3_f32 v120, v58, v56, v120
	v_add_f64 v[56:57], v[6:7], v[54:55]
	v_add_f64 v[58:59], v[4:5], v[52:53]
	v_add_f64 v[54:55], v[2:3], v[54:55]
	v_add_f64 v[52:53], v[0:1], v[52:53]
	;; [unrolled: 37-line block ×6, first 2 shown]
	v_add_f64 v[34:35], v[34:35], v[22:23]
	v_add_f64 v[32:33], v[32:33], v[20:21]
	;; [unrolled: 1-line block ×16, first 2 shown]
	v_cvt_f32_f64_e32 v66, v[152:153]
	v_cvt_f32_f64_e32 v150, v[150:151]
	;; [unrolled: 1-line block ×30, first 2 shown]
	v_min3_f32 v127, v66, v150, v127
	v_min3_f32 v119, v58, v56, v119
	;; [unrolled: 1-line block ×15, first 2 shown]
	s_mov_b32 s37, 2
	s_mov_b64 s[28:29], 0
	s_cbranch_vccz .LBB127_55
; %bb.56:                               ;   in Loop: Header=BB127_32 Depth=1
	s_add_i32 s30, s30, 8
	s_add_i32 s36, s36, 8
	s_cmp_ge_i32 s36, s31
	s_waitcnt vmcnt(0)
	ds_write_b64 v148, v[68:69]
	ds_write2st64_b64 v149, v[70:71], v[72:73] offset1:4
	ds_write2st64_b64 v149, v[74:75], v[76:77] offset0:8 offset1:12
	s_waitcnt lgkmcnt(0)
	s_barrier
	s_cbranch_scc0 .LBB127_32
.LBB127_57:
	s_mov_b32 s4, 0
	s_mov_b64 s[2:3], -1
.LBB127_58:                             ; =>This Inner Loop Header: Depth=1
	v_cndmask_b32_e64 v0, 0, 1, s[2:3]
	s_lshl_b32 s2, s4, 3
	v_cmp_ne_u32_e32 vcc, 1, v0
	v_lshl_add_u32 v0, v134, 5, s2
	v_lshl_add_u32 v20, v135, 5, s2
	ds_read_b128 v[32:35], v0 offset:18432
	ds_read_b128 v[28:31], v0 offset:18688
	;; [unrolled: 1-line block ×16, first 2 shown]
	s_waitcnt lgkmcnt(7)
	v_add_f64 v[64:65], v[34:35], v[62:63]
	v_add_f64 v[66:67], v[32:33], v[60:61]
	v_cvt_f32_f64_e32 v66, v[66:67]
	v_cvt_f32_f64_e32 v64, v[64:65]
	v_min3_f32 v143, v66, v64, v143
	v_add_f64 v[64:65], v[30:31], v[62:63]
	v_add_f64 v[66:67], v[28:29], v[60:61]
	v_cvt_f32_f64_e32 v66, v[66:67]
	v_cvt_f32_f64_e32 v64, v[64:65]
	v_min3_f32 v142, v66, v64, v142
	v_add_f64 v[64:65], v[26:27], v[62:63]
	v_add_f64 v[66:67], v[24:25], v[60:61]
	v_cvt_f32_f64_e32 v66, v[66:67]
	v_cvt_f32_f64_e32 v64, v[64:65]
	v_min3_f32 v141, v66, v64, v141
	v_add_f64 v[64:65], v[18:19], v[62:63]
	v_add_f64 v[66:67], v[16:17], v[60:61]
	v_cvt_f32_f64_e32 v66, v[66:67]
	v_cvt_f32_f64_e32 v64, v[64:65]
	v_min3_f32 v140, v66, v64, v140
	v_add_f64 v[64:65], v[14:15], v[62:63]
	v_add_f64 v[66:67], v[12:13], v[60:61]
	v_cvt_f32_f64_e32 v66, v[66:67]
	v_cvt_f32_f64_e32 v64, v[64:65]
	v_min3_f32 v139, v66, v64, v139
	v_add_f64 v[64:65], v[10:11], v[62:63]
	v_add_f64 v[66:67], v[8:9], v[60:61]
	v_cvt_f32_f64_e32 v66, v[66:67]
	v_cvt_f32_f64_e32 v64, v[64:65]
	v_min3_f32 v138, v66, v64, v138
	v_add_f64 v[64:65], v[6:7], v[62:63]
	v_add_f64 v[66:67], v[4:5], v[60:61]
	v_add_f64 v[62:63], v[2:3], v[62:63]
	v_add_f64 v[60:61], v[0:1], v[60:61]
	v_cvt_f32_f64_e32 v60, v[60:61]
	v_cvt_f32_f64_e32 v61, v[62:63]
	v_min3_f32 v136, v60, v61, v136
	s_waitcnt lgkmcnt(6)
	v_add_f64 v[60:61], v[34:35], v[58:59]
	v_add_f64 v[62:63], v[32:33], v[56:57]
	v_cvt_f32_f64_e32 v62, v[62:63]
	v_cvt_f32_f64_e32 v60, v[60:61]
	v_min3_f32 v133, v62, v60, v133
	v_add_f64 v[60:61], v[30:31], v[58:59]
	v_add_f64 v[62:63], v[28:29], v[56:57]
	v_cvt_f32_f64_e32 v62, v[62:63]
	v_cvt_f32_f64_e32 v60, v[60:61]
	v_min3_f32 v132, v62, v60, v132
	v_add_f64 v[60:61], v[26:27], v[58:59]
	v_add_f64 v[62:63], v[24:25], v[56:57]
	v_cvt_f32_f64_e32 v62, v[62:63]
	v_cvt_f32_f64_e32 v60, v[60:61]
	v_min3_f32 v131, v62, v60, v131
	v_add_f64 v[60:61], v[18:19], v[58:59]
	v_add_f64 v[62:63], v[16:17], v[56:57]
	v_cvt_f32_f64_e32 v62, v[62:63]
	v_cvt_f32_f64_e32 v60, v[60:61]
	v_min3_f32 v130, v62, v60, v130
	v_add_f64 v[60:61], v[14:15], v[58:59]
	v_add_f64 v[62:63], v[12:13], v[56:57]
	v_cvt_f32_f64_e32 v62, v[62:63]
	v_cvt_f32_f64_e32 v60, v[60:61]
	v_min3_f32 v129, v62, v60, v129
	v_add_f64 v[60:61], v[10:11], v[58:59]
	v_add_f64 v[62:63], v[8:9], v[56:57]
	v_cvt_f32_f64_e32 v62, v[62:63]
	v_cvt_f32_f64_e32 v60, v[60:61]
	v_min3_f32 v128, v62, v60, v128
	v_add_f64 v[60:61], v[6:7], v[58:59]
	v_add_f64 v[62:63], v[4:5], v[56:57]
	v_add_f64 v[58:59], v[2:3], v[58:59]
	v_add_f64 v[56:57], v[0:1], v[56:57]
	v_cvt_f32_f64_e32 v56, v[56:57]
	v_cvt_f32_f64_e32 v57, v[58:59]
	v_min3_f32 v126, v56, v57, v126
	;; [unrolled: 38-line block ×6, first 2 shown]
	s_waitcnt lgkmcnt(1)
	v_add_f64 v[40:41], v[34:35], v[38:39]
	v_add_f64 v[42:43], v[32:33], v[36:37]
	v_cvt_f32_f64_e32 v42, v[42:43]
	v_cvt_f32_f64_e32 v40, v[40:41]
	v_min3_f32 v93, v42, v40, v93
	v_add_f64 v[40:41], v[30:31], v[38:39]
	v_add_f64 v[42:43], v[28:29], v[36:37]
	v_cvt_f32_f64_e32 v42, v[42:43]
	v_cvt_f32_f64_e32 v40, v[40:41]
	v_min3_f32 v92, v42, v40, v92
	;; [unrolled: 5-line block ×6, first 2 shown]
	v_add_f64 v[40:41], v[6:7], v[38:39]
	v_add_f64 v[42:43], v[4:5], v[36:37]
	v_add_f64 v[38:39], v[2:3], v[38:39]
	v_add_f64 v[36:37], v[0:1], v[36:37]
	s_waitcnt lgkmcnt(0)
	v_add_f64 v[34:35], v[34:35], v[22:23]
	v_add_f64 v[32:33], v[32:33], v[20:21]
	;; [unrolled: 1-line block ×16, first 2 shown]
	v_cvt_f32_f64_e32 v66, v[66:67]
	v_cvt_f32_f64_e32 v64, v[64:65]
	;; [unrolled: 1-line block ×32, first 2 shown]
	v_min3_f32 v137, v66, v64, v137
	v_min3_f32 v127, v62, v60, v127
	;; [unrolled: 1-line block ×16, first 2 shown]
	s_mov_b32 s4, 2
	s_mov_b64 s[2:3], 0
	s_cbranch_vccz .LBB127_58
; %bb.59:
	s_load_dwordx2 s[2:3], s[0:1], 0x78
	s_load_dword s31, s[0:1], 0x58
	s_load_dword s30, s[0:1], 0x70
	v_add_u32_e32 v22, s33, v135
	v_add_u32_e32 v0, s27, v134
	s_waitcnt lgkmcnt(0)
	s_lshl_b64 s[0:1], s[2:3], 3
	s_add_u32 s26, s12, s0
	s_addc_u32 s27, s13, s1
	v_mad_i64_i32 v[2:3], s[0:1], v22, s31, 0
	v_lshl_add_u64 v[18:19], v[2:3], 3, s[20:21]
	v_mad_i64_i32 v[2:3], s[0:1], v22, s30, 0
	v_cmp_gt_i32_e64 s[2:3], s24, v0
	v_cmp_gt_i32_e64 s[18:19], s25, v22
	v_lshl_add_u64 v[16:17], v[2:3], 3, s[26:27]
	v_cndmask_b32_e64 v2, 0, 1, s[10:11]
	v_ashrrev_i32_e32 v1, 31, v0
	s_and_b64 s[6:7], s[2:3], s[18:19]
	v_cmp_ne_u32_e64 s[0:1], 1, v2
	s_and_saveexec_b64 s[4:5], s[6:7]
	s_cbranch_execz .LBB127_64
; %bb.60:
	s_and_b64 vcc, exec, s[0:1]
	s_cbranch_vccnz .LBB127_62
; %bb.61:
	v_lshl_add_u64 v[2:3], v[0:1], 3, v[18:19]
	flat_load_dwordx2 v[2:3], v[2:3]
	s_waitcnt vmcnt(0) lgkmcnt(0)
	v_mul_f64 v[2:3], v[2:3], s[22:23]
	s_branch .LBB127_63
.LBB127_62:
	v_mov_b64_e32 v[2:3], 0
.LBB127_63:
	v_cvt_f32_f64_e32 v2, v[2:3]
	v_max_f32_e32 v3, v143, v143
	v_min_f32_e32 v2, v2, v3
	v_cvt_f64_f32_e32 v[2:3], v2
	v_lshl_add_u64 v[4:5], v[0:1], 3, v[16:17]
	global_store_dwordx2 v[4:5], v[2:3], off
.LBB127_64:
	s_or_b64 exec, exec, s[4:5]
	v_add_u32_e32 v2, 8, v0
	v_cmp_gt_i32_e64 s[4:5], s24, v2
	v_ashrrev_i32_e32 v3, 31, v2
	s_and_b64 s[8:9], s[4:5], s[18:19]
	s_and_saveexec_b64 s[6:7], s[8:9]
	s_cbranch_execz .LBB127_69
; %bb.65:
	s_and_b64 vcc, exec, s[0:1]
	s_cbranch_vccnz .LBB127_67
; %bb.66:
	v_lshl_add_u64 v[4:5], v[2:3], 3, v[18:19]
	flat_load_dwordx2 v[4:5], v[4:5]
	s_waitcnt vmcnt(0) lgkmcnt(0)
	v_mul_f64 v[4:5], v[4:5], s[22:23]
	s_branch .LBB127_68
.LBB127_67:
	v_mov_b64_e32 v[4:5], 0
.LBB127_68:
	v_cvt_f32_f64_e32 v4, v[4:5]
	v_max_f32_e32 v5, v142, v142
	v_min_f32_e32 v4, v4, v5
	v_cvt_f64_f32_e32 v[4:5], v4
	v_lshl_add_u64 v[6:7], v[2:3], 3, v[16:17]
	global_store_dwordx2 v[6:7], v[4:5], off
.LBB127_69:
	s_or_b64 exec, exec, s[6:7]
	v_add_u32_e32 v4, 16, v0
	v_cmp_gt_i32_e64 s[6:7], s24, v4
	v_ashrrev_i32_e32 v5, 31, v4
	s_and_b64 s[10:11], s[6:7], s[18:19]
	;; [unrolled: 26-line block ×7, first 2 shown]
	s_and_saveexec_b64 s[18:19], s[28:29]
	s_cbranch_execz .LBB127_99
; %bb.95:
	s_and_b64 vcc, exec, s[0:1]
	s_cbranch_vccnz .LBB127_97
; %bb.96:
	v_lshl_add_u64 v[18:19], v[14:15], 3, v[18:19]
	flat_load_dwordx2 v[18:19], v[18:19]
	s_waitcnt vmcnt(0) lgkmcnt(0)
	v_mul_f64 v[18:19], v[18:19], s[22:23]
	s_branch .LBB127_98
.LBB127_97:
	v_mov_b64_e32 v[18:19], 0
.LBB127_98:
	v_cvt_f32_f64_e32 v18, v[18:19]
	v_max_f32_e32 v19, v136, v136
	v_min_f32_e32 v18, v18, v19
	v_cvt_f64_f32_e32 v[18:19], v18
	v_lshl_add_u64 v[16:17], v[14:15], 3, v[16:17]
	global_store_dwordx2 v[16:17], v[18:19], off
.LBB127_99:
	s_or_b64 exec, exec, s[18:19]
	v_add_u32_e32 v20, 32, v22
	v_mad_i64_i32 v[16:17], s[28:29], v20, s31, 0
	v_cmp_gt_i32_e64 s[18:19], s25, v20
	v_lshl_add_u64 v[18:19], v[16:17], 3, s[20:21]
	v_mad_i64_i32 v[16:17], s[28:29], v20, s30, 0
	v_lshl_add_u64 v[16:17], v[16:17], 3, s[26:27]
	s_and_b64 s[34:35], s[2:3], s[18:19]
	s_and_saveexec_b64 s[28:29], s[34:35]
	s_cbranch_execnz .LBB127_107
; %bb.100:
	s_or_b64 exec, exec, s[28:29]
	s_and_b64 s[34:35], s[4:5], s[18:19]
	s_and_saveexec_b64 s[28:29], s[34:35]
	s_cbranch_execnz .LBB127_111
.LBB127_101:
	s_or_b64 exec, exec, s[28:29]
	s_and_b64 s[34:35], s[6:7], s[18:19]
	s_and_saveexec_b64 s[28:29], s[34:35]
	s_cbranch_execnz .LBB127_115
.LBB127_102:
	s_or_b64 exec, exec, s[28:29]
	s_and_b64 s[34:35], s[8:9], s[18:19]
	s_and_saveexec_b64 s[28:29], s[34:35]
	s_cbranch_execnz .LBB127_119
.LBB127_103:
	s_or_b64 exec, exec, s[28:29]
	s_and_b64 s[34:35], s[10:11], s[18:19]
	s_and_saveexec_b64 s[28:29], s[34:35]
	s_cbranch_execnz .LBB127_123
.LBB127_104:
	s_or_b64 exec, exec, s[28:29]
	s_and_b64 s[34:35], s[12:13], s[18:19]
	s_and_saveexec_b64 s[28:29], s[34:35]
	s_cbranch_execnz .LBB127_127
.LBB127_105:
	s_or_b64 exec, exec, s[28:29]
	s_and_b64 s[34:35], s[14:15], s[18:19]
	s_and_saveexec_b64 s[28:29], s[34:35]
	s_cbranch_execnz .LBB127_131
.LBB127_106:
	s_or_b64 exec, exec, s[28:29]
	s_and_b64 s[28:29], s[16:17], s[18:19]
	s_and_saveexec_b64 s[18:19], s[28:29]
	s_cbranch_execnz .LBB127_135
	s_branch .LBB127_139
.LBB127_107:
	s_and_b64 vcc, exec, s[0:1]
	s_cbranch_vccnz .LBB127_109
; %bb.108:
	v_lshl_add_u64 v[20:21], v[0:1], 3, v[18:19]
	flat_load_dwordx2 v[20:21], v[20:21]
	s_waitcnt vmcnt(0) lgkmcnt(0)
	v_mul_f64 v[20:21], v[20:21], s[22:23]
	s_branch .LBB127_110
.LBB127_109:
	v_mov_b64_e32 v[20:21], 0
.LBB127_110:
	v_cvt_f32_f64_e32 v20, v[20:21]
	v_max_f32_e32 v21, v133, v133
	v_min_f32_e32 v20, v20, v21
	v_cvt_f64_f32_e32 v[20:21], v20
	v_lshl_add_u64 v[24:25], v[0:1], 3, v[16:17]
	global_store_dwordx2 v[24:25], v[20:21], off
	s_or_b64 exec, exec, s[28:29]
	s_and_b64 s[34:35], s[4:5], s[18:19]
	s_and_saveexec_b64 s[28:29], s[34:35]
	s_cbranch_execz .LBB127_101
.LBB127_111:
	s_and_b64 vcc, exec, s[0:1]
	s_cbranch_vccnz .LBB127_113
; %bb.112:
	v_lshl_add_u64 v[20:21], v[2:3], 3, v[18:19]
	flat_load_dwordx2 v[20:21], v[20:21]
	s_waitcnt vmcnt(0) lgkmcnt(0)
	v_mul_f64 v[20:21], v[20:21], s[22:23]
	s_branch .LBB127_114
.LBB127_113:
	v_mov_b64_e32 v[20:21], 0
.LBB127_114:
	v_cvt_f32_f64_e32 v20, v[20:21]
	v_max_f32_e32 v21, v132, v132
	v_min_f32_e32 v20, v20, v21
	v_cvt_f64_f32_e32 v[20:21], v20
	v_lshl_add_u64 v[24:25], v[2:3], 3, v[16:17]
	global_store_dwordx2 v[24:25], v[20:21], off
	s_or_b64 exec, exec, s[28:29]
	s_and_b64 s[34:35], s[6:7], s[18:19]
	s_and_saveexec_b64 s[28:29], s[34:35]
	s_cbranch_execz .LBB127_102
.LBB127_115:
	s_and_b64 vcc, exec, s[0:1]
	s_cbranch_vccnz .LBB127_117
; %bb.116:
	v_lshl_add_u64 v[20:21], v[4:5], 3, v[18:19]
	flat_load_dwordx2 v[20:21], v[20:21]
	s_waitcnt vmcnt(0) lgkmcnt(0)
	v_mul_f64 v[20:21], v[20:21], s[22:23]
	s_branch .LBB127_118
.LBB127_117:
	v_mov_b64_e32 v[20:21], 0
.LBB127_118:
	v_cvt_f32_f64_e32 v20, v[20:21]
	v_max_f32_e32 v21, v131, v131
	v_min_f32_e32 v20, v20, v21
	v_cvt_f64_f32_e32 v[20:21], v20
	v_lshl_add_u64 v[24:25], v[4:5], 3, v[16:17]
	global_store_dwordx2 v[24:25], v[20:21], off
	s_or_b64 exec, exec, s[28:29]
	s_and_b64 s[34:35], s[8:9], s[18:19]
	s_and_saveexec_b64 s[28:29], s[34:35]
	s_cbranch_execz .LBB127_103
.LBB127_119:
	s_and_b64 vcc, exec, s[0:1]
	s_cbranch_vccnz .LBB127_121
; %bb.120:
	v_lshl_add_u64 v[20:21], v[6:7], 3, v[18:19]
	flat_load_dwordx2 v[20:21], v[20:21]
	s_waitcnt vmcnt(0) lgkmcnt(0)
	v_mul_f64 v[20:21], v[20:21], s[22:23]
	s_branch .LBB127_122
.LBB127_121:
	v_mov_b64_e32 v[20:21], 0
.LBB127_122:
	v_cvt_f32_f64_e32 v20, v[20:21]
	v_max_f32_e32 v21, v130, v130
	v_min_f32_e32 v20, v20, v21
	v_cvt_f64_f32_e32 v[20:21], v20
	v_lshl_add_u64 v[24:25], v[6:7], 3, v[16:17]
	global_store_dwordx2 v[24:25], v[20:21], off
	s_or_b64 exec, exec, s[28:29]
	s_and_b64 s[34:35], s[10:11], s[18:19]
	s_and_saveexec_b64 s[28:29], s[34:35]
	s_cbranch_execz .LBB127_104
.LBB127_123:
	s_and_b64 vcc, exec, s[0:1]
	s_cbranch_vccnz .LBB127_125
; %bb.124:
	v_lshl_add_u64 v[20:21], v[8:9], 3, v[18:19]
	flat_load_dwordx2 v[20:21], v[20:21]
	s_waitcnt vmcnt(0) lgkmcnt(0)
	v_mul_f64 v[20:21], v[20:21], s[22:23]
	s_branch .LBB127_126
.LBB127_125:
	v_mov_b64_e32 v[20:21], 0
.LBB127_126:
	v_cvt_f32_f64_e32 v20, v[20:21]
	v_max_f32_e32 v21, v129, v129
	v_min_f32_e32 v20, v20, v21
	v_cvt_f64_f32_e32 v[20:21], v20
	v_lshl_add_u64 v[24:25], v[8:9], 3, v[16:17]
	global_store_dwordx2 v[24:25], v[20:21], off
	s_or_b64 exec, exec, s[28:29]
	s_and_b64 s[34:35], s[12:13], s[18:19]
	s_and_saveexec_b64 s[28:29], s[34:35]
	s_cbranch_execz .LBB127_105
.LBB127_127:
	s_and_b64 vcc, exec, s[0:1]
	s_cbranch_vccnz .LBB127_129
; %bb.128:
	v_lshl_add_u64 v[20:21], v[10:11], 3, v[18:19]
	flat_load_dwordx2 v[20:21], v[20:21]
	s_waitcnt vmcnt(0) lgkmcnt(0)
	v_mul_f64 v[20:21], v[20:21], s[22:23]
	s_branch .LBB127_130
.LBB127_129:
	v_mov_b64_e32 v[20:21], 0
.LBB127_130:
	v_cvt_f32_f64_e32 v20, v[20:21]
	v_max_f32_e32 v21, v128, v128
	v_min_f32_e32 v20, v20, v21
	v_cvt_f64_f32_e32 v[20:21], v20
	v_lshl_add_u64 v[24:25], v[10:11], 3, v[16:17]
	global_store_dwordx2 v[24:25], v[20:21], off
	s_or_b64 exec, exec, s[28:29]
	s_and_b64 s[34:35], s[14:15], s[18:19]
	s_and_saveexec_b64 s[28:29], s[34:35]
	s_cbranch_execz .LBB127_106
.LBB127_131:
	s_and_b64 vcc, exec, s[0:1]
	s_cbranch_vccnz .LBB127_133
; %bb.132:
	v_lshl_add_u64 v[20:21], v[12:13], 3, v[18:19]
	flat_load_dwordx2 v[20:21], v[20:21]
	s_waitcnt vmcnt(0) lgkmcnt(0)
	v_mul_f64 v[20:21], v[20:21], s[22:23]
	s_branch .LBB127_134
.LBB127_133:
	v_mov_b64_e32 v[20:21], 0
.LBB127_134:
	v_cvt_f32_f64_e32 v20, v[20:21]
	v_max_f32_e32 v21, v127, v127
	v_min_f32_e32 v20, v20, v21
	v_cvt_f64_f32_e32 v[20:21], v20
	v_lshl_add_u64 v[24:25], v[12:13], 3, v[16:17]
	global_store_dwordx2 v[24:25], v[20:21], off
	s_or_b64 exec, exec, s[28:29]
	s_and_b64 s[28:29], s[16:17], s[18:19]
	s_and_saveexec_b64 s[18:19], s[28:29]
	s_cbranch_execz .LBB127_139
.LBB127_135:
	s_and_b64 vcc, exec, s[0:1]
	s_cbranch_vccnz .LBB127_137
; %bb.136:
	v_lshl_add_u64 v[18:19], v[14:15], 3, v[18:19]
	flat_load_dwordx2 v[18:19], v[18:19]
	s_waitcnt vmcnt(0) lgkmcnt(0)
	v_mul_f64 v[18:19], v[18:19], s[22:23]
	s_branch .LBB127_138
.LBB127_137:
	v_mov_b64_e32 v[18:19], 0
.LBB127_138:
	v_cvt_f32_f64_e32 v18, v[18:19]
	v_max_f32_e32 v19, v126, v126
	v_min_f32_e32 v18, v18, v19
	v_cvt_f64_f32_e32 v[18:19], v18
	v_lshl_add_u64 v[16:17], v[14:15], 3, v[16:17]
	global_store_dwordx2 v[16:17], v[18:19], off
.LBB127_139:
	s_or_b64 exec, exec, s[18:19]
	v_add_u32_e32 v20, 64, v22
	v_mad_i64_i32 v[16:17], s[28:29], v20, s31, 0
	v_cmp_gt_i32_e64 s[18:19], s25, v20
	v_lshl_add_u64 v[18:19], v[16:17], 3, s[20:21]
	v_mad_i64_i32 v[16:17], s[28:29], v20, s30, 0
	v_lshl_add_u64 v[16:17], v[16:17], 3, s[26:27]
	s_and_b64 s[34:35], s[2:3], s[18:19]
	s_and_saveexec_b64 s[28:29], s[34:35]
	s_cbranch_execnz .LBB127_147
; %bb.140:
	s_or_b64 exec, exec, s[28:29]
	s_and_b64 s[34:35], s[4:5], s[18:19]
	s_and_saveexec_b64 s[28:29], s[34:35]
	s_cbranch_execnz .LBB127_151
.LBB127_141:
	s_or_b64 exec, exec, s[28:29]
	s_and_b64 s[34:35], s[6:7], s[18:19]
	s_and_saveexec_b64 s[28:29], s[34:35]
	s_cbranch_execnz .LBB127_155
.LBB127_142:
	s_or_b64 exec, exec, s[28:29]
	s_and_b64 s[34:35], s[8:9], s[18:19]
	s_and_saveexec_b64 s[28:29], s[34:35]
	s_cbranch_execnz .LBB127_159
.LBB127_143:
	s_or_b64 exec, exec, s[28:29]
	s_and_b64 s[34:35], s[10:11], s[18:19]
	s_and_saveexec_b64 s[28:29], s[34:35]
	s_cbranch_execnz .LBB127_163
.LBB127_144:
	s_or_b64 exec, exec, s[28:29]
	s_and_b64 s[34:35], s[12:13], s[18:19]
	s_and_saveexec_b64 s[28:29], s[34:35]
	s_cbranch_execnz .LBB127_167
.LBB127_145:
	s_or_b64 exec, exec, s[28:29]
	s_and_b64 s[34:35], s[14:15], s[18:19]
	s_and_saveexec_b64 s[28:29], s[34:35]
	s_cbranch_execnz .LBB127_171
.LBB127_146:
	s_or_b64 exec, exec, s[28:29]
	s_and_b64 s[28:29], s[16:17], s[18:19]
	s_and_saveexec_b64 s[18:19], s[28:29]
	s_cbranch_execnz .LBB127_175
	s_branch .LBB127_179
.LBB127_147:
	s_and_b64 vcc, exec, s[0:1]
	s_cbranch_vccnz .LBB127_149
; %bb.148:
	v_lshl_add_u64 v[20:21], v[0:1], 3, v[18:19]
	flat_load_dwordx2 v[20:21], v[20:21]
	s_waitcnt vmcnt(0) lgkmcnt(0)
	v_mul_f64 v[20:21], v[20:21], s[22:23]
	s_branch .LBB127_150
.LBB127_149:
	v_mov_b64_e32 v[20:21], 0
.LBB127_150:
	v_cvt_f32_f64_e32 v20, v[20:21]
	v_max_f32_e32 v21, v125, v125
	v_min_f32_e32 v20, v20, v21
	v_cvt_f64_f32_e32 v[20:21], v20
	v_lshl_add_u64 v[24:25], v[0:1], 3, v[16:17]
	global_store_dwordx2 v[24:25], v[20:21], off
	s_or_b64 exec, exec, s[28:29]
	s_and_b64 s[34:35], s[4:5], s[18:19]
	s_and_saveexec_b64 s[28:29], s[34:35]
	s_cbranch_execz .LBB127_141
.LBB127_151:
	s_and_b64 vcc, exec, s[0:1]
	s_cbranch_vccnz .LBB127_153
; %bb.152:
	v_lshl_add_u64 v[20:21], v[2:3], 3, v[18:19]
	flat_load_dwordx2 v[20:21], v[20:21]
	s_waitcnt vmcnt(0) lgkmcnt(0)
	v_mul_f64 v[20:21], v[20:21], s[22:23]
	s_branch .LBB127_154
.LBB127_153:
	v_mov_b64_e32 v[20:21], 0
.LBB127_154:
	v_cvt_f32_f64_e32 v20, v[20:21]
	v_max_f32_e32 v21, v124, v124
	v_min_f32_e32 v20, v20, v21
	v_cvt_f64_f32_e32 v[20:21], v20
	v_lshl_add_u64 v[24:25], v[2:3], 3, v[16:17]
	global_store_dwordx2 v[24:25], v[20:21], off
	s_or_b64 exec, exec, s[28:29]
	s_and_b64 s[34:35], s[6:7], s[18:19]
	s_and_saveexec_b64 s[28:29], s[34:35]
	s_cbranch_execz .LBB127_142
.LBB127_155:
	s_and_b64 vcc, exec, s[0:1]
	s_cbranch_vccnz .LBB127_157
; %bb.156:
	v_lshl_add_u64 v[20:21], v[4:5], 3, v[18:19]
	flat_load_dwordx2 v[20:21], v[20:21]
	s_waitcnt vmcnt(0) lgkmcnt(0)
	v_mul_f64 v[20:21], v[20:21], s[22:23]
	s_branch .LBB127_158
.LBB127_157:
	v_mov_b64_e32 v[20:21], 0
.LBB127_158:
	v_cvt_f32_f64_e32 v20, v[20:21]
	v_max_f32_e32 v21, v123, v123
	v_min_f32_e32 v20, v20, v21
	v_cvt_f64_f32_e32 v[20:21], v20
	v_lshl_add_u64 v[24:25], v[4:5], 3, v[16:17]
	global_store_dwordx2 v[24:25], v[20:21], off
	s_or_b64 exec, exec, s[28:29]
	s_and_b64 s[34:35], s[8:9], s[18:19]
	s_and_saveexec_b64 s[28:29], s[34:35]
	s_cbranch_execz .LBB127_143
.LBB127_159:
	s_and_b64 vcc, exec, s[0:1]
	s_cbranch_vccnz .LBB127_161
; %bb.160:
	v_lshl_add_u64 v[20:21], v[6:7], 3, v[18:19]
	flat_load_dwordx2 v[20:21], v[20:21]
	s_waitcnt vmcnt(0) lgkmcnt(0)
	v_mul_f64 v[20:21], v[20:21], s[22:23]
	s_branch .LBB127_162
.LBB127_161:
	v_mov_b64_e32 v[20:21], 0
.LBB127_162:
	v_cvt_f32_f64_e32 v20, v[20:21]
	v_max_f32_e32 v21, v122, v122
	v_min_f32_e32 v20, v20, v21
	v_cvt_f64_f32_e32 v[20:21], v20
	v_lshl_add_u64 v[24:25], v[6:7], 3, v[16:17]
	global_store_dwordx2 v[24:25], v[20:21], off
	s_or_b64 exec, exec, s[28:29]
	s_and_b64 s[34:35], s[10:11], s[18:19]
	s_and_saveexec_b64 s[28:29], s[34:35]
	s_cbranch_execz .LBB127_144
.LBB127_163:
	s_and_b64 vcc, exec, s[0:1]
	s_cbranch_vccnz .LBB127_165
; %bb.164:
	v_lshl_add_u64 v[20:21], v[8:9], 3, v[18:19]
	flat_load_dwordx2 v[20:21], v[20:21]
	s_waitcnt vmcnt(0) lgkmcnt(0)
	v_mul_f64 v[20:21], v[20:21], s[22:23]
	s_branch .LBB127_166
.LBB127_165:
	v_mov_b64_e32 v[20:21], 0
.LBB127_166:
	v_cvt_f32_f64_e32 v20, v[20:21]
	v_max_f32_e32 v21, v121, v121
	v_min_f32_e32 v20, v20, v21
	v_cvt_f64_f32_e32 v[20:21], v20
	v_lshl_add_u64 v[24:25], v[8:9], 3, v[16:17]
	global_store_dwordx2 v[24:25], v[20:21], off
	s_or_b64 exec, exec, s[28:29]
	s_and_b64 s[34:35], s[12:13], s[18:19]
	s_and_saveexec_b64 s[28:29], s[34:35]
	s_cbranch_execz .LBB127_145
.LBB127_167:
	s_and_b64 vcc, exec, s[0:1]
	s_cbranch_vccnz .LBB127_169
; %bb.168:
	v_lshl_add_u64 v[20:21], v[10:11], 3, v[18:19]
	flat_load_dwordx2 v[20:21], v[20:21]
	s_waitcnt vmcnt(0) lgkmcnt(0)
	v_mul_f64 v[20:21], v[20:21], s[22:23]
	s_branch .LBB127_170
.LBB127_169:
	v_mov_b64_e32 v[20:21], 0
.LBB127_170:
	v_cvt_f32_f64_e32 v20, v[20:21]
	v_max_f32_e32 v21, v120, v120
	v_min_f32_e32 v20, v20, v21
	v_cvt_f64_f32_e32 v[20:21], v20
	v_lshl_add_u64 v[24:25], v[10:11], 3, v[16:17]
	global_store_dwordx2 v[24:25], v[20:21], off
	s_or_b64 exec, exec, s[28:29]
	s_and_b64 s[34:35], s[14:15], s[18:19]
	s_and_saveexec_b64 s[28:29], s[34:35]
	s_cbranch_execz .LBB127_146
.LBB127_171:
	s_and_b64 vcc, exec, s[0:1]
	s_cbranch_vccnz .LBB127_173
; %bb.172:
	v_lshl_add_u64 v[20:21], v[12:13], 3, v[18:19]
	flat_load_dwordx2 v[20:21], v[20:21]
	s_waitcnt vmcnt(0) lgkmcnt(0)
	v_mul_f64 v[20:21], v[20:21], s[22:23]
	s_branch .LBB127_174
.LBB127_173:
	v_mov_b64_e32 v[20:21], 0
.LBB127_174:
	v_cvt_f32_f64_e32 v20, v[20:21]
	v_max_f32_e32 v21, v119, v119
	v_min_f32_e32 v20, v20, v21
	v_cvt_f64_f32_e32 v[20:21], v20
	v_lshl_add_u64 v[24:25], v[12:13], 3, v[16:17]
	global_store_dwordx2 v[24:25], v[20:21], off
	s_or_b64 exec, exec, s[28:29]
	s_and_b64 s[28:29], s[16:17], s[18:19]
	s_and_saveexec_b64 s[18:19], s[28:29]
	s_cbranch_execz .LBB127_179
.LBB127_175:
	s_and_b64 vcc, exec, s[0:1]
	s_cbranch_vccnz .LBB127_177
; %bb.176:
	v_lshl_add_u64 v[18:19], v[14:15], 3, v[18:19]
	flat_load_dwordx2 v[18:19], v[18:19]
	s_waitcnt vmcnt(0) lgkmcnt(0)
	v_mul_f64 v[18:19], v[18:19], s[22:23]
	s_branch .LBB127_178
.LBB127_177:
	v_mov_b64_e32 v[18:19], 0
.LBB127_178:
	v_cvt_f32_f64_e32 v18, v[18:19]
	v_max_f32_e32 v19, v118, v118
	v_min_f32_e32 v18, v18, v19
	v_cvt_f64_f32_e32 v[18:19], v18
	v_lshl_add_u64 v[16:17], v[14:15], 3, v[16:17]
	global_store_dwordx2 v[16:17], v[18:19], off
.LBB127_179:
	s_or_b64 exec, exec, s[18:19]
	v_add_u32_e32 v20, 0x60, v22
	v_mad_i64_i32 v[16:17], s[28:29], v20, s31, 0
	v_cmp_gt_i32_e64 s[18:19], s25, v20
	v_lshl_add_u64 v[18:19], v[16:17], 3, s[20:21]
	v_mad_i64_i32 v[16:17], s[28:29], v20, s30, 0
	v_lshl_add_u64 v[16:17], v[16:17], 3, s[26:27]
	s_and_b64 s[34:35], s[2:3], s[18:19]
	s_and_saveexec_b64 s[28:29], s[34:35]
	s_cbranch_execnz .LBB127_187
; %bb.180:
	s_or_b64 exec, exec, s[28:29]
	s_and_b64 s[34:35], s[4:5], s[18:19]
	s_and_saveexec_b64 s[28:29], s[34:35]
	s_cbranch_execnz .LBB127_191
.LBB127_181:
	s_or_b64 exec, exec, s[28:29]
	s_and_b64 s[34:35], s[6:7], s[18:19]
	s_and_saveexec_b64 s[28:29], s[34:35]
	s_cbranch_execnz .LBB127_195
.LBB127_182:
	s_or_b64 exec, exec, s[28:29]
	s_and_b64 s[34:35], s[8:9], s[18:19]
	s_and_saveexec_b64 s[28:29], s[34:35]
	s_cbranch_execnz .LBB127_199
.LBB127_183:
	s_or_b64 exec, exec, s[28:29]
	s_and_b64 s[34:35], s[10:11], s[18:19]
	s_and_saveexec_b64 s[28:29], s[34:35]
	s_cbranch_execnz .LBB127_203
.LBB127_184:
	s_or_b64 exec, exec, s[28:29]
	s_and_b64 s[34:35], s[12:13], s[18:19]
	s_and_saveexec_b64 s[28:29], s[34:35]
	s_cbranch_execnz .LBB127_207
.LBB127_185:
	s_or_b64 exec, exec, s[28:29]
	s_and_b64 s[34:35], s[14:15], s[18:19]
	s_and_saveexec_b64 s[28:29], s[34:35]
	s_cbranch_execnz .LBB127_211
.LBB127_186:
	s_or_b64 exec, exec, s[28:29]
	s_and_b64 s[28:29], s[16:17], s[18:19]
	s_and_saveexec_b64 s[18:19], s[28:29]
	s_cbranch_execnz .LBB127_215
	s_branch .LBB127_219
.LBB127_187:
	s_and_b64 vcc, exec, s[0:1]
	s_cbranch_vccnz .LBB127_189
; %bb.188:
	v_lshl_add_u64 v[20:21], v[0:1], 3, v[18:19]
	flat_load_dwordx2 v[20:21], v[20:21]
	s_waitcnt vmcnt(0) lgkmcnt(0)
	v_mul_f64 v[20:21], v[20:21], s[22:23]
	s_branch .LBB127_190
.LBB127_189:
	v_mov_b64_e32 v[20:21], 0
.LBB127_190:
	v_cvt_f32_f64_e32 v20, v[20:21]
	v_max_f32_e32 v21, v117, v117
	v_min_f32_e32 v20, v20, v21
	v_cvt_f64_f32_e32 v[20:21], v20
	v_lshl_add_u64 v[24:25], v[0:1], 3, v[16:17]
	global_store_dwordx2 v[24:25], v[20:21], off
	s_or_b64 exec, exec, s[28:29]
	s_and_b64 s[34:35], s[4:5], s[18:19]
	s_and_saveexec_b64 s[28:29], s[34:35]
	s_cbranch_execz .LBB127_181
.LBB127_191:
	s_and_b64 vcc, exec, s[0:1]
	s_cbranch_vccnz .LBB127_193
; %bb.192:
	v_lshl_add_u64 v[20:21], v[2:3], 3, v[18:19]
	flat_load_dwordx2 v[20:21], v[20:21]
	s_waitcnt vmcnt(0) lgkmcnt(0)
	v_mul_f64 v[20:21], v[20:21], s[22:23]
	s_branch .LBB127_194
.LBB127_193:
	v_mov_b64_e32 v[20:21], 0
.LBB127_194:
	v_cvt_f32_f64_e32 v20, v[20:21]
	v_max_f32_e32 v21, v116, v116
	v_min_f32_e32 v20, v20, v21
	v_cvt_f64_f32_e32 v[20:21], v20
	v_lshl_add_u64 v[24:25], v[2:3], 3, v[16:17]
	global_store_dwordx2 v[24:25], v[20:21], off
	s_or_b64 exec, exec, s[28:29]
	s_and_b64 s[34:35], s[6:7], s[18:19]
	s_and_saveexec_b64 s[28:29], s[34:35]
	s_cbranch_execz .LBB127_182
.LBB127_195:
	s_and_b64 vcc, exec, s[0:1]
	s_cbranch_vccnz .LBB127_197
; %bb.196:
	v_lshl_add_u64 v[20:21], v[4:5], 3, v[18:19]
	flat_load_dwordx2 v[20:21], v[20:21]
	s_waitcnt vmcnt(0) lgkmcnt(0)
	v_mul_f64 v[20:21], v[20:21], s[22:23]
	s_branch .LBB127_198
.LBB127_197:
	v_mov_b64_e32 v[20:21], 0
.LBB127_198:
	v_cvt_f32_f64_e32 v20, v[20:21]
	v_max_f32_e32 v21, v115, v115
	v_min_f32_e32 v20, v20, v21
	v_cvt_f64_f32_e32 v[20:21], v20
	v_lshl_add_u64 v[24:25], v[4:5], 3, v[16:17]
	global_store_dwordx2 v[24:25], v[20:21], off
	s_or_b64 exec, exec, s[28:29]
	s_and_b64 s[34:35], s[8:9], s[18:19]
	s_and_saveexec_b64 s[28:29], s[34:35]
	s_cbranch_execz .LBB127_183
.LBB127_199:
	s_and_b64 vcc, exec, s[0:1]
	s_cbranch_vccnz .LBB127_201
; %bb.200:
	v_lshl_add_u64 v[20:21], v[6:7], 3, v[18:19]
	flat_load_dwordx2 v[20:21], v[20:21]
	s_waitcnt vmcnt(0) lgkmcnt(0)
	v_mul_f64 v[20:21], v[20:21], s[22:23]
	s_branch .LBB127_202
.LBB127_201:
	v_mov_b64_e32 v[20:21], 0
.LBB127_202:
	v_cvt_f32_f64_e32 v20, v[20:21]
	v_max_f32_e32 v21, v114, v114
	v_min_f32_e32 v20, v20, v21
	v_cvt_f64_f32_e32 v[20:21], v20
	v_lshl_add_u64 v[24:25], v[6:7], 3, v[16:17]
	global_store_dwordx2 v[24:25], v[20:21], off
	s_or_b64 exec, exec, s[28:29]
	s_and_b64 s[34:35], s[10:11], s[18:19]
	s_and_saveexec_b64 s[28:29], s[34:35]
	s_cbranch_execz .LBB127_184
.LBB127_203:
	s_and_b64 vcc, exec, s[0:1]
	s_cbranch_vccnz .LBB127_205
; %bb.204:
	v_lshl_add_u64 v[20:21], v[8:9], 3, v[18:19]
	flat_load_dwordx2 v[20:21], v[20:21]
	s_waitcnt vmcnt(0) lgkmcnt(0)
	v_mul_f64 v[20:21], v[20:21], s[22:23]
	s_branch .LBB127_206
.LBB127_205:
	v_mov_b64_e32 v[20:21], 0
.LBB127_206:
	v_cvt_f32_f64_e32 v20, v[20:21]
	v_max_f32_e32 v21, v113, v113
	v_min_f32_e32 v20, v20, v21
	v_cvt_f64_f32_e32 v[20:21], v20
	v_lshl_add_u64 v[24:25], v[8:9], 3, v[16:17]
	global_store_dwordx2 v[24:25], v[20:21], off
	s_or_b64 exec, exec, s[28:29]
	s_and_b64 s[34:35], s[12:13], s[18:19]
	s_and_saveexec_b64 s[28:29], s[34:35]
	s_cbranch_execz .LBB127_185
.LBB127_207:
	s_and_b64 vcc, exec, s[0:1]
	s_cbranch_vccnz .LBB127_209
; %bb.208:
	v_lshl_add_u64 v[20:21], v[10:11], 3, v[18:19]
	flat_load_dwordx2 v[20:21], v[20:21]
	s_waitcnt vmcnt(0) lgkmcnt(0)
	v_mul_f64 v[20:21], v[20:21], s[22:23]
	s_branch .LBB127_210
.LBB127_209:
	v_mov_b64_e32 v[20:21], 0
.LBB127_210:
	v_cvt_f32_f64_e32 v20, v[20:21]
	v_max_f32_e32 v21, v112, v112
	v_min_f32_e32 v20, v20, v21
	v_cvt_f64_f32_e32 v[20:21], v20
	v_lshl_add_u64 v[24:25], v[10:11], 3, v[16:17]
	global_store_dwordx2 v[24:25], v[20:21], off
	s_or_b64 exec, exec, s[28:29]
	s_and_b64 s[34:35], s[14:15], s[18:19]
	s_and_saveexec_b64 s[28:29], s[34:35]
	s_cbranch_execz .LBB127_186
.LBB127_211:
	s_and_b64 vcc, exec, s[0:1]
	s_cbranch_vccnz .LBB127_213
; %bb.212:
	v_lshl_add_u64 v[20:21], v[12:13], 3, v[18:19]
	flat_load_dwordx2 v[20:21], v[20:21]
	s_waitcnt vmcnt(0) lgkmcnt(0)
	v_mul_f64 v[20:21], v[20:21], s[22:23]
	s_branch .LBB127_214
.LBB127_213:
	v_mov_b64_e32 v[20:21], 0
.LBB127_214:
	v_cvt_f32_f64_e32 v20, v[20:21]
	v_max_f32_e32 v21, v111, v111
	v_min_f32_e32 v20, v20, v21
	v_cvt_f64_f32_e32 v[20:21], v20
	v_lshl_add_u64 v[24:25], v[12:13], 3, v[16:17]
	global_store_dwordx2 v[24:25], v[20:21], off
	s_or_b64 exec, exec, s[28:29]
	s_and_b64 s[28:29], s[16:17], s[18:19]
	s_and_saveexec_b64 s[18:19], s[28:29]
	s_cbranch_execz .LBB127_219
.LBB127_215:
	s_and_b64 vcc, exec, s[0:1]
	s_cbranch_vccnz .LBB127_217
; %bb.216:
	v_lshl_add_u64 v[18:19], v[14:15], 3, v[18:19]
	flat_load_dwordx2 v[18:19], v[18:19]
	s_waitcnt vmcnt(0) lgkmcnt(0)
	v_mul_f64 v[18:19], v[18:19], s[22:23]
	s_branch .LBB127_218
.LBB127_217:
	v_mov_b64_e32 v[18:19], 0
.LBB127_218:
	v_cvt_f32_f64_e32 v18, v[18:19]
	v_max_f32_e32 v19, v110, v110
	v_min_f32_e32 v18, v18, v19
	v_cvt_f64_f32_e32 v[18:19], v18
	v_lshl_add_u64 v[16:17], v[14:15], 3, v[16:17]
	global_store_dwordx2 v[16:17], v[18:19], off
.LBB127_219:
	s_or_b64 exec, exec, s[18:19]
	v_add_u32_e32 v20, 0x80, v22
	v_mad_i64_i32 v[16:17], s[28:29], v20, s31, 0
	v_cmp_gt_i32_e64 s[18:19], s25, v20
	v_lshl_add_u64 v[18:19], v[16:17], 3, s[20:21]
	v_mad_i64_i32 v[16:17], s[28:29], v20, s30, 0
	v_lshl_add_u64 v[16:17], v[16:17], 3, s[26:27]
	s_and_b64 s[34:35], s[2:3], s[18:19]
	s_and_saveexec_b64 s[28:29], s[34:35]
	s_cbranch_execnz .LBB127_227
; %bb.220:
	s_or_b64 exec, exec, s[28:29]
	s_and_b64 s[34:35], s[4:5], s[18:19]
	s_and_saveexec_b64 s[28:29], s[34:35]
	s_cbranch_execnz .LBB127_231
.LBB127_221:
	s_or_b64 exec, exec, s[28:29]
	s_and_b64 s[34:35], s[6:7], s[18:19]
	s_and_saveexec_b64 s[28:29], s[34:35]
	s_cbranch_execnz .LBB127_235
.LBB127_222:
	s_or_b64 exec, exec, s[28:29]
	s_and_b64 s[34:35], s[8:9], s[18:19]
	s_and_saveexec_b64 s[28:29], s[34:35]
	s_cbranch_execnz .LBB127_239
.LBB127_223:
	s_or_b64 exec, exec, s[28:29]
	s_and_b64 s[34:35], s[10:11], s[18:19]
	s_and_saveexec_b64 s[28:29], s[34:35]
	s_cbranch_execnz .LBB127_243
.LBB127_224:
	s_or_b64 exec, exec, s[28:29]
	s_and_b64 s[34:35], s[12:13], s[18:19]
	s_and_saveexec_b64 s[28:29], s[34:35]
	s_cbranch_execnz .LBB127_247
.LBB127_225:
	s_or_b64 exec, exec, s[28:29]
	s_and_b64 s[34:35], s[14:15], s[18:19]
	s_and_saveexec_b64 s[28:29], s[34:35]
	s_cbranch_execnz .LBB127_251
.LBB127_226:
	s_or_b64 exec, exec, s[28:29]
	s_and_b64 s[28:29], s[16:17], s[18:19]
	s_and_saveexec_b64 s[18:19], s[28:29]
	s_cbranch_execnz .LBB127_255
	s_branch .LBB127_259
.LBB127_227:
	s_and_b64 vcc, exec, s[0:1]
	s_cbranch_vccnz .LBB127_229
; %bb.228:
	v_lshl_add_u64 v[20:21], v[0:1], 3, v[18:19]
	flat_load_dwordx2 v[20:21], v[20:21]
	s_waitcnt vmcnt(0) lgkmcnt(0)
	v_mul_f64 v[20:21], v[20:21], s[22:23]
	s_branch .LBB127_230
.LBB127_229:
	v_mov_b64_e32 v[20:21], 0
.LBB127_230:
	v_cvt_f32_f64_e32 v20, v[20:21]
	v_max_f32_e32 v21, v109, v109
	v_min_f32_e32 v20, v20, v21
	v_cvt_f64_f32_e32 v[20:21], v20
	v_lshl_add_u64 v[24:25], v[0:1], 3, v[16:17]
	global_store_dwordx2 v[24:25], v[20:21], off
	s_or_b64 exec, exec, s[28:29]
	s_and_b64 s[34:35], s[4:5], s[18:19]
	s_and_saveexec_b64 s[28:29], s[34:35]
	s_cbranch_execz .LBB127_221
.LBB127_231:
	s_and_b64 vcc, exec, s[0:1]
	s_cbranch_vccnz .LBB127_233
; %bb.232:
	v_lshl_add_u64 v[20:21], v[2:3], 3, v[18:19]
	flat_load_dwordx2 v[20:21], v[20:21]
	s_waitcnt vmcnt(0) lgkmcnt(0)
	v_mul_f64 v[20:21], v[20:21], s[22:23]
	s_branch .LBB127_234
.LBB127_233:
	v_mov_b64_e32 v[20:21], 0
.LBB127_234:
	v_cvt_f32_f64_e32 v20, v[20:21]
	v_max_f32_e32 v21, v108, v108
	v_min_f32_e32 v20, v20, v21
	v_cvt_f64_f32_e32 v[20:21], v20
	v_lshl_add_u64 v[24:25], v[2:3], 3, v[16:17]
	global_store_dwordx2 v[24:25], v[20:21], off
	s_or_b64 exec, exec, s[28:29]
	s_and_b64 s[34:35], s[6:7], s[18:19]
	s_and_saveexec_b64 s[28:29], s[34:35]
	s_cbranch_execz .LBB127_222
.LBB127_235:
	s_and_b64 vcc, exec, s[0:1]
	s_cbranch_vccnz .LBB127_237
; %bb.236:
	v_lshl_add_u64 v[20:21], v[4:5], 3, v[18:19]
	flat_load_dwordx2 v[20:21], v[20:21]
	s_waitcnt vmcnt(0) lgkmcnt(0)
	v_mul_f64 v[20:21], v[20:21], s[22:23]
	s_branch .LBB127_238
.LBB127_237:
	v_mov_b64_e32 v[20:21], 0
.LBB127_238:
	v_cvt_f32_f64_e32 v20, v[20:21]
	v_max_f32_e32 v21, v107, v107
	v_min_f32_e32 v20, v20, v21
	v_cvt_f64_f32_e32 v[20:21], v20
	v_lshl_add_u64 v[24:25], v[4:5], 3, v[16:17]
	global_store_dwordx2 v[24:25], v[20:21], off
	s_or_b64 exec, exec, s[28:29]
	s_and_b64 s[34:35], s[8:9], s[18:19]
	s_and_saveexec_b64 s[28:29], s[34:35]
	s_cbranch_execz .LBB127_223
.LBB127_239:
	s_and_b64 vcc, exec, s[0:1]
	s_cbranch_vccnz .LBB127_241
; %bb.240:
	v_lshl_add_u64 v[20:21], v[6:7], 3, v[18:19]
	flat_load_dwordx2 v[20:21], v[20:21]
	s_waitcnt vmcnt(0) lgkmcnt(0)
	v_mul_f64 v[20:21], v[20:21], s[22:23]
	s_branch .LBB127_242
.LBB127_241:
	v_mov_b64_e32 v[20:21], 0
.LBB127_242:
	v_cvt_f32_f64_e32 v20, v[20:21]
	v_max_f32_e32 v21, v106, v106
	v_min_f32_e32 v20, v20, v21
	v_cvt_f64_f32_e32 v[20:21], v20
	v_lshl_add_u64 v[24:25], v[6:7], 3, v[16:17]
	global_store_dwordx2 v[24:25], v[20:21], off
	s_or_b64 exec, exec, s[28:29]
	s_and_b64 s[34:35], s[10:11], s[18:19]
	s_and_saveexec_b64 s[28:29], s[34:35]
	s_cbranch_execz .LBB127_224
.LBB127_243:
	s_and_b64 vcc, exec, s[0:1]
	s_cbranch_vccnz .LBB127_245
; %bb.244:
	v_lshl_add_u64 v[20:21], v[8:9], 3, v[18:19]
	flat_load_dwordx2 v[20:21], v[20:21]
	s_waitcnt vmcnt(0) lgkmcnt(0)
	v_mul_f64 v[20:21], v[20:21], s[22:23]
	s_branch .LBB127_246
.LBB127_245:
	v_mov_b64_e32 v[20:21], 0
.LBB127_246:
	v_cvt_f32_f64_e32 v20, v[20:21]
	v_max_f32_e32 v21, v105, v105
	v_min_f32_e32 v20, v20, v21
	v_cvt_f64_f32_e32 v[20:21], v20
	v_lshl_add_u64 v[24:25], v[8:9], 3, v[16:17]
	global_store_dwordx2 v[24:25], v[20:21], off
	s_or_b64 exec, exec, s[28:29]
	s_and_b64 s[34:35], s[12:13], s[18:19]
	s_and_saveexec_b64 s[28:29], s[34:35]
	s_cbranch_execz .LBB127_225
.LBB127_247:
	s_and_b64 vcc, exec, s[0:1]
	s_cbranch_vccnz .LBB127_249
; %bb.248:
	v_lshl_add_u64 v[20:21], v[10:11], 3, v[18:19]
	flat_load_dwordx2 v[20:21], v[20:21]
	s_waitcnt vmcnt(0) lgkmcnt(0)
	v_mul_f64 v[20:21], v[20:21], s[22:23]
	s_branch .LBB127_250
.LBB127_249:
	v_mov_b64_e32 v[20:21], 0
.LBB127_250:
	v_cvt_f32_f64_e32 v20, v[20:21]
	v_max_f32_e32 v21, v104, v104
	v_min_f32_e32 v20, v20, v21
	v_cvt_f64_f32_e32 v[20:21], v20
	v_lshl_add_u64 v[24:25], v[10:11], 3, v[16:17]
	global_store_dwordx2 v[24:25], v[20:21], off
	s_or_b64 exec, exec, s[28:29]
	s_and_b64 s[34:35], s[14:15], s[18:19]
	s_and_saveexec_b64 s[28:29], s[34:35]
	s_cbranch_execz .LBB127_226
.LBB127_251:
	s_and_b64 vcc, exec, s[0:1]
	s_cbranch_vccnz .LBB127_253
; %bb.252:
	v_lshl_add_u64 v[20:21], v[12:13], 3, v[18:19]
	flat_load_dwordx2 v[20:21], v[20:21]
	s_waitcnt vmcnt(0) lgkmcnt(0)
	v_mul_f64 v[20:21], v[20:21], s[22:23]
	s_branch .LBB127_254
.LBB127_253:
	v_mov_b64_e32 v[20:21], 0
.LBB127_254:
	v_cvt_f32_f64_e32 v20, v[20:21]
	v_max_f32_e32 v21, v103, v103
	v_min_f32_e32 v20, v20, v21
	v_cvt_f64_f32_e32 v[20:21], v20
	v_lshl_add_u64 v[24:25], v[12:13], 3, v[16:17]
	global_store_dwordx2 v[24:25], v[20:21], off
	s_or_b64 exec, exec, s[28:29]
	s_and_b64 s[28:29], s[16:17], s[18:19]
	s_and_saveexec_b64 s[18:19], s[28:29]
	s_cbranch_execz .LBB127_259
.LBB127_255:
	s_and_b64 vcc, exec, s[0:1]
	s_cbranch_vccnz .LBB127_257
; %bb.256:
	v_lshl_add_u64 v[18:19], v[14:15], 3, v[18:19]
	flat_load_dwordx2 v[18:19], v[18:19]
	s_waitcnt vmcnt(0) lgkmcnt(0)
	v_mul_f64 v[18:19], v[18:19], s[22:23]
	s_branch .LBB127_258
.LBB127_257:
	v_mov_b64_e32 v[18:19], 0
.LBB127_258:
	v_cvt_f32_f64_e32 v18, v[18:19]
	v_max_f32_e32 v19, v102, v102
	v_min_f32_e32 v18, v18, v19
	v_cvt_f64_f32_e32 v[18:19], v18
	v_lshl_add_u64 v[16:17], v[14:15], 3, v[16:17]
	global_store_dwordx2 v[16:17], v[18:19], off
.LBB127_259:
	s_or_b64 exec, exec, s[18:19]
	v_add_u32_e32 v20, 0xa0, v22
	v_mad_i64_i32 v[16:17], s[28:29], v20, s31, 0
	v_cmp_gt_i32_e64 s[18:19], s25, v20
	v_lshl_add_u64 v[18:19], v[16:17], 3, s[20:21]
	v_mad_i64_i32 v[16:17], s[28:29], v20, s30, 0
	v_lshl_add_u64 v[16:17], v[16:17], 3, s[26:27]
	s_and_b64 s[34:35], s[2:3], s[18:19]
	s_and_saveexec_b64 s[28:29], s[34:35]
	s_cbranch_execnz .LBB127_267
; %bb.260:
	s_or_b64 exec, exec, s[28:29]
	s_and_b64 s[34:35], s[4:5], s[18:19]
	s_and_saveexec_b64 s[28:29], s[34:35]
	s_cbranch_execnz .LBB127_271
.LBB127_261:
	s_or_b64 exec, exec, s[28:29]
	s_and_b64 s[34:35], s[6:7], s[18:19]
	s_and_saveexec_b64 s[28:29], s[34:35]
	s_cbranch_execnz .LBB127_275
.LBB127_262:
	s_or_b64 exec, exec, s[28:29]
	s_and_b64 s[34:35], s[8:9], s[18:19]
	s_and_saveexec_b64 s[28:29], s[34:35]
	s_cbranch_execnz .LBB127_279
.LBB127_263:
	s_or_b64 exec, exec, s[28:29]
	s_and_b64 s[34:35], s[10:11], s[18:19]
	s_and_saveexec_b64 s[28:29], s[34:35]
	s_cbranch_execnz .LBB127_283
.LBB127_264:
	s_or_b64 exec, exec, s[28:29]
	s_and_b64 s[34:35], s[12:13], s[18:19]
	s_and_saveexec_b64 s[28:29], s[34:35]
	s_cbranch_execnz .LBB127_287
.LBB127_265:
	s_or_b64 exec, exec, s[28:29]
	s_and_b64 s[34:35], s[14:15], s[18:19]
	s_and_saveexec_b64 s[28:29], s[34:35]
	s_cbranch_execnz .LBB127_291
.LBB127_266:
	s_or_b64 exec, exec, s[28:29]
	s_and_b64 s[28:29], s[16:17], s[18:19]
	s_and_saveexec_b64 s[18:19], s[28:29]
	s_cbranch_execnz .LBB127_295
	s_branch .LBB127_299
.LBB127_267:
	s_and_b64 vcc, exec, s[0:1]
	s_cbranch_vccnz .LBB127_269
; %bb.268:
	v_lshl_add_u64 v[20:21], v[0:1], 3, v[18:19]
	flat_load_dwordx2 v[20:21], v[20:21]
	s_waitcnt vmcnt(0) lgkmcnt(0)
	v_mul_f64 v[20:21], v[20:21], s[22:23]
	s_branch .LBB127_270
.LBB127_269:
	v_mov_b64_e32 v[20:21], 0
.LBB127_270:
	v_cvt_f32_f64_e32 v20, v[20:21]
	v_max_f32_e32 v21, v101, v101
	v_min_f32_e32 v20, v20, v21
	v_cvt_f64_f32_e32 v[20:21], v20
	v_lshl_add_u64 v[24:25], v[0:1], 3, v[16:17]
	global_store_dwordx2 v[24:25], v[20:21], off
	s_or_b64 exec, exec, s[28:29]
	s_and_b64 s[34:35], s[4:5], s[18:19]
	s_and_saveexec_b64 s[28:29], s[34:35]
	s_cbranch_execz .LBB127_261
.LBB127_271:
	s_and_b64 vcc, exec, s[0:1]
	s_cbranch_vccnz .LBB127_273
; %bb.272:
	v_lshl_add_u64 v[20:21], v[2:3], 3, v[18:19]
	flat_load_dwordx2 v[20:21], v[20:21]
	s_waitcnt vmcnt(0) lgkmcnt(0)
	v_mul_f64 v[20:21], v[20:21], s[22:23]
	s_branch .LBB127_274
.LBB127_273:
	v_mov_b64_e32 v[20:21], 0
.LBB127_274:
	v_cvt_f32_f64_e32 v20, v[20:21]
	v_max_f32_e32 v21, v100, v100
	v_min_f32_e32 v20, v20, v21
	v_cvt_f64_f32_e32 v[20:21], v20
	v_lshl_add_u64 v[24:25], v[2:3], 3, v[16:17]
	global_store_dwordx2 v[24:25], v[20:21], off
	s_or_b64 exec, exec, s[28:29]
	s_and_b64 s[34:35], s[6:7], s[18:19]
	s_and_saveexec_b64 s[28:29], s[34:35]
	s_cbranch_execz .LBB127_262
.LBB127_275:
	s_and_b64 vcc, exec, s[0:1]
	s_cbranch_vccnz .LBB127_277
; %bb.276:
	v_lshl_add_u64 v[20:21], v[4:5], 3, v[18:19]
	flat_load_dwordx2 v[20:21], v[20:21]
	s_waitcnt vmcnt(0) lgkmcnt(0)
	v_mul_f64 v[20:21], v[20:21], s[22:23]
	s_branch .LBB127_278
.LBB127_277:
	v_mov_b64_e32 v[20:21], 0
.LBB127_278:
	v_cvt_f32_f64_e32 v20, v[20:21]
	v_max_f32_e32 v21, v99, v99
	v_min_f32_e32 v20, v20, v21
	v_cvt_f64_f32_e32 v[20:21], v20
	v_lshl_add_u64 v[24:25], v[4:5], 3, v[16:17]
	global_store_dwordx2 v[24:25], v[20:21], off
	s_or_b64 exec, exec, s[28:29]
	s_and_b64 s[34:35], s[8:9], s[18:19]
	s_and_saveexec_b64 s[28:29], s[34:35]
	s_cbranch_execz .LBB127_263
.LBB127_279:
	s_and_b64 vcc, exec, s[0:1]
	s_cbranch_vccnz .LBB127_281
; %bb.280:
	v_lshl_add_u64 v[20:21], v[6:7], 3, v[18:19]
	flat_load_dwordx2 v[20:21], v[20:21]
	s_waitcnt vmcnt(0) lgkmcnt(0)
	v_mul_f64 v[20:21], v[20:21], s[22:23]
	s_branch .LBB127_282
.LBB127_281:
	v_mov_b64_e32 v[20:21], 0
.LBB127_282:
	v_cvt_f32_f64_e32 v20, v[20:21]
	v_max_f32_e32 v21, v98, v98
	v_min_f32_e32 v20, v20, v21
	v_cvt_f64_f32_e32 v[20:21], v20
	v_lshl_add_u64 v[24:25], v[6:7], 3, v[16:17]
	global_store_dwordx2 v[24:25], v[20:21], off
	s_or_b64 exec, exec, s[28:29]
	s_and_b64 s[34:35], s[10:11], s[18:19]
	s_and_saveexec_b64 s[28:29], s[34:35]
	s_cbranch_execz .LBB127_264
.LBB127_283:
	s_and_b64 vcc, exec, s[0:1]
	s_cbranch_vccnz .LBB127_285
; %bb.284:
	v_lshl_add_u64 v[20:21], v[8:9], 3, v[18:19]
	flat_load_dwordx2 v[20:21], v[20:21]
	s_waitcnt vmcnt(0) lgkmcnt(0)
	v_mul_f64 v[20:21], v[20:21], s[22:23]
	s_branch .LBB127_286
.LBB127_285:
	v_mov_b64_e32 v[20:21], 0
.LBB127_286:
	v_cvt_f32_f64_e32 v20, v[20:21]
	v_max_f32_e32 v21, v97, v97
	v_min_f32_e32 v20, v20, v21
	v_cvt_f64_f32_e32 v[20:21], v20
	v_lshl_add_u64 v[24:25], v[8:9], 3, v[16:17]
	global_store_dwordx2 v[24:25], v[20:21], off
	s_or_b64 exec, exec, s[28:29]
	s_and_b64 s[34:35], s[12:13], s[18:19]
	s_and_saveexec_b64 s[28:29], s[34:35]
	s_cbranch_execz .LBB127_265
.LBB127_287:
	s_and_b64 vcc, exec, s[0:1]
	s_cbranch_vccnz .LBB127_289
; %bb.288:
	v_lshl_add_u64 v[20:21], v[10:11], 3, v[18:19]
	flat_load_dwordx2 v[20:21], v[20:21]
	s_waitcnt vmcnt(0) lgkmcnt(0)
	v_mul_f64 v[20:21], v[20:21], s[22:23]
	s_branch .LBB127_290
.LBB127_289:
	v_mov_b64_e32 v[20:21], 0
.LBB127_290:
	v_cvt_f32_f64_e32 v20, v[20:21]
	v_max_f32_e32 v21, v96, v96
	v_min_f32_e32 v20, v20, v21
	v_cvt_f64_f32_e32 v[20:21], v20
	v_lshl_add_u64 v[24:25], v[10:11], 3, v[16:17]
	global_store_dwordx2 v[24:25], v[20:21], off
	s_or_b64 exec, exec, s[28:29]
	s_and_b64 s[34:35], s[14:15], s[18:19]
	s_and_saveexec_b64 s[28:29], s[34:35]
	s_cbranch_execz .LBB127_266
.LBB127_291:
	s_and_b64 vcc, exec, s[0:1]
	s_cbranch_vccnz .LBB127_293
; %bb.292:
	v_lshl_add_u64 v[20:21], v[12:13], 3, v[18:19]
	flat_load_dwordx2 v[20:21], v[20:21]
	s_waitcnt vmcnt(0) lgkmcnt(0)
	v_mul_f64 v[20:21], v[20:21], s[22:23]
	s_branch .LBB127_294
.LBB127_293:
	v_mov_b64_e32 v[20:21], 0
.LBB127_294:
	v_cvt_f32_f64_e32 v20, v[20:21]
	v_max_f32_e32 v21, v95, v95
	v_min_f32_e32 v20, v20, v21
	v_cvt_f64_f32_e32 v[20:21], v20
	v_lshl_add_u64 v[24:25], v[12:13], 3, v[16:17]
	global_store_dwordx2 v[24:25], v[20:21], off
	s_or_b64 exec, exec, s[28:29]
	s_and_b64 s[28:29], s[16:17], s[18:19]
	s_and_saveexec_b64 s[18:19], s[28:29]
	s_cbranch_execz .LBB127_299
.LBB127_295:
	s_and_b64 vcc, exec, s[0:1]
	s_cbranch_vccnz .LBB127_297
; %bb.296:
	v_lshl_add_u64 v[18:19], v[14:15], 3, v[18:19]
	flat_load_dwordx2 v[18:19], v[18:19]
	s_waitcnt vmcnt(0) lgkmcnt(0)
	v_mul_f64 v[18:19], v[18:19], s[22:23]
	s_branch .LBB127_298
.LBB127_297:
	v_mov_b64_e32 v[18:19], 0
.LBB127_298:
	v_cvt_f32_f64_e32 v18, v[18:19]
	v_max_f32_e32 v19, v94, v94
	v_min_f32_e32 v18, v18, v19
	v_cvt_f64_f32_e32 v[18:19], v18
	v_lshl_add_u64 v[16:17], v[14:15], 3, v[16:17]
	global_store_dwordx2 v[16:17], v[18:19], off
.LBB127_299:
	s_or_b64 exec, exec, s[18:19]
	v_add_u32_e32 v20, 0xc0, v22
	v_mad_i64_i32 v[16:17], s[28:29], v20, s31, 0
	v_cmp_gt_i32_e64 s[18:19], s25, v20
	v_lshl_add_u64 v[18:19], v[16:17], 3, s[20:21]
	v_mad_i64_i32 v[16:17], s[28:29], v20, s30, 0
	v_lshl_add_u64 v[16:17], v[16:17], 3, s[26:27]
	s_and_b64 s[34:35], s[2:3], s[18:19]
	s_and_saveexec_b64 s[28:29], s[34:35]
	s_cbranch_execnz .LBB127_307
; %bb.300:
	s_or_b64 exec, exec, s[28:29]
	s_and_b64 s[34:35], s[4:5], s[18:19]
	s_and_saveexec_b64 s[28:29], s[34:35]
	s_cbranch_execnz .LBB127_311
.LBB127_301:
	s_or_b64 exec, exec, s[28:29]
	s_and_b64 s[34:35], s[6:7], s[18:19]
	s_and_saveexec_b64 s[28:29], s[34:35]
	s_cbranch_execnz .LBB127_315
.LBB127_302:
	s_or_b64 exec, exec, s[28:29]
	s_and_b64 s[34:35], s[8:9], s[18:19]
	s_and_saveexec_b64 s[28:29], s[34:35]
	s_cbranch_execnz .LBB127_319
.LBB127_303:
	s_or_b64 exec, exec, s[28:29]
	s_and_b64 s[34:35], s[10:11], s[18:19]
	s_and_saveexec_b64 s[28:29], s[34:35]
	s_cbranch_execnz .LBB127_323
.LBB127_304:
	s_or_b64 exec, exec, s[28:29]
	s_and_b64 s[34:35], s[12:13], s[18:19]
	s_and_saveexec_b64 s[28:29], s[34:35]
	s_cbranch_execnz .LBB127_327
.LBB127_305:
	s_or_b64 exec, exec, s[28:29]
	s_and_b64 s[34:35], s[14:15], s[18:19]
	s_and_saveexec_b64 s[28:29], s[34:35]
	s_cbranch_execnz .LBB127_331
.LBB127_306:
	s_or_b64 exec, exec, s[28:29]
	s_and_b64 s[28:29], s[16:17], s[18:19]
	s_and_saveexec_b64 s[18:19], s[28:29]
	s_cbranch_execnz .LBB127_335
	s_branch .LBB127_339
.LBB127_307:
	s_and_b64 vcc, exec, s[0:1]
	s_cbranch_vccnz .LBB127_309
; %bb.308:
	v_lshl_add_u64 v[20:21], v[0:1], 3, v[18:19]
	flat_load_dwordx2 v[20:21], v[20:21]
	s_waitcnt vmcnt(0) lgkmcnt(0)
	v_mul_f64 v[20:21], v[20:21], s[22:23]
	s_branch .LBB127_310
.LBB127_309:
	v_mov_b64_e32 v[20:21], 0
.LBB127_310:
	v_cvt_f32_f64_e32 v20, v[20:21]
	v_max_f32_e32 v21, v93, v93
	v_min_f32_e32 v20, v20, v21
	v_cvt_f64_f32_e32 v[20:21], v20
	v_lshl_add_u64 v[24:25], v[0:1], 3, v[16:17]
	global_store_dwordx2 v[24:25], v[20:21], off
	s_or_b64 exec, exec, s[28:29]
	s_and_b64 s[34:35], s[4:5], s[18:19]
	s_and_saveexec_b64 s[28:29], s[34:35]
	s_cbranch_execz .LBB127_301
.LBB127_311:
	s_and_b64 vcc, exec, s[0:1]
	s_cbranch_vccnz .LBB127_313
; %bb.312:
	v_lshl_add_u64 v[20:21], v[2:3], 3, v[18:19]
	flat_load_dwordx2 v[20:21], v[20:21]
	s_waitcnt vmcnt(0) lgkmcnt(0)
	v_mul_f64 v[20:21], v[20:21], s[22:23]
	s_branch .LBB127_314
.LBB127_313:
	v_mov_b64_e32 v[20:21], 0
.LBB127_314:
	v_cvt_f32_f64_e32 v20, v[20:21]
	v_max_f32_e32 v21, v92, v92
	v_min_f32_e32 v20, v20, v21
	v_cvt_f64_f32_e32 v[20:21], v20
	v_lshl_add_u64 v[24:25], v[2:3], 3, v[16:17]
	global_store_dwordx2 v[24:25], v[20:21], off
	s_or_b64 exec, exec, s[28:29]
	s_and_b64 s[34:35], s[6:7], s[18:19]
	s_and_saveexec_b64 s[28:29], s[34:35]
	s_cbranch_execz .LBB127_302
.LBB127_315:
	s_and_b64 vcc, exec, s[0:1]
	s_cbranch_vccnz .LBB127_317
; %bb.316:
	v_lshl_add_u64 v[20:21], v[4:5], 3, v[18:19]
	flat_load_dwordx2 v[20:21], v[20:21]
	s_waitcnt vmcnt(0) lgkmcnt(0)
	v_mul_f64 v[20:21], v[20:21], s[22:23]
	s_branch .LBB127_318
.LBB127_317:
	v_mov_b64_e32 v[20:21], 0
.LBB127_318:
	v_cvt_f32_f64_e32 v20, v[20:21]
	v_max_f32_e32 v21, v91, v91
	v_min_f32_e32 v20, v20, v21
	v_cvt_f64_f32_e32 v[20:21], v20
	v_lshl_add_u64 v[24:25], v[4:5], 3, v[16:17]
	global_store_dwordx2 v[24:25], v[20:21], off
	s_or_b64 exec, exec, s[28:29]
	s_and_b64 s[34:35], s[8:9], s[18:19]
	s_and_saveexec_b64 s[28:29], s[34:35]
	s_cbranch_execz .LBB127_303
.LBB127_319:
	s_and_b64 vcc, exec, s[0:1]
	s_cbranch_vccnz .LBB127_321
; %bb.320:
	v_lshl_add_u64 v[20:21], v[6:7], 3, v[18:19]
	flat_load_dwordx2 v[20:21], v[20:21]
	s_waitcnt vmcnt(0) lgkmcnt(0)
	v_mul_f64 v[20:21], v[20:21], s[22:23]
	s_branch .LBB127_322
.LBB127_321:
	v_mov_b64_e32 v[20:21], 0
.LBB127_322:
	v_cvt_f32_f64_e32 v20, v[20:21]
	v_max_f32_e32 v21, v90, v90
	v_min_f32_e32 v20, v20, v21
	v_cvt_f64_f32_e32 v[20:21], v20
	v_lshl_add_u64 v[24:25], v[6:7], 3, v[16:17]
	global_store_dwordx2 v[24:25], v[20:21], off
	s_or_b64 exec, exec, s[28:29]
	s_and_b64 s[34:35], s[10:11], s[18:19]
	s_and_saveexec_b64 s[28:29], s[34:35]
	s_cbranch_execz .LBB127_304
.LBB127_323:
	s_and_b64 vcc, exec, s[0:1]
	s_cbranch_vccnz .LBB127_325
; %bb.324:
	v_lshl_add_u64 v[20:21], v[8:9], 3, v[18:19]
	flat_load_dwordx2 v[20:21], v[20:21]
	s_waitcnt vmcnt(0) lgkmcnt(0)
	v_mul_f64 v[20:21], v[20:21], s[22:23]
	s_branch .LBB127_326
.LBB127_325:
	v_mov_b64_e32 v[20:21], 0
.LBB127_326:
	v_cvt_f32_f64_e32 v20, v[20:21]
	v_max_f32_e32 v21, v89, v89
	v_min_f32_e32 v20, v20, v21
	v_cvt_f64_f32_e32 v[20:21], v20
	v_lshl_add_u64 v[24:25], v[8:9], 3, v[16:17]
	global_store_dwordx2 v[24:25], v[20:21], off
	s_or_b64 exec, exec, s[28:29]
	s_and_b64 s[34:35], s[12:13], s[18:19]
	s_and_saveexec_b64 s[28:29], s[34:35]
	s_cbranch_execz .LBB127_305
.LBB127_327:
	s_and_b64 vcc, exec, s[0:1]
	s_cbranch_vccnz .LBB127_329
; %bb.328:
	v_lshl_add_u64 v[20:21], v[10:11], 3, v[18:19]
	flat_load_dwordx2 v[20:21], v[20:21]
	s_waitcnt vmcnt(0) lgkmcnt(0)
	v_mul_f64 v[20:21], v[20:21], s[22:23]
	s_branch .LBB127_330
.LBB127_329:
	v_mov_b64_e32 v[20:21], 0
.LBB127_330:
	v_cvt_f32_f64_e32 v20, v[20:21]
	v_max_f32_e32 v21, v88, v88
	v_min_f32_e32 v20, v20, v21
	v_cvt_f64_f32_e32 v[20:21], v20
	v_lshl_add_u64 v[24:25], v[10:11], 3, v[16:17]
	global_store_dwordx2 v[24:25], v[20:21], off
	s_or_b64 exec, exec, s[28:29]
	s_and_b64 s[34:35], s[14:15], s[18:19]
	s_and_saveexec_b64 s[28:29], s[34:35]
	s_cbranch_execz .LBB127_306
.LBB127_331:
	s_and_b64 vcc, exec, s[0:1]
	s_cbranch_vccnz .LBB127_333
; %bb.332:
	v_lshl_add_u64 v[20:21], v[12:13], 3, v[18:19]
	flat_load_dwordx2 v[20:21], v[20:21]
	s_waitcnt vmcnt(0) lgkmcnt(0)
	v_mul_f64 v[20:21], v[20:21], s[22:23]
	s_branch .LBB127_334
.LBB127_333:
	v_mov_b64_e32 v[20:21], 0
.LBB127_334:
	v_cvt_f32_f64_e32 v20, v[20:21]
	v_max_f32_e32 v21, v87, v87
	v_min_f32_e32 v20, v20, v21
	v_cvt_f64_f32_e32 v[20:21], v20
	v_lshl_add_u64 v[24:25], v[12:13], 3, v[16:17]
	global_store_dwordx2 v[24:25], v[20:21], off
	s_or_b64 exec, exec, s[28:29]
	s_and_b64 s[28:29], s[16:17], s[18:19]
	s_and_saveexec_b64 s[18:19], s[28:29]
	s_cbranch_execz .LBB127_339
.LBB127_335:
	s_and_b64 vcc, exec, s[0:1]
	s_cbranch_vccnz .LBB127_337
; %bb.336:
	v_lshl_add_u64 v[18:19], v[14:15], 3, v[18:19]
	flat_load_dwordx2 v[18:19], v[18:19]
	s_waitcnt vmcnt(0) lgkmcnt(0)
	v_mul_f64 v[18:19], v[18:19], s[22:23]
	s_branch .LBB127_338
.LBB127_337:
	v_mov_b64_e32 v[18:19], 0
.LBB127_338:
	v_cvt_f32_f64_e32 v18, v[18:19]
	v_max_f32_e32 v19, v86, v86
	v_min_f32_e32 v18, v18, v19
	v_cvt_f64_f32_e32 v[18:19], v18
	v_lshl_add_u64 v[16:17], v[14:15], 3, v[16:17]
	global_store_dwordx2 v[16:17], v[18:19], off
.LBB127_339:
	s_or_b64 exec, exec, s[18:19]
	v_add_u32_e32 v20, 0xe0, v22
	v_cmp_gt_i32_e64 s[18:19], s25, v20
	v_mad_i64_i32 v[16:17], s[24:25], v20, s31, 0
	v_lshl_add_u64 v[18:19], v[16:17], 3, s[20:21]
	v_mad_i64_i32 v[16:17], s[20:21], v20, s30, 0
	v_lshl_add_u64 v[16:17], v[16:17], 3, s[26:27]
	s_and_b64 s[20:21], s[2:3], s[18:19]
	s_and_saveexec_b64 s[2:3], s[20:21]
	s_cbranch_execnz .LBB127_348
; %bb.340:
	s_or_b64 exec, exec, s[2:3]
	s_and_b64 s[4:5], s[4:5], s[18:19]
	s_and_saveexec_b64 s[2:3], s[4:5]
	s_cbranch_execnz .LBB127_352
.LBB127_341:
	s_or_b64 exec, exec, s[2:3]
	s_and_b64 s[4:5], s[6:7], s[18:19]
	s_and_saveexec_b64 s[2:3], s[4:5]
	s_cbranch_execnz .LBB127_356
.LBB127_342:
	s_or_b64 exec, exec, s[2:3]
	s_and_b64 s[4:5], s[8:9], s[18:19]
	s_and_saveexec_b64 s[2:3], s[4:5]
	s_cbranch_execnz .LBB127_360
.LBB127_343:
	s_or_b64 exec, exec, s[2:3]
	s_and_b64 s[4:5], s[10:11], s[18:19]
	s_and_saveexec_b64 s[2:3], s[4:5]
	s_cbranch_execnz .LBB127_364
.LBB127_344:
	s_or_b64 exec, exec, s[2:3]
	s_and_b64 s[4:5], s[12:13], s[18:19]
	s_and_saveexec_b64 s[2:3], s[4:5]
	s_cbranch_execnz .LBB127_368
.LBB127_345:
	s_or_b64 exec, exec, s[2:3]
	s_and_b64 s[4:5], s[14:15], s[18:19]
	s_and_saveexec_b64 s[2:3], s[4:5]
	s_cbranch_execnz .LBB127_372
.LBB127_346:
	s_or_b64 exec, exec, s[2:3]
	s_and_b64 s[2:3], s[16:17], s[18:19]
	s_and_saveexec_b64 s[4:5], s[2:3]
	s_cbranch_execnz .LBB127_376
.LBB127_347:
	s_endpgm
.LBB127_348:
	s_and_b64 vcc, exec, s[0:1]
	s_cbranch_vccnz .LBB127_350
; %bb.349:
	v_lshl_add_u64 v[20:21], v[0:1], 3, v[18:19]
	flat_load_dwordx2 v[20:21], v[20:21]
	s_waitcnt vmcnt(0) lgkmcnt(0)
	v_mul_f64 v[20:21], v[20:21], s[22:23]
	v_cvt_f32_f64_e32 v20, v[20:21]
	s_branch .LBB127_351
.LBB127_350:
	v_mov_b32_e32 v20, 0
.LBB127_351:
	v_max_f32_e32 v21, v85, v85
	v_max_f32_e32 v20, v20, v20
	v_min_f32_e32 v20, v20, v21
	v_cvt_f64_f32_e32 v[20:21], v20
	v_lshl_add_u64 v[0:1], v[0:1], 3, v[16:17]
	global_store_dwordx2 v[0:1], v[20:21], off
	s_or_b64 exec, exec, s[2:3]
	s_and_b64 s[4:5], s[4:5], s[18:19]
	s_and_saveexec_b64 s[2:3], s[4:5]
	s_cbranch_execz .LBB127_341
.LBB127_352:
	s_and_b64 vcc, exec, s[0:1]
	s_cbranch_vccnz .LBB127_354
; %bb.353:
	v_lshl_add_u64 v[0:1], v[2:3], 3, v[18:19]
	flat_load_dwordx2 v[0:1], v[0:1]
	s_waitcnt vmcnt(0) lgkmcnt(0)
	v_mul_f64 v[0:1], v[0:1], s[22:23]
	v_cvt_f32_f64_e32 v0, v[0:1]
	s_branch .LBB127_355
.LBB127_354:
	v_mov_b32_e32 v0, 0
.LBB127_355:
	v_max_f32_e32 v1, v84, v84
	v_max_f32_e32 v0, v0, v0
	v_min_f32_e32 v0, v0, v1
	v_cvt_f64_f32_e32 v[0:1], v0
	v_lshl_add_u64 v[2:3], v[2:3], 3, v[16:17]
	global_store_dwordx2 v[2:3], v[0:1], off
	s_or_b64 exec, exec, s[2:3]
	s_and_b64 s[4:5], s[6:7], s[18:19]
	s_and_saveexec_b64 s[2:3], s[4:5]
	s_cbranch_execz .LBB127_342
.LBB127_356:
	s_and_b64 vcc, exec, s[0:1]
	s_cbranch_vccnz .LBB127_358
; %bb.357:
	v_lshl_add_u64 v[0:1], v[4:5], 3, v[18:19]
	flat_load_dwordx2 v[0:1], v[0:1]
	s_waitcnt vmcnt(0) lgkmcnt(0)
	v_mul_f64 v[0:1], v[0:1], s[22:23]
	v_cvt_f32_f64_e32 v0, v[0:1]
	s_branch .LBB127_359
.LBB127_358:
	v_mov_b32_e32 v0, 0
.LBB127_359:
	v_max_f32_e32 v1, v83, v83
	v_max_f32_e32 v0, v0, v0
	v_min_f32_e32 v0, v0, v1
	v_cvt_f64_f32_e32 v[0:1], v0
	v_lshl_add_u64 v[2:3], v[4:5], 3, v[16:17]
	global_store_dwordx2 v[2:3], v[0:1], off
	s_or_b64 exec, exec, s[2:3]
	s_and_b64 s[4:5], s[8:9], s[18:19]
	s_and_saveexec_b64 s[2:3], s[4:5]
	s_cbranch_execz .LBB127_343
.LBB127_360:
	s_and_b64 vcc, exec, s[0:1]
	s_cbranch_vccnz .LBB127_362
; %bb.361:
	v_lshl_add_u64 v[0:1], v[6:7], 3, v[18:19]
	flat_load_dwordx2 v[0:1], v[0:1]
	s_waitcnt vmcnt(0) lgkmcnt(0)
	v_mul_f64 v[0:1], v[0:1], s[22:23]
	v_cvt_f32_f64_e32 v0, v[0:1]
	s_branch .LBB127_363
.LBB127_362:
	v_mov_b32_e32 v0, 0
.LBB127_363:
	v_max_f32_e32 v1, v82, v82
	v_max_f32_e32 v0, v0, v0
	v_min_f32_e32 v0, v0, v1
	v_cvt_f64_f32_e32 v[0:1], v0
	v_lshl_add_u64 v[2:3], v[6:7], 3, v[16:17]
	global_store_dwordx2 v[2:3], v[0:1], off
	s_or_b64 exec, exec, s[2:3]
	s_and_b64 s[4:5], s[10:11], s[18:19]
	s_and_saveexec_b64 s[2:3], s[4:5]
	s_cbranch_execz .LBB127_344
.LBB127_364:
	s_and_b64 vcc, exec, s[0:1]
	s_cbranch_vccnz .LBB127_366
; %bb.365:
	v_lshl_add_u64 v[0:1], v[8:9], 3, v[18:19]
	flat_load_dwordx2 v[0:1], v[0:1]
	s_waitcnt vmcnt(0) lgkmcnt(0)
	v_mul_f64 v[0:1], v[0:1], s[22:23]
	v_cvt_f32_f64_e32 v0, v[0:1]
	s_branch .LBB127_367
.LBB127_366:
	v_mov_b32_e32 v0, 0
.LBB127_367:
	v_max_f32_e32 v1, v81, v81
	v_max_f32_e32 v0, v0, v0
	v_min_f32_e32 v0, v0, v1
	v_cvt_f64_f32_e32 v[0:1], v0
	v_lshl_add_u64 v[2:3], v[8:9], 3, v[16:17]
	global_store_dwordx2 v[2:3], v[0:1], off
	s_or_b64 exec, exec, s[2:3]
	s_and_b64 s[4:5], s[12:13], s[18:19]
	s_and_saveexec_b64 s[2:3], s[4:5]
	s_cbranch_execz .LBB127_345
.LBB127_368:
	s_and_b64 vcc, exec, s[0:1]
	s_cbranch_vccnz .LBB127_370
; %bb.369:
	v_lshl_add_u64 v[0:1], v[10:11], 3, v[18:19]
	flat_load_dwordx2 v[0:1], v[0:1]
	s_waitcnt vmcnt(0) lgkmcnt(0)
	v_mul_f64 v[0:1], v[0:1], s[22:23]
	v_cvt_f32_f64_e32 v0, v[0:1]
	s_branch .LBB127_371
.LBB127_370:
	v_mov_b32_e32 v0, 0
.LBB127_371:
	v_max_f32_e32 v1, v80, v80
	v_max_f32_e32 v0, v0, v0
	v_min_f32_e32 v0, v0, v1
	v_cvt_f64_f32_e32 v[0:1], v0
	v_lshl_add_u64 v[2:3], v[10:11], 3, v[16:17]
	global_store_dwordx2 v[2:3], v[0:1], off
	s_or_b64 exec, exec, s[2:3]
	s_and_b64 s[4:5], s[14:15], s[18:19]
	s_and_saveexec_b64 s[2:3], s[4:5]
	s_cbranch_execz .LBB127_346
.LBB127_372:
	s_and_b64 vcc, exec, s[0:1]
	s_cbranch_vccnz .LBB127_374
; %bb.373:
	v_lshl_add_u64 v[0:1], v[12:13], 3, v[18:19]
	flat_load_dwordx2 v[0:1], v[0:1]
	s_waitcnt vmcnt(0) lgkmcnt(0)
	v_mul_f64 v[0:1], v[0:1], s[22:23]
	v_cvt_f32_f64_e32 v0, v[0:1]
	s_branch .LBB127_375
.LBB127_374:
	v_mov_b32_e32 v0, 0
.LBB127_375:
	v_max_f32_e32 v1, v79, v79
	v_max_f32_e32 v0, v0, v0
	v_min_f32_e32 v0, v0, v1
	v_cvt_f64_f32_e32 v[0:1], v0
	v_lshl_add_u64 v[2:3], v[12:13], 3, v[16:17]
	global_store_dwordx2 v[2:3], v[0:1], off
	s_or_b64 exec, exec, s[2:3]
	s_and_b64 s[2:3], s[16:17], s[18:19]
	s_and_saveexec_b64 s[4:5], s[2:3]
	s_cbranch_execz .LBB127_347
.LBB127_376:
	s_and_b64 vcc, exec, s[0:1]
	s_cbranch_vccnz .LBB127_378
; %bb.377:
	v_lshl_add_u64 v[0:1], v[14:15], 3, v[18:19]
	flat_load_dwordx2 v[0:1], v[0:1]
	s_waitcnt vmcnt(0) lgkmcnt(0)
	v_mul_f64 v[0:1], v[0:1], s[22:23]
	v_cvt_f32_f64_e32 v0, v[0:1]
	s_branch .LBB127_379
.LBB127_378:
	v_mov_b32_e32 v0, 0
.LBB127_379:
	v_max_f32_e32 v1, v78, v78
	v_max_f32_e32 v0, v0, v0
	v_min_f32_e32 v0, v0, v1
	v_cvt_f64_f32_e32 v[0:1], v0
	v_lshl_add_u64 v[2:3], v[14:15], 3, v[16:17]
	global_store_dwordx2 v[2:3], v[0:1], off
	s_endpgm
	.section	.rodata,"a",@progbits
	.p2align	6, 0x0
	.amdhsa_kernel _ZN12_GLOBAL__N_120geam_min_plus_kernelId15HIP_vector_typeIdLj2EEdLi8ELi32ELi64ELi256ELi4ELi4ELi64ELi64ELi4ELc84ELc84ELb1ELb1ELb1EdKPKdKPdEEviiiT16_PT17_ilSA_ilS8_SA_ilPT18_ili26rocblas_geam_ex_operation_
		.amdhsa_group_segment_fixed_size 20480
		.amdhsa_private_segment_fixed_size 0
		.amdhsa_kernarg_size 136
		.amdhsa_user_sgpr_count 2
		.amdhsa_user_sgpr_dispatch_ptr 0
		.amdhsa_user_sgpr_queue_ptr 0
		.amdhsa_user_sgpr_kernarg_segment_ptr 1
		.amdhsa_user_sgpr_dispatch_id 0
		.amdhsa_user_sgpr_kernarg_preload_length 0
		.amdhsa_user_sgpr_kernarg_preload_offset 0
		.amdhsa_user_sgpr_private_segment_size 0
		.amdhsa_uses_dynamic_stack 0
		.amdhsa_enable_private_segment 0
		.amdhsa_system_sgpr_workgroup_id_x 1
		.amdhsa_system_sgpr_workgroup_id_y 0
		.amdhsa_system_sgpr_workgroup_id_z 1
		.amdhsa_system_sgpr_workgroup_info 0
		.amdhsa_system_vgpr_workitem_id 1
		.amdhsa_next_free_vgpr 158
		.amdhsa_next_free_sgpr 40
		.amdhsa_accum_offset 160
		.amdhsa_reserve_vcc 1
		.amdhsa_float_round_mode_32 0
		.amdhsa_float_round_mode_16_64 0
		.amdhsa_float_denorm_mode_32 3
		.amdhsa_float_denorm_mode_16_64 3
		.amdhsa_dx10_clamp 1
		.amdhsa_ieee_mode 1
		.amdhsa_fp16_overflow 0
		.amdhsa_tg_split 0
		.amdhsa_exception_fp_ieee_invalid_op 0
		.amdhsa_exception_fp_denorm_src 0
		.amdhsa_exception_fp_ieee_div_zero 0
		.amdhsa_exception_fp_ieee_overflow 0
		.amdhsa_exception_fp_ieee_underflow 0
		.amdhsa_exception_fp_ieee_inexact 0
		.amdhsa_exception_int_div_zero 0
	.end_amdhsa_kernel
	.section	.text._ZN12_GLOBAL__N_120geam_min_plus_kernelId15HIP_vector_typeIdLj2EEdLi8ELi32ELi64ELi256ELi4ELi4ELi64ELi64ELi4ELc84ELc84ELb1ELb1ELb1EdKPKdKPdEEviiiT16_PT17_ilSA_ilS8_SA_ilPT18_ili26rocblas_geam_ex_operation_,"axG",@progbits,_ZN12_GLOBAL__N_120geam_min_plus_kernelId15HIP_vector_typeIdLj2EEdLi8ELi32ELi64ELi256ELi4ELi4ELi64ELi64ELi4ELc84ELc84ELb1ELb1ELb1EdKPKdKPdEEviiiT16_PT17_ilSA_ilS8_SA_ilPT18_ili26rocblas_geam_ex_operation_,comdat
.Lfunc_end127:
	.size	_ZN12_GLOBAL__N_120geam_min_plus_kernelId15HIP_vector_typeIdLj2EEdLi8ELi32ELi64ELi256ELi4ELi4ELi64ELi64ELi4ELc84ELc84ELb1ELb1ELb1EdKPKdKPdEEviiiT16_PT17_ilSA_ilS8_SA_ilPT18_ili26rocblas_geam_ex_operation_, .Lfunc_end127-_ZN12_GLOBAL__N_120geam_min_plus_kernelId15HIP_vector_typeIdLj2EEdLi8ELi32ELi64ELi256ELi4ELi4ELi64ELi64ELi4ELc84ELc84ELb1ELb1ELb1EdKPKdKPdEEviiiT16_PT17_ilSA_ilS8_SA_ilPT18_ili26rocblas_geam_ex_operation_
                                        ; -- End function
	.section	.AMDGPU.csdata,"",@progbits
; Kernel info:
; codeLenInByte = 18592
; NumSgprs: 46
; NumVgprs: 158
; NumAgprs: 0
; TotalNumVgprs: 158
; ScratchSize: 0
; MemoryBound: 0
; FloatMode: 240
; IeeeMode: 1
; LDSByteSize: 20480 bytes/workgroup (compile time only)
; SGPRBlocks: 5
; VGPRBlocks: 19
; NumSGPRsForWavesPerEU: 46
; NumVGPRsForWavesPerEU: 158
; AccumOffset: 160
; Occupancy: 3
; WaveLimiterHint : 1
; COMPUTE_PGM_RSRC2:SCRATCH_EN: 0
; COMPUTE_PGM_RSRC2:USER_SGPR: 2
; COMPUTE_PGM_RSRC2:TRAP_HANDLER: 0
; COMPUTE_PGM_RSRC2:TGID_X_EN: 1
; COMPUTE_PGM_RSRC2:TGID_Y_EN: 0
; COMPUTE_PGM_RSRC2:TGID_Z_EN: 1
; COMPUTE_PGM_RSRC2:TIDIG_COMP_CNT: 1
; COMPUTE_PGM_RSRC3_GFX90A:ACCUM_OFFSET: 39
; COMPUTE_PGM_RSRC3_GFX90A:TG_SPLIT: 0
	.section	.text._ZN12_GLOBAL__N_120geam_min_plus_kernelId15HIP_vector_typeIdLj2EEdLi8ELi32ELi64ELi256ELi4ELi4ELi64ELi64ELi4ELc84ELc84ELb0ELb1ELb1EdKPKdKPdEEviiiT16_PT17_ilSA_ilS8_SA_ilPT18_ili26rocblas_geam_ex_operation_,"axG",@progbits,_ZN12_GLOBAL__N_120geam_min_plus_kernelId15HIP_vector_typeIdLj2EEdLi8ELi32ELi64ELi256ELi4ELi4ELi64ELi64ELi4ELc84ELc84ELb0ELb1ELb1EdKPKdKPdEEviiiT16_PT17_ilSA_ilS8_SA_ilPT18_ili26rocblas_geam_ex_operation_,comdat
	.globl	_ZN12_GLOBAL__N_120geam_min_plus_kernelId15HIP_vector_typeIdLj2EEdLi8ELi32ELi64ELi256ELi4ELi4ELi64ELi64ELi4ELc84ELc84ELb0ELb1ELb1EdKPKdKPdEEviiiT16_PT17_ilSA_ilS8_SA_ilPT18_ili26rocblas_geam_ex_operation_ ; -- Begin function _ZN12_GLOBAL__N_120geam_min_plus_kernelId15HIP_vector_typeIdLj2EEdLi8ELi32ELi64ELi256ELi4ELi4ELi64ELi64ELi4ELc84ELc84ELb0ELb1ELb1EdKPKdKPdEEviiiT16_PT17_ilSA_ilS8_SA_ilPT18_ili26rocblas_geam_ex_operation_
	.p2align	8
	.type	_ZN12_GLOBAL__N_120geam_min_plus_kernelId15HIP_vector_typeIdLj2EEdLi8ELi32ELi64ELi256ELi4ELi4ELi64ELi64ELi4ELc84ELc84ELb0ELb1ELb1EdKPKdKPdEEviiiT16_PT17_ilSA_ilS8_SA_ilPT18_ili26rocblas_geam_ex_operation_,@function
_ZN12_GLOBAL__N_120geam_min_plus_kernelId15HIP_vector_typeIdLj2EEdLi8ELi32ELi64ELi256ELi4ELi4ELi64ELi64ELi4ELc84ELc84ELb0ELb1ELb1EdKPKdKPdEEviiiT16_PT17_ilSA_ilS8_SA_ilPT18_ili26rocblas_geam_ex_operation_: ; @_ZN12_GLOBAL__N_120geam_min_plus_kernelId15HIP_vector_typeIdLj2EEdLi8ELi32ELi64ELi256ELi4ELi4ELi64ELi64ELi4ELc84ELc84ELb0ELb1ELb1EdKPKdKPdEEviiiT16_PT17_ilSA_ilS8_SA_ilPT18_ili26rocblas_geam_ex_operation_
; %bb.0:
	s_load_dwordx4 s[16:19], s[0:1], 0x10
	s_load_dwordx4 s[4:7], s[0:1], 0x28
	s_mov_b32 s8, s3
	s_mov_b64 s[34:35], 0
	s_waitcnt lgkmcnt(0)
	v_cmp_eq_f64_e64 s[28:29], s[16:17], 0
	v_cmp_neq_f64_e64 s[12:13], s[16:17], 0
	s_and_b64 vcc, exec, s[28:29]
	s_cbranch_vccnz .LBB128_2
; %bb.1:
	s_mov_b32 s9, 0
	s_lshl_b64 s[10:11], s[8:9], 3
	s_add_u32 s10, s18, s10
	s_addc_u32 s11, s19, s11
	s_load_dwordx2 s[10:11], s[10:11], 0x0
	s_lshl_b64 s[4:5], s[4:5], 3
	s_waitcnt lgkmcnt(0)
	s_add_u32 s34, s10, s4
	s_addc_u32 s35, s11, s5
.LBB128_2:
	s_load_dwordx4 s[20:23], s[0:1], 0x40
	s_load_dwordx2 s[10:11], s[0:1], 0x50
	s_and_b64 vcc, exec, s[12:13]
	s_cbranch_vccz .LBB128_4
; %bb.3:
	s_mov_b32 s9, 0
	s_lshl_b64 s[4:5], s[8:9], 3
	s_add_u32 s4, s6, s4
	s_addc_u32 s5, s7, s5
	s_load_dwordx2 s[4:5], s[4:5], 0x0
	s_waitcnt lgkmcnt(0)
	s_lshl_b64 s[6:7], s[20:21], 3
	s_add_u32 s30, s4, s6
	s_addc_u32 s31, s5, s7
	s_cbranch_execz .LBB128_5
	s_branch .LBB128_6
.LBB128_4:
                                        ; implicit-def: $sgpr30_sgpr31
.LBB128_5:
	s_mov_b32 s9, 0
	s_mov_b64 s[30:31], 0
.LBB128_6:
	s_load_dwordx4 s[4:7], s[0:1], 0x60
	s_waitcnt lgkmcnt(0)
	v_cmp_eq_f64_e64 s[12:13], s[22:23], 0
	s_mov_b64 s[20:21], 0
	v_cmp_neq_f64_e64 s[14:15], s[22:23], 0
	s_and_b64 vcc, exec, s[12:13]
	s_cbranch_vccnz .LBB128_8
; %bb.7:
	s_lshl_b64 s[12:13], s[8:9], 3
	s_add_u32 s10, s10, s12
	s_addc_u32 s11, s11, s13
	s_load_dwordx2 s[10:11], s[10:11], 0x0
	s_lshl_b64 s[4:5], s[4:5], 3
	s_waitcnt lgkmcnt(0)
	s_add_u32 s20, s10, s4
	s_addc_u32 s21, s11, s5
.LBB128_8:
	s_load_dwordx4 s[24:27], s[0:1], 0x0
	s_load_dword s40, s[0:1], 0x20
	s_lshl_b64 s[4:5], s[8:9], 3
	s_add_u32 s4, s6, s4
	s_addc_u32 s5, s7, s5
	s_waitcnt lgkmcnt(0)
	s_add_i32 s7, s24, -1
	s_ashr_i32 s3, s7, 31
	s_lshr_b32 s3, s3, 26
	s_add_i32 s3, s7, s3
	s_ashr_i32 s3, s3, 6
	s_add_i32 s8, s3, 1
	v_cvt_f32_u32_e32 v1, s8
	v_and_b32_e32 v132, 0x3ff, v0
	v_bfe_u32 v133, v0, 10, 10
	s_load_dwordx2 s[18:19], s[4:5], 0x0
	v_rcp_iflag_f32_e32 v1, v1
	s_not_b32 s3, s3
	v_lshl_add_u32 v4, v133, 3, v132
	v_lshrrev_b32_e32 v14, 2, v4
	v_mul_f32_e32 v0, 0x4f7ffffe, v1
	v_cvt_u32_f32_e32 v0, v0
	v_and_b32_e32 v144, 3, v132
	v_cmp_le_i32_e32 vcc, s26, v144
	v_mov_b32_e32 v5, 0x7fefffff
	v_readfirstlane_b32 s4, v0
	s_mul_i32 s3, s3, s4
	s_mul_hi_u32 s3, s4, s3
	s_add_i32 s4, s4, s3
	s_mul_hi_u32 s3, s2, s4
	s_mul_i32 s4, s3, s8
	s_sub_i32 s4, s2, s4
	s_add_i32 s5, s3, 1
	s_sub_i32 s6, s4, s8
	s_cmp_ge_u32 s4, s8
	s_cselect_b32 s3, s5, s3
	s_cselect_b32 s4, s6, s4
	s_add_i32 s5, s3, 1
	s_cmp_ge_u32 s4, s8
	s_cselect_b32 s6, s5, s3
	s_mul_i32 s3, s6, s8
	s_sub_i32 s2, s2, s3
	s_lshl_b32 s27, s2, 6
	v_add_u32_e32 v0, s27, v14
	v_cmp_le_i32_e64 s[2:3], s24, v0
	s_or_b64 vcc, vcc, s[2:3]
	s_or_b64 s[4:5], s[28:29], vcc
	v_min_i32_e32 v72, s7, v0
	v_cndmask_b32_e32 v3, 0, v5, vcc
	s_xor_b64 s[8:9], s[4:5], -1
	v_cndmask_b32_e64 v2, 0, -1, vcc
	v_lshlrev_b32_e32 v0, 3, v144
	s_and_saveexec_b64 s[4:5], s[8:9]
	s_cbranch_execz .LBB128_10
; %bb.9:
	v_mad_i64_i32 v[2:3], s[8:9], v72, s40, 0
	v_lshl_add_u64 v[2:3], v[2:3], 3, s[34:35]
	v_mov_b32_e32 v1, 0
	v_lshl_add_u64 v[2:3], v[2:3], 0, v[0:1]
	flat_load_dwordx2 v[2:3], v[2:3]
	s_waitcnt vmcnt(0) lgkmcnt(0)
	v_mul_f64 v[2:3], v[2:3], s[16:17]
.LBB128_10:
	s_or_b64 exec, exec, s[4:5]
	s_load_dword s36, s[0:1], 0x38
	v_lshrrev_b32_e32 v145, 6, v4
	s_add_i32 s37, s26, -1
	v_and_b32_e32 v73, 63, v4
	s_lshl_b32 s33, s6, 8
	v_min_i32_e32 v1, s37, v145
	v_or_b32_e32 v60, s33, v73
	s_waitcnt lgkmcnt(0)
	v_mad_i64_i32 v[6:7], s[4:5], s36, v1, 0
	v_cmp_le_i32_e32 vcc, s26, v145
	v_cmp_le_i32_e64 s[4:5], s25, v60
	s_or_b64 s[6:7], s[4:5], vcc
	s_or_b64 s[8:9], s[28:29], s[6:7]
	v_lshl_add_u64 v[12:13], v[6:7], 3, s[30:31]
	v_cndmask_b32_e64 v5, 0, v5, s[6:7]
	s_xor_b64 s[8:9], s[8:9], -1
	v_cndmask_b32_e64 v4, 0, -1, s[6:7]
	v_ashrrev_i32_e32 v61, 31, v60
	s_and_saveexec_b64 s[6:7], s[8:9]
	s_cbranch_execz .LBB128_12
; %bb.11:
	v_lshl_add_u64 v[4:5], v[60:61], 3, v[12:13]
	flat_load_dwordx2 v[4:5], v[4:5]
	s_waitcnt vmcnt(0) lgkmcnt(0)
	v_mul_f64 v[4:5], v[4:5], s[16:17]
.LBB128_12:
	s_or_b64 exec, exec, s[6:7]
	v_or_b32_e32 v1, 64, v60
	v_cmp_le_i32_e64 s[6:7], s25, v1
	s_or_b64 s[8:9], s[6:7], vcc
	v_mov_b32_e32 v1, 0x7fefffff
	s_or_b64 s[10:11], s[28:29], s[8:9]
	v_cndmask_b32_e64 v7, 0, v1, s[8:9]
	s_xor_b64 s[10:11], s[10:11], -1
	v_cndmask_b32_e64 v6, 0, -1, s[8:9]
	s_and_saveexec_b64 s[8:9], s[10:11]
	s_cbranch_execz .LBB128_14
; %bb.13:
	v_lshl_add_u64 v[6:7], v[60:61], 3, v[12:13]
	flat_load_dwordx2 v[6:7], v[6:7] offset:512
	s_waitcnt vmcnt(0) lgkmcnt(0)
	v_mul_f64 v[6:7], v[6:7], s[16:17]
.LBB128_14:
	s_or_b64 exec, exec, s[8:9]
	v_or_b32_e32 v8, 0x80, v60
	v_cmp_le_i32_e64 s[8:9], s25, v8
	s_or_b64 s[10:11], s[8:9], vcc
	s_or_b64 s[12:13], s[28:29], s[10:11]
	v_cndmask_b32_e64 v9, 0, v1, s[10:11]
	s_xor_b64 s[12:13], s[12:13], -1
	v_cndmask_b32_e64 v8, 0, -1, s[10:11]
	s_and_saveexec_b64 s[10:11], s[12:13]
	s_cbranch_execz .LBB128_16
; %bb.15:
	v_lshl_add_u64 v[8:9], v[60:61], 3, v[12:13]
	flat_load_dwordx2 v[8:9], v[8:9] offset:1024
	s_waitcnt vmcnt(0) lgkmcnt(0)
	v_mul_f64 v[8:9], v[8:9], s[16:17]
.LBB128_16:
	s_or_b64 exec, exec, s[10:11]
	v_or_b32_e32 v1, 0xc0, v60
	v_cmp_le_i32_e64 s[10:11], s25, v1
	s_or_b64 vcc, s[10:11], vcc
	v_mov_b32_e32 v1, 0x7fefffff
	s_or_b64 s[12:13], s[28:29], vcc
	v_cndmask_b32_e32 v11, 0, v1, vcc
	s_xor_b64 s[38:39], s[12:13], -1
	v_cndmask_b32_e64 v10, 0, -1, vcc
	s_and_saveexec_b64 s[12:13], s[38:39]
	s_cbranch_execz .LBB128_18
; %bb.17:
	v_lshl_add_u64 v[10:11], v[60:61], 3, v[12:13]
	flat_load_dwordx2 v[10:11], v[10:11] offset:1536
	s_waitcnt vmcnt(0) lgkmcnt(0)
	v_mul_f64 v[10:11], v[10:11], s[16:17]
.LBB128_18:
	s_or_b64 exec, exec, s[12:13]
	v_or_b32_e32 v12, 4, v144
	v_cmp_le_i32_e32 vcc, s26, v12
	s_or_b64 vcc, vcc, s[2:3]
	s_or_b64 s[12:13], s[28:29], vcc
	v_cndmask_b32_e32 v63, 0, v1, vcc
	s_xor_b64 s[38:39], s[12:13], -1
	v_cndmask_b32_e64 v62, 0, -1, vcc
	s_and_saveexec_b64 s[12:13], s[38:39]
	s_cbranch_execz .LBB128_20
; %bb.19:
	v_mad_i64_i32 v[12:13], s[38:39], v72, s40, 0
	v_lshl_add_u64 v[12:13], v[12:13], 3, s[34:35]
	v_mov_b32_e32 v1, 0
	v_lshl_add_u64 v[12:13], v[12:13], 0, v[0:1]
	flat_load_dwordx2 v[12:13], v[12:13] offset:32
	s_waitcnt vmcnt(0) lgkmcnt(0)
	v_mul_f64 v[62:63], v[12:13], s[16:17]
.LBB128_20:
	s_or_b64 exec, exec, s[12:13]
	v_add_u32_e32 v1, 4, v145
	v_cmp_le_i32_e32 vcc, s26, v1
	v_min_i32_e32 v1, s37, v1
	v_mad_i64_i32 v[12:13], s[12:13], s36, v1, 0
	s_or_b64 s[12:13], s[4:5], vcc
	v_mov_b32_e32 v1, 0x7fefffff
	s_or_b64 s[38:39], s[28:29], s[12:13]
	v_lshl_add_u64 v[12:13], v[12:13], 3, s[30:31]
	v_cndmask_b32_e64 v65, 0, v1, s[12:13]
	s_xor_b64 s[38:39], s[38:39], -1
	v_cndmask_b32_e64 v64, 0, -1, s[12:13]
	s_and_saveexec_b64 s[12:13], s[38:39]
	s_cbranch_execz .LBB128_22
; %bb.21:
	v_lshl_add_u64 v[16:17], v[60:61], 3, v[12:13]
	flat_load_dwordx2 v[16:17], v[16:17]
	s_waitcnt vmcnt(0) lgkmcnt(0)
	v_mul_f64 v[64:65], v[16:17], s[16:17]
.LBB128_22:
	s_or_b64 exec, exec, s[12:13]
	s_or_b64 s[12:13], s[6:7], vcc
	s_or_b64 s[38:39], s[28:29], s[12:13]
	v_cndmask_b32_e64 v67, 0, v1, s[12:13]
	s_xor_b64 s[38:39], s[38:39], -1
	v_cndmask_b32_e64 v66, 0, -1, s[12:13]
	s_and_saveexec_b64 s[12:13], s[38:39]
	s_cbranch_execz .LBB128_24
; %bb.23:
	v_lshl_add_u64 v[16:17], v[60:61], 3, v[12:13]
	flat_load_dwordx2 v[16:17], v[16:17] offset:512
	s_waitcnt vmcnt(0) lgkmcnt(0)
	v_mul_f64 v[66:67], v[16:17], s[16:17]
.LBB128_24:
	s_or_b64 exec, exec, s[12:13]
	s_or_b64 s[12:13], s[8:9], vcc
	v_mov_b32_e32 v1, 0x7fefffff
	s_or_b64 s[38:39], s[28:29], s[12:13]
	v_cndmask_b32_e64 v69, 0, v1, s[12:13]
	s_xor_b64 s[38:39], s[38:39], -1
	v_cndmask_b32_e64 v68, 0, -1, s[12:13]
	s_and_saveexec_b64 s[12:13], s[38:39]
	s_cbranch_execz .LBB128_26
; %bb.25:
	v_lshl_add_u64 v[16:17], v[60:61], 3, v[12:13]
	flat_load_dwordx2 v[16:17], v[16:17] offset:1024
	s_waitcnt vmcnt(0) lgkmcnt(0)
	v_mul_f64 v[68:69], v[16:17], s[16:17]
.LBB128_26:
	s_or_b64 exec, exec, s[12:13]
	s_or_b64 vcc, s[10:11], vcc
	s_or_b64 s[12:13], s[28:29], vcc
	v_cndmask_b32_e32 v71, 0, v1, vcc
	s_xor_b64 s[42:43], s[12:13], -1
	s_mov_b32 s38, 0
	v_cndmask_b32_e64 v70, 0, -1, vcc
	s_and_saveexec_b64 s[12:13], s[42:43]
	s_cbranch_execz .LBB128_28
; %bb.27:
	v_lshl_add_u64 v[12:13], v[60:61], 3, v[12:13]
	flat_load_dwordx2 v[12:13], v[12:13] offset:1536
	s_waitcnt vmcnt(0) lgkmcnt(0)
	v_mul_f64 v[70:71], v[12:13], s[16:17]
.LBB128_28:
	s_or_b64 exec, exec, s[12:13]
	v_lshl_or_b32 v74, v14, 5, v0
	v_lshlrev_b32_e32 v0, 3, v145
	v_add_u32_e32 v146, 0x4000, v74
	v_lshl_add_u32 v147, v73, 5, v0
	s_mov_b64 s[12:13], -1
	v_mov_b32_e32 v78, 0x7f800000
	v_mov_b32_e32 v79, 0x7f800000
	;; [unrolled: 1-line block ×64, first 2 shown]
	ds_write_b64 v74, v[2:3] offset:16384
	ds_write2st64_b64 v147, v[4:5], v[6:7] offset1:4
	ds_write2st64_b64 v147, v[8:9], v[10:11] offset0:8 offset1:12
	s_waitcnt lgkmcnt(0)
	s_barrier
.LBB128_29:                             ; =>This Inner Loop Header: Depth=1
	v_cndmask_b32_e64 v0, 0, 1, s[12:13]
	s_lshl_b32 s12, s38, 3
	v_cmp_ne_u32_e32 vcc, 1, v0
	v_lshl_add_u32 v0, v132, 5, s12
	v_lshl_add_u32 v20, v133, 5, s12
	ds_read_b128 v[32:35], v0 offset:16384
	ds_read_b128 v[28:31], v0 offset:16640
	;; [unrolled: 1-line block ×8, first 2 shown]
	ds_read_b128 v[148:151], v20
	ds_read_b128 v[56:59], v20 offset:1024
	ds_read_b128 v[52:55], v20 offset:2048
	;; [unrolled: 1-line block ×7, first 2 shown]
	s_waitcnt lgkmcnt(7)
	v_add_f64 v[76:77], v[34:35], v[150:151]
	v_add_f64 v[152:153], v[32:33], v[148:149]
	v_cvt_f32_f64_e32 v75, v[152:153]
	v_cvt_f32_f64_e32 v76, v[76:77]
	v_min3_f32 v143, v75, v76, v143
	v_add_f64 v[76:77], v[30:31], v[150:151]
	v_add_f64 v[152:153], v[28:29], v[148:149]
	v_cvt_f32_f64_e32 v75, v[152:153]
	v_cvt_f32_f64_e32 v76, v[76:77]
	v_min3_f32 v142, v75, v76, v142
	;; [unrolled: 5-line block ×8, first 2 shown]
	s_waitcnt lgkmcnt(6)
	v_add_f64 v[76:77], v[34:35], v[58:59]
	v_add_f64 v[148:149], v[32:33], v[56:57]
	v_cvt_f32_f64_e32 v75, v[148:149]
	v_cvt_f32_f64_e32 v76, v[76:77]
	v_min3_f32 v135, v75, v76, v135
	v_add_f64 v[76:77], v[30:31], v[58:59]
	v_add_f64 v[148:149], v[28:29], v[56:57]
	v_cvt_f32_f64_e32 v75, v[148:149]
	v_cvt_f32_f64_e32 v76, v[76:77]
	v_min3_f32 v134, v75, v76, v134
	v_add_f64 v[76:77], v[26:27], v[58:59]
	v_add_f64 v[148:149], v[24:25], v[56:57]
	v_cvt_f32_f64_e32 v75, v[148:149]
	v_cvt_f32_f64_e32 v76, v[76:77]
	v_min3_f32 v131, v75, v76, v131
	v_add_f64 v[76:77], v[18:19], v[58:59]
	v_add_f64 v[148:149], v[16:17], v[56:57]
	v_cvt_f32_f64_e32 v75, v[148:149]
	v_cvt_f32_f64_e32 v76, v[76:77]
	v_min3_f32 v130, v75, v76, v130
	v_add_f64 v[76:77], v[14:15], v[58:59]
	v_add_f64 v[148:149], v[12:13], v[56:57]
	v_cvt_f32_f64_e32 v75, v[148:149]
	v_cvt_f32_f64_e32 v76, v[76:77]
	v_min3_f32 v129, v75, v76, v129
	v_add_f64 v[76:77], v[10:11], v[58:59]
	v_add_f64 v[148:149], v[8:9], v[56:57]
	v_cvt_f32_f64_e32 v75, v[148:149]
	v_cvt_f32_f64_e32 v76, v[76:77]
	v_min3_f32 v128, v75, v76, v128
	v_add_f64 v[76:77], v[6:7], v[58:59]
	v_add_f64 v[148:149], v[4:5], v[56:57]
	v_add_f64 v[58:59], v[2:3], v[58:59]
	v_add_f64 v[56:57], v[0:1], v[56:57]
	v_cvt_f32_f64_e32 v56, v[56:57]
	v_cvt_f32_f64_e32 v57, v[58:59]
	v_min3_f32 v126, v56, v57, v126
	s_waitcnt lgkmcnt(5)
	v_add_f64 v[56:57], v[34:35], v[54:55]
	v_add_f64 v[58:59], v[32:33], v[52:53]
	v_cvt_f32_f64_e32 v58, v[58:59]
	v_cvt_f32_f64_e32 v56, v[56:57]
	v_min3_f32 v125, v58, v56, v125
	v_add_f64 v[56:57], v[30:31], v[54:55]
	v_add_f64 v[58:59], v[28:29], v[52:53]
	v_cvt_f32_f64_e32 v58, v[58:59]
	v_cvt_f32_f64_e32 v56, v[56:57]
	v_min3_f32 v124, v58, v56, v124
	v_add_f64 v[56:57], v[26:27], v[54:55]
	v_add_f64 v[58:59], v[24:25], v[52:53]
	v_cvt_f32_f64_e32 v58, v[58:59]
	v_cvt_f32_f64_e32 v56, v[56:57]
	v_min3_f32 v123, v58, v56, v123
	v_add_f64 v[56:57], v[18:19], v[54:55]
	v_add_f64 v[58:59], v[16:17], v[52:53]
	v_cvt_f32_f64_e32 v58, v[58:59]
	v_cvt_f32_f64_e32 v56, v[56:57]
	v_min3_f32 v122, v58, v56, v122
	v_add_f64 v[56:57], v[14:15], v[54:55]
	v_add_f64 v[58:59], v[12:13], v[52:53]
	v_cvt_f32_f64_e32 v58, v[58:59]
	v_cvt_f32_f64_e32 v56, v[56:57]
	v_min3_f32 v121, v58, v56, v121
	v_add_f64 v[56:57], v[10:11], v[54:55]
	v_add_f64 v[58:59], v[8:9], v[52:53]
	v_cvt_f32_f64_e32 v58, v[58:59]
	v_cvt_f32_f64_e32 v56, v[56:57]
	v_min3_f32 v120, v58, v56, v120
	v_add_f64 v[56:57], v[6:7], v[54:55]
	v_add_f64 v[58:59], v[4:5], v[52:53]
	v_add_f64 v[54:55], v[2:3], v[54:55]
	v_add_f64 v[52:53], v[0:1], v[52:53]
	v_cvt_f32_f64_e32 v52, v[52:53]
	v_cvt_f32_f64_e32 v53, v[54:55]
	v_min3_f32 v118, v52, v53, v118
	s_waitcnt lgkmcnt(4)
	v_add_f64 v[52:53], v[34:35], v[50:51]
	v_add_f64 v[54:55], v[32:33], v[48:49]
	v_cvt_f32_f64_e32 v54, v[54:55]
	v_cvt_f32_f64_e32 v52, v[52:53]
	v_min3_f32 v117, v54, v52, v117
	v_add_f64 v[52:53], v[30:31], v[50:51]
	v_add_f64 v[54:55], v[28:29], v[48:49]
	v_cvt_f32_f64_e32 v54, v[54:55]
	v_cvt_f32_f64_e32 v52, v[52:53]
	v_min3_f32 v116, v54, v52, v116
	v_add_f64 v[52:53], v[26:27], v[50:51]
	v_add_f64 v[54:55], v[24:25], v[48:49]
	v_cvt_f32_f64_e32 v54, v[54:55]
	v_cvt_f32_f64_e32 v52, v[52:53]
	v_min3_f32 v115, v54, v52, v115
	v_add_f64 v[52:53], v[18:19], v[50:51]
	v_add_f64 v[54:55], v[16:17], v[48:49]
	v_cvt_f32_f64_e32 v54, v[54:55]
	v_cvt_f32_f64_e32 v52, v[52:53]
	v_min3_f32 v114, v54, v52, v114
	v_add_f64 v[52:53], v[14:15], v[50:51]
	v_add_f64 v[54:55], v[12:13], v[48:49]
	v_cvt_f32_f64_e32 v54, v[54:55]
	v_cvt_f32_f64_e32 v52, v[52:53]
	v_min3_f32 v113, v54, v52, v113
	v_add_f64 v[52:53], v[10:11], v[50:51]
	v_add_f64 v[54:55], v[8:9], v[48:49]
	v_cvt_f32_f64_e32 v54, v[54:55]
	v_cvt_f32_f64_e32 v52, v[52:53]
	v_min3_f32 v112, v54, v52, v112
	v_add_f64 v[52:53], v[6:7], v[50:51]
	v_add_f64 v[54:55], v[4:5], v[48:49]
	v_add_f64 v[50:51], v[2:3], v[50:51]
	v_add_f64 v[48:49], v[0:1], v[48:49]
	v_cvt_f32_f64_e32 v48, v[48:49]
	v_cvt_f32_f64_e32 v49, v[50:51]
	v_min3_f32 v110, v48, v49, v110
	s_waitcnt lgkmcnt(3)
	v_add_f64 v[48:49], v[34:35], v[46:47]
	v_add_f64 v[50:51], v[32:33], v[44:45]
	v_cvt_f32_f64_e32 v50, v[50:51]
	v_cvt_f32_f64_e32 v48, v[48:49]
	v_min3_f32 v109, v50, v48, v109
	v_add_f64 v[48:49], v[30:31], v[46:47]
	v_add_f64 v[50:51], v[28:29], v[44:45]
	v_cvt_f32_f64_e32 v50, v[50:51]
	v_cvt_f32_f64_e32 v48, v[48:49]
	v_min3_f32 v108, v50, v48, v108
	v_add_f64 v[48:49], v[26:27], v[46:47]
	v_add_f64 v[50:51], v[24:25], v[44:45]
	v_cvt_f32_f64_e32 v50, v[50:51]
	v_cvt_f32_f64_e32 v48, v[48:49]
	v_min3_f32 v107, v50, v48, v107
	v_add_f64 v[48:49], v[18:19], v[46:47]
	v_add_f64 v[50:51], v[16:17], v[44:45]
	v_cvt_f32_f64_e32 v50, v[50:51]
	v_cvt_f32_f64_e32 v48, v[48:49]
	v_min3_f32 v106, v50, v48, v106
	v_add_f64 v[48:49], v[14:15], v[46:47]
	v_add_f64 v[50:51], v[12:13], v[44:45]
	v_cvt_f32_f64_e32 v50, v[50:51]
	v_cvt_f32_f64_e32 v48, v[48:49]
	v_min3_f32 v105, v50, v48, v105
	v_add_f64 v[48:49], v[10:11], v[46:47]
	v_add_f64 v[50:51], v[8:9], v[44:45]
	v_cvt_f32_f64_e32 v50, v[50:51]
	v_cvt_f32_f64_e32 v48, v[48:49]
	v_min3_f32 v104, v50, v48, v104
	v_add_f64 v[48:49], v[6:7], v[46:47]
	v_add_f64 v[50:51], v[4:5], v[44:45]
	v_add_f64 v[46:47], v[2:3], v[46:47]
	v_add_f64 v[44:45], v[0:1], v[44:45]
	v_cvt_f32_f64_e32 v44, v[44:45]
	v_cvt_f32_f64_e32 v45, v[46:47]
	v_min3_f32 v102, v44, v45, v102
	s_waitcnt lgkmcnt(2)
	v_add_f64 v[44:45], v[34:35], v[42:43]
	v_add_f64 v[46:47], v[32:33], v[40:41]
	v_cvt_f32_f64_e32 v46, v[46:47]
	v_cvt_f32_f64_e32 v44, v[44:45]
	v_min3_f32 v101, v46, v44, v101
	v_add_f64 v[44:45], v[30:31], v[42:43]
	v_add_f64 v[46:47], v[28:29], v[40:41]
	v_cvt_f32_f64_e32 v46, v[46:47]
	v_cvt_f32_f64_e32 v44, v[44:45]
	v_min3_f32 v100, v46, v44, v100
	v_add_f64 v[44:45], v[26:27], v[42:43]
	v_add_f64 v[46:47], v[24:25], v[40:41]
	v_cvt_f32_f64_e32 v46, v[46:47]
	v_cvt_f32_f64_e32 v44, v[44:45]
	v_min3_f32 v99, v46, v44, v99
	v_add_f64 v[44:45], v[18:19], v[42:43]
	v_add_f64 v[46:47], v[16:17], v[40:41]
	v_cvt_f32_f64_e32 v46, v[46:47]
	v_cvt_f32_f64_e32 v44, v[44:45]
	v_min3_f32 v98, v46, v44, v98
	v_add_f64 v[44:45], v[14:15], v[42:43]
	v_add_f64 v[46:47], v[12:13], v[40:41]
	v_cvt_f32_f64_e32 v46, v[46:47]
	v_cvt_f32_f64_e32 v44, v[44:45]
	v_min3_f32 v97, v46, v44, v97
	v_add_f64 v[44:45], v[10:11], v[42:43]
	v_add_f64 v[46:47], v[8:9], v[40:41]
	v_cvt_f32_f64_e32 v46, v[46:47]
	v_cvt_f32_f64_e32 v44, v[44:45]
	v_min3_f32 v96, v46, v44, v96
	v_add_f64 v[44:45], v[6:7], v[42:43]
	v_add_f64 v[46:47], v[4:5], v[40:41]
	v_add_f64 v[42:43], v[2:3], v[42:43]
	v_add_f64 v[40:41], v[0:1], v[40:41]
	v_cvt_f32_f64_e32 v40, v[40:41]
	v_cvt_f32_f64_e32 v41, v[42:43]
	v_min3_f32 v94, v40, v41, v94
	s_waitcnt lgkmcnt(1)
	v_add_f64 v[40:41], v[34:35], v[38:39]
	v_add_f64 v[42:43], v[32:33], v[36:37]
	v_cvt_f32_f64_e32 v42, v[42:43]
	v_cvt_f32_f64_e32 v40, v[40:41]
	v_min3_f32 v93, v42, v40, v93
	v_add_f64 v[40:41], v[30:31], v[38:39]
	v_add_f64 v[42:43], v[28:29], v[36:37]
	v_cvt_f32_f64_e32 v42, v[42:43]
	v_cvt_f32_f64_e32 v40, v[40:41]
	v_min3_f32 v92, v42, v40, v92
	;; [unrolled: 5-line block ×6, first 2 shown]
	v_add_f64 v[40:41], v[6:7], v[38:39]
	v_add_f64 v[42:43], v[4:5], v[36:37]
	;; [unrolled: 1-line block ×4, first 2 shown]
	s_waitcnt lgkmcnt(0)
	v_add_f64 v[34:35], v[34:35], v[22:23]
	v_add_f64 v[32:33], v[32:33], v[20:21]
	;; [unrolled: 1-line block ×16, first 2 shown]
	v_cvt_f32_f64_e32 v75, v[148:149]
	v_cvt_f32_f64_e32 v76, v[76:77]
	;; [unrolled: 1-line block ×30, first 2 shown]
	v_min3_f32 v127, v75, v76, v127
	v_min3_f32 v119, v58, v56, v119
	;; [unrolled: 1-line block ×15, first 2 shown]
	s_mov_b32 s38, 2
	s_mov_b64 s[12:13], 0
	s_cbranch_vccz .LBB128_29
; %bb.30:
	v_lshlrev_b32_e32 v0, 5, v73
	v_lshl_add_u32 v0, v145, 3, v0
	s_cmp_gt_i32 s26, 8
	s_mov_b32 s38, 8
	ds_write_b64 v74, v[62:63] offset:18432
	ds_write2st64_b64 v0, v[64:65], v[66:67] offset0:16 offset1:20
	ds_write2st64_b64 v0, v[68:69], v[70:71] offset0:24 offset1:28
	s_waitcnt lgkmcnt(0)
	s_barrier
	s_cbranch_scc0 .LBB128_57
; %bb.31:
	v_or_b32_e32 v149, 0x2000, v0
	v_mad_i64_i32 v[0:1], s[12:13], v72, s40, 0
	v_lshl_add_u64 v[62:63], v[0:1], 3, s[34:35]
	v_add_u32_e32 v148, 0x4800, v74
	s_add_i32 s39, s26, -8
	v_lshl_add_u64 v[64:65], v[62:63], 0, 32
	s_mov_b32 s34, 0
	v_mov_b32_e32 v150, 0x7fefffff
	v_mov_b32_e32 v67, 0
.LBB128_32:                             ; =>This Loop Header: Depth=1
                                        ;     Child Loop BB128_43 Depth 2
                                        ;     Child Loop BB128_55 Depth 2
	v_or_b32_e32 v66, s38, v144
	v_cmp_le_i32_e32 vcc, s26, v66
	s_or_b64 vcc, vcc, s[2:3]
	s_or_b64 s[12:13], s[28:29], vcc
	v_cndmask_b32_e32 v69, 0, v150, vcc
	s_xor_b64 s[40:41], s[12:13], -1
	v_cndmask_b32_e64 v68, 0, -1, vcc
	s_and_saveexec_b64 s[12:13], s[40:41]
	s_cbranch_execz .LBB128_34
; %bb.33:                               ;   in Loop: Header=BB128_32 Depth=1
	v_lshl_add_u64 v[0:1], v[66:67], 3, v[62:63]
	flat_load_dwordx2 v[0:1], v[0:1]
	s_waitcnt vmcnt(0) lgkmcnt(0)
	v_mul_f64 v[68:69], v[0:1], s[16:17]
.LBB128_34:                             ;   in Loop: Header=BB128_32 Depth=1
	s_or_b64 exec, exec, s[12:13]
	v_add_u32_e32 v0, s38, v145
	v_cmp_le_i32_e32 vcc, s26, v0
	v_min_i32_e32 v0, s37, v0
	v_mad_i64_i32 v[0:1], s[12:13], v0, s36, 0
	s_or_b64 s[12:13], s[4:5], vcc
	v_lshl_add_u64 v[0:1], v[0:1], 3, s[30:31]
	s_or_b64 s[40:41], s[28:29], s[12:13]
	v_cndmask_b32_e64 v71, 0, v150, s[12:13]
	s_xor_b64 s[40:41], s[40:41], -1
	v_cndmask_b32_e64 v70, 0, -1, s[12:13]
	v_lshl_add_u64 v[0:1], v[60:61], 3, v[0:1]
	s_and_saveexec_b64 s[12:13], s[40:41]
	s_cbranch_execz .LBB128_36
; %bb.35:                               ;   in Loop: Header=BB128_32 Depth=1
	flat_load_dwordx2 v[2:3], v[0:1]
	s_waitcnt vmcnt(0) lgkmcnt(0)
	v_mul_f64 v[70:71], v[2:3], s[16:17]
.LBB128_36:                             ;   in Loop: Header=BB128_32 Depth=1
	s_or_b64 exec, exec, s[12:13]
	s_or_b64 s[12:13], s[6:7], vcc
	s_or_b64 s[40:41], s[28:29], s[12:13]
	v_cndmask_b32_e64 v73, 0, v150, s[12:13]
	s_xor_b64 s[40:41], s[40:41], -1
	v_cndmask_b32_e64 v72, 0, -1, s[12:13]
	s_and_saveexec_b64 s[12:13], s[40:41]
	s_cbranch_execz .LBB128_38
; %bb.37:                               ;   in Loop: Header=BB128_32 Depth=1
	flat_load_dwordx2 v[2:3], v[0:1] offset:512
	s_waitcnt vmcnt(0) lgkmcnt(0)
	v_mul_f64 v[72:73], v[2:3], s[16:17]
.LBB128_38:                             ;   in Loop: Header=BB128_32 Depth=1
	s_or_b64 exec, exec, s[12:13]
	s_or_b64 s[12:13], s[8:9], vcc
	s_or_b64 s[40:41], s[28:29], s[12:13]
	v_cndmask_b32_e64 v75, 0, v150, s[12:13]
	s_xor_b64 s[40:41], s[40:41], -1
	v_cndmask_b32_e64 v74, 0, -1, s[12:13]
	s_and_saveexec_b64 s[12:13], s[40:41]
	s_cbranch_execz .LBB128_40
; %bb.39:                               ;   in Loop: Header=BB128_32 Depth=1
	flat_load_dwordx2 v[2:3], v[0:1] offset:1024
	s_waitcnt vmcnt(0) lgkmcnt(0)
	v_mul_f64 v[74:75], v[2:3], s[16:17]
.LBB128_40:                             ;   in Loop: Header=BB128_32 Depth=1
	s_or_b64 exec, exec, s[12:13]
	s_or_b64 vcc, s[10:11], vcc
	s_or_b64 s[12:13], s[28:29], vcc
	v_cndmask_b32_e32 v77, 0, v150, vcc
	s_xor_b64 s[40:41], s[12:13], -1
	v_cndmask_b32_e64 v76, 0, -1, vcc
	s_and_saveexec_b64 s[12:13], s[40:41]
	s_cbranch_execz .LBB128_42
; %bb.41:                               ;   in Loop: Header=BB128_32 Depth=1
	flat_load_dwordx2 v[0:1], v[0:1] offset:1536
	s_waitcnt vmcnt(0) lgkmcnt(0)
	v_mul_f64 v[76:77], v[0:1], s[16:17]
.LBB128_42:                             ;   in Loop: Header=BB128_32 Depth=1
	s_or_b64 exec, exec, s[12:13]
	s_mov_b32 s35, 0
	s_mov_b64 s[12:13], -1
.LBB128_43:                             ;   Parent Loop BB128_32 Depth=1
                                        ; =>  This Inner Loop Header: Depth=2
	v_cndmask_b32_e64 v0, 0, 1, s[12:13]
	s_lshl_b32 s12, s35, 3
	v_cmp_ne_u32_e32 vcc, 1, v0
	v_lshl_add_u32 v0, v132, 5, s12
	v_lshl_add_u32 v20, v133, 5, s12
	ds_read_b128 v[32:35], v0 offset:18432
	ds_read_b128 v[28:31], v0 offset:18688
	;; [unrolled: 1-line block ×16, first 2 shown]
	s_waitcnt lgkmcnt(7)
	v_add_f64 v[156:157], v[34:35], v[154:155]
	v_add_f64 v[158:159], v[32:33], v[152:153]
	v_cvt_f32_f64_e32 v151, v[158:159]
	v_cvt_f32_f64_e32 v156, v[156:157]
	v_min3_f32 v143, v151, v156, v143
	v_add_f64 v[156:157], v[30:31], v[154:155]
	v_add_f64 v[158:159], v[28:29], v[152:153]
	v_cvt_f32_f64_e32 v151, v[158:159]
	v_cvt_f32_f64_e32 v156, v[156:157]
	v_min3_f32 v142, v151, v156, v142
	;; [unrolled: 5-line block ×6, first 2 shown]
	v_add_f64 v[156:157], v[6:7], v[154:155]
	v_add_f64 v[158:159], v[4:5], v[152:153]
	v_cvt_f32_f64_e32 v151, v[158:159]
	v_cvt_f32_f64_e32 v156, v[156:157]
	v_add_f64 v[154:155], v[2:3], v[154:155]
	v_add_f64 v[152:153], v[0:1], v[152:153]
	v_min3_f32 v137, v151, v156, v137
	v_cvt_f32_f64_e32 v151, v[152:153]
	v_cvt_f32_f64_e32 v152, v[154:155]
	v_min3_f32 v136, v151, v152, v136
	s_waitcnt lgkmcnt(6)
	v_add_f64 v[152:153], v[34:35], v[58:59]
	v_add_f64 v[154:155], v[32:33], v[56:57]
	v_cvt_f32_f64_e32 v151, v[154:155]
	v_cvt_f32_f64_e32 v152, v[152:153]
	v_min3_f32 v135, v151, v152, v135
	v_add_f64 v[152:153], v[30:31], v[58:59]
	v_add_f64 v[154:155], v[28:29], v[56:57]
	v_cvt_f32_f64_e32 v151, v[154:155]
	v_cvt_f32_f64_e32 v152, v[152:153]
	v_min3_f32 v134, v151, v152, v134
	v_add_f64 v[152:153], v[26:27], v[58:59]
	v_add_f64 v[154:155], v[24:25], v[56:57]
	v_cvt_f32_f64_e32 v151, v[154:155]
	v_cvt_f32_f64_e32 v152, v[152:153]
	v_min3_f32 v131, v151, v152, v131
	v_add_f64 v[152:153], v[18:19], v[58:59]
	v_add_f64 v[154:155], v[16:17], v[56:57]
	v_cvt_f32_f64_e32 v151, v[154:155]
	v_cvt_f32_f64_e32 v152, v[152:153]
	v_min3_f32 v130, v151, v152, v130
	v_add_f64 v[152:153], v[14:15], v[58:59]
	v_add_f64 v[154:155], v[12:13], v[56:57]
	v_cvt_f32_f64_e32 v151, v[154:155]
	v_cvt_f32_f64_e32 v152, v[152:153]
	v_min3_f32 v129, v151, v152, v129
	v_add_f64 v[152:153], v[10:11], v[58:59]
	v_add_f64 v[154:155], v[8:9], v[56:57]
	v_cvt_f32_f64_e32 v151, v[154:155]
	v_cvt_f32_f64_e32 v152, v[152:153]
	v_min3_f32 v128, v151, v152, v128
	v_add_f64 v[152:153], v[6:7], v[58:59]
	v_add_f64 v[154:155], v[4:5], v[56:57]
	v_add_f64 v[58:59], v[2:3], v[58:59]
	v_add_f64 v[56:57], v[0:1], v[56:57]
	v_cvt_f32_f64_e32 v56, v[56:57]
	v_cvt_f32_f64_e32 v57, v[58:59]
	v_min3_f32 v126, v56, v57, v126
	s_waitcnt lgkmcnt(5)
	v_add_f64 v[56:57], v[34:35], v[54:55]
	v_add_f64 v[58:59], v[32:33], v[52:53]
	v_cvt_f32_f64_e32 v58, v[58:59]
	v_cvt_f32_f64_e32 v56, v[56:57]
	v_min3_f32 v125, v58, v56, v125
	v_add_f64 v[56:57], v[30:31], v[54:55]
	v_add_f64 v[58:59], v[28:29], v[52:53]
	v_cvt_f32_f64_e32 v58, v[58:59]
	v_cvt_f32_f64_e32 v56, v[56:57]
	v_min3_f32 v124, v58, v56, v124
	v_add_f64 v[56:57], v[26:27], v[54:55]
	v_add_f64 v[58:59], v[24:25], v[52:53]
	v_cvt_f32_f64_e32 v58, v[58:59]
	v_cvt_f32_f64_e32 v56, v[56:57]
	v_min3_f32 v123, v58, v56, v123
	v_add_f64 v[56:57], v[18:19], v[54:55]
	v_add_f64 v[58:59], v[16:17], v[52:53]
	v_cvt_f32_f64_e32 v58, v[58:59]
	v_cvt_f32_f64_e32 v56, v[56:57]
	v_min3_f32 v122, v58, v56, v122
	v_add_f64 v[56:57], v[14:15], v[54:55]
	v_add_f64 v[58:59], v[12:13], v[52:53]
	v_cvt_f32_f64_e32 v58, v[58:59]
	v_cvt_f32_f64_e32 v56, v[56:57]
	v_min3_f32 v121, v58, v56, v121
	v_add_f64 v[56:57], v[10:11], v[54:55]
	v_add_f64 v[58:59], v[8:9], v[52:53]
	v_cvt_f32_f64_e32 v58, v[58:59]
	v_cvt_f32_f64_e32 v56, v[56:57]
	v_min3_f32 v120, v58, v56, v120
	v_add_f64 v[56:57], v[6:7], v[54:55]
	v_add_f64 v[58:59], v[4:5], v[52:53]
	v_add_f64 v[54:55], v[2:3], v[54:55]
	v_add_f64 v[52:53], v[0:1], v[52:53]
	;; [unrolled: 38-line block ×6, first 2 shown]
	s_waitcnt lgkmcnt(0)
	v_add_f64 v[34:35], v[34:35], v[22:23]
	v_add_f64 v[32:33], v[32:33], v[20:21]
	;; [unrolled: 1-line block ×16, first 2 shown]
	v_cvt_f32_f64_e32 v151, v[154:155]
	v_cvt_f32_f64_e32 v152, v[152:153]
	;; [unrolled: 1-line block ×30, first 2 shown]
	v_min3_f32 v127, v151, v152, v127
	v_min3_f32 v119, v58, v56, v119
	;; [unrolled: 1-line block ×15, first 2 shown]
	s_mov_b32 s35, 2
	s_mov_b64 s[12:13], 0
	s_cbranch_vccz .LBB128_43
; %bb.44:                               ;   in Loop: Header=BB128_32 Depth=1
	v_or_b32_e32 v0, 4, v66
	v_cmp_le_i32_e32 vcc, s26, v0
	s_or_b64 vcc, vcc, s[2:3]
	s_or_b64 s[12:13], s[28:29], vcc
	ds_write_b64 v146, v[68:69]
	ds_write2st64_b64 v147, v[70:71], v[72:73] offset1:4
	ds_write2st64_b64 v147, v[74:75], v[76:77] offset0:8 offset1:12
	v_cndmask_b32_e32 v69, 0, v150, vcc
	s_xor_b64 s[40:41], s[12:13], -1
	v_cndmask_b32_e64 v68, 0, -1, vcc
	s_waitcnt lgkmcnt(0)
	s_barrier
	s_and_saveexec_b64 s[12:13], s[40:41]
	s_cbranch_execz .LBB128_46
; %bb.45:                               ;   in Loop: Header=BB128_32 Depth=1
	v_lshl_add_u64 v[0:1], v[66:67], 3, v[64:65]
	flat_load_dwordx2 v[0:1], v[0:1]
	s_waitcnt vmcnt(0) lgkmcnt(0)
	v_mul_f64 v[68:69], v[0:1], s[16:17]
.LBB128_46:                             ;   in Loop: Header=BB128_32 Depth=1
	s_or_b64 exec, exec, s[12:13]
	v_add3_u32 v0, v145, s38, 4
	v_cmp_le_i32_e32 vcc, s26, v0
	v_min_i32_e32 v0, s37, v0
	v_mad_i64_i32 v[0:1], s[12:13], v0, s36, 0
	s_or_b64 s[12:13], s[4:5], vcc
	v_lshl_add_u64 v[0:1], v[0:1], 3, s[30:31]
	s_or_b64 s[40:41], s[28:29], s[12:13]
	v_cndmask_b32_e64 v71, 0, v150, s[12:13]
	s_xor_b64 s[40:41], s[40:41], -1
	v_cndmask_b32_e64 v70, 0, -1, s[12:13]
	v_lshl_add_u64 v[0:1], v[60:61], 3, v[0:1]
	s_and_saveexec_b64 s[12:13], s[40:41]
	s_cbranch_execz .LBB128_48
; %bb.47:                               ;   in Loop: Header=BB128_32 Depth=1
	flat_load_dwordx2 v[2:3], v[0:1]
	s_waitcnt vmcnt(0) lgkmcnt(0)
	v_mul_f64 v[70:71], v[2:3], s[16:17]
.LBB128_48:                             ;   in Loop: Header=BB128_32 Depth=1
	s_or_b64 exec, exec, s[12:13]
	s_or_b64 s[12:13], s[6:7], vcc
	s_or_b64 s[40:41], s[28:29], s[12:13]
	v_cndmask_b32_e64 v73, 0, v150, s[12:13]
	s_xor_b64 s[40:41], s[40:41], -1
	v_cndmask_b32_e64 v72, 0, -1, s[12:13]
	s_and_saveexec_b64 s[12:13], s[40:41]
	s_cbranch_execz .LBB128_50
; %bb.49:                               ;   in Loop: Header=BB128_32 Depth=1
	flat_load_dwordx2 v[2:3], v[0:1] offset:512
	s_waitcnt vmcnt(0) lgkmcnt(0)
	v_mul_f64 v[72:73], v[2:3], s[16:17]
.LBB128_50:                             ;   in Loop: Header=BB128_32 Depth=1
	s_or_b64 exec, exec, s[12:13]
	s_or_b64 s[12:13], s[8:9], vcc
	s_or_b64 s[40:41], s[28:29], s[12:13]
	v_cndmask_b32_e64 v75, 0, v150, s[12:13]
	s_xor_b64 s[40:41], s[40:41], -1
	v_cndmask_b32_e64 v74, 0, -1, s[12:13]
	s_and_saveexec_b64 s[12:13], s[40:41]
	s_cbranch_execz .LBB128_52
; %bb.51:                               ;   in Loop: Header=BB128_32 Depth=1
	flat_load_dwordx2 v[2:3], v[0:1] offset:1024
	s_waitcnt vmcnt(0) lgkmcnt(0)
	v_mul_f64 v[74:75], v[2:3], s[16:17]
.LBB128_52:                             ;   in Loop: Header=BB128_32 Depth=1
	s_or_b64 exec, exec, s[12:13]
	s_or_b64 vcc, s[10:11], vcc
	s_or_b64 s[12:13], s[28:29], vcc
	v_cndmask_b32_e32 v77, 0, v150, vcc
	s_xor_b64 s[40:41], s[12:13], -1
	v_cndmask_b32_e64 v76, 0, -1, vcc
	s_and_saveexec_b64 s[12:13], s[40:41]
	s_cbranch_execz .LBB128_54
; %bb.53:                               ;   in Loop: Header=BB128_32 Depth=1
	flat_load_dwordx2 v[0:1], v[0:1] offset:1536
	s_waitcnt vmcnt(0) lgkmcnt(0)
	v_mul_f64 v[76:77], v[0:1], s[16:17]
.LBB128_54:                             ;   in Loop: Header=BB128_32 Depth=1
	s_or_b64 exec, exec, s[12:13]
	s_mov_b32 s35, 0
	s_mov_b64 s[12:13], -1
.LBB128_55:                             ;   Parent Loop BB128_32 Depth=1
                                        ; =>  This Inner Loop Header: Depth=2
	v_cndmask_b32_e64 v0, 0, 1, s[12:13]
	s_lshl_b32 s12, s35, 3
	v_cmp_ne_u32_e32 vcc, 1, v0
	v_lshl_add_u32 v0, v132, 5, s12
	v_lshl_add_u32 v20, v133, 5, s12
	ds_read_b128 v[32:35], v0 offset:16384
	ds_read_b128 v[28:31], v0 offset:16640
	;; [unrolled: 1-line block ×8, first 2 shown]
	ds_read_b128 v[152:155], v20
	ds_read_b128 v[56:59], v20 offset:1024
	ds_read_b128 v[52:55], v20 offset:2048
	;; [unrolled: 1-line block ×7, first 2 shown]
	s_waitcnt lgkmcnt(7)
	v_add_f64 v[156:157], v[34:35], v[154:155]
	v_add_f64 v[158:159], v[32:33], v[152:153]
	v_cvt_f32_f64_e32 v66, v[158:159]
	v_cvt_f32_f64_e32 v151, v[156:157]
	v_add_f64 v[156:157], v[30:31], v[154:155]
	v_add_f64 v[158:159], v[28:29], v[152:153]
	v_min3_f32 v143, v66, v151, v143
	v_cvt_f32_f64_e32 v66, v[158:159]
	v_cvt_f32_f64_e32 v151, v[156:157]
	v_add_f64 v[156:157], v[26:27], v[154:155]
	v_add_f64 v[158:159], v[24:25], v[152:153]
	v_min3_f32 v142, v66, v151, v142
	;; [unrolled: 5-line block ×7, first 2 shown]
	v_cvt_f32_f64_e32 v66, v[152:153]
	v_cvt_f32_f64_e32 v151, v[154:155]
	s_waitcnt lgkmcnt(6)
	v_add_f64 v[152:153], v[34:35], v[58:59]
	v_add_f64 v[154:155], v[32:33], v[56:57]
	v_min3_f32 v136, v66, v151, v136
	v_cvt_f32_f64_e32 v66, v[154:155]
	v_cvt_f32_f64_e32 v151, v[152:153]
	v_add_f64 v[152:153], v[30:31], v[58:59]
	v_add_f64 v[154:155], v[28:29], v[56:57]
	v_min3_f32 v135, v66, v151, v135
	v_cvt_f32_f64_e32 v66, v[154:155]
	v_cvt_f32_f64_e32 v151, v[152:153]
	;; [unrolled: 5-line block ×6, first 2 shown]
	v_add_f64 v[152:153], v[6:7], v[58:59]
	v_add_f64 v[154:155], v[4:5], v[56:57]
	v_add_f64 v[58:59], v[2:3], v[58:59]
	v_add_f64 v[56:57], v[0:1], v[56:57]
	v_cvt_f32_f64_e32 v56, v[56:57]
	v_cvt_f32_f64_e32 v57, v[58:59]
	v_min3_f32 v126, v56, v57, v126
	s_waitcnt lgkmcnt(5)
	v_add_f64 v[56:57], v[34:35], v[54:55]
	v_add_f64 v[58:59], v[32:33], v[52:53]
	v_cvt_f32_f64_e32 v58, v[58:59]
	v_cvt_f32_f64_e32 v56, v[56:57]
	v_min3_f32 v125, v58, v56, v125
	v_add_f64 v[56:57], v[30:31], v[54:55]
	v_add_f64 v[58:59], v[28:29], v[52:53]
	v_cvt_f32_f64_e32 v58, v[58:59]
	v_cvt_f32_f64_e32 v56, v[56:57]
	v_min3_f32 v124, v58, v56, v124
	v_add_f64 v[56:57], v[26:27], v[54:55]
	v_add_f64 v[58:59], v[24:25], v[52:53]
	v_cvt_f32_f64_e32 v58, v[58:59]
	v_cvt_f32_f64_e32 v56, v[56:57]
	v_min3_f32 v123, v58, v56, v123
	v_add_f64 v[56:57], v[18:19], v[54:55]
	v_add_f64 v[58:59], v[16:17], v[52:53]
	v_cvt_f32_f64_e32 v58, v[58:59]
	v_cvt_f32_f64_e32 v56, v[56:57]
	v_min3_f32 v122, v58, v56, v122
	v_add_f64 v[56:57], v[14:15], v[54:55]
	v_add_f64 v[58:59], v[12:13], v[52:53]
	v_cvt_f32_f64_e32 v58, v[58:59]
	v_cvt_f32_f64_e32 v56, v[56:57]
	v_min3_f32 v121, v58, v56, v121
	v_add_f64 v[56:57], v[10:11], v[54:55]
	v_add_f64 v[58:59], v[8:9], v[52:53]
	v_cvt_f32_f64_e32 v58, v[58:59]
	v_cvt_f32_f64_e32 v56, v[56:57]
	v_min3_f32 v120, v58, v56, v120
	v_add_f64 v[56:57], v[6:7], v[54:55]
	v_add_f64 v[58:59], v[4:5], v[52:53]
	v_add_f64 v[54:55], v[2:3], v[54:55]
	v_add_f64 v[52:53], v[0:1], v[52:53]
	v_cvt_f32_f64_e32 v52, v[52:53]
	v_cvt_f32_f64_e32 v53, v[54:55]
	v_min3_f32 v118, v52, v53, v118
	s_waitcnt lgkmcnt(4)
	v_add_f64 v[52:53], v[34:35], v[50:51]
	v_add_f64 v[54:55], v[32:33], v[48:49]
	v_cvt_f32_f64_e32 v54, v[54:55]
	v_cvt_f32_f64_e32 v52, v[52:53]
	v_min3_f32 v117, v54, v52, v117
	v_add_f64 v[52:53], v[30:31], v[50:51]
	v_add_f64 v[54:55], v[28:29], v[48:49]
	v_cvt_f32_f64_e32 v54, v[54:55]
	v_cvt_f32_f64_e32 v52, v[52:53]
	v_min3_f32 v116, v54, v52, v116
	v_add_f64 v[52:53], v[26:27], v[50:51]
	v_add_f64 v[54:55], v[24:25], v[48:49]
	v_cvt_f32_f64_e32 v54, v[54:55]
	v_cvt_f32_f64_e32 v52, v[52:53]
	v_min3_f32 v115, v54, v52, v115
	v_add_f64 v[52:53], v[18:19], v[50:51]
	v_add_f64 v[54:55], v[16:17], v[48:49]
	v_cvt_f32_f64_e32 v54, v[54:55]
	v_cvt_f32_f64_e32 v52, v[52:53]
	v_min3_f32 v114, v54, v52, v114
	v_add_f64 v[52:53], v[14:15], v[50:51]
	v_add_f64 v[54:55], v[12:13], v[48:49]
	v_cvt_f32_f64_e32 v54, v[54:55]
	v_cvt_f32_f64_e32 v52, v[52:53]
	v_min3_f32 v113, v54, v52, v113
	v_add_f64 v[52:53], v[10:11], v[50:51]
	v_add_f64 v[54:55], v[8:9], v[48:49]
	v_cvt_f32_f64_e32 v54, v[54:55]
	v_cvt_f32_f64_e32 v52, v[52:53]
	v_min3_f32 v112, v54, v52, v112
	;; [unrolled: 38-line block ×5, first 2 shown]
	v_add_f64 v[40:41], v[6:7], v[38:39]
	v_add_f64 v[42:43], v[4:5], v[36:37]
	v_add_f64 v[38:39], v[2:3], v[38:39]
	v_add_f64 v[36:37], v[0:1], v[36:37]
	s_waitcnt lgkmcnt(0)
	v_add_f64 v[34:35], v[34:35], v[22:23]
	v_add_f64 v[32:33], v[32:33], v[20:21]
	v_add_f64 v[30:31], v[30:31], v[22:23]
	v_add_f64 v[28:29], v[28:29], v[20:21]
	v_add_f64 v[26:27], v[26:27], v[22:23]
	v_add_f64 v[24:25], v[24:25], v[20:21]
	v_add_f64 v[18:19], v[18:19], v[22:23]
	v_add_f64 v[16:17], v[16:17], v[20:21]
	v_add_f64 v[14:15], v[14:15], v[22:23]
	v_add_f64 v[12:13], v[12:13], v[20:21]
	v_add_f64 v[10:11], v[10:11], v[22:23]
	v_add_f64 v[8:9], v[8:9], v[20:21]
	v_add_f64 v[6:7], v[6:7], v[22:23]
	v_add_f64 v[4:5], v[4:5], v[20:21]
	v_add_f64 v[2:3], v[2:3], v[22:23]
	v_add_f64 v[0:1], v[0:1], v[20:21]
	v_min3_f32 v128, v66, v151, v128
	v_cvt_f32_f64_e32 v66, v[154:155]
	v_cvt_f32_f64_e32 v151, v[152:153]
	;; [unrolled: 1-line block ×30, first 2 shown]
	v_min3_f32 v127, v66, v151, v127
	v_min3_f32 v119, v58, v56, v119
	;; [unrolled: 1-line block ×15, first 2 shown]
	s_mov_b32 s35, 2
	s_mov_b64 s[12:13], 0
	s_cbranch_vccz .LBB128_55
; %bb.56:                               ;   in Loop: Header=BB128_32 Depth=1
	s_add_i32 s38, s38, 8
	s_add_i32 s34, s34, 8
	s_cmp_ge_i32 s34, s39
	ds_write_b64 v148, v[68:69]
	ds_write2st64_b64 v149, v[70:71], v[72:73] offset1:4
	ds_write2st64_b64 v149, v[74:75], v[76:77] offset0:8 offset1:12
	s_waitcnt lgkmcnt(0)
	s_barrier
	s_cbranch_scc0 .LBB128_32
.LBB128_57:
	s_mov_b32 s4, 0
	s_mov_b64 s[2:3], -1
.LBB128_58:                             ; =>This Inner Loop Header: Depth=1
	v_cndmask_b32_e64 v0, 0, 1, s[2:3]
	s_lshl_b32 s2, s4, 3
	v_cmp_ne_u32_e32 vcc, 1, v0
	v_lshl_add_u32 v0, v132, 5, s2
	v_lshl_add_u32 v20, v133, 5, s2
	ds_read_b128 v[32:35], v0 offset:18432
	ds_read_b128 v[28:31], v0 offset:18688
	;; [unrolled: 1-line block ×16, first 2 shown]
	s_waitcnt lgkmcnt(7)
	v_add_f64 v[64:65], v[34:35], v[62:63]
	v_add_f64 v[66:67], v[32:33], v[60:61]
	v_cvt_f32_f64_e32 v66, v[66:67]
	v_cvt_f32_f64_e32 v64, v[64:65]
	v_min3_f32 v143, v66, v64, v143
	v_add_f64 v[64:65], v[30:31], v[62:63]
	v_add_f64 v[66:67], v[28:29], v[60:61]
	v_cvt_f32_f64_e32 v66, v[66:67]
	v_cvt_f32_f64_e32 v64, v[64:65]
	v_min3_f32 v142, v66, v64, v142
	v_add_f64 v[64:65], v[26:27], v[62:63]
	v_add_f64 v[66:67], v[24:25], v[60:61]
	v_cvt_f32_f64_e32 v66, v[66:67]
	v_cvt_f32_f64_e32 v64, v[64:65]
	v_min3_f32 v141, v66, v64, v141
	v_add_f64 v[64:65], v[18:19], v[62:63]
	v_add_f64 v[66:67], v[16:17], v[60:61]
	v_cvt_f32_f64_e32 v66, v[66:67]
	v_cvt_f32_f64_e32 v64, v[64:65]
	v_min3_f32 v140, v66, v64, v140
	v_add_f64 v[64:65], v[14:15], v[62:63]
	v_add_f64 v[66:67], v[12:13], v[60:61]
	v_cvt_f32_f64_e32 v66, v[66:67]
	v_cvt_f32_f64_e32 v64, v[64:65]
	v_min3_f32 v139, v66, v64, v139
	v_add_f64 v[64:65], v[10:11], v[62:63]
	v_add_f64 v[66:67], v[8:9], v[60:61]
	v_cvt_f32_f64_e32 v66, v[66:67]
	v_cvt_f32_f64_e32 v64, v[64:65]
	v_min3_f32 v138, v66, v64, v138
	v_add_f64 v[64:65], v[6:7], v[62:63]
	v_add_f64 v[66:67], v[4:5], v[60:61]
	v_add_f64 v[62:63], v[2:3], v[62:63]
	v_add_f64 v[60:61], v[0:1], v[60:61]
	v_cvt_f32_f64_e32 v60, v[60:61]
	v_cvt_f32_f64_e32 v61, v[62:63]
	v_min3_f32 v136, v60, v61, v136
	s_waitcnt lgkmcnt(6)
	v_add_f64 v[60:61], v[34:35], v[58:59]
	v_add_f64 v[62:63], v[32:33], v[56:57]
	v_cvt_f32_f64_e32 v62, v[62:63]
	v_cvt_f32_f64_e32 v60, v[60:61]
	v_min3_f32 v135, v62, v60, v135
	v_add_f64 v[60:61], v[30:31], v[58:59]
	v_add_f64 v[62:63], v[28:29], v[56:57]
	v_cvt_f32_f64_e32 v62, v[62:63]
	v_cvt_f32_f64_e32 v60, v[60:61]
	v_min3_f32 v134, v62, v60, v134
	v_add_f64 v[60:61], v[26:27], v[58:59]
	v_add_f64 v[62:63], v[24:25], v[56:57]
	v_cvt_f32_f64_e32 v62, v[62:63]
	v_cvt_f32_f64_e32 v60, v[60:61]
	v_min3_f32 v131, v62, v60, v131
	v_add_f64 v[60:61], v[18:19], v[58:59]
	v_add_f64 v[62:63], v[16:17], v[56:57]
	v_cvt_f32_f64_e32 v62, v[62:63]
	v_cvt_f32_f64_e32 v60, v[60:61]
	v_min3_f32 v130, v62, v60, v130
	v_add_f64 v[60:61], v[14:15], v[58:59]
	v_add_f64 v[62:63], v[12:13], v[56:57]
	v_cvt_f32_f64_e32 v62, v[62:63]
	v_cvt_f32_f64_e32 v60, v[60:61]
	v_min3_f32 v129, v62, v60, v129
	v_add_f64 v[60:61], v[10:11], v[58:59]
	v_add_f64 v[62:63], v[8:9], v[56:57]
	v_cvt_f32_f64_e32 v62, v[62:63]
	v_cvt_f32_f64_e32 v60, v[60:61]
	v_min3_f32 v128, v62, v60, v128
	v_add_f64 v[60:61], v[6:7], v[58:59]
	v_add_f64 v[62:63], v[4:5], v[56:57]
	v_add_f64 v[58:59], v[2:3], v[58:59]
	v_add_f64 v[56:57], v[0:1], v[56:57]
	v_cvt_f32_f64_e32 v56, v[56:57]
	v_cvt_f32_f64_e32 v57, v[58:59]
	v_min3_f32 v126, v56, v57, v126
	;; [unrolled: 38-line block ×6, first 2 shown]
	s_waitcnt lgkmcnt(1)
	v_add_f64 v[40:41], v[34:35], v[38:39]
	v_add_f64 v[42:43], v[32:33], v[36:37]
	v_cvt_f32_f64_e32 v42, v[42:43]
	v_cvt_f32_f64_e32 v40, v[40:41]
	v_min3_f32 v93, v42, v40, v93
	v_add_f64 v[40:41], v[30:31], v[38:39]
	v_add_f64 v[42:43], v[28:29], v[36:37]
	v_cvt_f32_f64_e32 v42, v[42:43]
	v_cvt_f32_f64_e32 v40, v[40:41]
	v_min3_f32 v92, v42, v40, v92
	;; [unrolled: 5-line block ×6, first 2 shown]
	v_add_f64 v[40:41], v[6:7], v[38:39]
	v_add_f64 v[42:43], v[4:5], v[36:37]
	;; [unrolled: 1-line block ×4, first 2 shown]
	s_waitcnt lgkmcnt(0)
	v_add_f64 v[34:35], v[34:35], v[22:23]
	v_add_f64 v[32:33], v[32:33], v[20:21]
	v_add_f64 v[30:31], v[30:31], v[22:23]
	v_add_f64 v[28:29], v[28:29], v[20:21]
	v_add_f64 v[26:27], v[26:27], v[22:23]
	v_add_f64 v[24:25], v[24:25], v[20:21]
	v_add_f64 v[18:19], v[18:19], v[22:23]
	v_add_f64 v[16:17], v[16:17], v[20:21]
	v_add_f64 v[14:15], v[14:15], v[22:23]
	v_add_f64 v[12:13], v[12:13], v[20:21]
	v_add_f64 v[10:11], v[10:11], v[22:23]
	v_add_f64 v[8:9], v[8:9], v[20:21]
	v_add_f64 v[6:7], v[6:7], v[22:23]
	v_add_f64 v[4:5], v[4:5], v[20:21]
	v_add_f64 v[2:3], v[2:3], v[22:23]
	v_add_f64 v[0:1], v[0:1], v[20:21]
	v_cvt_f32_f64_e32 v66, v[66:67]
	v_cvt_f32_f64_e32 v64, v[64:65]
	;; [unrolled: 1-line block ×32, first 2 shown]
	v_min3_f32 v137, v66, v64, v137
	v_min3_f32 v127, v62, v60, v127
	;; [unrolled: 1-line block ×16, first 2 shown]
	s_mov_b32 s4, 2
	s_mov_b64 s[2:3], 0
	s_cbranch_vccz .LBB128_58
; %bb.59:
	s_load_dwordx2 s[2:3], s[0:1], 0x78
	s_load_dword s31, s[0:1], 0x58
	s_load_dword s30, s[0:1], 0x70
	v_add_u32_e32 v22, s33, v133
	v_add_u32_e32 v0, s27, v132
	s_waitcnt lgkmcnt(0)
	s_lshl_b64 s[0:1], s[2:3], 3
	s_add_u32 s26, s18, s0
	s_addc_u32 s27, s19, s1
	v_mad_i64_i32 v[2:3], s[0:1], v22, s31, 0
	v_lshl_add_u64 v[18:19], v[2:3], 3, s[20:21]
	v_mad_i64_i32 v[2:3], s[0:1], v22, s30, 0
	v_cmp_gt_i32_e64 s[2:3], s24, v0
	v_cmp_gt_i32_e64 s[18:19], s25, v22
	v_lshl_add_u64 v[16:17], v[2:3], 3, s[26:27]
	v_cndmask_b32_e64 v2, 0, 1, s[14:15]
	v_ashrrev_i32_e32 v1, 31, v0
	s_and_b64 s[6:7], s[2:3], s[18:19]
	v_cmp_ne_u32_e64 s[0:1], 1, v2
	s_and_saveexec_b64 s[4:5], s[6:7]
	s_cbranch_execz .LBB128_64
; %bb.60:
	s_and_b64 vcc, exec, s[0:1]
	s_cbranch_vccnz .LBB128_62
; %bb.61:
	v_lshl_add_u64 v[2:3], v[0:1], 3, v[18:19]
	flat_load_dwordx2 v[2:3], v[2:3]
	s_waitcnt vmcnt(0) lgkmcnt(0)
	v_mul_f64 v[2:3], v[2:3], s[22:23]
	s_branch .LBB128_63
.LBB128_62:
	v_mov_b64_e32 v[2:3], 0
.LBB128_63:
	v_cvt_f32_f64_e32 v2, v[2:3]
	v_max_f32_e32 v3, v143, v143
	v_min_f32_e32 v2, v2, v3
	v_cvt_f64_f32_e32 v[2:3], v2
	v_lshl_add_u64 v[4:5], v[0:1], 3, v[16:17]
	global_store_dwordx2 v[4:5], v[2:3], off
.LBB128_64:
	s_or_b64 exec, exec, s[4:5]
	v_add_u32_e32 v2, 8, v0
	v_cmp_gt_i32_e64 s[4:5], s24, v2
	v_ashrrev_i32_e32 v3, 31, v2
	s_and_b64 s[8:9], s[4:5], s[18:19]
	s_and_saveexec_b64 s[6:7], s[8:9]
	s_cbranch_execz .LBB128_69
; %bb.65:
	s_and_b64 vcc, exec, s[0:1]
	s_cbranch_vccnz .LBB128_67
; %bb.66:
	v_lshl_add_u64 v[4:5], v[2:3], 3, v[18:19]
	flat_load_dwordx2 v[4:5], v[4:5]
	s_waitcnt vmcnt(0) lgkmcnt(0)
	v_mul_f64 v[4:5], v[4:5], s[22:23]
	s_branch .LBB128_68
.LBB128_67:
	v_mov_b64_e32 v[4:5], 0
.LBB128_68:
	v_cvt_f32_f64_e32 v4, v[4:5]
	v_max_f32_e32 v5, v142, v142
	v_min_f32_e32 v4, v4, v5
	v_cvt_f64_f32_e32 v[4:5], v4
	v_lshl_add_u64 v[6:7], v[2:3], 3, v[16:17]
	global_store_dwordx2 v[6:7], v[4:5], off
.LBB128_69:
	s_or_b64 exec, exec, s[6:7]
	v_add_u32_e32 v4, 16, v0
	v_cmp_gt_i32_e64 s[6:7], s24, v4
	v_ashrrev_i32_e32 v5, 31, v4
	s_and_b64 s[10:11], s[6:7], s[18:19]
	;; [unrolled: 26-line block ×7, first 2 shown]
	s_and_saveexec_b64 s[18:19], s[28:29]
	s_cbranch_execz .LBB128_99
; %bb.95:
	s_and_b64 vcc, exec, s[0:1]
	s_cbranch_vccnz .LBB128_97
; %bb.96:
	v_lshl_add_u64 v[18:19], v[14:15], 3, v[18:19]
	flat_load_dwordx2 v[18:19], v[18:19]
	s_waitcnt vmcnt(0) lgkmcnt(0)
	v_mul_f64 v[18:19], v[18:19], s[22:23]
	s_branch .LBB128_98
.LBB128_97:
	v_mov_b64_e32 v[18:19], 0
.LBB128_98:
	v_cvt_f32_f64_e32 v18, v[18:19]
	v_max_f32_e32 v19, v136, v136
	v_min_f32_e32 v18, v18, v19
	v_cvt_f64_f32_e32 v[18:19], v18
	v_lshl_add_u64 v[16:17], v[14:15], 3, v[16:17]
	global_store_dwordx2 v[16:17], v[18:19], off
.LBB128_99:
	s_or_b64 exec, exec, s[18:19]
	v_add_u32_e32 v20, 32, v22
	v_mad_i64_i32 v[16:17], s[28:29], v20, s31, 0
	v_cmp_gt_i32_e64 s[18:19], s25, v20
	v_lshl_add_u64 v[18:19], v[16:17], 3, s[20:21]
	v_mad_i64_i32 v[16:17], s[28:29], v20, s30, 0
	v_lshl_add_u64 v[16:17], v[16:17], 3, s[26:27]
	s_and_b64 s[34:35], s[2:3], s[18:19]
	s_and_saveexec_b64 s[28:29], s[34:35]
	s_cbranch_execnz .LBB128_107
; %bb.100:
	s_or_b64 exec, exec, s[28:29]
	s_and_b64 s[34:35], s[4:5], s[18:19]
	s_and_saveexec_b64 s[28:29], s[34:35]
	s_cbranch_execnz .LBB128_111
.LBB128_101:
	s_or_b64 exec, exec, s[28:29]
	s_and_b64 s[34:35], s[6:7], s[18:19]
	s_and_saveexec_b64 s[28:29], s[34:35]
	s_cbranch_execnz .LBB128_115
.LBB128_102:
	s_or_b64 exec, exec, s[28:29]
	s_and_b64 s[34:35], s[8:9], s[18:19]
	s_and_saveexec_b64 s[28:29], s[34:35]
	s_cbranch_execnz .LBB128_119
.LBB128_103:
	s_or_b64 exec, exec, s[28:29]
	s_and_b64 s[34:35], s[10:11], s[18:19]
	s_and_saveexec_b64 s[28:29], s[34:35]
	s_cbranch_execnz .LBB128_123
.LBB128_104:
	s_or_b64 exec, exec, s[28:29]
	s_and_b64 s[34:35], s[12:13], s[18:19]
	s_and_saveexec_b64 s[28:29], s[34:35]
	s_cbranch_execnz .LBB128_127
.LBB128_105:
	s_or_b64 exec, exec, s[28:29]
	s_and_b64 s[34:35], s[14:15], s[18:19]
	s_and_saveexec_b64 s[28:29], s[34:35]
	s_cbranch_execnz .LBB128_131
.LBB128_106:
	s_or_b64 exec, exec, s[28:29]
	s_and_b64 s[28:29], s[16:17], s[18:19]
	s_and_saveexec_b64 s[18:19], s[28:29]
	s_cbranch_execnz .LBB128_135
	s_branch .LBB128_139
.LBB128_107:
	s_and_b64 vcc, exec, s[0:1]
	s_cbranch_vccnz .LBB128_109
; %bb.108:
	v_lshl_add_u64 v[20:21], v[0:1], 3, v[18:19]
	flat_load_dwordx2 v[20:21], v[20:21]
	s_waitcnt vmcnt(0) lgkmcnt(0)
	v_mul_f64 v[20:21], v[20:21], s[22:23]
	s_branch .LBB128_110
.LBB128_109:
	v_mov_b64_e32 v[20:21], 0
.LBB128_110:
	v_cvt_f32_f64_e32 v20, v[20:21]
	v_max_f32_e32 v21, v135, v135
	v_min_f32_e32 v20, v20, v21
	v_cvt_f64_f32_e32 v[20:21], v20
	v_lshl_add_u64 v[24:25], v[0:1], 3, v[16:17]
	global_store_dwordx2 v[24:25], v[20:21], off
	s_or_b64 exec, exec, s[28:29]
	s_and_b64 s[34:35], s[4:5], s[18:19]
	s_and_saveexec_b64 s[28:29], s[34:35]
	s_cbranch_execz .LBB128_101
.LBB128_111:
	s_and_b64 vcc, exec, s[0:1]
	s_cbranch_vccnz .LBB128_113
; %bb.112:
	v_lshl_add_u64 v[20:21], v[2:3], 3, v[18:19]
	flat_load_dwordx2 v[20:21], v[20:21]
	s_waitcnt vmcnt(0) lgkmcnt(0)
	v_mul_f64 v[20:21], v[20:21], s[22:23]
	s_branch .LBB128_114
.LBB128_113:
	v_mov_b64_e32 v[20:21], 0
.LBB128_114:
	v_cvt_f32_f64_e32 v20, v[20:21]
	v_max_f32_e32 v21, v134, v134
	v_min_f32_e32 v20, v20, v21
	v_cvt_f64_f32_e32 v[20:21], v20
	v_lshl_add_u64 v[24:25], v[2:3], 3, v[16:17]
	global_store_dwordx2 v[24:25], v[20:21], off
	s_or_b64 exec, exec, s[28:29]
	s_and_b64 s[34:35], s[6:7], s[18:19]
	s_and_saveexec_b64 s[28:29], s[34:35]
	s_cbranch_execz .LBB128_102
.LBB128_115:
	s_and_b64 vcc, exec, s[0:1]
	s_cbranch_vccnz .LBB128_117
; %bb.116:
	v_lshl_add_u64 v[20:21], v[4:5], 3, v[18:19]
	flat_load_dwordx2 v[20:21], v[20:21]
	s_waitcnt vmcnt(0) lgkmcnt(0)
	v_mul_f64 v[20:21], v[20:21], s[22:23]
	s_branch .LBB128_118
.LBB128_117:
	v_mov_b64_e32 v[20:21], 0
.LBB128_118:
	v_cvt_f32_f64_e32 v20, v[20:21]
	v_max_f32_e32 v21, v131, v131
	v_min_f32_e32 v20, v20, v21
	v_cvt_f64_f32_e32 v[20:21], v20
	v_lshl_add_u64 v[24:25], v[4:5], 3, v[16:17]
	global_store_dwordx2 v[24:25], v[20:21], off
	s_or_b64 exec, exec, s[28:29]
	s_and_b64 s[34:35], s[8:9], s[18:19]
	s_and_saveexec_b64 s[28:29], s[34:35]
	s_cbranch_execz .LBB128_103
.LBB128_119:
	s_and_b64 vcc, exec, s[0:1]
	s_cbranch_vccnz .LBB128_121
; %bb.120:
	v_lshl_add_u64 v[20:21], v[6:7], 3, v[18:19]
	flat_load_dwordx2 v[20:21], v[20:21]
	s_waitcnt vmcnt(0) lgkmcnt(0)
	v_mul_f64 v[20:21], v[20:21], s[22:23]
	s_branch .LBB128_122
.LBB128_121:
	v_mov_b64_e32 v[20:21], 0
.LBB128_122:
	v_cvt_f32_f64_e32 v20, v[20:21]
	v_max_f32_e32 v21, v130, v130
	v_min_f32_e32 v20, v20, v21
	v_cvt_f64_f32_e32 v[20:21], v20
	v_lshl_add_u64 v[24:25], v[6:7], 3, v[16:17]
	global_store_dwordx2 v[24:25], v[20:21], off
	s_or_b64 exec, exec, s[28:29]
	s_and_b64 s[34:35], s[10:11], s[18:19]
	s_and_saveexec_b64 s[28:29], s[34:35]
	s_cbranch_execz .LBB128_104
.LBB128_123:
	s_and_b64 vcc, exec, s[0:1]
	s_cbranch_vccnz .LBB128_125
; %bb.124:
	v_lshl_add_u64 v[20:21], v[8:9], 3, v[18:19]
	flat_load_dwordx2 v[20:21], v[20:21]
	s_waitcnt vmcnt(0) lgkmcnt(0)
	v_mul_f64 v[20:21], v[20:21], s[22:23]
	s_branch .LBB128_126
.LBB128_125:
	v_mov_b64_e32 v[20:21], 0
.LBB128_126:
	v_cvt_f32_f64_e32 v20, v[20:21]
	v_max_f32_e32 v21, v129, v129
	v_min_f32_e32 v20, v20, v21
	v_cvt_f64_f32_e32 v[20:21], v20
	v_lshl_add_u64 v[24:25], v[8:9], 3, v[16:17]
	global_store_dwordx2 v[24:25], v[20:21], off
	s_or_b64 exec, exec, s[28:29]
	s_and_b64 s[34:35], s[12:13], s[18:19]
	s_and_saveexec_b64 s[28:29], s[34:35]
	s_cbranch_execz .LBB128_105
.LBB128_127:
	s_and_b64 vcc, exec, s[0:1]
	s_cbranch_vccnz .LBB128_129
; %bb.128:
	v_lshl_add_u64 v[20:21], v[10:11], 3, v[18:19]
	flat_load_dwordx2 v[20:21], v[20:21]
	s_waitcnt vmcnt(0) lgkmcnt(0)
	v_mul_f64 v[20:21], v[20:21], s[22:23]
	s_branch .LBB128_130
.LBB128_129:
	v_mov_b64_e32 v[20:21], 0
.LBB128_130:
	v_cvt_f32_f64_e32 v20, v[20:21]
	v_max_f32_e32 v21, v128, v128
	v_min_f32_e32 v20, v20, v21
	v_cvt_f64_f32_e32 v[20:21], v20
	v_lshl_add_u64 v[24:25], v[10:11], 3, v[16:17]
	global_store_dwordx2 v[24:25], v[20:21], off
	s_or_b64 exec, exec, s[28:29]
	s_and_b64 s[34:35], s[14:15], s[18:19]
	s_and_saveexec_b64 s[28:29], s[34:35]
	s_cbranch_execz .LBB128_106
.LBB128_131:
	s_and_b64 vcc, exec, s[0:1]
	s_cbranch_vccnz .LBB128_133
; %bb.132:
	v_lshl_add_u64 v[20:21], v[12:13], 3, v[18:19]
	flat_load_dwordx2 v[20:21], v[20:21]
	s_waitcnt vmcnt(0) lgkmcnt(0)
	v_mul_f64 v[20:21], v[20:21], s[22:23]
	s_branch .LBB128_134
.LBB128_133:
	v_mov_b64_e32 v[20:21], 0
.LBB128_134:
	v_cvt_f32_f64_e32 v20, v[20:21]
	v_max_f32_e32 v21, v127, v127
	v_min_f32_e32 v20, v20, v21
	v_cvt_f64_f32_e32 v[20:21], v20
	v_lshl_add_u64 v[24:25], v[12:13], 3, v[16:17]
	global_store_dwordx2 v[24:25], v[20:21], off
	s_or_b64 exec, exec, s[28:29]
	s_and_b64 s[28:29], s[16:17], s[18:19]
	s_and_saveexec_b64 s[18:19], s[28:29]
	s_cbranch_execz .LBB128_139
.LBB128_135:
	s_and_b64 vcc, exec, s[0:1]
	s_cbranch_vccnz .LBB128_137
; %bb.136:
	v_lshl_add_u64 v[18:19], v[14:15], 3, v[18:19]
	flat_load_dwordx2 v[18:19], v[18:19]
	s_waitcnt vmcnt(0) lgkmcnt(0)
	v_mul_f64 v[18:19], v[18:19], s[22:23]
	s_branch .LBB128_138
.LBB128_137:
	v_mov_b64_e32 v[18:19], 0
.LBB128_138:
	v_cvt_f32_f64_e32 v18, v[18:19]
	v_max_f32_e32 v19, v126, v126
	v_min_f32_e32 v18, v18, v19
	v_cvt_f64_f32_e32 v[18:19], v18
	v_lshl_add_u64 v[16:17], v[14:15], 3, v[16:17]
	global_store_dwordx2 v[16:17], v[18:19], off
.LBB128_139:
	s_or_b64 exec, exec, s[18:19]
	v_add_u32_e32 v20, 64, v22
	v_mad_i64_i32 v[16:17], s[28:29], v20, s31, 0
	v_cmp_gt_i32_e64 s[18:19], s25, v20
	v_lshl_add_u64 v[18:19], v[16:17], 3, s[20:21]
	v_mad_i64_i32 v[16:17], s[28:29], v20, s30, 0
	v_lshl_add_u64 v[16:17], v[16:17], 3, s[26:27]
	s_and_b64 s[34:35], s[2:3], s[18:19]
	s_and_saveexec_b64 s[28:29], s[34:35]
	s_cbranch_execnz .LBB128_147
; %bb.140:
	s_or_b64 exec, exec, s[28:29]
	s_and_b64 s[34:35], s[4:5], s[18:19]
	s_and_saveexec_b64 s[28:29], s[34:35]
	s_cbranch_execnz .LBB128_151
.LBB128_141:
	s_or_b64 exec, exec, s[28:29]
	s_and_b64 s[34:35], s[6:7], s[18:19]
	s_and_saveexec_b64 s[28:29], s[34:35]
	s_cbranch_execnz .LBB128_155
.LBB128_142:
	s_or_b64 exec, exec, s[28:29]
	s_and_b64 s[34:35], s[8:9], s[18:19]
	s_and_saveexec_b64 s[28:29], s[34:35]
	s_cbranch_execnz .LBB128_159
.LBB128_143:
	s_or_b64 exec, exec, s[28:29]
	s_and_b64 s[34:35], s[10:11], s[18:19]
	s_and_saveexec_b64 s[28:29], s[34:35]
	s_cbranch_execnz .LBB128_163
.LBB128_144:
	s_or_b64 exec, exec, s[28:29]
	s_and_b64 s[34:35], s[12:13], s[18:19]
	s_and_saveexec_b64 s[28:29], s[34:35]
	s_cbranch_execnz .LBB128_167
.LBB128_145:
	s_or_b64 exec, exec, s[28:29]
	s_and_b64 s[34:35], s[14:15], s[18:19]
	s_and_saveexec_b64 s[28:29], s[34:35]
	s_cbranch_execnz .LBB128_171
.LBB128_146:
	s_or_b64 exec, exec, s[28:29]
	s_and_b64 s[28:29], s[16:17], s[18:19]
	s_and_saveexec_b64 s[18:19], s[28:29]
	s_cbranch_execnz .LBB128_175
	s_branch .LBB128_179
.LBB128_147:
	s_and_b64 vcc, exec, s[0:1]
	s_cbranch_vccnz .LBB128_149
; %bb.148:
	v_lshl_add_u64 v[20:21], v[0:1], 3, v[18:19]
	flat_load_dwordx2 v[20:21], v[20:21]
	s_waitcnt vmcnt(0) lgkmcnt(0)
	v_mul_f64 v[20:21], v[20:21], s[22:23]
	s_branch .LBB128_150
.LBB128_149:
	v_mov_b64_e32 v[20:21], 0
.LBB128_150:
	v_cvt_f32_f64_e32 v20, v[20:21]
	v_max_f32_e32 v21, v125, v125
	v_min_f32_e32 v20, v20, v21
	v_cvt_f64_f32_e32 v[20:21], v20
	v_lshl_add_u64 v[24:25], v[0:1], 3, v[16:17]
	global_store_dwordx2 v[24:25], v[20:21], off
	s_or_b64 exec, exec, s[28:29]
	s_and_b64 s[34:35], s[4:5], s[18:19]
	s_and_saveexec_b64 s[28:29], s[34:35]
	s_cbranch_execz .LBB128_141
.LBB128_151:
	s_and_b64 vcc, exec, s[0:1]
	s_cbranch_vccnz .LBB128_153
; %bb.152:
	v_lshl_add_u64 v[20:21], v[2:3], 3, v[18:19]
	flat_load_dwordx2 v[20:21], v[20:21]
	s_waitcnt vmcnt(0) lgkmcnt(0)
	v_mul_f64 v[20:21], v[20:21], s[22:23]
	s_branch .LBB128_154
.LBB128_153:
	v_mov_b64_e32 v[20:21], 0
.LBB128_154:
	v_cvt_f32_f64_e32 v20, v[20:21]
	v_max_f32_e32 v21, v124, v124
	v_min_f32_e32 v20, v20, v21
	v_cvt_f64_f32_e32 v[20:21], v20
	v_lshl_add_u64 v[24:25], v[2:3], 3, v[16:17]
	global_store_dwordx2 v[24:25], v[20:21], off
	s_or_b64 exec, exec, s[28:29]
	s_and_b64 s[34:35], s[6:7], s[18:19]
	s_and_saveexec_b64 s[28:29], s[34:35]
	s_cbranch_execz .LBB128_142
.LBB128_155:
	s_and_b64 vcc, exec, s[0:1]
	s_cbranch_vccnz .LBB128_157
; %bb.156:
	v_lshl_add_u64 v[20:21], v[4:5], 3, v[18:19]
	flat_load_dwordx2 v[20:21], v[20:21]
	s_waitcnt vmcnt(0) lgkmcnt(0)
	v_mul_f64 v[20:21], v[20:21], s[22:23]
	s_branch .LBB128_158
.LBB128_157:
	v_mov_b64_e32 v[20:21], 0
.LBB128_158:
	v_cvt_f32_f64_e32 v20, v[20:21]
	v_max_f32_e32 v21, v123, v123
	v_min_f32_e32 v20, v20, v21
	v_cvt_f64_f32_e32 v[20:21], v20
	v_lshl_add_u64 v[24:25], v[4:5], 3, v[16:17]
	global_store_dwordx2 v[24:25], v[20:21], off
	s_or_b64 exec, exec, s[28:29]
	s_and_b64 s[34:35], s[8:9], s[18:19]
	s_and_saveexec_b64 s[28:29], s[34:35]
	s_cbranch_execz .LBB128_143
.LBB128_159:
	s_and_b64 vcc, exec, s[0:1]
	s_cbranch_vccnz .LBB128_161
; %bb.160:
	v_lshl_add_u64 v[20:21], v[6:7], 3, v[18:19]
	flat_load_dwordx2 v[20:21], v[20:21]
	s_waitcnt vmcnt(0) lgkmcnt(0)
	v_mul_f64 v[20:21], v[20:21], s[22:23]
	s_branch .LBB128_162
.LBB128_161:
	v_mov_b64_e32 v[20:21], 0
.LBB128_162:
	v_cvt_f32_f64_e32 v20, v[20:21]
	v_max_f32_e32 v21, v122, v122
	v_min_f32_e32 v20, v20, v21
	v_cvt_f64_f32_e32 v[20:21], v20
	v_lshl_add_u64 v[24:25], v[6:7], 3, v[16:17]
	global_store_dwordx2 v[24:25], v[20:21], off
	s_or_b64 exec, exec, s[28:29]
	s_and_b64 s[34:35], s[10:11], s[18:19]
	s_and_saveexec_b64 s[28:29], s[34:35]
	s_cbranch_execz .LBB128_144
.LBB128_163:
	s_and_b64 vcc, exec, s[0:1]
	s_cbranch_vccnz .LBB128_165
; %bb.164:
	v_lshl_add_u64 v[20:21], v[8:9], 3, v[18:19]
	flat_load_dwordx2 v[20:21], v[20:21]
	s_waitcnt vmcnt(0) lgkmcnt(0)
	v_mul_f64 v[20:21], v[20:21], s[22:23]
	s_branch .LBB128_166
.LBB128_165:
	v_mov_b64_e32 v[20:21], 0
.LBB128_166:
	v_cvt_f32_f64_e32 v20, v[20:21]
	v_max_f32_e32 v21, v121, v121
	v_min_f32_e32 v20, v20, v21
	v_cvt_f64_f32_e32 v[20:21], v20
	v_lshl_add_u64 v[24:25], v[8:9], 3, v[16:17]
	global_store_dwordx2 v[24:25], v[20:21], off
	s_or_b64 exec, exec, s[28:29]
	s_and_b64 s[34:35], s[12:13], s[18:19]
	s_and_saveexec_b64 s[28:29], s[34:35]
	s_cbranch_execz .LBB128_145
.LBB128_167:
	s_and_b64 vcc, exec, s[0:1]
	s_cbranch_vccnz .LBB128_169
; %bb.168:
	v_lshl_add_u64 v[20:21], v[10:11], 3, v[18:19]
	flat_load_dwordx2 v[20:21], v[20:21]
	s_waitcnt vmcnt(0) lgkmcnt(0)
	v_mul_f64 v[20:21], v[20:21], s[22:23]
	s_branch .LBB128_170
.LBB128_169:
	v_mov_b64_e32 v[20:21], 0
.LBB128_170:
	v_cvt_f32_f64_e32 v20, v[20:21]
	v_max_f32_e32 v21, v120, v120
	v_min_f32_e32 v20, v20, v21
	v_cvt_f64_f32_e32 v[20:21], v20
	v_lshl_add_u64 v[24:25], v[10:11], 3, v[16:17]
	global_store_dwordx2 v[24:25], v[20:21], off
	s_or_b64 exec, exec, s[28:29]
	s_and_b64 s[34:35], s[14:15], s[18:19]
	s_and_saveexec_b64 s[28:29], s[34:35]
	s_cbranch_execz .LBB128_146
.LBB128_171:
	s_and_b64 vcc, exec, s[0:1]
	s_cbranch_vccnz .LBB128_173
; %bb.172:
	v_lshl_add_u64 v[20:21], v[12:13], 3, v[18:19]
	flat_load_dwordx2 v[20:21], v[20:21]
	s_waitcnt vmcnt(0) lgkmcnt(0)
	v_mul_f64 v[20:21], v[20:21], s[22:23]
	s_branch .LBB128_174
.LBB128_173:
	v_mov_b64_e32 v[20:21], 0
.LBB128_174:
	v_cvt_f32_f64_e32 v20, v[20:21]
	v_max_f32_e32 v21, v119, v119
	v_min_f32_e32 v20, v20, v21
	v_cvt_f64_f32_e32 v[20:21], v20
	v_lshl_add_u64 v[24:25], v[12:13], 3, v[16:17]
	global_store_dwordx2 v[24:25], v[20:21], off
	s_or_b64 exec, exec, s[28:29]
	s_and_b64 s[28:29], s[16:17], s[18:19]
	s_and_saveexec_b64 s[18:19], s[28:29]
	s_cbranch_execz .LBB128_179
.LBB128_175:
	s_and_b64 vcc, exec, s[0:1]
	s_cbranch_vccnz .LBB128_177
; %bb.176:
	v_lshl_add_u64 v[18:19], v[14:15], 3, v[18:19]
	flat_load_dwordx2 v[18:19], v[18:19]
	s_waitcnt vmcnt(0) lgkmcnt(0)
	v_mul_f64 v[18:19], v[18:19], s[22:23]
	s_branch .LBB128_178
.LBB128_177:
	v_mov_b64_e32 v[18:19], 0
.LBB128_178:
	v_cvt_f32_f64_e32 v18, v[18:19]
	v_max_f32_e32 v19, v118, v118
	v_min_f32_e32 v18, v18, v19
	v_cvt_f64_f32_e32 v[18:19], v18
	v_lshl_add_u64 v[16:17], v[14:15], 3, v[16:17]
	global_store_dwordx2 v[16:17], v[18:19], off
.LBB128_179:
	s_or_b64 exec, exec, s[18:19]
	v_add_u32_e32 v20, 0x60, v22
	v_mad_i64_i32 v[16:17], s[28:29], v20, s31, 0
	v_cmp_gt_i32_e64 s[18:19], s25, v20
	v_lshl_add_u64 v[18:19], v[16:17], 3, s[20:21]
	v_mad_i64_i32 v[16:17], s[28:29], v20, s30, 0
	v_lshl_add_u64 v[16:17], v[16:17], 3, s[26:27]
	s_and_b64 s[34:35], s[2:3], s[18:19]
	s_and_saveexec_b64 s[28:29], s[34:35]
	s_cbranch_execnz .LBB128_187
; %bb.180:
	s_or_b64 exec, exec, s[28:29]
	s_and_b64 s[34:35], s[4:5], s[18:19]
	s_and_saveexec_b64 s[28:29], s[34:35]
	s_cbranch_execnz .LBB128_191
.LBB128_181:
	s_or_b64 exec, exec, s[28:29]
	s_and_b64 s[34:35], s[6:7], s[18:19]
	s_and_saveexec_b64 s[28:29], s[34:35]
	s_cbranch_execnz .LBB128_195
.LBB128_182:
	s_or_b64 exec, exec, s[28:29]
	s_and_b64 s[34:35], s[8:9], s[18:19]
	s_and_saveexec_b64 s[28:29], s[34:35]
	s_cbranch_execnz .LBB128_199
.LBB128_183:
	s_or_b64 exec, exec, s[28:29]
	s_and_b64 s[34:35], s[10:11], s[18:19]
	s_and_saveexec_b64 s[28:29], s[34:35]
	s_cbranch_execnz .LBB128_203
.LBB128_184:
	s_or_b64 exec, exec, s[28:29]
	s_and_b64 s[34:35], s[12:13], s[18:19]
	s_and_saveexec_b64 s[28:29], s[34:35]
	s_cbranch_execnz .LBB128_207
.LBB128_185:
	s_or_b64 exec, exec, s[28:29]
	s_and_b64 s[34:35], s[14:15], s[18:19]
	s_and_saveexec_b64 s[28:29], s[34:35]
	s_cbranch_execnz .LBB128_211
.LBB128_186:
	s_or_b64 exec, exec, s[28:29]
	s_and_b64 s[28:29], s[16:17], s[18:19]
	s_and_saveexec_b64 s[18:19], s[28:29]
	s_cbranch_execnz .LBB128_215
	s_branch .LBB128_219
.LBB128_187:
	s_and_b64 vcc, exec, s[0:1]
	s_cbranch_vccnz .LBB128_189
; %bb.188:
	v_lshl_add_u64 v[20:21], v[0:1], 3, v[18:19]
	flat_load_dwordx2 v[20:21], v[20:21]
	s_waitcnt vmcnt(0) lgkmcnt(0)
	v_mul_f64 v[20:21], v[20:21], s[22:23]
	s_branch .LBB128_190
.LBB128_189:
	v_mov_b64_e32 v[20:21], 0
.LBB128_190:
	v_cvt_f32_f64_e32 v20, v[20:21]
	v_max_f32_e32 v21, v117, v117
	v_min_f32_e32 v20, v20, v21
	v_cvt_f64_f32_e32 v[20:21], v20
	v_lshl_add_u64 v[24:25], v[0:1], 3, v[16:17]
	global_store_dwordx2 v[24:25], v[20:21], off
	s_or_b64 exec, exec, s[28:29]
	s_and_b64 s[34:35], s[4:5], s[18:19]
	s_and_saveexec_b64 s[28:29], s[34:35]
	s_cbranch_execz .LBB128_181
.LBB128_191:
	s_and_b64 vcc, exec, s[0:1]
	s_cbranch_vccnz .LBB128_193
; %bb.192:
	v_lshl_add_u64 v[20:21], v[2:3], 3, v[18:19]
	flat_load_dwordx2 v[20:21], v[20:21]
	s_waitcnt vmcnt(0) lgkmcnt(0)
	v_mul_f64 v[20:21], v[20:21], s[22:23]
	s_branch .LBB128_194
.LBB128_193:
	v_mov_b64_e32 v[20:21], 0
.LBB128_194:
	v_cvt_f32_f64_e32 v20, v[20:21]
	v_max_f32_e32 v21, v116, v116
	v_min_f32_e32 v20, v20, v21
	v_cvt_f64_f32_e32 v[20:21], v20
	v_lshl_add_u64 v[24:25], v[2:3], 3, v[16:17]
	global_store_dwordx2 v[24:25], v[20:21], off
	s_or_b64 exec, exec, s[28:29]
	s_and_b64 s[34:35], s[6:7], s[18:19]
	s_and_saveexec_b64 s[28:29], s[34:35]
	s_cbranch_execz .LBB128_182
.LBB128_195:
	s_and_b64 vcc, exec, s[0:1]
	s_cbranch_vccnz .LBB128_197
; %bb.196:
	v_lshl_add_u64 v[20:21], v[4:5], 3, v[18:19]
	flat_load_dwordx2 v[20:21], v[20:21]
	s_waitcnt vmcnt(0) lgkmcnt(0)
	v_mul_f64 v[20:21], v[20:21], s[22:23]
	s_branch .LBB128_198
.LBB128_197:
	v_mov_b64_e32 v[20:21], 0
.LBB128_198:
	v_cvt_f32_f64_e32 v20, v[20:21]
	v_max_f32_e32 v21, v115, v115
	v_min_f32_e32 v20, v20, v21
	v_cvt_f64_f32_e32 v[20:21], v20
	v_lshl_add_u64 v[24:25], v[4:5], 3, v[16:17]
	global_store_dwordx2 v[24:25], v[20:21], off
	s_or_b64 exec, exec, s[28:29]
	s_and_b64 s[34:35], s[8:9], s[18:19]
	s_and_saveexec_b64 s[28:29], s[34:35]
	s_cbranch_execz .LBB128_183
.LBB128_199:
	s_and_b64 vcc, exec, s[0:1]
	s_cbranch_vccnz .LBB128_201
; %bb.200:
	v_lshl_add_u64 v[20:21], v[6:7], 3, v[18:19]
	flat_load_dwordx2 v[20:21], v[20:21]
	s_waitcnt vmcnt(0) lgkmcnt(0)
	v_mul_f64 v[20:21], v[20:21], s[22:23]
	s_branch .LBB128_202
.LBB128_201:
	v_mov_b64_e32 v[20:21], 0
.LBB128_202:
	v_cvt_f32_f64_e32 v20, v[20:21]
	v_max_f32_e32 v21, v114, v114
	v_min_f32_e32 v20, v20, v21
	v_cvt_f64_f32_e32 v[20:21], v20
	v_lshl_add_u64 v[24:25], v[6:7], 3, v[16:17]
	global_store_dwordx2 v[24:25], v[20:21], off
	s_or_b64 exec, exec, s[28:29]
	s_and_b64 s[34:35], s[10:11], s[18:19]
	s_and_saveexec_b64 s[28:29], s[34:35]
	s_cbranch_execz .LBB128_184
.LBB128_203:
	s_and_b64 vcc, exec, s[0:1]
	s_cbranch_vccnz .LBB128_205
; %bb.204:
	v_lshl_add_u64 v[20:21], v[8:9], 3, v[18:19]
	flat_load_dwordx2 v[20:21], v[20:21]
	s_waitcnt vmcnt(0) lgkmcnt(0)
	v_mul_f64 v[20:21], v[20:21], s[22:23]
	s_branch .LBB128_206
.LBB128_205:
	v_mov_b64_e32 v[20:21], 0
.LBB128_206:
	v_cvt_f32_f64_e32 v20, v[20:21]
	v_max_f32_e32 v21, v113, v113
	v_min_f32_e32 v20, v20, v21
	v_cvt_f64_f32_e32 v[20:21], v20
	v_lshl_add_u64 v[24:25], v[8:9], 3, v[16:17]
	global_store_dwordx2 v[24:25], v[20:21], off
	s_or_b64 exec, exec, s[28:29]
	s_and_b64 s[34:35], s[12:13], s[18:19]
	s_and_saveexec_b64 s[28:29], s[34:35]
	s_cbranch_execz .LBB128_185
.LBB128_207:
	s_and_b64 vcc, exec, s[0:1]
	s_cbranch_vccnz .LBB128_209
; %bb.208:
	v_lshl_add_u64 v[20:21], v[10:11], 3, v[18:19]
	flat_load_dwordx2 v[20:21], v[20:21]
	s_waitcnt vmcnt(0) lgkmcnt(0)
	v_mul_f64 v[20:21], v[20:21], s[22:23]
	s_branch .LBB128_210
.LBB128_209:
	v_mov_b64_e32 v[20:21], 0
.LBB128_210:
	v_cvt_f32_f64_e32 v20, v[20:21]
	v_max_f32_e32 v21, v112, v112
	v_min_f32_e32 v20, v20, v21
	v_cvt_f64_f32_e32 v[20:21], v20
	v_lshl_add_u64 v[24:25], v[10:11], 3, v[16:17]
	global_store_dwordx2 v[24:25], v[20:21], off
	s_or_b64 exec, exec, s[28:29]
	s_and_b64 s[34:35], s[14:15], s[18:19]
	s_and_saveexec_b64 s[28:29], s[34:35]
	s_cbranch_execz .LBB128_186
.LBB128_211:
	s_and_b64 vcc, exec, s[0:1]
	s_cbranch_vccnz .LBB128_213
; %bb.212:
	v_lshl_add_u64 v[20:21], v[12:13], 3, v[18:19]
	flat_load_dwordx2 v[20:21], v[20:21]
	s_waitcnt vmcnt(0) lgkmcnt(0)
	v_mul_f64 v[20:21], v[20:21], s[22:23]
	s_branch .LBB128_214
.LBB128_213:
	v_mov_b64_e32 v[20:21], 0
.LBB128_214:
	v_cvt_f32_f64_e32 v20, v[20:21]
	v_max_f32_e32 v21, v111, v111
	v_min_f32_e32 v20, v20, v21
	v_cvt_f64_f32_e32 v[20:21], v20
	v_lshl_add_u64 v[24:25], v[12:13], 3, v[16:17]
	global_store_dwordx2 v[24:25], v[20:21], off
	s_or_b64 exec, exec, s[28:29]
	s_and_b64 s[28:29], s[16:17], s[18:19]
	s_and_saveexec_b64 s[18:19], s[28:29]
	s_cbranch_execz .LBB128_219
.LBB128_215:
	s_and_b64 vcc, exec, s[0:1]
	s_cbranch_vccnz .LBB128_217
; %bb.216:
	v_lshl_add_u64 v[18:19], v[14:15], 3, v[18:19]
	flat_load_dwordx2 v[18:19], v[18:19]
	s_waitcnt vmcnt(0) lgkmcnt(0)
	v_mul_f64 v[18:19], v[18:19], s[22:23]
	s_branch .LBB128_218
.LBB128_217:
	v_mov_b64_e32 v[18:19], 0
.LBB128_218:
	v_cvt_f32_f64_e32 v18, v[18:19]
	v_max_f32_e32 v19, v110, v110
	v_min_f32_e32 v18, v18, v19
	v_cvt_f64_f32_e32 v[18:19], v18
	v_lshl_add_u64 v[16:17], v[14:15], 3, v[16:17]
	global_store_dwordx2 v[16:17], v[18:19], off
.LBB128_219:
	s_or_b64 exec, exec, s[18:19]
	v_add_u32_e32 v20, 0x80, v22
	v_mad_i64_i32 v[16:17], s[28:29], v20, s31, 0
	v_cmp_gt_i32_e64 s[18:19], s25, v20
	v_lshl_add_u64 v[18:19], v[16:17], 3, s[20:21]
	v_mad_i64_i32 v[16:17], s[28:29], v20, s30, 0
	v_lshl_add_u64 v[16:17], v[16:17], 3, s[26:27]
	s_and_b64 s[34:35], s[2:3], s[18:19]
	s_and_saveexec_b64 s[28:29], s[34:35]
	s_cbranch_execnz .LBB128_227
; %bb.220:
	s_or_b64 exec, exec, s[28:29]
	s_and_b64 s[34:35], s[4:5], s[18:19]
	s_and_saveexec_b64 s[28:29], s[34:35]
	s_cbranch_execnz .LBB128_231
.LBB128_221:
	s_or_b64 exec, exec, s[28:29]
	s_and_b64 s[34:35], s[6:7], s[18:19]
	s_and_saveexec_b64 s[28:29], s[34:35]
	s_cbranch_execnz .LBB128_235
.LBB128_222:
	s_or_b64 exec, exec, s[28:29]
	s_and_b64 s[34:35], s[8:9], s[18:19]
	s_and_saveexec_b64 s[28:29], s[34:35]
	s_cbranch_execnz .LBB128_239
.LBB128_223:
	s_or_b64 exec, exec, s[28:29]
	s_and_b64 s[34:35], s[10:11], s[18:19]
	s_and_saveexec_b64 s[28:29], s[34:35]
	s_cbranch_execnz .LBB128_243
.LBB128_224:
	s_or_b64 exec, exec, s[28:29]
	s_and_b64 s[34:35], s[12:13], s[18:19]
	s_and_saveexec_b64 s[28:29], s[34:35]
	s_cbranch_execnz .LBB128_247
.LBB128_225:
	s_or_b64 exec, exec, s[28:29]
	s_and_b64 s[34:35], s[14:15], s[18:19]
	s_and_saveexec_b64 s[28:29], s[34:35]
	s_cbranch_execnz .LBB128_251
.LBB128_226:
	s_or_b64 exec, exec, s[28:29]
	s_and_b64 s[28:29], s[16:17], s[18:19]
	s_and_saveexec_b64 s[18:19], s[28:29]
	s_cbranch_execnz .LBB128_255
	s_branch .LBB128_259
.LBB128_227:
	s_and_b64 vcc, exec, s[0:1]
	s_cbranch_vccnz .LBB128_229
; %bb.228:
	v_lshl_add_u64 v[20:21], v[0:1], 3, v[18:19]
	flat_load_dwordx2 v[20:21], v[20:21]
	s_waitcnt vmcnt(0) lgkmcnt(0)
	v_mul_f64 v[20:21], v[20:21], s[22:23]
	s_branch .LBB128_230
.LBB128_229:
	v_mov_b64_e32 v[20:21], 0
.LBB128_230:
	v_cvt_f32_f64_e32 v20, v[20:21]
	v_max_f32_e32 v21, v109, v109
	v_min_f32_e32 v20, v20, v21
	v_cvt_f64_f32_e32 v[20:21], v20
	v_lshl_add_u64 v[24:25], v[0:1], 3, v[16:17]
	global_store_dwordx2 v[24:25], v[20:21], off
	s_or_b64 exec, exec, s[28:29]
	s_and_b64 s[34:35], s[4:5], s[18:19]
	s_and_saveexec_b64 s[28:29], s[34:35]
	s_cbranch_execz .LBB128_221
.LBB128_231:
	s_and_b64 vcc, exec, s[0:1]
	s_cbranch_vccnz .LBB128_233
; %bb.232:
	v_lshl_add_u64 v[20:21], v[2:3], 3, v[18:19]
	flat_load_dwordx2 v[20:21], v[20:21]
	s_waitcnt vmcnt(0) lgkmcnt(0)
	v_mul_f64 v[20:21], v[20:21], s[22:23]
	s_branch .LBB128_234
.LBB128_233:
	v_mov_b64_e32 v[20:21], 0
.LBB128_234:
	v_cvt_f32_f64_e32 v20, v[20:21]
	v_max_f32_e32 v21, v108, v108
	v_min_f32_e32 v20, v20, v21
	v_cvt_f64_f32_e32 v[20:21], v20
	v_lshl_add_u64 v[24:25], v[2:3], 3, v[16:17]
	global_store_dwordx2 v[24:25], v[20:21], off
	s_or_b64 exec, exec, s[28:29]
	s_and_b64 s[34:35], s[6:7], s[18:19]
	s_and_saveexec_b64 s[28:29], s[34:35]
	s_cbranch_execz .LBB128_222
.LBB128_235:
	s_and_b64 vcc, exec, s[0:1]
	s_cbranch_vccnz .LBB128_237
; %bb.236:
	v_lshl_add_u64 v[20:21], v[4:5], 3, v[18:19]
	flat_load_dwordx2 v[20:21], v[20:21]
	s_waitcnt vmcnt(0) lgkmcnt(0)
	v_mul_f64 v[20:21], v[20:21], s[22:23]
	s_branch .LBB128_238
.LBB128_237:
	v_mov_b64_e32 v[20:21], 0
.LBB128_238:
	v_cvt_f32_f64_e32 v20, v[20:21]
	v_max_f32_e32 v21, v107, v107
	v_min_f32_e32 v20, v20, v21
	v_cvt_f64_f32_e32 v[20:21], v20
	v_lshl_add_u64 v[24:25], v[4:5], 3, v[16:17]
	global_store_dwordx2 v[24:25], v[20:21], off
	s_or_b64 exec, exec, s[28:29]
	s_and_b64 s[34:35], s[8:9], s[18:19]
	s_and_saveexec_b64 s[28:29], s[34:35]
	s_cbranch_execz .LBB128_223
.LBB128_239:
	s_and_b64 vcc, exec, s[0:1]
	s_cbranch_vccnz .LBB128_241
; %bb.240:
	v_lshl_add_u64 v[20:21], v[6:7], 3, v[18:19]
	flat_load_dwordx2 v[20:21], v[20:21]
	s_waitcnt vmcnt(0) lgkmcnt(0)
	v_mul_f64 v[20:21], v[20:21], s[22:23]
	s_branch .LBB128_242
.LBB128_241:
	v_mov_b64_e32 v[20:21], 0
.LBB128_242:
	v_cvt_f32_f64_e32 v20, v[20:21]
	v_max_f32_e32 v21, v106, v106
	v_min_f32_e32 v20, v20, v21
	v_cvt_f64_f32_e32 v[20:21], v20
	v_lshl_add_u64 v[24:25], v[6:7], 3, v[16:17]
	global_store_dwordx2 v[24:25], v[20:21], off
	s_or_b64 exec, exec, s[28:29]
	s_and_b64 s[34:35], s[10:11], s[18:19]
	s_and_saveexec_b64 s[28:29], s[34:35]
	s_cbranch_execz .LBB128_224
.LBB128_243:
	s_and_b64 vcc, exec, s[0:1]
	s_cbranch_vccnz .LBB128_245
; %bb.244:
	v_lshl_add_u64 v[20:21], v[8:9], 3, v[18:19]
	flat_load_dwordx2 v[20:21], v[20:21]
	s_waitcnt vmcnt(0) lgkmcnt(0)
	v_mul_f64 v[20:21], v[20:21], s[22:23]
	s_branch .LBB128_246
.LBB128_245:
	v_mov_b64_e32 v[20:21], 0
.LBB128_246:
	v_cvt_f32_f64_e32 v20, v[20:21]
	v_max_f32_e32 v21, v105, v105
	v_min_f32_e32 v20, v20, v21
	v_cvt_f64_f32_e32 v[20:21], v20
	v_lshl_add_u64 v[24:25], v[8:9], 3, v[16:17]
	global_store_dwordx2 v[24:25], v[20:21], off
	s_or_b64 exec, exec, s[28:29]
	s_and_b64 s[34:35], s[12:13], s[18:19]
	s_and_saveexec_b64 s[28:29], s[34:35]
	s_cbranch_execz .LBB128_225
.LBB128_247:
	s_and_b64 vcc, exec, s[0:1]
	s_cbranch_vccnz .LBB128_249
; %bb.248:
	v_lshl_add_u64 v[20:21], v[10:11], 3, v[18:19]
	flat_load_dwordx2 v[20:21], v[20:21]
	s_waitcnt vmcnt(0) lgkmcnt(0)
	v_mul_f64 v[20:21], v[20:21], s[22:23]
	s_branch .LBB128_250
.LBB128_249:
	v_mov_b64_e32 v[20:21], 0
.LBB128_250:
	v_cvt_f32_f64_e32 v20, v[20:21]
	v_max_f32_e32 v21, v104, v104
	v_min_f32_e32 v20, v20, v21
	v_cvt_f64_f32_e32 v[20:21], v20
	v_lshl_add_u64 v[24:25], v[10:11], 3, v[16:17]
	global_store_dwordx2 v[24:25], v[20:21], off
	s_or_b64 exec, exec, s[28:29]
	s_and_b64 s[34:35], s[14:15], s[18:19]
	s_and_saveexec_b64 s[28:29], s[34:35]
	s_cbranch_execz .LBB128_226
.LBB128_251:
	s_and_b64 vcc, exec, s[0:1]
	s_cbranch_vccnz .LBB128_253
; %bb.252:
	v_lshl_add_u64 v[20:21], v[12:13], 3, v[18:19]
	flat_load_dwordx2 v[20:21], v[20:21]
	s_waitcnt vmcnt(0) lgkmcnt(0)
	v_mul_f64 v[20:21], v[20:21], s[22:23]
	s_branch .LBB128_254
.LBB128_253:
	v_mov_b64_e32 v[20:21], 0
.LBB128_254:
	v_cvt_f32_f64_e32 v20, v[20:21]
	v_max_f32_e32 v21, v103, v103
	v_min_f32_e32 v20, v20, v21
	v_cvt_f64_f32_e32 v[20:21], v20
	v_lshl_add_u64 v[24:25], v[12:13], 3, v[16:17]
	global_store_dwordx2 v[24:25], v[20:21], off
	s_or_b64 exec, exec, s[28:29]
	s_and_b64 s[28:29], s[16:17], s[18:19]
	s_and_saveexec_b64 s[18:19], s[28:29]
	s_cbranch_execz .LBB128_259
.LBB128_255:
	s_and_b64 vcc, exec, s[0:1]
	s_cbranch_vccnz .LBB128_257
; %bb.256:
	v_lshl_add_u64 v[18:19], v[14:15], 3, v[18:19]
	flat_load_dwordx2 v[18:19], v[18:19]
	s_waitcnt vmcnt(0) lgkmcnt(0)
	v_mul_f64 v[18:19], v[18:19], s[22:23]
	s_branch .LBB128_258
.LBB128_257:
	v_mov_b64_e32 v[18:19], 0
.LBB128_258:
	v_cvt_f32_f64_e32 v18, v[18:19]
	v_max_f32_e32 v19, v102, v102
	v_min_f32_e32 v18, v18, v19
	v_cvt_f64_f32_e32 v[18:19], v18
	v_lshl_add_u64 v[16:17], v[14:15], 3, v[16:17]
	global_store_dwordx2 v[16:17], v[18:19], off
.LBB128_259:
	s_or_b64 exec, exec, s[18:19]
	v_add_u32_e32 v20, 0xa0, v22
	v_mad_i64_i32 v[16:17], s[28:29], v20, s31, 0
	v_cmp_gt_i32_e64 s[18:19], s25, v20
	v_lshl_add_u64 v[18:19], v[16:17], 3, s[20:21]
	v_mad_i64_i32 v[16:17], s[28:29], v20, s30, 0
	v_lshl_add_u64 v[16:17], v[16:17], 3, s[26:27]
	s_and_b64 s[34:35], s[2:3], s[18:19]
	s_and_saveexec_b64 s[28:29], s[34:35]
	s_cbranch_execnz .LBB128_267
; %bb.260:
	s_or_b64 exec, exec, s[28:29]
	s_and_b64 s[34:35], s[4:5], s[18:19]
	s_and_saveexec_b64 s[28:29], s[34:35]
	s_cbranch_execnz .LBB128_271
.LBB128_261:
	s_or_b64 exec, exec, s[28:29]
	s_and_b64 s[34:35], s[6:7], s[18:19]
	s_and_saveexec_b64 s[28:29], s[34:35]
	s_cbranch_execnz .LBB128_275
.LBB128_262:
	s_or_b64 exec, exec, s[28:29]
	s_and_b64 s[34:35], s[8:9], s[18:19]
	s_and_saveexec_b64 s[28:29], s[34:35]
	s_cbranch_execnz .LBB128_279
.LBB128_263:
	s_or_b64 exec, exec, s[28:29]
	s_and_b64 s[34:35], s[10:11], s[18:19]
	s_and_saveexec_b64 s[28:29], s[34:35]
	s_cbranch_execnz .LBB128_283
.LBB128_264:
	s_or_b64 exec, exec, s[28:29]
	s_and_b64 s[34:35], s[12:13], s[18:19]
	s_and_saveexec_b64 s[28:29], s[34:35]
	s_cbranch_execnz .LBB128_287
.LBB128_265:
	s_or_b64 exec, exec, s[28:29]
	s_and_b64 s[34:35], s[14:15], s[18:19]
	s_and_saveexec_b64 s[28:29], s[34:35]
	s_cbranch_execnz .LBB128_291
.LBB128_266:
	s_or_b64 exec, exec, s[28:29]
	s_and_b64 s[28:29], s[16:17], s[18:19]
	s_and_saveexec_b64 s[18:19], s[28:29]
	s_cbranch_execnz .LBB128_295
	s_branch .LBB128_299
.LBB128_267:
	s_and_b64 vcc, exec, s[0:1]
	s_cbranch_vccnz .LBB128_269
; %bb.268:
	v_lshl_add_u64 v[20:21], v[0:1], 3, v[18:19]
	flat_load_dwordx2 v[20:21], v[20:21]
	s_waitcnt vmcnt(0) lgkmcnt(0)
	v_mul_f64 v[20:21], v[20:21], s[22:23]
	s_branch .LBB128_270
.LBB128_269:
	v_mov_b64_e32 v[20:21], 0
.LBB128_270:
	v_cvt_f32_f64_e32 v20, v[20:21]
	v_max_f32_e32 v21, v101, v101
	v_min_f32_e32 v20, v20, v21
	v_cvt_f64_f32_e32 v[20:21], v20
	v_lshl_add_u64 v[24:25], v[0:1], 3, v[16:17]
	global_store_dwordx2 v[24:25], v[20:21], off
	s_or_b64 exec, exec, s[28:29]
	s_and_b64 s[34:35], s[4:5], s[18:19]
	s_and_saveexec_b64 s[28:29], s[34:35]
	s_cbranch_execz .LBB128_261
.LBB128_271:
	s_and_b64 vcc, exec, s[0:1]
	s_cbranch_vccnz .LBB128_273
; %bb.272:
	v_lshl_add_u64 v[20:21], v[2:3], 3, v[18:19]
	flat_load_dwordx2 v[20:21], v[20:21]
	s_waitcnt vmcnt(0) lgkmcnt(0)
	v_mul_f64 v[20:21], v[20:21], s[22:23]
	s_branch .LBB128_274
.LBB128_273:
	v_mov_b64_e32 v[20:21], 0
.LBB128_274:
	v_cvt_f32_f64_e32 v20, v[20:21]
	v_max_f32_e32 v21, v100, v100
	v_min_f32_e32 v20, v20, v21
	v_cvt_f64_f32_e32 v[20:21], v20
	v_lshl_add_u64 v[24:25], v[2:3], 3, v[16:17]
	global_store_dwordx2 v[24:25], v[20:21], off
	s_or_b64 exec, exec, s[28:29]
	s_and_b64 s[34:35], s[6:7], s[18:19]
	s_and_saveexec_b64 s[28:29], s[34:35]
	s_cbranch_execz .LBB128_262
.LBB128_275:
	s_and_b64 vcc, exec, s[0:1]
	s_cbranch_vccnz .LBB128_277
; %bb.276:
	v_lshl_add_u64 v[20:21], v[4:5], 3, v[18:19]
	flat_load_dwordx2 v[20:21], v[20:21]
	s_waitcnt vmcnt(0) lgkmcnt(0)
	v_mul_f64 v[20:21], v[20:21], s[22:23]
	s_branch .LBB128_278
.LBB128_277:
	v_mov_b64_e32 v[20:21], 0
.LBB128_278:
	v_cvt_f32_f64_e32 v20, v[20:21]
	v_max_f32_e32 v21, v99, v99
	v_min_f32_e32 v20, v20, v21
	v_cvt_f64_f32_e32 v[20:21], v20
	v_lshl_add_u64 v[24:25], v[4:5], 3, v[16:17]
	global_store_dwordx2 v[24:25], v[20:21], off
	s_or_b64 exec, exec, s[28:29]
	s_and_b64 s[34:35], s[8:9], s[18:19]
	s_and_saveexec_b64 s[28:29], s[34:35]
	s_cbranch_execz .LBB128_263
.LBB128_279:
	s_and_b64 vcc, exec, s[0:1]
	s_cbranch_vccnz .LBB128_281
; %bb.280:
	v_lshl_add_u64 v[20:21], v[6:7], 3, v[18:19]
	flat_load_dwordx2 v[20:21], v[20:21]
	s_waitcnt vmcnt(0) lgkmcnt(0)
	v_mul_f64 v[20:21], v[20:21], s[22:23]
	s_branch .LBB128_282
.LBB128_281:
	v_mov_b64_e32 v[20:21], 0
.LBB128_282:
	v_cvt_f32_f64_e32 v20, v[20:21]
	v_max_f32_e32 v21, v98, v98
	v_min_f32_e32 v20, v20, v21
	v_cvt_f64_f32_e32 v[20:21], v20
	v_lshl_add_u64 v[24:25], v[6:7], 3, v[16:17]
	global_store_dwordx2 v[24:25], v[20:21], off
	s_or_b64 exec, exec, s[28:29]
	s_and_b64 s[34:35], s[10:11], s[18:19]
	s_and_saveexec_b64 s[28:29], s[34:35]
	s_cbranch_execz .LBB128_264
.LBB128_283:
	s_and_b64 vcc, exec, s[0:1]
	s_cbranch_vccnz .LBB128_285
; %bb.284:
	v_lshl_add_u64 v[20:21], v[8:9], 3, v[18:19]
	flat_load_dwordx2 v[20:21], v[20:21]
	s_waitcnt vmcnt(0) lgkmcnt(0)
	v_mul_f64 v[20:21], v[20:21], s[22:23]
	s_branch .LBB128_286
.LBB128_285:
	v_mov_b64_e32 v[20:21], 0
.LBB128_286:
	v_cvt_f32_f64_e32 v20, v[20:21]
	v_max_f32_e32 v21, v97, v97
	v_min_f32_e32 v20, v20, v21
	v_cvt_f64_f32_e32 v[20:21], v20
	v_lshl_add_u64 v[24:25], v[8:9], 3, v[16:17]
	global_store_dwordx2 v[24:25], v[20:21], off
	s_or_b64 exec, exec, s[28:29]
	s_and_b64 s[34:35], s[12:13], s[18:19]
	s_and_saveexec_b64 s[28:29], s[34:35]
	s_cbranch_execz .LBB128_265
.LBB128_287:
	s_and_b64 vcc, exec, s[0:1]
	s_cbranch_vccnz .LBB128_289
; %bb.288:
	v_lshl_add_u64 v[20:21], v[10:11], 3, v[18:19]
	flat_load_dwordx2 v[20:21], v[20:21]
	s_waitcnt vmcnt(0) lgkmcnt(0)
	v_mul_f64 v[20:21], v[20:21], s[22:23]
	s_branch .LBB128_290
.LBB128_289:
	v_mov_b64_e32 v[20:21], 0
.LBB128_290:
	v_cvt_f32_f64_e32 v20, v[20:21]
	v_max_f32_e32 v21, v96, v96
	v_min_f32_e32 v20, v20, v21
	v_cvt_f64_f32_e32 v[20:21], v20
	v_lshl_add_u64 v[24:25], v[10:11], 3, v[16:17]
	global_store_dwordx2 v[24:25], v[20:21], off
	s_or_b64 exec, exec, s[28:29]
	s_and_b64 s[34:35], s[14:15], s[18:19]
	s_and_saveexec_b64 s[28:29], s[34:35]
	s_cbranch_execz .LBB128_266
.LBB128_291:
	s_and_b64 vcc, exec, s[0:1]
	s_cbranch_vccnz .LBB128_293
; %bb.292:
	v_lshl_add_u64 v[20:21], v[12:13], 3, v[18:19]
	flat_load_dwordx2 v[20:21], v[20:21]
	s_waitcnt vmcnt(0) lgkmcnt(0)
	v_mul_f64 v[20:21], v[20:21], s[22:23]
	s_branch .LBB128_294
.LBB128_293:
	v_mov_b64_e32 v[20:21], 0
.LBB128_294:
	v_cvt_f32_f64_e32 v20, v[20:21]
	v_max_f32_e32 v21, v95, v95
	v_min_f32_e32 v20, v20, v21
	v_cvt_f64_f32_e32 v[20:21], v20
	v_lshl_add_u64 v[24:25], v[12:13], 3, v[16:17]
	global_store_dwordx2 v[24:25], v[20:21], off
	s_or_b64 exec, exec, s[28:29]
	s_and_b64 s[28:29], s[16:17], s[18:19]
	s_and_saveexec_b64 s[18:19], s[28:29]
	s_cbranch_execz .LBB128_299
.LBB128_295:
	s_and_b64 vcc, exec, s[0:1]
	s_cbranch_vccnz .LBB128_297
; %bb.296:
	v_lshl_add_u64 v[18:19], v[14:15], 3, v[18:19]
	flat_load_dwordx2 v[18:19], v[18:19]
	s_waitcnt vmcnt(0) lgkmcnt(0)
	v_mul_f64 v[18:19], v[18:19], s[22:23]
	s_branch .LBB128_298
.LBB128_297:
	v_mov_b64_e32 v[18:19], 0
.LBB128_298:
	v_cvt_f32_f64_e32 v18, v[18:19]
	v_max_f32_e32 v19, v94, v94
	v_min_f32_e32 v18, v18, v19
	v_cvt_f64_f32_e32 v[18:19], v18
	v_lshl_add_u64 v[16:17], v[14:15], 3, v[16:17]
	global_store_dwordx2 v[16:17], v[18:19], off
.LBB128_299:
	s_or_b64 exec, exec, s[18:19]
	v_add_u32_e32 v20, 0xc0, v22
	v_mad_i64_i32 v[16:17], s[28:29], v20, s31, 0
	v_cmp_gt_i32_e64 s[18:19], s25, v20
	v_lshl_add_u64 v[18:19], v[16:17], 3, s[20:21]
	v_mad_i64_i32 v[16:17], s[28:29], v20, s30, 0
	v_lshl_add_u64 v[16:17], v[16:17], 3, s[26:27]
	s_and_b64 s[34:35], s[2:3], s[18:19]
	s_and_saveexec_b64 s[28:29], s[34:35]
	s_cbranch_execnz .LBB128_307
; %bb.300:
	s_or_b64 exec, exec, s[28:29]
	s_and_b64 s[34:35], s[4:5], s[18:19]
	s_and_saveexec_b64 s[28:29], s[34:35]
	s_cbranch_execnz .LBB128_311
.LBB128_301:
	s_or_b64 exec, exec, s[28:29]
	s_and_b64 s[34:35], s[6:7], s[18:19]
	s_and_saveexec_b64 s[28:29], s[34:35]
	s_cbranch_execnz .LBB128_315
.LBB128_302:
	s_or_b64 exec, exec, s[28:29]
	s_and_b64 s[34:35], s[8:9], s[18:19]
	s_and_saveexec_b64 s[28:29], s[34:35]
	s_cbranch_execnz .LBB128_319
.LBB128_303:
	s_or_b64 exec, exec, s[28:29]
	s_and_b64 s[34:35], s[10:11], s[18:19]
	s_and_saveexec_b64 s[28:29], s[34:35]
	s_cbranch_execnz .LBB128_323
.LBB128_304:
	s_or_b64 exec, exec, s[28:29]
	s_and_b64 s[34:35], s[12:13], s[18:19]
	s_and_saveexec_b64 s[28:29], s[34:35]
	s_cbranch_execnz .LBB128_327
.LBB128_305:
	s_or_b64 exec, exec, s[28:29]
	s_and_b64 s[34:35], s[14:15], s[18:19]
	s_and_saveexec_b64 s[28:29], s[34:35]
	s_cbranch_execnz .LBB128_331
.LBB128_306:
	s_or_b64 exec, exec, s[28:29]
	s_and_b64 s[28:29], s[16:17], s[18:19]
	s_and_saveexec_b64 s[18:19], s[28:29]
	s_cbranch_execnz .LBB128_335
	s_branch .LBB128_339
.LBB128_307:
	s_and_b64 vcc, exec, s[0:1]
	s_cbranch_vccnz .LBB128_309
; %bb.308:
	v_lshl_add_u64 v[20:21], v[0:1], 3, v[18:19]
	flat_load_dwordx2 v[20:21], v[20:21]
	s_waitcnt vmcnt(0) lgkmcnt(0)
	v_mul_f64 v[20:21], v[20:21], s[22:23]
	s_branch .LBB128_310
.LBB128_309:
	v_mov_b64_e32 v[20:21], 0
.LBB128_310:
	v_cvt_f32_f64_e32 v20, v[20:21]
	v_max_f32_e32 v21, v93, v93
	v_min_f32_e32 v20, v20, v21
	v_cvt_f64_f32_e32 v[20:21], v20
	v_lshl_add_u64 v[24:25], v[0:1], 3, v[16:17]
	global_store_dwordx2 v[24:25], v[20:21], off
	s_or_b64 exec, exec, s[28:29]
	s_and_b64 s[34:35], s[4:5], s[18:19]
	s_and_saveexec_b64 s[28:29], s[34:35]
	s_cbranch_execz .LBB128_301
.LBB128_311:
	s_and_b64 vcc, exec, s[0:1]
	s_cbranch_vccnz .LBB128_313
; %bb.312:
	v_lshl_add_u64 v[20:21], v[2:3], 3, v[18:19]
	flat_load_dwordx2 v[20:21], v[20:21]
	s_waitcnt vmcnt(0) lgkmcnt(0)
	v_mul_f64 v[20:21], v[20:21], s[22:23]
	s_branch .LBB128_314
.LBB128_313:
	v_mov_b64_e32 v[20:21], 0
.LBB128_314:
	v_cvt_f32_f64_e32 v20, v[20:21]
	v_max_f32_e32 v21, v92, v92
	v_min_f32_e32 v20, v20, v21
	v_cvt_f64_f32_e32 v[20:21], v20
	v_lshl_add_u64 v[24:25], v[2:3], 3, v[16:17]
	global_store_dwordx2 v[24:25], v[20:21], off
	s_or_b64 exec, exec, s[28:29]
	s_and_b64 s[34:35], s[6:7], s[18:19]
	s_and_saveexec_b64 s[28:29], s[34:35]
	s_cbranch_execz .LBB128_302
.LBB128_315:
	s_and_b64 vcc, exec, s[0:1]
	s_cbranch_vccnz .LBB128_317
; %bb.316:
	v_lshl_add_u64 v[20:21], v[4:5], 3, v[18:19]
	flat_load_dwordx2 v[20:21], v[20:21]
	s_waitcnt vmcnt(0) lgkmcnt(0)
	v_mul_f64 v[20:21], v[20:21], s[22:23]
	s_branch .LBB128_318
.LBB128_317:
	v_mov_b64_e32 v[20:21], 0
.LBB128_318:
	v_cvt_f32_f64_e32 v20, v[20:21]
	v_max_f32_e32 v21, v91, v91
	v_min_f32_e32 v20, v20, v21
	v_cvt_f64_f32_e32 v[20:21], v20
	v_lshl_add_u64 v[24:25], v[4:5], 3, v[16:17]
	global_store_dwordx2 v[24:25], v[20:21], off
	s_or_b64 exec, exec, s[28:29]
	s_and_b64 s[34:35], s[8:9], s[18:19]
	s_and_saveexec_b64 s[28:29], s[34:35]
	s_cbranch_execz .LBB128_303
.LBB128_319:
	s_and_b64 vcc, exec, s[0:1]
	s_cbranch_vccnz .LBB128_321
; %bb.320:
	v_lshl_add_u64 v[20:21], v[6:7], 3, v[18:19]
	flat_load_dwordx2 v[20:21], v[20:21]
	s_waitcnt vmcnt(0) lgkmcnt(0)
	v_mul_f64 v[20:21], v[20:21], s[22:23]
	s_branch .LBB128_322
.LBB128_321:
	v_mov_b64_e32 v[20:21], 0
.LBB128_322:
	v_cvt_f32_f64_e32 v20, v[20:21]
	v_max_f32_e32 v21, v90, v90
	v_min_f32_e32 v20, v20, v21
	v_cvt_f64_f32_e32 v[20:21], v20
	v_lshl_add_u64 v[24:25], v[6:7], 3, v[16:17]
	global_store_dwordx2 v[24:25], v[20:21], off
	s_or_b64 exec, exec, s[28:29]
	s_and_b64 s[34:35], s[10:11], s[18:19]
	s_and_saveexec_b64 s[28:29], s[34:35]
	s_cbranch_execz .LBB128_304
.LBB128_323:
	s_and_b64 vcc, exec, s[0:1]
	s_cbranch_vccnz .LBB128_325
; %bb.324:
	v_lshl_add_u64 v[20:21], v[8:9], 3, v[18:19]
	flat_load_dwordx2 v[20:21], v[20:21]
	s_waitcnt vmcnt(0) lgkmcnt(0)
	v_mul_f64 v[20:21], v[20:21], s[22:23]
	s_branch .LBB128_326
.LBB128_325:
	v_mov_b64_e32 v[20:21], 0
.LBB128_326:
	v_cvt_f32_f64_e32 v20, v[20:21]
	v_max_f32_e32 v21, v89, v89
	v_min_f32_e32 v20, v20, v21
	v_cvt_f64_f32_e32 v[20:21], v20
	v_lshl_add_u64 v[24:25], v[8:9], 3, v[16:17]
	global_store_dwordx2 v[24:25], v[20:21], off
	s_or_b64 exec, exec, s[28:29]
	s_and_b64 s[34:35], s[12:13], s[18:19]
	s_and_saveexec_b64 s[28:29], s[34:35]
	s_cbranch_execz .LBB128_305
.LBB128_327:
	s_and_b64 vcc, exec, s[0:1]
	s_cbranch_vccnz .LBB128_329
; %bb.328:
	v_lshl_add_u64 v[20:21], v[10:11], 3, v[18:19]
	flat_load_dwordx2 v[20:21], v[20:21]
	s_waitcnt vmcnt(0) lgkmcnt(0)
	v_mul_f64 v[20:21], v[20:21], s[22:23]
	s_branch .LBB128_330
.LBB128_329:
	v_mov_b64_e32 v[20:21], 0
.LBB128_330:
	v_cvt_f32_f64_e32 v20, v[20:21]
	v_max_f32_e32 v21, v88, v88
	v_min_f32_e32 v20, v20, v21
	v_cvt_f64_f32_e32 v[20:21], v20
	v_lshl_add_u64 v[24:25], v[10:11], 3, v[16:17]
	global_store_dwordx2 v[24:25], v[20:21], off
	s_or_b64 exec, exec, s[28:29]
	s_and_b64 s[34:35], s[14:15], s[18:19]
	s_and_saveexec_b64 s[28:29], s[34:35]
	s_cbranch_execz .LBB128_306
.LBB128_331:
	s_and_b64 vcc, exec, s[0:1]
	s_cbranch_vccnz .LBB128_333
; %bb.332:
	v_lshl_add_u64 v[20:21], v[12:13], 3, v[18:19]
	flat_load_dwordx2 v[20:21], v[20:21]
	s_waitcnt vmcnt(0) lgkmcnt(0)
	v_mul_f64 v[20:21], v[20:21], s[22:23]
	s_branch .LBB128_334
.LBB128_333:
	v_mov_b64_e32 v[20:21], 0
.LBB128_334:
	v_cvt_f32_f64_e32 v20, v[20:21]
	v_max_f32_e32 v21, v87, v87
	v_min_f32_e32 v20, v20, v21
	v_cvt_f64_f32_e32 v[20:21], v20
	v_lshl_add_u64 v[24:25], v[12:13], 3, v[16:17]
	global_store_dwordx2 v[24:25], v[20:21], off
	s_or_b64 exec, exec, s[28:29]
	s_and_b64 s[28:29], s[16:17], s[18:19]
	s_and_saveexec_b64 s[18:19], s[28:29]
	s_cbranch_execz .LBB128_339
.LBB128_335:
	s_and_b64 vcc, exec, s[0:1]
	s_cbranch_vccnz .LBB128_337
; %bb.336:
	v_lshl_add_u64 v[18:19], v[14:15], 3, v[18:19]
	flat_load_dwordx2 v[18:19], v[18:19]
	s_waitcnt vmcnt(0) lgkmcnt(0)
	v_mul_f64 v[18:19], v[18:19], s[22:23]
	s_branch .LBB128_338
.LBB128_337:
	v_mov_b64_e32 v[18:19], 0
.LBB128_338:
	v_cvt_f32_f64_e32 v18, v[18:19]
	v_max_f32_e32 v19, v86, v86
	v_min_f32_e32 v18, v18, v19
	v_cvt_f64_f32_e32 v[18:19], v18
	v_lshl_add_u64 v[16:17], v[14:15], 3, v[16:17]
	global_store_dwordx2 v[16:17], v[18:19], off
.LBB128_339:
	s_or_b64 exec, exec, s[18:19]
	v_add_u32_e32 v20, 0xe0, v22
	v_cmp_gt_i32_e64 s[18:19], s25, v20
	v_mad_i64_i32 v[16:17], s[24:25], v20, s31, 0
	v_lshl_add_u64 v[18:19], v[16:17], 3, s[20:21]
	v_mad_i64_i32 v[16:17], s[20:21], v20, s30, 0
	v_lshl_add_u64 v[16:17], v[16:17], 3, s[26:27]
	s_and_b64 s[20:21], s[2:3], s[18:19]
	s_and_saveexec_b64 s[2:3], s[20:21]
	s_cbranch_execnz .LBB128_348
; %bb.340:
	s_or_b64 exec, exec, s[2:3]
	s_and_b64 s[4:5], s[4:5], s[18:19]
	s_and_saveexec_b64 s[2:3], s[4:5]
	s_cbranch_execnz .LBB128_352
.LBB128_341:
	s_or_b64 exec, exec, s[2:3]
	s_and_b64 s[4:5], s[6:7], s[18:19]
	s_and_saveexec_b64 s[2:3], s[4:5]
	s_cbranch_execnz .LBB128_356
.LBB128_342:
	s_or_b64 exec, exec, s[2:3]
	s_and_b64 s[4:5], s[8:9], s[18:19]
	s_and_saveexec_b64 s[2:3], s[4:5]
	s_cbranch_execnz .LBB128_360
.LBB128_343:
	s_or_b64 exec, exec, s[2:3]
	s_and_b64 s[4:5], s[10:11], s[18:19]
	s_and_saveexec_b64 s[2:3], s[4:5]
	s_cbranch_execnz .LBB128_364
.LBB128_344:
	s_or_b64 exec, exec, s[2:3]
	s_and_b64 s[4:5], s[12:13], s[18:19]
	s_and_saveexec_b64 s[2:3], s[4:5]
	s_cbranch_execnz .LBB128_368
.LBB128_345:
	s_or_b64 exec, exec, s[2:3]
	s_and_b64 s[4:5], s[14:15], s[18:19]
	s_and_saveexec_b64 s[2:3], s[4:5]
	s_cbranch_execnz .LBB128_372
.LBB128_346:
	s_or_b64 exec, exec, s[2:3]
	s_and_b64 s[2:3], s[16:17], s[18:19]
	s_and_saveexec_b64 s[4:5], s[2:3]
	s_cbranch_execnz .LBB128_376
.LBB128_347:
	s_endpgm
.LBB128_348:
	s_and_b64 vcc, exec, s[0:1]
	s_cbranch_vccnz .LBB128_350
; %bb.349:
	v_lshl_add_u64 v[20:21], v[0:1], 3, v[18:19]
	flat_load_dwordx2 v[20:21], v[20:21]
	s_waitcnt vmcnt(0) lgkmcnt(0)
	v_mul_f64 v[20:21], v[20:21], s[22:23]
	v_cvt_f32_f64_e32 v20, v[20:21]
	s_branch .LBB128_351
.LBB128_350:
	v_mov_b32_e32 v20, 0
.LBB128_351:
	v_max_f32_e32 v21, v85, v85
	v_max_f32_e32 v20, v20, v20
	v_min_f32_e32 v20, v20, v21
	v_cvt_f64_f32_e32 v[20:21], v20
	v_lshl_add_u64 v[0:1], v[0:1], 3, v[16:17]
	global_store_dwordx2 v[0:1], v[20:21], off
	s_or_b64 exec, exec, s[2:3]
	s_and_b64 s[4:5], s[4:5], s[18:19]
	s_and_saveexec_b64 s[2:3], s[4:5]
	s_cbranch_execz .LBB128_341
.LBB128_352:
	s_and_b64 vcc, exec, s[0:1]
	s_cbranch_vccnz .LBB128_354
; %bb.353:
	v_lshl_add_u64 v[0:1], v[2:3], 3, v[18:19]
	flat_load_dwordx2 v[0:1], v[0:1]
	s_waitcnt vmcnt(0) lgkmcnt(0)
	v_mul_f64 v[0:1], v[0:1], s[22:23]
	v_cvt_f32_f64_e32 v0, v[0:1]
	s_branch .LBB128_355
.LBB128_354:
	v_mov_b32_e32 v0, 0
.LBB128_355:
	v_max_f32_e32 v1, v84, v84
	v_max_f32_e32 v0, v0, v0
	v_min_f32_e32 v0, v0, v1
	v_cvt_f64_f32_e32 v[0:1], v0
	v_lshl_add_u64 v[2:3], v[2:3], 3, v[16:17]
	global_store_dwordx2 v[2:3], v[0:1], off
	s_or_b64 exec, exec, s[2:3]
	s_and_b64 s[4:5], s[6:7], s[18:19]
	s_and_saveexec_b64 s[2:3], s[4:5]
	s_cbranch_execz .LBB128_342
.LBB128_356:
	s_and_b64 vcc, exec, s[0:1]
	s_cbranch_vccnz .LBB128_358
; %bb.357:
	v_lshl_add_u64 v[0:1], v[4:5], 3, v[18:19]
	flat_load_dwordx2 v[0:1], v[0:1]
	s_waitcnt vmcnt(0) lgkmcnt(0)
	v_mul_f64 v[0:1], v[0:1], s[22:23]
	v_cvt_f32_f64_e32 v0, v[0:1]
	s_branch .LBB128_359
.LBB128_358:
	v_mov_b32_e32 v0, 0
.LBB128_359:
	v_max_f32_e32 v1, v83, v83
	v_max_f32_e32 v0, v0, v0
	v_min_f32_e32 v0, v0, v1
	v_cvt_f64_f32_e32 v[0:1], v0
	v_lshl_add_u64 v[2:3], v[4:5], 3, v[16:17]
	global_store_dwordx2 v[2:3], v[0:1], off
	s_or_b64 exec, exec, s[2:3]
	s_and_b64 s[4:5], s[8:9], s[18:19]
	s_and_saveexec_b64 s[2:3], s[4:5]
	s_cbranch_execz .LBB128_343
.LBB128_360:
	s_and_b64 vcc, exec, s[0:1]
	s_cbranch_vccnz .LBB128_362
; %bb.361:
	v_lshl_add_u64 v[0:1], v[6:7], 3, v[18:19]
	flat_load_dwordx2 v[0:1], v[0:1]
	s_waitcnt vmcnt(0) lgkmcnt(0)
	v_mul_f64 v[0:1], v[0:1], s[22:23]
	v_cvt_f32_f64_e32 v0, v[0:1]
	s_branch .LBB128_363
.LBB128_362:
	v_mov_b32_e32 v0, 0
.LBB128_363:
	v_max_f32_e32 v1, v82, v82
	v_max_f32_e32 v0, v0, v0
	v_min_f32_e32 v0, v0, v1
	v_cvt_f64_f32_e32 v[0:1], v0
	v_lshl_add_u64 v[2:3], v[6:7], 3, v[16:17]
	global_store_dwordx2 v[2:3], v[0:1], off
	s_or_b64 exec, exec, s[2:3]
	s_and_b64 s[4:5], s[10:11], s[18:19]
	s_and_saveexec_b64 s[2:3], s[4:5]
	s_cbranch_execz .LBB128_344
.LBB128_364:
	s_and_b64 vcc, exec, s[0:1]
	s_cbranch_vccnz .LBB128_366
; %bb.365:
	v_lshl_add_u64 v[0:1], v[8:9], 3, v[18:19]
	flat_load_dwordx2 v[0:1], v[0:1]
	s_waitcnt vmcnt(0) lgkmcnt(0)
	v_mul_f64 v[0:1], v[0:1], s[22:23]
	v_cvt_f32_f64_e32 v0, v[0:1]
	s_branch .LBB128_367
.LBB128_366:
	v_mov_b32_e32 v0, 0
.LBB128_367:
	v_max_f32_e32 v1, v81, v81
	v_max_f32_e32 v0, v0, v0
	v_min_f32_e32 v0, v0, v1
	v_cvt_f64_f32_e32 v[0:1], v0
	v_lshl_add_u64 v[2:3], v[8:9], 3, v[16:17]
	global_store_dwordx2 v[2:3], v[0:1], off
	s_or_b64 exec, exec, s[2:3]
	s_and_b64 s[4:5], s[12:13], s[18:19]
	s_and_saveexec_b64 s[2:3], s[4:5]
	s_cbranch_execz .LBB128_345
.LBB128_368:
	s_and_b64 vcc, exec, s[0:1]
	s_cbranch_vccnz .LBB128_370
; %bb.369:
	v_lshl_add_u64 v[0:1], v[10:11], 3, v[18:19]
	flat_load_dwordx2 v[0:1], v[0:1]
	s_waitcnt vmcnt(0) lgkmcnt(0)
	v_mul_f64 v[0:1], v[0:1], s[22:23]
	v_cvt_f32_f64_e32 v0, v[0:1]
	s_branch .LBB128_371
.LBB128_370:
	v_mov_b32_e32 v0, 0
.LBB128_371:
	v_max_f32_e32 v1, v80, v80
	v_max_f32_e32 v0, v0, v0
	v_min_f32_e32 v0, v0, v1
	v_cvt_f64_f32_e32 v[0:1], v0
	v_lshl_add_u64 v[2:3], v[10:11], 3, v[16:17]
	global_store_dwordx2 v[2:3], v[0:1], off
	s_or_b64 exec, exec, s[2:3]
	s_and_b64 s[4:5], s[14:15], s[18:19]
	s_and_saveexec_b64 s[2:3], s[4:5]
	s_cbranch_execz .LBB128_346
.LBB128_372:
	s_and_b64 vcc, exec, s[0:1]
	s_cbranch_vccnz .LBB128_374
; %bb.373:
	v_lshl_add_u64 v[0:1], v[12:13], 3, v[18:19]
	flat_load_dwordx2 v[0:1], v[0:1]
	s_waitcnt vmcnt(0) lgkmcnt(0)
	v_mul_f64 v[0:1], v[0:1], s[22:23]
	v_cvt_f32_f64_e32 v0, v[0:1]
	s_branch .LBB128_375
.LBB128_374:
	v_mov_b32_e32 v0, 0
.LBB128_375:
	v_max_f32_e32 v1, v79, v79
	v_max_f32_e32 v0, v0, v0
	v_min_f32_e32 v0, v0, v1
	v_cvt_f64_f32_e32 v[0:1], v0
	v_lshl_add_u64 v[2:3], v[12:13], 3, v[16:17]
	global_store_dwordx2 v[2:3], v[0:1], off
	s_or_b64 exec, exec, s[2:3]
	s_and_b64 s[2:3], s[16:17], s[18:19]
	s_and_saveexec_b64 s[4:5], s[2:3]
	s_cbranch_execz .LBB128_347
.LBB128_376:
	s_and_b64 vcc, exec, s[0:1]
	s_cbranch_vccnz .LBB128_378
; %bb.377:
	v_lshl_add_u64 v[0:1], v[14:15], 3, v[18:19]
	flat_load_dwordx2 v[0:1], v[0:1]
	s_waitcnt vmcnt(0) lgkmcnt(0)
	v_mul_f64 v[0:1], v[0:1], s[22:23]
	v_cvt_f32_f64_e32 v0, v[0:1]
	s_branch .LBB128_379
.LBB128_378:
	v_mov_b32_e32 v0, 0
.LBB128_379:
	v_max_f32_e32 v1, v78, v78
	v_max_f32_e32 v0, v0, v0
	v_min_f32_e32 v0, v0, v1
	v_cvt_f64_f32_e32 v[0:1], v0
	v_lshl_add_u64 v[2:3], v[14:15], 3, v[16:17]
	global_store_dwordx2 v[2:3], v[0:1], off
	s_endpgm
	.section	.rodata,"a",@progbits
	.p2align	6, 0x0
	.amdhsa_kernel _ZN12_GLOBAL__N_120geam_min_plus_kernelId15HIP_vector_typeIdLj2EEdLi8ELi32ELi64ELi256ELi4ELi4ELi64ELi64ELi4ELc84ELc84ELb0ELb1ELb1EdKPKdKPdEEviiiT16_PT17_ilSA_ilS8_SA_ilPT18_ili26rocblas_geam_ex_operation_
		.amdhsa_group_segment_fixed_size 20480
		.amdhsa_private_segment_fixed_size 0
		.amdhsa_kernarg_size 136
		.amdhsa_user_sgpr_count 2
		.amdhsa_user_sgpr_dispatch_ptr 0
		.amdhsa_user_sgpr_queue_ptr 0
		.amdhsa_user_sgpr_kernarg_segment_ptr 1
		.amdhsa_user_sgpr_dispatch_id 0
		.amdhsa_user_sgpr_kernarg_preload_length 0
		.amdhsa_user_sgpr_kernarg_preload_offset 0
		.amdhsa_user_sgpr_private_segment_size 0
		.amdhsa_uses_dynamic_stack 0
		.amdhsa_enable_private_segment 0
		.amdhsa_system_sgpr_workgroup_id_x 1
		.amdhsa_system_sgpr_workgroup_id_y 0
		.amdhsa_system_sgpr_workgroup_id_z 1
		.amdhsa_system_sgpr_workgroup_info 0
		.amdhsa_system_vgpr_workitem_id 1
		.amdhsa_next_free_vgpr 160
		.amdhsa_next_free_sgpr 44
		.amdhsa_accum_offset 160
		.amdhsa_reserve_vcc 1
		.amdhsa_float_round_mode_32 0
		.amdhsa_float_round_mode_16_64 0
		.amdhsa_float_denorm_mode_32 3
		.amdhsa_float_denorm_mode_16_64 3
		.amdhsa_dx10_clamp 1
		.amdhsa_ieee_mode 1
		.amdhsa_fp16_overflow 0
		.amdhsa_tg_split 0
		.amdhsa_exception_fp_ieee_invalid_op 0
		.amdhsa_exception_fp_denorm_src 0
		.amdhsa_exception_fp_ieee_div_zero 0
		.amdhsa_exception_fp_ieee_overflow 0
		.amdhsa_exception_fp_ieee_underflow 0
		.amdhsa_exception_fp_ieee_inexact 0
		.amdhsa_exception_int_div_zero 0
	.end_amdhsa_kernel
	.section	.text._ZN12_GLOBAL__N_120geam_min_plus_kernelId15HIP_vector_typeIdLj2EEdLi8ELi32ELi64ELi256ELi4ELi4ELi64ELi64ELi4ELc84ELc84ELb0ELb1ELb1EdKPKdKPdEEviiiT16_PT17_ilSA_ilS8_SA_ilPT18_ili26rocblas_geam_ex_operation_,"axG",@progbits,_ZN12_GLOBAL__N_120geam_min_plus_kernelId15HIP_vector_typeIdLj2EEdLi8ELi32ELi64ELi256ELi4ELi4ELi64ELi64ELi4ELc84ELc84ELb0ELb1ELb1EdKPKdKPdEEviiiT16_PT17_ilSA_ilS8_SA_ilPT18_ili26rocblas_geam_ex_operation_,comdat
.Lfunc_end128:
	.size	_ZN12_GLOBAL__N_120geam_min_plus_kernelId15HIP_vector_typeIdLj2EEdLi8ELi32ELi64ELi256ELi4ELi4ELi64ELi64ELi4ELc84ELc84ELb0ELb1ELb1EdKPKdKPdEEviiiT16_PT17_ilSA_ilS8_SA_ilPT18_ili26rocblas_geam_ex_operation_, .Lfunc_end128-_ZN12_GLOBAL__N_120geam_min_plus_kernelId15HIP_vector_typeIdLj2EEdLi8ELi32ELi64ELi256ELi4ELi4ELi64ELi64ELi4ELc84ELc84ELb0ELb1ELb1EdKPKdKPdEEviiiT16_PT17_ilSA_ilS8_SA_ilPT18_ili26rocblas_geam_ex_operation_
                                        ; -- End function
	.section	.AMDGPU.csdata,"",@progbits
; Kernel info:
; codeLenInByte = 19144
; NumSgprs: 50
; NumVgprs: 160
; NumAgprs: 0
; TotalNumVgprs: 160
; ScratchSize: 0
; MemoryBound: 0
; FloatMode: 240
; IeeeMode: 1
; LDSByteSize: 20480 bytes/workgroup (compile time only)
; SGPRBlocks: 6
; VGPRBlocks: 19
; NumSGPRsForWavesPerEU: 50
; NumVGPRsForWavesPerEU: 160
; AccumOffset: 160
; Occupancy: 3
; WaveLimiterHint : 1
; COMPUTE_PGM_RSRC2:SCRATCH_EN: 0
; COMPUTE_PGM_RSRC2:USER_SGPR: 2
; COMPUTE_PGM_RSRC2:TRAP_HANDLER: 0
; COMPUTE_PGM_RSRC2:TGID_X_EN: 1
; COMPUTE_PGM_RSRC2:TGID_Y_EN: 0
; COMPUTE_PGM_RSRC2:TGID_Z_EN: 1
; COMPUTE_PGM_RSRC2:TIDIG_COMP_CNT: 1
; COMPUTE_PGM_RSRC3_GFX90A:ACCUM_OFFSET: 39
; COMPUTE_PGM_RSRC3_GFX90A:TG_SPLIT: 0
	.section	.text._ZN12_GLOBAL__N_120geam_min_plus_kernelIdddLi4ELi64ELi128ELi128ELi4ELi64ELi4ELi4ELi64ELc78ELc78ELb0ELb0ELb0EPKdKS2_KPdEEviiiT16_PT17_ilS8_ilS6_S8_ilPT18_ili26rocblas_geam_ex_operation_,"axG",@progbits,_ZN12_GLOBAL__N_120geam_min_plus_kernelIdddLi4ELi64ELi128ELi128ELi4ELi64ELi4ELi4ELi64ELc78ELc78ELb0ELb0ELb0EPKdKS2_KPdEEviiiT16_PT17_ilS8_ilS6_S8_ilPT18_ili26rocblas_geam_ex_operation_,comdat
	.globl	_ZN12_GLOBAL__N_120geam_min_plus_kernelIdddLi4ELi64ELi128ELi128ELi4ELi64ELi4ELi4ELi64ELc78ELc78ELb0ELb0ELb0EPKdKS2_KPdEEviiiT16_PT17_ilS8_ilS6_S8_ilPT18_ili26rocblas_geam_ex_operation_ ; -- Begin function _ZN12_GLOBAL__N_120geam_min_plus_kernelIdddLi4ELi64ELi128ELi128ELi4ELi64ELi4ELi4ELi64ELc78ELc78ELb0ELb0ELb0EPKdKS2_KPdEEviiiT16_PT17_ilS8_ilS6_S8_ilPT18_ili26rocblas_geam_ex_operation_
	.p2align	8
	.type	_ZN12_GLOBAL__N_120geam_min_plus_kernelIdddLi4ELi64ELi128ELi128ELi4ELi64ELi4ELi4ELi64ELc78ELc78ELb0ELb0ELb0EPKdKS2_KPdEEviiiT16_PT17_ilS8_ilS6_S8_ilPT18_ili26rocblas_geam_ex_operation_,@function
_ZN12_GLOBAL__N_120geam_min_plus_kernelIdddLi4ELi64ELi128ELi128ELi4ELi64ELi4ELi4ELi64ELc78ELc78ELb0ELb0ELb0EPKdKS2_KPdEEviiiT16_PT17_ilS8_ilS6_S8_ilPT18_ili26rocblas_geam_ex_operation_: ; @_ZN12_GLOBAL__N_120geam_min_plus_kernelIdddLi4ELi64ELi128ELi128ELi4ELi64ELi4ELi4ELi64ELc78ELc78ELb0ELb0ELb0EPKdKS2_KPdEEviiiT16_PT17_ilS8_ilS6_S8_ilPT18_ili26rocblas_geam_ex_operation_
; %bb.0:
	s_load_dwordx4 s[12:15], s[0:1], 0x10
	s_load_dwordx4 s[4:7], s[0:1], 0x28
	s_mov_b32 s8, s3
	s_mov_b32 s9, 0
	s_lshl_b64 s[22:23], s[8:9], 3
	s_waitcnt lgkmcnt(0)
	s_add_u32 s12, s12, s22
	s_load_dwordx4 s[8:11], s[0:1], 0x40
	s_addc_u32 s13, s13, s23
	s_load_dwordx2 s[16:17], s[12:13], 0x0
	s_load_dwordx2 s[24:25], s[0:1], 0x50
	s_mov_b64 s[18:19], 0
	s_mov_b64 s[20:21], 0
	s_waitcnt lgkmcnt(0)
	s_add_u32 s10, s10, s22
	v_cmp_eq_f64_e64 s[12:13], s[16:17], 0
	s_addc_u32 s11, s11, s23
	v_cmp_neq_f64_e64 s[26:27], s[16:17], 0
	s_and_b64 vcc, exec, s[12:13]
	s_cbranch_vccnz .LBB129_2
; %bb.1:
	s_add_u32 s12, s14, s22
	s_addc_u32 s13, s15, s23
	s_load_dwordx2 s[12:13], s[12:13], 0x0
	s_lshl_b64 s[4:5], s[4:5], 3
	s_waitcnt lgkmcnt(0)
	s_add_u32 s20, s12, s4
	s_addc_u32 s21, s13, s5
.LBB129_2:
	s_load_dwordx2 s[12:13], s[10:11], 0x0
	v_cndmask_b32_e64 v1, 0, 1, s[26:27]
	v_cmp_ne_u32_e64 s[4:5], 1, v1
	s_andn2_b64 vcc, exec, s[26:27]
	s_cbranch_vccnz .LBB129_4
; %bb.3:
	s_add_u32 s6, s6, s22
	s_addc_u32 s7, s7, s23
	s_load_dwordx2 s[6:7], s[6:7], 0x0
	s_lshl_b64 s[8:9], s[8:9], 3
	s_waitcnt lgkmcnt(0)
	s_add_u32 s18, s6, s8
	s_addc_u32 s19, s7, s9
.LBB129_4:
	s_load_dwordx4 s[8:11], s[0:1], 0x60
	s_waitcnt lgkmcnt(0)
	v_cmp_eq_f64_e64 s[6:7], s[12:13], 0
	s_and_b64 s[6:7], exec, s[6:7]
	s_mov_b64 s[14:15], 0
	s_mov_b64 vcc, s[6:7]
	s_cbranch_vccnz .LBB129_6
; %bb.5:
	s_add_u32 s14, s24, s22
	s_addc_u32 s15, s25, s23
	s_load_dwordx2 s[14:15], s[14:15], 0x0
	s_lshl_b64 s[8:9], s[8:9], 3
	s_waitcnt lgkmcnt(0)
	s_add_u32 s14, s14, s8
	s_addc_u32 s15, s15, s9
.LBB129_6:
	s_load_dword s24, s[0:1], 0x20
	s_load_dword s3, s[0:1], 0x0
	v_and_b32_e32 v144, 0x3ff, v0
	v_bfe_u32 v145, v0, 10, 10
	v_lshl_add_u32 v4, v145, 2, v144
	s_waitcnt lgkmcnt(0)
	s_ashr_i32 s25, s24, 31
	s_add_u32 s8, s10, s22
	s_addc_u32 s9, s11, s23
	s_add_i32 s3, s3, -1
	s_ashr_i32 s10, s3, 31
	s_lshr_b32 s10, s10, 25
	s_add_i32 s3, s3, s10
	s_ashr_i32 s3, s3, 7
	s_add_i32 s10, s3, 1
	v_cvt_f32_u32_e32 v1, s10
	s_not_b32 s3, s3
	s_load_dwordx2 s[8:9], s[8:9], 0x0
	v_and_b32_e32 v142, 63, v4
	v_rcp_iflag_f32_e32 v1, v1
	v_lshrrev_b32_e32 v146, 6, v4
	v_mul_f32_e32 v0, 0x4f7ffffe, v1
	v_cvt_u32_f32_e32 v0, v0
	s_nop 0
	v_readfirstlane_b32 s11, v0
	s_mul_i32 s3, s3, s11
	s_mul_hi_u32 s3, s11, s3
	s_add_i32 s11, s11, s3
	s_mul_hi_u32 s3, s2, s11
	s_mul_i32 s11, s3, s10
	s_sub_i32 s11, s2, s11
	s_add_i32 s22, s3, 1
	s_sub_i32 s23, s11, s10
	s_cmp_ge_u32 s11, s10
	s_cselect_b32 s3, s22, s3
	s_cselect_b32 s11, s23, s11
	s_add_i32 s22, s3, 1
	s_cmp_ge_u32 s11, s10
	s_cselect_b32 s3, s22, s3
	s_mul_i32 s10, s3, s10
	s_sub_i32 s2, s2, s10
	s_lshl_b32 s10, s2, 7
	v_or_b32_e32 v132, s10, v142
	s_and_b64 vcc, exec, s[4:5]
	v_ashrrev_i32_e32 v133, 31, v132
	s_cbranch_vccnz .LBB129_8
; %bb.7:
	v_mad_i64_i32 v[0:1], s[22:23], s24, v146, 0
	v_lshl_add_u64 v[0:1], v[0:1], 3, s[20:21]
	v_lshl_add_u64 v[0:1], v[132:133], 3, v[0:1]
	flat_load_dwordx2 v[2:3], v[0:1]
	flat_load_dwordx2 v[6:7], v[0:1] offset:512
	s_waitcnt vmcnt(0) lgkmcnt(0)
	v_mul_f64 v[0:1], s[16:17], v[2:3]
	v_mul_f64 v[2:3], s[16:17], v[6:7]
	s_branch .LBB129_9
.LBB129_8:
	v_mov_b64_e32 v[0:1], 0
	v_mov_b64_e32 v[2:3], 0
.LBB129_9:
	s_load_dword s22, s[0:1], 0x38
	v_lshrrev_b32_e32 v10, 2, v4
	s_lshl_b32 s11, s3, 7
	v_and_b32_e32 v147, 3, v144
	v_add_u32_e32 v139, s11, v10
	s_and_b64 vcc, exec, s[4:5]
	v_lshlrev_b32_e32 v4, 3, v147
	v_add_u32_e32 v138, 64, v139
	s_cbranch_vccnz .LBB129_13
; %bb.10:
	v_mov_b32_e32 v5, 0
	v_lshl_add_u64 v[6:7], s[18:19], 0, v[4:5]
	s_waitcnt lgkmcnt(0)
	v_mad_i64_i32 v[8:9], s[2:3], v139, s22, 0
	v_lshl_add_u64 v[8:9], v[8:9], 3, v[6:7]
	v_mad_i64_i32 v[12:13], s[2:3], v138, s22, 0
	v_lshl_add_u64 v[6:7], v[12:13], 3, v[6:7]
	flat_load_dwordx2 v[12:13], v[8:9]
	flat_load_dwordx2 v[14:15], v[6:7]
	s_waitcnt vmcnt(0) lgkmcnt(0)
	v_mul_f64 v[6:7], s[16:17], v[12:13]
	v_mul_f64 v[8:9], s[16:17], v[14:15]
	s_and_b64 vcc, exec, s[4:5]
	v_add_u32_e32 v148, 4, v146
	s_cbranch_vccnz .LBB129_14
.LBB129_11:
	v_mad_i64_i32 v[12:13], s[2:3], s24, v148, 0
	v_lshl_add_u64 v[12:13], v[12:13], 3, s[20:21]
	v_lshl_add_u64 v[12:13], v[132:133], 3, v[12:13]
	flat_load_dwordx2 v[14:15], v[12:13]
	flat_load_dwordx2 v[16:17], v[12:13] offset:512
	s_waitcnt vmcnt(0) lgkmcnt(0)
	v_mul_f64 v[128:129], s[16:17], v[14:15]
	v_mul_f64 v[130:131], s[16:17], v[16:17]
	s_and_b64 vcc, exec, s[4:5]
	s_cbranch_vccnz .LBB129_15
.LBB129_12:
	v_mov_b32_e32 v5, 0
	v_lshl_add_u64 v[12:13], s[18:19], 0, v[4:5]
	s_waitcnt lgkmcnt(0)
	v_mad_i64_i32 v[14:15], s[2:3], v139, s22, 0
	v_lshl_add_u64 v[14:15], v[14:15], 3, v[12:13]
	v_mad_i64_i32 v[16:17], s[2:3], v138, s22, 0
	v_lshl_add_u64 v[12:13], v[16:17], 3, v[12:13]
	flat_load_dwordx2 v[16:17], v[14:15] offset:32
	flat_load_dwordx2 v[18:19], v[12:13] offset:32
	s_waitcnt vmcnt(0) lgkmcnt(0)
	v_mul_f64 v[134:135], s[16:17], v[16:17]
	v_mul_f64 v[136:137], s[16:17], v[18:19]
	s_branch .LBB129_16
.LBB129_13:
	v_mov_b64_e32 v[6:7], 0
	v_mov_b64_e32 v[8:9], 0
	s_and_b64 vcc, exec, s[4:5]
	v_add_u32_e32 v148, 4, v146
	s_cbranch_vccz .LBB129_11
.LBB129_14:
	v_mov_b64_e32 v[128:129], 0
	v_mov_b64_e32 v[130:131], 0
	s_and_b64 vcc, exec, s[4:5]
	s_cbranch_vccz .LBB129_12
.LBB129_15:
	v_mov_b64_e32 v[134:135], 0
	v_mov_b64_e32 v[136:137], 0
.LBB129_16:
	v_lshlrev_b32_e32 v5, 3, v146
	v_lshl_add_u32 v149, v142, 5, v5
	v_lshl_or_b32 v141, v10, 5, v4
	v_lshlrev_b32_e32 v140, 5, v145
	ds_write2st64_b64 v149, v[0:1], v[2:3] offset1:4
	v_add_u32_e32 v150, 0x2000, v141
	ds_write2st64_b64 v141, v[6:7], v[8:9] offset0:16 offset1:20
	v_lshlrev_b32_e32 v151, 5, v144
	v_add_u32_e32 v152, 0x2000, v140
	s_mov_b32 s2, 0
	v_mov_b64_e32 v[126:127], 0
	v_mov_b64_e32 v[124:125], 0
	;; [unrolled: 1-line block ×64, first 2 shown]
	s_waitcnt lgkmcnt(0)
	s_barrier
.LBB129_17:                             ; =>This Inner Loop Header: Depth=1
	v_add_u32_e32 v143, s2, v151
	v_add_u32_e32 v153, s2, v152
	ds_read2_b64 v[154:157], v143 offset1:16
	ds_read2_b64 v[158:161], v143 offset0:32 offset1:48
	ds_read2_b64 v[162:165], v143 offset0:64 offset1:80
	;; [unrolled: 1-line block ×7, first 2 shown]
	ds_read2st64_b64 v[186:189], v153 offset1:4
	v_add_u32_e32 v143, 0x800, v143
	ds_read2_b64 v[190:193], v143 offset1:16
	ds_read2_b64 v[194:197], v143 offset0:32 offset1:48
	ds_read2_b64 v[198:201], v143 offset0:64 offset1:80
	;; [unrolled: 1-line block ×7, first 2 shown]
	s_waitcnt lgkmcnt(14)
	v_max_f64 v[154:155], v[154:155], v[154:155]
	v_max_f64 v[156:157], v[156:157], v[156:157]
	;; [unrolled: 1-line block ×6, first 2 shown]
	s_waitcnt lgkmcnt(13)
	v_max_f64 v[166:167], v[166:167], v[166:167]
	v_max_f64 v[168:169], v[168:169], v[168:169]
	s_waitcnt lgkmcnt(12)
	v_max_f64 v[170:171], v[170:171], v[170:171]
	v_max_f64 v[172:173], v[172:173], v[172:173]
	;; [unrolled: 3-line block ×14, first 2 shown]
	v_min_f64 v[222:223], v[154:155], v[186:187]
	v_min_f64 v[224:225], v[156:157], v[186:187]
	;; [unrolled: 1-line block ×32, first 2 shown]
	s_add_i32 s2, s2, 8
	v_add_f64 v[62:63], v[154:155], v[62:63]
	v_add_f64 v[60:61], v[156:157], v[60:61]
	;; [unrolled: 1-line block ×16, first 2 shown]
	v_min_f64 v[154:155], v[190:191], v[186:187]
	v_min_f64 v[156:157], v[192:193], v[186:187]
	;; [unrolled: 1-line block ×32, first 2 shown]
	s_cmp_eq_u32 s2, 32
	v_add_f64 v[126:127], v[222:223], v[126:127]
	v_add_f64 v[124:125], v[224:225], v[124:125]
	;; [unrolled: 1-line block ×48, first 2 shown]
	s_cbranch_scc0 .LBB129_17
; %bb.18:
	s_load_dword s23, s[0:1], 0x8
	v_lshlrev_b32_e32 v142, 5, v142
	v_lshl_add_u32 v142, v146, 3, v142
	ds_write2st64_b64 v142, v[128:129], v[130:131] offset0:8 offset1:12
	ds_write2st64_b64 v141, v[134:135], v[136:137] offset0:24 offset1:28
	s_waitcnt lgkmcnt(0)
	s_cmp_gt_i32 s23, 8
	s_barrier
	s_cbranch_scc1 .LBB129_20
; %bb.19:
	v_add_u32_e32 v153, 0x1000, v151
	v_add_u32_e32 v154, 0x3000, v140
	s_cbranch_execz .LBB129_21
	s_branch .LBB129_37
.LBB129_20:
                                        ; implicit-def: $vgpr153
                                        ; implicit-def: $vgpr154
.LBB129_21:
	v_or_b32_e32 v155, 0x1000, v142
	v_add_u32_e32 v156, 0x3000, v141
	s_add_i32 s2, s23, -8
	v_mad_i64_i32 v[128:129], s[26:27], v139, s22, 0
	v_mad_i64_i32 v[130:131], s[22:23], v138, s22, 0
	v_lshl_add_u64 v[132:133], v[132:133], 3, s[20:21]
	v_add_u32_e32 v153, 0x1000, v151
	v_add_u32_e32 v154, 0x3000, v140
	s_mov_b32 s3, 8
	s_mov_b32 s20, 0
	v_mov_b32_e32 v135, 0
.LBB129_22:                             ; =>This Loop Header: Depth=1
                                        ;     Child Loop BB129_28 Depth 2
                                        ;     Child Loop BB129_35 Depth 2
	s_and_b64 vcc, exec, s[4:5]
	s_cbranch_vccnz .LBB129_25
; %bb.23:                               ;   in Loop: Header=BB129_22 Depth=1
	v_add_u32_e32 v138, s3, v146
	v_mad_u64_u32 v[136:137], s[22:23], v138, s24, 0
	v_mov_b32_e32 v134, v137
	v_mad_u64_u32 v[138:139], s[22:23], v138, s25, v[134:135]
	v_mov_b32_e32 v137, v138
	v_lshl_add_u64 v[136:137], v[136:137], 3, v[132:133]
	flat_load_dwordx2 v[138:139], v[136:137]
	flat_load_dwordx2 v[140:141], v[136:137] offset:512
	s_waitcnt vmcnt(0) lgkmcnt(0)
	v_mul_f64 v[136:137], s[16:17], v[138:139]
	v_mul_f64 v[138:139], s[16:17], v[140:141]
	s_and_b64 vcc, exec, s[4:5]
	s_cbranch_vccnz .LBB129_26
.LBB129_24:                             ;   in Loop: Header=BB129_22 Depth=1
	v_or_b32_e32 v134, s3, v147
	v_lshl_add_u64 v[140:141], v[134:135], 3, s[18:19]
	v_lshl_add_u64 v[142:143], v[128:129], 3, v[140:141]
	;; [unrolled: 1-line block ×3, first 2 shown]
	flat_load_dwordx2 v[142:143], v[142:143]
	s_nop 0
	flat_load_dwordx2 v[158:159], v[140:141]
	s_waitcnt vmcnt(0) lgkmcnt(0)
	v_mul_f64 v[140:141], s[16:17], v[142:143]
	v_mul_f64 v[142:143], s[16:17], v[158:159]
	s_branch .LBB129_27
.LBB129_25:                             ;   in Loop: Header=BB129_22 Depth=1
	v_mov_b64_e32 v[136:137], 0
	v_mov_b64_e32 v[138:139], 0
	s_and_b64 vcc, exec, s[4:5]
	s_cbranch_vccz .LBB129_24
.LBB129_26:                             ;   in Loop: Header=BB129_22 Depth=1
	v_mov_b64_e32 v[140:141], 0
	v_mov_b64_e32 v[142:143], 0
.LBB129_27:                             ;   in Loop: Header=BB129_22 Depth=1
	s_mov_b32 s21, 0
.LBB129_28:                             ;   Parent Loop BB129_22 Depth=1
                                        ; =>  This Inner Loop Header: Depth=2
	v_add_u32_e32 v134, s21, v153
	ds_read2_b64 v[158:161], v134 offset1:16
	ds_read2_b64 v[162:165], v134 offset0:32 offset1:48
	ds_read2_b64 v[166:169], v134 offset0:64 offset1:80
	;; [unrolled: 1-line block ×7, first 2 shown]
	v_add_u32_e32 v134, 0x800, v134
	ds_read2_b64 v[190:193], v134 offset1:16
	ds_read2_b64 v[194:197], v134 offset0:32 offset1:48
	ds_read2_b64 v[198:201], v134 offset0:64 offset1:80
	;; [unrolled: 1-line block ×7, first 2 shown]
	v_add_u32_e32 v134, s21, v154
	ds_read2st64_b64 v[222:225], v134 offset1:4
	s_waitcnt lgkmcnt(14)
	v_max_f64 v[158:159], v[158:159], v[158:159]
	v_max_f64 v[160:161], v[160:161], v[160:161]
	;; [unrolled: 1-line block ×4, first 2 shown]
	s_waitcnt lgkmcnt(0)
	v_max_f64 v[222:223], v[222:223], v[222:223]
	v_min_f64 v[226:227], v[158:159], v[222:223]
	v_add_f64 v[126:127], v[226:227], v[126:127]
	v_min_f64 v[226:227], v[160:161], v[222:223]
	v_add_f64 v[124:125], v[226:227], v[124:125]
	;; [unrolled: 2-line block ×3, first 2 shown]
	v_min_f64 v[226:227], v[164:165], v[222:223]
	v_max_f64 v[166:167], v[166:167], v[166:167]
	v_add_f64 v[120:121], v[226:227], v[120:121]
	v_min_f64 v[226:227], v[166:167], v[222:223]
	v_max_f64 v[168:169], v[168:169], v[168:169]
	v_add_f64 v[118:119], v[226:227], v[118:119]
	;; [unrolled: 3-line block ×26, first 2 shown]
	v_min_f64 v[226:227], v[216:217], v[222:223]
	v_max_f64 v[218:219], v[218:219], v[218:219]
	v_max_f64 v[220:221], v[220:221], v[220:221]
	v_add_f64 v[68:69], v[226:227], v[68:69]
	v_min_f64 v[226:227], v[218:219], v[222:223]
	v_min_f64 v[222:223], v[220:221], v[222:223]
	v_add_f64 v[64:65], v[222:223], v[64:65]
	v_max_f64 v[222:223], v[224:225], v[224:225]
	v_min_f64 v[158:159], v[158:159], v[222:223]
	v_add_f64 v[62:63], v[158:159], v[62:63]
	v_min_f64 v[158:159], v[160:161], v[222:223]
	v_add_f64 v[60:61], v[158:159], v[60:61]
	;; [unrolled: 2-line block ×31, first 2 shown]
	v_min_f64 v[158:159], v[220:221], v[222:223]
	s_add_i32 s21, s21, 8
	v_add_f64 v[66:67], v[226:227], v[66:67]
	v_add_f64 v[0:1], v[158:159], v[0:1]
	s_cmp_eq_u32 s21, 32
	s_cbranch_scc0 .LBB129_28
; %bb.29:                               ;   in Loop: Header=BB129_22 Depth=1
	s_and_b64 vcc, exec, s[4:5]
	ds_write2st64_b64 v149, v[136:137], v[138:139] offset1:4
	ds_write2st64_b64 v150, v[140:141], v[142:143] offset1:4
	s_waitcnt lgkmcnt(0)
	s_barrier
	s_cbranch_vccnz .LBB129_32
; %bb.30:                               ;   in Loop: Header=BB129_22 Depth=1
	v_add_u32_e32 v138, s3, v148
	v_mad_u64_u32 v[136:137], s[22:23], v138, s24, 0
	v_mov_b32_e32 v134, v137
	v_mad_u64_u32 v[138:139], s[22:23], v138, s25, v[134:135]
	v_mov_b32_e32 v137, v138
	v_lshl_add_u64 v[136:137], v[136:137], 3, v[132:133]
	flat_load_dwordx2 v[138:139], v[136:137]
	flat_load_dwordx2 v[140:141], v[136:137] offset:512
	s_waitcnt vmcnt(0) lgkmcnt(0)
	v_mul_f64 v[136:137], s[16:17], v[138:139]
	v_mul_f64 v[138:139], s[16:17], v[140:141]
	s_and_b64 vcc, exec, s[4:5]
	s_cbranch_vccnz .LBB129_33
.LBB129_31:                             ;   in Loop: Header=BB129_22 Depth=1
	v_or_b32_e32 v134, s3, v147
	v_lshl_add_u64 v[140:141], v[134:135], 3, s[18:19]
	v_lshl_add_u64 v[142:143], v[128:129], 3, v[140:141]
	;; [unrolled: 1-line block ×3, first 2 shown]
	flat_load_dwordx2 v[142:143], v[142:143] offset:32
	s_nop 0
	flat_load_dwordx2 v[158:159], v[140:141] offset:32
	s_waitcnt vmcnt(0) lgkmcnt(0)
	v_mul_f64 v[140:141], s[16:17], v[142:143]
	v_mul_f64 v[142:143], s[16:17], v[158:159]
	s_branch .LBB129_34
.LBB129_32:                             ;   in Loop: Header=BB129_22 Depth=1
	v_mov_b64_e32 v[136:137], 0
	v_mov_b64_e32 v[138:139], 0
	s_and_b64 vcc, exec, s[4:5]
	s_cbranch_vccz .LBB129_31
.LBB129_33:                             ;   in Loop: Header=BB129_22 Depth=1
	v_mov_b64_e32 v[140:141], 0
	v_mov_b64_e32 v[142:143], 0
.LBB129_34:                             ;   in Loop: Header=BB129_22 Depth=1
	s_mov_b32 s21, 0
.LBB129_35:                             ;   Parent Loop BB129_22 Depth=1
                                        ; =>  This Inner Loop Header: Depth=2
	v_add_u32_e32 v134, s21, v151
	ds_read2_b64 v[158:161], v134 offset1:16
	ds_read2_b64 v[162:165], v134 offset0:32 offset1:48
	ds_read2_b64 v[166:169], v134 offset0:64 offset1:80
	;; [unrolled: 1-line block ×7, first 2 shown]
	v_add_u32_e32 v134, 0x800, v134
	ds_read2_b64 v[190:193], v134 offset1:16
	ds_read2_b64 v[194:197], v134 offset0:32 offset1:48
	ds_read2_b64 v[198:201], v134 offset0:64 offset1:80
	;; [unrolled: 1-line block ×7, first 2 shown]
	v_add_u32_e32 v134, s21, v152
	ds_read2st64_b64 v[222:225], v134 offset1:4
	s_waitcnt lgkmcnt(14)
	v_max_f64 v[158:159], v[158:159], v[158:159]
	v_max_f64 v[160:161], v[160:161], v[160:161]
	;; [unrolled: 1-line block ×4, first 2 shown]
	s_waitcnt lgkmcnt(0)
	v_max_f64 v[222:223], v[222:223], v[222:223]
	v_min_f64 v[226:227], v[158:159], v[222:223]
	v_add_f64 v[126:127], v[226:227], v[126:127]
	v_min_f64 v[226:227], v[160:161], v[222:223]
	v_add_f64 v[124:125], v[226:227], v[124:125]
	v_min_f64 v[226:227], v[162:163], v[222:223]
	v_add_f64 v[122:123], v[226:227], v[122:123]
	v_min_f64 v[226:227], v[164:165], v[222:223]
	v_max_f64 v[166:167], v[166:167], v[166:167]
	v_add_f64 v[120:121], v[226:227], v[120:121]
	v_min_f64 v[226:227], v[166:167], v[222:223]
	v_max_f64 v[168:169], v[168:169], v[168:169]
	v_add_f64 v[118:119], v[226:227], v[118:119]
	;; [unrolled: 3-line block ×26, first 2 shown]
	v_min_f64 v[226:227], v[216:217], v[222:223]
	v_max_f64 v[218:219], v[218:219], v[218:219]
	v_max_f64 v[220:221], v[220:221], v[220:221]
	v_add_f64 v[68:69], v[226:227], v[68:69]
	v_min_f64 v[226:227], v[218:219], v[222:223]
	v_min_f64 v[222:223], v[220:221], v[222:223]
	v_add_f64 v[64:65], v[222:223], v[64:65]
	v_max_f64 v[222:223], v[224:225], v[224:225]
	v_min_f64 v[158:159], v[158:159], v[222:223]
	v_add_f64 v[62:63], v[158:159], v[62:63]
	v_min_f64 v[158:159], v[160:161], v[222:223]
	v_add_f64 v[60:61], v[158:159], v[60:61]
	;; [unrolled: 2-line block ×31, first 2 shown]
	v_min_f64 v[158:159], v[220:221], v[222:223]
	s_add_i32 s21, s21, 8
	v_add_f64 v[66:67], v[226:227], v[66:67]
	v_add_f64 v[0:1], v[158:159], v[0:1]
	s_cmp_eq_u32 s21, 32
	s_cbranch_scc0 .LBB129_35
; %bb.36:                               ;   in Loop: Header=BB129_22 Depth=1
	s_add_i32 s3, s3, 8
	s_add_i32 s20, s20, 8
	s_cmp_ge_i32 s20, s2
	ds_write2st64_b64 v155, v[136:137], v[138:139] offset1:4
	ds_write2st64_b64 v156, v[140:141], v[142:143] offset1:4
	s_waitcnt lgkmcnt(0)
	s_barrier
	s_cbranch_scc0 .LBB129_22
.LBB129_37:
	s_mov_b32 s2, 0
.LBB129_38:                             ; =>This Inner Loop Header: Depth=1
	v_add_u32_e32 v150, s2, v153
	v_add_u32_e32 v151, s2, v154
	ds_read2_b64 v[128:131], v150 offset1:16
	ds_read2_b64 v[132:135], v150 offset0:32 offset1:48
	ds_read2_b64 v[136:139], v150 offset0:64 offset1:80
	;; [unrolled: 1-line block ×7, first 2 shown]
	v_add_u32_e32 v150, 0x800, v150
	ds_read2st64_b64 v[168:171], v151 offset1:4
	ds_read2_b64 v[172:175], v150 offset1:16
	ds_read2_b64 v[176:179], v150 offset0:32 offset1:48
	ds_read2_b64 v[180:183], v150 offset0:64 offset1:80
	;; [unrolled: 1-line block ×7, first 2 shown]
	s_waitcnt lgkmcnt(14)
	v_max_f64 v[128:129], v[128:129], v[128:129]
	v_max_f64 v[130:131], v[130:131], v[130:131]
	;; [unrolled: 1-line block ×3, first 2 shown]
	s_waitcnt lgkmcnt(8)
	v_max_f64 v[150:151], v[168:169], v[168:169]
	v_max_f64 v[134:135], v[134:135], v[134:135]
	;; [unrolled: 1-line block ×15, first 2 shown]
	v_min_f64 v[170:171], v[128:129], v[150:151]
	v_min_f64 v[204:205], v[130:131], v[150:151]
	v_min_f64 v[206:207], v[132:133], v[150:151]
	v_min_f64 v[208:209], v[134:135], v[150:151]
	v_min_f64 v[210:211], v[136:137], v[150:151]
	v_min_f64 v[212:213], v[138:139], v[150:151]
	v_min_f64 v[214:215], v[140:141], v[150:151]
	v_min_f64 v[216:217], v[142:143], v[150:151]
	v_min_f64 v[218:219], v[146:147], v[150:151]
	v_min_f64 v[220:221], v[148:149], v[150:151]
	v_min_f64 v[222:223], v[156:157], v[150:151]
	v_min_f64 v[224:225], v[158:159], v[150:151]
	v_min_f64 v[226:227], v[160:161], v[150:151]
	v_min_f64 v[228:229], v[162:163], v[150:151]
	v_min_f64 v[230:231], v[164:165], v[150:151]
	v_min_f64 v[232:233], v[166:167], v[150:151]
	s_waitcnt lgkmcnt(7)
	v_max_f64 v[172:173], v[172:173], v[172:173]
	v_max_f64 v[174:175], v[174:175], v[174:175]
	s_waitcnt lgkmcnt(6)
	v_max_f64 v[176:177], v[176:177], v[176:177]
	v_max_f64 v[178:179], v[178:179], v[178:179]
	;; [unrolled: 3-line block ×8, first 2 shown]
	v_min_f64 v[128:129], v[128:129], v[168:169]
	v_min_f64 v[130:131], v[130:131], v[168:169]
	;; [unrolled: 1-line block ×16, first 2 shown]
	s_add_i32 s2, s2, 8
	v_add_f64 v[126:127], v[170:171], v[126:127]
	v_add_f64 v[124:125], v[204:205], v[124:125]
	;; [unrolled: 1-line block ×15, first 2 shown]
	v_min_f64 v[170:171], v[172:173], v[150:151]
	v_min_f64 v[204:205], v[174:175], v[150:151]
	;; [unrolled: 1-line block ×16, first 2 shown]
	v_add_f64 v[62:63], v[128:129], v[62:63]
	v_add_f64 v[60:61], v[130:131], v[60:61]
	;; [unrolled: 1-line block ×16, first 2 shown]
	v_min_f64 v[128:129], v[172:173], v[168:169]
	v_min_f64 v[130:131], v[174:175], v[168:169]
	;; [unrolled: 1-line block ×16, first 2 shown]
	s_cmp_eq_u32 s2, 32
	v_add_f64 v[96:97], v[232:233], v[96:97]
	v_add_f64 v[94:95], v[170:171], v[94:95]
	;; [unrolled: 1-line block ×33, first 2 shown]
	s_cbranch_scc0 .LBB129_38
; %bb.39:
	s_load_dwordx2 s[2:3], s[0:1], 0x78
	s_load_dword s4, s[0:1], 0x58
	s_load_dword s5, s[0:1], 0x70
	v_add_u32_e32 v130, s10, v144
	v_add_u32_e32 v170, s11, v145
	s_waitcnt lgkmcnt(0)
	s_lshl_b64 s[0:1], s[2:3], 3
	s_add_u32 s0, s8, s0
	s_addc_u32 s1, s9, s1
	v_add_u32_e32 v128, 4, v130
	v_mad_i64_i32 v[132:133], s[2:3], v170, s5, 0
	v_ashrrev_i32_e32 v131, 31, v130
	v_ashrrev_i32_e32 v129, 31, v128
	v_lshl_add_u64 v[138:139], v[132:133], 3, s[0:1]
	v_mad_i64_i32 v[132:133], s[2:3], v170, s4, 0
	s_mov_b64 vcc, s[6:7]
	s_cbranch_vccz .LBB129_42
; %bb.40:
	v_add_f64 v[134:135], v[126:127], 0
	v_lshl_add_u64 v[136:137], v[130:131], 3, v[138:139]
	s_mov_b64 s[2:3], 0
	global_store_dwordx2 v[136:137], v[134:135], off
	v_lshl_add_u64 v[146:147], v[132:133], 3, s[14:15]
	v_lshlrev_b64 v[134:135], 3, v[130:131]
	s_cbranch_execz .LBB129_43
; %bb.41:
	v_mov_b64_e32 v[136:137], s[2:3]
	s_branch .LBB129_44
.LBB129_42:
	s_mov_b64 s[2:3], -1
	v_lshl_add_u64 v[146:147], v[132:133], 3, s[14:15]
	v_lshlrev_b64 v[134:135], 3, v[130:131]
.LBB129_43:
	v_lshl_add_u64 v[132:133], v[146:147], 0, v[134:135]
	flat_load_dwordx2 v[132:133], v[132:133]
	v_lshl_add_u64 v[136:137], v[138:139], 0, v[134:135]
	s_waitcnt vmcnt(0) lgkmcnt(0)
	v_fmac_f64_e32 v[126:127], s[12:13], v[132:133]
	global_store_dwordx2 v[136:137], v[126:127], off
	v_lshl_add_u64 v[126:127], v[128:129], 3, v[146:147]
	flat_load_dwordx2 v[126:127], v[126:127]
	s_waitcnt vmcnt(0) lgkmcnt(0)
	v_mul_f64 v[136:137], s[12:13], v[126:127]
.LBB129_44:
	v_add_u32_e32 v132, 8, v130
	v_add_u32_e32 v126, 12, v130
	v_ashrrev_i32_e32 v133, 31, v132
	v_ashrrev_i32_e32 v127, 31, v126
	v_add_f64 v[124:125], v[124:125], v[136:137]
	v_lshl_add_u64 v[136:137], v[128:129], 3, v[138:139]
	s_mov_b64 vcc, s[6:7]
	global_store_dwordx2 v[136:137], v[124:125], off
	s_cbranch_vccz .LBB129_47
; %bb.45:
	v_add_f64 v[124:125], v[122:123], 0
	v_lshl_add_u64 v[136:137], v[132:133], 3, v[138:139]
	s_mov_b64 s[2:3], 0
	global_store_dwordx2 v[136:137], v[124:125], off
	v_lshlrev_b64 v[136:137], 3, v[132:133]
	s_cbranch_execz .LBB129_48
; %bb.46:
	v_mov_b64_e32 v[140:141], s[2:3]
	s_branch .LBB129_49
.LBB129_47:
	s_mov_b64 s[2:3], -1
	v_lshlrev_b64 v[136:137], 3, v[132:133]
.LBB129_48:
	v_lshl_add_u64 v[124:125], v[146:147], 0, v[136:137]
	flat_load_dwordx2 v[124:125], v[124:125]
	v_lshl_add_u64 v[140:141], v[138:139], 0, v[136:137]
	s_waitcnt vmcnt(0) lgkmcnt(0)
	v_fmac_f64_e32 v[122:123], s[12:13], v[124:125]
	global_store_dwordx2 v[140:141], v[122:123], off
	v_lshl_add_u64 v[122:123], v[126:127], 3, v[146:147]
	flat_load_dwordx2 v[122:123], v[122:123]
	s_waitcnt vmcnt(0) lgkmcnt(0)
	v_mul_f64 v[140:141], s[12:13], v[122:123]
.LBB129_49:
	v_add_u32_e32 v124, 16, v130
	v_add_u32_e32 v122, 20, v130
	v_ashrrev_i32_e32 v125, 31, v124
	v_ashrrev_i32_e32 v123, 31, v122
	v_add_f64 v[120:121], v[120:121], v[140:141]
	v_lshl_add_u64 v[140:141], v[126:127], 3, v[138:139]
	s_mov_b64 vcc, s[6:7]
	global_store_dwordx2 v[140:141], v[120:121], off
	s_cbranch_vccz .LBB129_52
; %bb.50:
	v_add_f64 v[120:121], v[118:119], 0
	v_lshl_add_u64 v[140:141], v[124:125], 3, v[138:139]
	s_mov_b64 s[2:3], 0
	global_store_dwordx2 v[140:141], v[120:121], off
	v_lshlrev_b64 v[140:141], 3, v[124:125]
	s_cbranch_execz .LBB129_53
; %bb.51:
	v_mov_b64_e32 v[142:143], s[2:3]
	s_branch .LBB129_54
.LBB129_52:
	s_mov_b64 s[2:3], -1
	v_lshlrev_b64 v[140:141], 3, v[124:125]
.LBB129_53:
	v_lshl_add_u64 v[120:121], v[146:147], 0, v[140:141]
	flat_load_dwordx2 v[120:121], v[120:121]
	v_lshl_add_u64 v[142:143], v[138:139], 0, v[140:141]
	s_waitcnt vmcnt(0) lgkmcnt(0)
	v_fmac_f64_e32 v[118:119], s[12:13], v[120:121]
	global_store_dwordx2 v[142:143], v[118:119], off
	v_lshl_add_u64 v[118:119], v[122:123], 3, v[146:147]
	flat_load_dwordx2 v[118:119], v[118:119]
	s_waitcnt vmcnt(0) lgkmcnt(0)
	v_mul_f64 v[142:143], s[12:13], v[118:119]
.LBB129_54:
	;; [unrolled: 34-line block ×15, first 2 shown]
	v_add_f64 v[64:65], v[64:65], v[66:67]
	v_lshl_add_u64 v[66:67], v[70:71], 3, v[138:139]
	global_store_dwordx2 v[66:67], v[64:65], off
	v_add_u32_e32 v66, 64, v170
	v_mad_i64_i32 v[64:65], s[2:3], v66, s5, 0
	v_lshl_add_u64 v[64:65], v[64:65], 3, s[0:1]
	v_mad_i64_i32 v[66:67], s[0:1], v66, s4, 0
	s_mov_b64 vcc, s[6:7]
	s_cbranch_vccz .LBB129_122
; %bb.120:
	v_add_f64 v[138:139], v[62:63], 0
	v_lshl_add_u64 v[130:131], v[130:131], 3, v[64:65]
	s_mov_b64 s[0:1], 0
	global_store_dwordx2 v[130:131], v[138:139], off
	v_lshl_add_u64 v[66:67], v[66:67], 3, s[14:15]
	s_cbranch_execz .LBB129_123
; %bb.121:
	v_mov_b64_e32 v[62:63], s[0:1]
	s_branch .LBB129_124
.LBB129_122:
	s_mov_b64 s[0:1], -1
	v_lshl_add_u64 v[66:67], v[66:67], 3, s[14:15]
.LBB129_123:
	v_lshl_add_u64 v[130:131], v[66:67], 0, v[134:135]
	flat_load_dwordx2 v[130:131], v[130:131]
	v_lshl_add_u64 v[134:135], v[64:65], 0, v[134:135]
	s_waitcnt vmcnt(0) lgkmcnt(0)
	v_fmac_f64_e32 v[62:63], s[12:13], v[130:131]
	global_store_dwordx2 v[134:135], v[62:63], off
	v_lshl_add_u64 v[62:63], v[128:129], 3, v[66:67]
	flat_load_dwordx2 v[62:63], v[62:63]
	s_waitcnt vmcnt(0) lgkmcnt(0)
	v_mul_f64 v[62:63], s[12:13], v[62:63]
.LBB129_124:
	v_add_f64 v[60:61], v[60:61], v[62:63]
	v_lshl_add_u64 v[62:63], v[128:129], 3, v[64:65]
	s_mov_b64 vcc, s[6:7]
	global_store_dwordx2 v[62:63], v[60:61], off
	s_cbranch_vccz .LBB129_127
; %bb.125:
	v_add_f64 v[60:61], v[58:59], 0
	v_lshl_add_u64 v[62:63], v[132:133], 3, v[64:65]
	s_mov_b64 s[0:1], 0
	global_store_dwordx2 v[62:63], v[60:61], off
	s_cbranch_execz .LBB129_128
; %bb.126:
	v_mov_b64_e32 v[58:59], s[0:1]
	s_branch .LBB129_129
.LBB129_127:
	s_mov_b64 s[0:1], -1
.LBB129_128:
	v_lshl_add_u64 v[60:61], v[66:67], 0, v[136:137]
	flat_load_dwordx2 v[60:61], v[60:61]
	v_lshl_add_u64 v[62:63], v[64:65], 0, v[136:137]
	s_waitcnt vmcnt(0) lgkmcnt(0)
	v_fmac_f64_e32 v[58:59], s[12:13], v[60:61]
	global_store_dwordx2 v[62:63], v[58:59], off
	v_lshl_add_u64 v[58:59], v[126:127], 3, v[66:67]
	flat_load_dwordx2 v[58:59], v[58:59]
	s_waitcnt vmcnt(0) lgkmcnt(0)
	v_mul_f64 v[58:59], s[12:13], v[58:59]
.LBB129_129:
	v_add_f64 v[56:57], v[56:57], v[58:59]
	v_lshl_add_u64 v[58:59], v[126:127], 3, v[64:65]
	s_mov_b64 vcc, s[6:7]
	global_store_dwordx2 v[58:59], v[56:57], off
	s_cbranch_vccz .LBB129_132
; %bb.130:
	v_add_f64 v[56:57], v[54:55], 0
	v_lshl_add_u64 v[58:59], v[124:125], 3, v[64:65]
	s_mov_b64 s[0:1], 0
	global_store_dwordx2 v[58:59], v[56:57], off
	s_cbranch_execz .LBB129_133
; %bb.131:
	v_mov_b64_e32 v[54:55], s[0:1]
	s_branch .LBB129_134
.LBB129_132:
	s_mov_b64 s[0:1], -1
.LBB129_133:
	v_lshl_add_u64 v[56:57], v[66:67], 0, v[140:141]
	flat_load_dwordx2 v[56:57], v[56:57]
	v_lshl_add_u64 v[58:59], v[64:65], 0, v[140:141]
	s_waitcnt vmcnt(0) lgkmcnt(0)
	v_fmac_f64_e32 v[54:55], s[12:13], v[56:57]
	global_store_dwordx2 v[58:59], v[54:55], off
	v_lshl_add_u64 v[54:55], v[122:123], 3, v[66:67]
	flat_load_dwordx2 v[54:55], v[54:55]
	s_waitcnt vmcnt(0) lgkmcnt(0)
	v_mul_f64 v[54:55], s[12:13], v[54:55]
.LBB129_134:
	;; [unrolled: 28-line block ×14, first 2 shown]
	v_add_f64 v[4:5], v[4:5], v[6:7]
	v_lshl_add_u64 v[6:7], v[74:75], 3, v[64:65]
	s_mov_b64 vcc, s[6:7]
	global_store_dwordx2 v[6:7], v[4:5], off
	s_cbranch_vccz .LBB129_197
; %bb.195:
	v_add_f64 v[4:5], v[2:3], 0
	v_lshl_add_u64 v[6:7], v[72:73], 3, v[64:65]
	s_mov_b64 s[0:1], 0
	global_store_dwordx2 v[6:7], v[4:5], off
	s_cbranch_execz .LBB129_198
; %bb.196:
	v_mov_b64_e32 v[2:3], s[0:1]
	v_add_f64 v[0:1], v[0:1], v[2:3]
	v_lshl_add_u64 v[2:3], v[70:71], 3, v[64:65]
	global_store_dwordx2 v[2:3], v[0:1], off
	s_endpgm
.LBB129_197:
	s_mov_b64 s[0:1], -1
.LBB129_198:
	v_lshl_add_u64 v[4:5], v[66:67], 0, v[68:69]
	flat_load_dwordx2 v[4:5], v[4:5]
	v_lshl_add_u64 v[6:7], v[64:65], 0, v[68:69]
	s_waitcnt vmcnt(0) lgkmcnt(0)
	v_fmac_f64_e32 v[2:3], s[12:13], v[4:5]
	global_store_dwordx2 v[6:7], v[2:3], off
	v_lshl_add_u64 v[2:3], v[70:71], 3, v[66:67]
	flat_load_dwordx2 v[2:3], v[2:3]
	s_waitcnt vmcnt(0) lgkmcnt(0)
	v_mul_f64 v[2:3], s[12:13], v[2:3]
	v_add_f64 v[0:1], v[0:1], v[2:3]
	v_lshl_add_u64 v[2:3], v[70:71], 3, v[64:65]
	global_store_dwordx2 v[2:3], v[0:1], off
	s_endpgm
	.section	.rodata,"a",@progbits
	.p2align	6, 0x0
	.amdhsa_kernel _ZN12_GLOBAL__N_120geam_min_plus_kernelIdddLi4ELi64ELi128ELi128ELi4ELi64ELi4ELi4ELi64ELc78ELc78ELb0ELb0ELb0EPKdKS2_KPdEEviiiT16_PT17_ilS8_ilS6_S8_ilPT18_ili26rocblas_geam_ex_operation_
		.amdhsa_group_segment_fixed_size 16384
		.amdhsa_private_segment_fixed_size 0
		.amdhsa_kernarg_size 136
		.amdhsa_user_sgpr_count 2
		.amdhsa_user_sgpr_dispatch_ptr 0
		.amdhsa_user_sgpr_queue_ptr 0
		.amdhsa_user_sgpr_kernarg_segment_ptr 1
		.amdhsa_user_sgpr_dispatch_id 0
		.amdhsa_user_sgpr_kernarg_preload_length 0
		.amdhsa_user_sgpr_kernarg_preload_offset 0
		.amdhsa_user_sgpr_private_segment_size 0
		.amdhsa_uses_dynamic_stack 0
		.amdhsa_enable_private_segment 0
		.amdhsa_system_sgpr_workgroup_id_x 1
		.amdhsa_system_sgpr_workgroup_id_y 0
		.amdhsa_system_sgpr_workgroup_id_z 1
		.amdhsa_system_sgpr_workgroup_info 0
		.amdhsa_system_vgpr_workitem_id 1
		.amdhsa_next_free_vgpr 254
		.amdhsa_next_free_sgpr 28
		.amdhsa_accum_offset 256
		.amdhsa_reserve_vcc 1
		.amdhsa_float_round_mode_32 0
		.amdhsa_float_round_mode_16_64 0
		.amdhsa_float_denorm_mode_32 3
		.amdhsa_float_denorm_mode_16_64 3
		.amdhsa_dx10_clamp 1
		.amdhsa_ieee_mode 1
		.amdhsa_fp16_overflow 0
		.amdhsa_tg_split 0
		.amdhsa_exception_fp_ieee_invalid_op 0
		.amdhsa_exception_fp_denorm_src 0
		.amdhsa_exception_fp_ieee_div_zero 0
		.amdhsa_exception_fp_ieee_overflow 0
		.amdhsa_exception_fp_ieee_underflow 0
		.amdhsa_exception_fp_ieee_inexact 0
		.amdhsa_exception_int_div_zero 0
	.end_amdhsa_kernel
	.section	.text._ZN12_GLOBAL__N_120geam_min_plus_kernelIdddLi4ELi64ELi128ELi128ELi4ELi64ELi4ELi4ELi64ELc78ELc78ELb0ELb0ELb0EPKdKS2_KPdEEviiiT16_PT17_ilS8_ilS6_S8_ilPT18_ili26rocblas_geam_ex_operation_,"axG",@progbits,_ZN12_GLOBAL__N_120geam_min_plus_kernelIdddLi4ELi64ELi128ELi128ELi4ELi64ELi4ELi4ELi64ELc78ELc78ELb0ELb0ELb0EPKdKS2_KPdEEviiiT16_PT17_ilS8_ilS6_S8_ilPT18_ili26rocblas_geam_ex_operation_,comdat
.Lfunc_end129:
	.size	_ZN12_GLOBAL__N_120geam_min_plus_kernelIdddLi4ELi64ELi128ELi128ELi4ELi64ELi4ELi4ELi64ELc78ELc78ELb0ELb0ELb0EPKdKS2_KPdEEviiiT16_PT17_ilS8_ilS6_S8_ilPT18_ili26rocblas_geam_ex_operation_, .Lfunc_end129-_ZN12_GLOBAL__N_120geam_min_plus_kernelIdddLi4ELi64ELi128ELi128ELi4ELi64ELi4ELi4ELi64ELc78ELc78ELb0ELb0ELb0EPKdKS2_KPdEEviiiT16_PT17_ilS8_ilS6_S8_ilPT18_ili26rocblas_geam_ex_operation_
                                        ; -- End function
	.section	.AMDGPU.csdata,"",@progbits
; Kernel info:
; codeLenInByte = 13104
; NumSgprs: 34
; NumVgprs: 254
; NumAgprs: 0
; TotalNumVgprs: 254
; ScratchSize: 0
; MemoryBound: 0
; FloatMode: 240
; IeeeMode: 1
; LDSByteSize: 16384 bytes/workgroup (compile time only)
; SGPRBlocks: 4
; VGPRBlocks: 31
; NumSGPRsForWavesPerEU: 34
; NumVGPRsForWavesPerEU: 254
; AccumOffset: 256
; Occupancy: 2
; WaveLimiterHint : 1
; COMPUTE_PGM_RSRC2:SCRATCH_EN: 0
; COMPUTE_PGM_RSRC2:USER_SGPR: 2
; COMPUTE_PGM_RSRC2:TRAP_HANDLER: 0
; COMPUTE_PGM_RSRC2:TGID_X_EN: 1
; COMPUTE_PGM_RSRC2:TGID_Y_EN: 0
; COMPUTE_PGM_RSRC2:TGID_Z_EN: 1
; COMPUTE_PGM_RSRC2:TIDIG_COMP_CNT: 1
; COMPUTE_PGM_RSRC3_GFX90A:ACCUM_OFFSET: 63
; COMPUTE_PGM_RSRC3_GFX90A:TG_SPLIT: 0
	.section	.text._ZN12_GLOBAL__N_120geam_min_plus_kernelIdddLi4ELi64ELi128ELi128ELi4ELi64ELi4ELi4ELi64ELc78ELc78ELb1ELb0ELb0EdKPKdKPdEEviiiT16_PT17_ilS8_ilS6_S8_ilPT18_ili26rocblas_geam_ex_operation_,"axG",@progbits,_ZN12_GLOBAL__N_120geam_min_plus_kernelIdddLi4ELi64ELi128ELi128ELi4ELi64ELi4ELi4ELi64ELc78ELc78ELb1ELb0ELb0EdKPKdKPdEEviiiT16_PT17_ilS8_ilS6_S8_ilPT18_ili26rocblas_geam_ex_operation_,comdat
	.globl	_ZN12_GLOBAL__N_120geam_min_plus_kernelIdddLi4ELi64ELi128ELi128ELi4ELi64ELi4ELi4ELi64ELc78ELc78ELb1ELb0ELb0EdKPKdKPdEEviiiT16_PT17_ilS8_ilS6_S8_ilPT18_ili26rocblas_geam_ex_operation_ ; -- Begin function _ZN12_GLOBAL__N_120geam_min_plus_kernelIdddLi4ELi64ELi128ELi128ELi4ELi64ELi4ELi4ELi64ELc78ELc78ELb1ELb0ELb0EdKPKdKPdEEviiiT16_PT17_ilS8_ilS6_S8_ilPT18_ili26rocblas_geam_ex_operation_
	.p2align	8
	.type	_ZN12_GLOBAL__N_120geam_min_plus_kernelIdddLi4ELi64ELi128ELi128ELi4ELi64ELi4ELi4ELi64ELc78ELc78ELb1ELb0ELb0EdKPKdKPdEEviiiT16_PT17_ilS8_ilS6_S8_ilPT18_ili26rocblas_geam_ex_operation_,@function
_ZN12_GLOBAL__N_120geam_min_plus_kernelIdddLi4ELi64ELi128ELi128ELi4ELi64ELi4ELi4ELi64ELc78ELc78ELb1ELb0ELb0EdKPKdKPdEEviiiT16_PT17_ilS8_ilS6_S8_ilPT18_ili26rocblas_geam_ex_operation_: ; @_ZN12_GLOBAL__N_120geam_min_plus_kernelIdddLi4ELi64ELi128ELi128ELi4ELi64ELi4ELi4ELi64ELc78ELc78ELb1ELb0ELb0EdKPKdKPdEEviiiT16_PT17_ilS8_ilS6_S8_ilPT18_ili26rocblas_geam_ex_operation_
; %bb.0:
	s_load_dwordx4 s[4:7], s[0:1], 0x10
	s_load_dwordx4 s[8:11], s[0:1], 0x28
	s_mov_b32 s18, s3
	s_mov_b64 s[16:17], 0
	s_waitcnt lgkmcnt(0)
	v_cmp_eq_f64_e64 s[12:13], s[4:5], 0
	s_and_b64 vcc, exec, s[12:13]
	s_cbranch_vccnz .LBB130_2
; %bb.1:
	s_mov_b32 s19, 0
	s_lshl_b64 s[4:5], s[18:19], 3
	s_add_u32 s4, s6, s4
	s_addc_u32 s5, s7, s5
	s_load_dwordx2 s[4:5], s[4:5], 0x0
	s_lshl_b64 s[6:7], s[8:9], 3
	s_waitcnt lgkmcnt(0)
	s_add_u32 s16, s4, s6
	s_addc_u32 s17, s5, s7
.LBB130_2:
	s_load_dwordx4 s[4:7], s[0:1], 0x40
	s_load_dwordx2 s[20:21], s[0:1], 0x50
	s_andn2_b64 vcc, exec, s[12:13]
	s_cbranch_vccnz .LBB130_4
; %bb.3:
	s_mov_b32 s19, 0
	s_mov_b64 s[14:15], 0
	s_cbranch_execz .LBB130_5
	s_branch .LBB130_6
.LBB130_4:
                                        ; implicit-def: $sgpr14_sgpr15
.LBB130_5:
	s_mov_b32 s19, 0
	s_lshl_b64 s[8:9], s[18:19], 3
	s_add_u32 s8, s10, s8
	s_addc_u32 s9, s11, s9
	s_load_dwordx2 s[8:9], s[8:9], 0x0
	s_waitcnt lgkmcnt(0)
	s_lshl_b64 s[4:5], s[4:5], 3
	s_add_u32 s14, s8, s4
	s_addc_u32 s15, s9, s5
.LBB130_6:
	s_load_dwordx4 s[8:11], s[0:1], 0x60
	s_waitcnt lgkmcnt(0)
	v_cmp_eq_f64_e64 s[4:5], s[6:7], 0
	s_and_b64 s[4:5], exec, s[4:5]
	s_mov_b64 s[12:13], 0
	s_mov_b64 vcc, s[4:5]
	s_cbranch_vccnz .LBB130_8
; %bb.7:
	s_lshl_b64 s[12:13], s[18:19], 3
	s_add_u32 s12, s20, s12
	s_addc_u32 s13, s21, s13
	s_load_dwordx2 s[12:13], s[12:13], 0x0
	s_lshl_b64 s[8:9], s[8:9], 3
	s_waitcnt lgkmcnt(0)
	s_add_u32 s12, s12, s8
	s_addc_u32 s13, s13, s9
.LBB130_8:
	s_load_dword s20, s[0:1], 0x20
	s_load_dword s21, s[0:1], 0x38
	;; [unrolled: 1-line block ×3, first 2 shown]
	s_lshl_b64 s[8:9], s[18:19], 3
	v_and_b32_e32 v148, 0x3ff, v0
	s_waitcnt lgkmcnt(0)
	s_ashr_i32 s18, s20, 31
	s_add_u32 s8, s10, s8
	s_addc_u32 s9, s11, s9
	s_add_i32 s3, s3, -1
	s_ashr_i32 s10, s3, 31
	s_lshr_b32 s10, s10, 25
	s_add_i32 s3, s3, s10
	s_ashr_i32 s3, s3, 7
	s_add_i32 s10, s3, 1
	v_cvt_f32_u32_e32 v1, s10
	s_not_b32 s3, s3
	v_bfe_u32 v149, v0, 10, 10
	v_lshl_add_u32 v0, v149, 2, v148
	v_rcp_iflag_f32_e32 v1, v1
	v_and_b32_e32 v150, 3, v148
	v_and_b32_e32 v144, 63, v0
	v_lshrrev_b32_e32 v18, 2, v0
	v_mul_f32_e32 v1, 0x4f7ffffe, v1
	v_cvt_u32_f32_e32 v1, v1
	v_lshrrev_b32_e32 v151, 6, v0
	v_lshlrev_b32_e32 v4, 3, v150
	v_mov_b32_e32 v5, 0
	v_readfirstlane_b32 s11, v1
	s_mul_i32 s3, s3, s11
	s_mul_hi_u32 s3, s11, s3
	s_add_i32 s11, s11, s3
	s_mul_hi_u32 s3, s2, s11
	s_mul_i32 s11, s3, s10
	s_sub_i32 s11, s2, s11
	s_add_i32 s19, s3, 1
	s_sub_i32 s22, s11, s10
	s_cmp_ge_u32 s11, s10
	s_cselect_b32 s3, s19, s3
	s_cselect_b32 s11, s22, s11
	s_add_i32 s19, s3, 1
	s_cmp_ge_u32 s11, s10
	s_cselect_b32 s3, s19, s3
	s_mul_i32 s10, s3, s10
	s_sub_i32 s2, s2, s10
	s_lshl_b32 s10, s2, 7
	s_lshl_b32 s11, s3, 7
	v_or_b32_e32 v132, s10, v144
	v_add_u32_e32 v12, s11, v18
	v_mad_i64_i32 v[0:1], s[2:3], s20, v151, 0
	v_ashrrev_i32_e32 v133, 31, v132
	v_lshl_add_u64 v[6:7], s[14:15], 0, v[4:5]
	v_add_u32_e32 v5, 64, v12
	v_lshl_add_u64 v[0:1], v[0:1], 3, s[16:17]
	v_lshlrev_b64 v[2:3], 3, v[132:133]
	v_mad_i64_i32 v[128:129], s[2:3], v12, s21, 0
	v_mad_i64_i32 v[130:131], s[2:3], v5, s21, 0
	v_lshl_add_u64 v[0:1], v[0:1], 0, v[2:3]
	v_lshl_add_u64 v[8:9], v[128:129], 3, v[6:7]
	;; [unrolled: 1-line block ×3, first 2 shown]
	v_add_u32_e32 v152, 4, v151
	flat_load_dwordx2 v[10:11], v[8:9]
	flat_load_dwordx2 v[12:13], v[6:7]
	;; [unrolled: 1-line block ×3, first 2 shown]
	flat_load_dwordx2 v[16:17], v[0:1] offset:512
	v_mad_i64_i32 v[0:1], s[2:3], s20, v152, 0
	v_lshl_add_u64 v[0:1], v[0:1], 3, s[16:17]
	v_lshl_add_u64 v[0:1], v[0:1], 0, v[2:3]
	flat_load_dwordx2 v[134:135], v[6:7] offset:32
	flat_load_dwordx2 v[136:137], v[8:9] offset:32
	flat_load_dwordx2 v[138:139], v[0:1]
	flat_load_dwordx2 v[140:141], v[0:1] offset:512
	s_load_dwordx2 s[2:3], s[8:9], 0x0
	v_lshlrev_b32_e32 v142, 5, v149
	v_lshlrev_b32_e32 v0, 3, v151
	v_lshl_or_b32 v143, v18, 5, v4
	s_mov_b32 s19, 0
	v_mov_b64_e32 v[126:127], 0
	v_mov_b64_e32 v[124:125], 0
	v_mov_b64_e32 v[122:123], 0
	v_mov_b64_e32 v[120:121], 0
	v_mov_b64_e32 v[118:119], 0
	v_mov_b64_e32 v[116:117], 0
	v_mov_b64_e32 v[114:115], 0
	v_mov_b64_e32 v[112:113], 0
	v_mov_b64_e32 v[110:111], 0
	v_mov_b64_e32 v[108:109], 0
	v_mov_b64_e32 v[106:107], 0
	v_mov_b64_e32 v[104:105], 0
	v_mov_b64_e32 v[102:103], 0
	v_mov_b64_e32 v[100:101], 0
	v_mov_b64_e32 v[98:99], 0
	v_mov_b64_e32 v[96:97], 0
	v_mov_b64_e32 v[94:95], 0
	v_mov_b64_e32 v[92:93], 0
	v_mov_b64_e32 v[90:91], 0
	v_mov_b64_e32 v[88:89], 0
	v_mov_b64_e32 v[86:87], 0
	v_mov_b64_e32 v[84:85], 0
	v_mov_b64_e32 v[82:83], 0
	v_mov_b64_e32 v[80:81], 0
	v_mov_b64_e32 v[78:79], 0
	v_mov_b64_e32 v[76:77], 0
	v_mov_b64_e32 v[74:75], 0
	v_mov_b64_e32 v[72:73], 0
	v_mov_b64_e32 v[70:71], 0
	v_mov_b64_e32 v[68:69], 0
	v_mov_b64_e32 v[66:67], 0
	v_mov_b64_e32 v[64:65], 0
	v_mov_b64_e32 v[62:63], 0
	v_mov_b64_e32 v[60:61], 0
	v_mov_b64_e32 v[58:59], 0
	v_mov_b64_e32 v[56:57], 0
	v_mov_b64_e32 v[54:55], 0
	v_mov_b64_e32 v[52:53], 0
	v_lshlrev_b32_e32 v153, 5, v148
	v_add_u32_e32 v154, 0x2000, v142
	v_lshl_add_u32 v155, v144, 5, v0
	v_add_u32_e32 v156, 0x2000, v143
	v_mov_b64_e32 v[50:51], 0
	v_mov_b64_e32 v[48:49], 0
	;; [unrolled: 1-line block ×7, first 2 shown]
	s_waitcnt vmcnt(0) lgkmcnt(0)
	ds_write2st64_b64 v143, v[10:11], v[12:13] offset0:16 offset1:20
	ds_write2st64_b64 v155, v[14:15], v[16:17] offset1:4
	v_mov_b64_e32 v[36:37], 0
	v_mov_b64_e32 v[34:35], 0
	;; [unrolled: 1-line block ×19, first 2 shown]
	s_waitcnt lgkmcnt(0)
	s_barrier
.LBB130_9:                              ; =>This Inner Loop Header: Depth=1
	v_add_u32_e32 v145, s19, v153
	v_add_u32_e32 v146, s19, v154
	ds_read2_b64 v[158:161], v145 offset1:16
	ds_read2_b64 v[162:165], v145 offset0:32 offset1:48
	ds_read2_b64 v[166:169], v145 offset0:64 offset1:80
	;; [unrolled: 1-line block ×7, first 2 shown]
	ds_read2st64_b64 v[190:193], v146 offset1:4
	v_add_u32_e32 v145, 0x800, v145
	ds_read2_b64 v[194:197], v145 offset1:16
	ds_read2_b64 v[198:201], v145 offset0:32 offset1:48
	ds_read2_b64 v[202:205], v145 offset0:64 offset1:80
	;; [unrolled: 1-line block ×7, first 2 shown]
	s_waitcnt lgkmcnt(14)
	v_max_f64 v[146:147], v[158:159], v[158:159]
	v_max_f64 v[158:159], v[160:161], v[160:161]
	;; [unrolled: 1-line block ×6, first 2 shown]
	s_waitcnt lgkmcnt(13)
	v_max_f64 v[168:169], v[170:171], v[170:171]
	v_max_f64 v[170:171], v[172:173], v[172:173]
	s_waitcnt lgkmcnt(12)
	v_max_f64 v[172:173], v[174:175], v[174:175]
	v_max_f64 v[174:175], v[176:177], v[176:177]
	;; [unrolled: 3-line block ×14, first 2 shown]
	v_min_f64 v[224:225], v[146:147], v[188:189]
	v_min_f64 v[226:227], v[158:159], v[188:189]
	v_min_f64 v[228:229], v[160:161], v[188:189]
	v_min_f64 v[230:231], v[162:163], v[188:189]
	v_min_f64 v[232:233], v[164:165], v[188:189]
	v_min_f64 v[234:235], v[166:167], v[188:189]
	v_min_f64 v[236:237], v[168:169], v[188:189]
	v_min_f64 v[238:239], v[170:171], v[188:189]
	v_min_f64 v[240:241], v[172:173], v[188:189]
	v_min_f64 v[242:243], v[174:175], v[188:189]
	v_min_f64 v[244:245], v[176:177], v[188:189]
	v_min_f64 v[246:247], v[178:179], v[188:189]
	v_min_f64 v[248:249], v[180:181], v[188:189]
	v_min_f64 v[250:251], v[182:183], v[188:189]
	v_min_f64 v[252:253], v[184:185], v[188:189]
	v_min_f64 v[254:255], v[186:187], v[188:189]
	v_min_f64 v[146:147], v[146:147], v[190:191]
	v_min_f64 v[158:159], v[158:159], v[190:191]
	v_min_f64 v[160:161], v[160:161], v[190:191]
	v_min_f64 v[162:163], v[162:163], v[190:191]
	v_min_f64 v[164:165], v[164:165], v[190:191]
	v_min_f64 v[166:167], v[166:167], v[190:191]
	v_min_f64 v[168:169], v[168:169], v[190:191]
	v_min_f64 v[170:171], v[170:171], v[190:191]
	v_min_f64 v[172:173], v[172:173], v[190:191]
	v_min_f64 v[174:175], v[174:175], v[190:191]
	v_min_f64 v[176:177], v[176:177], v[190:191]
	v_min_f64 v[178:179], v[178:179], v[190:191]
	v_min_f64 v[180:181], v[180:181], v[190:191]
	v_min_f64 v[182:183], v[182:183], v[190:191]
	v_min_f64 v[184:185], v[184:185], v[190:191]
	v_min_f64 v[186:187], v[186:187], v[190:191]
	s_add_i32 s19, s19, 8
	v_add_f64 v[62:63], v[146:147], v[62:63]
	v_add_f64 v[60:61], v[158:159], v[60:61]
	;; [unrolled: 1-line block ×16, first 2 shown]
	v_min_f64 v[146:147], v[192:193], v[188:189]
	v_min_f64 v[158:159], v[194:195], v[188:189]
	;; [unrolled: 1-line block ×32, first 2 shown]
	s_cmp_eq_u32 s19, 32
	v_add_f64 v[126:127], v[224:225], v[126:127]
	v_add_f64 v[124:125], v[226:227], v[124:125]
	;; [unrolled: 1-line block ×48, first 2 shown]
	s_cbranch_scc0 .LBB130_9
; %bb.10:
	s_load_dword s19, s[0:1], 0x8
	v_lshlrev_b32_e32 v144, 5, v144
	v_lshl_add_u32 v144, v151, 3, v144
	ds_write2st64_b64 v144, v[138:139], v[140:141] offset0:8 offset1:12
	ds_write2st64_b64 v143, v[136:137], v[134:135] offset0:24 offset1:28
	s_waitcnt lgkmcnt(0)
	s_cmp_gt_i32 s19, 8
	s_barrier
	s_cbranch_scc1 .LBB130_12
; %bb.11:
	v_add_u32_e32 v157, 0x1000, v153
	v_add_u32_e32 v158, 0x3000, v142
	s_cbranch_execz .LBB130_13
	s_branch .LBB130_19
.LBB130_12:
                                        ; implicit-def: $vgpr157
                                        ; implicit-def: $vgpr158
.LBB130_13:
	v_or_b32_e32 v159, 0x1000, v144
	v_add_u32_e32 v160, 0x3000, v143
	s_add_i32 s8, s19, -8
	v_lshl_add_u64 v[132:133], v[132:133], 3, s[16:17]
	v_add_u32_e32 v157, 0x1000, v153
	v_add_u32_e32 v158, 0x3000, v142
	s_mov_b32 s9, 8
	s_mov_b32 s16, 0
	v_mov_b32_e32 v135, 0
.LBB130_14:                             ; =>This Loop Header: Depth=1
                                        ;     Child Loop BB130_15 Depth 2
                                        ;     Child Loop BB130_17 Depth 2
	v_add_u32_e32 v138, s9, v151
	v_mad_u64_u32 v[136:137], s[22:23], v138, s20, 0
	v_mov_b32_e32 v134, v137
	v_mad_u64_u32 v[138:139], s[22:23], v138, s18, v[134:135]
	v_mov_b32_e32 v137, v138
	v_or_b32_e32 v134, s9, v150
	v_lshl_add_u64 v[136:137], v[136:137], 3, v[132:133]
	v_lshl_add_u64 v[138:139], v[134:135], 3, s[14:15]
	flat_load_dwordx2 v[140:141], v[136:137]
	flat_load_dwordx2 v[142:143], v[136:137] offset:512
	v_lshl_add_u64 v[136:137], v[128:129], 3, v[138:139]
	v_lshl_add_u64 v[138:139], v[130:131], 3, v[138:139]
	flat_load_dwordx2 v[144:145], v[136:137]
	flat_load_dwordx2 v[146:147], v[138:139]
	s_mov_b32 s17, 0
.LBB130_15:                             ;   Parent Loop BB130_14 Depth=1
                                        ; =>  This Inner Loop Header: Depth=2
	v_add_u32_e32 v134, s17, v157
	ds_read2_b64 v[162:165], v134 offset1:16
	ds_read2_b64 v[166:169], v134 offset0:32 offset1:48
	ds_read2_b64 v[170:173], v134 offset0:64 offset1:80
	;; [unrolled: 1-line block ×7, first 2 shown]
	v_add_u32_e32 v134, 0x800, v134
	ds_read2_b64 v[194:197], v134 offset1:16
	ds_read2_b64 v[198:201], v134 offset0:32 offset1:48
	ds_read2_b64 v[202:205], v134 offset0:64 offset1:80
	;; [unrolled: 1-line block ×7, first 2 shown]
	v_add_u32_e32 v134, s17, v158
	ds_read2st64_b64 v[226:229], v134 offset1:4
	s_waitcnt lgkmcnt(0)
	v_max_f64 v[162:163], v[162:163], v[162:163]
	v_max_f64 v[164:165], v[164:165], v[164:165]
	;; [unrolled: 1-line block ×5, first 2 shown]
	v_min_f64 v[230:231], v[162:163], v[226:227]
	v_add_f64 v[126:127], v[230:231], v[126:127]
	v_min_f64 v[230:231], v[164:165], v[226:227]
	v_add_f64 v[124:125], v[230:231], v[124:125]
	;; [unrolled: 2-line block ×3, first 2 shown]
	v_min_f64 v[230:231], v[168:169], v[226:227]
	v_max_f64 v[170:171], v[170:171], v[170:171]
	v_add_f64 v[120:121], v[230:231], v[120:121]
	v_min_f64 v[230:231], v[170:171], v[226:227]
	v_max_f64 v[172:173], v[172:173], v[172:173]
	v_add_f64 v[118:119], v[230:231], v[118:119]
	;; [unrolled: 3-line block ×26, first 2 shown]
	v_min_f64 v[230:231], v[220:221], v[226:227]
	v_max_f64 v[222:223], v[222:223], v[222:223]
	v_max_f64 v[224:225], v[224:225], v[224:225]
	v_add_f64 v[68:69], v[230:231], v[68:69]
	v_min_f64 v[230:231], v[222:223], v[226:227]
	v_min_f64 v[226:227], v[224:225], v[226:227]
	v_add_f64 v[64:65], v[226:227], v[64:65]
	v_max_f64 v[226:227], v[228:229], v[228:229]
	v_min_f64 v[162:163], v[162:163], v[226:227]
	v_add_f64 v[62:63], v[162:163], v[62:63]
	v_min_f64 v[162:163], v[164:165], v[226:227]
	v_add_f64 v[60:61], v[162:163], v[60:61]
	;; [unrolled: 2-line block ×31, first 2 shown]
	v_min_f64 v[162:163], v[224:225], v[226:227]
	s_add_i32 s17, s17, 8
	v_add_f64 v[66:67], v[230:231], v[66:67]
	v_add_f64 v[0:1], v[162:163], v[0:1]
	s_cmp_eq_u32 s17, 32
	s_cbranch_scc0 .LBB130_15
; %bb.16:                               ;   in Loop: Header=BB130_14 Depth=1
	s_waitcnt vmcnt(0)
	ds_write2st64_b64 v155, v[140:141], v[142:143] offset1:4
	ds_write2st64_b64 v156, v[144:145], v[146:147] offset1:4
	v_add_u32_e32 v142, s9, v152
	v_mad_u64_u32 v[140:141], s[22:23], v142, s20, 0
	v_mov_b32_e32 v134, v141
	v_mad_u64_u32 v[142:143], s[22:23], v142, s18, v[134:135]
	v_mov_b32_e32 v141, v142
	v_lshl_add_u64 v[142:143], v[140:141], 3, v[132:133]
	s_waitcnt lgkmcnt(0)
	s_barrier
	flat_load_dwordx2 v[140:141], v[142:143]
	s_nop 0
	flat_load_dwordx2 v[142:143], v[142:143] offset:512
	s_nop 0
	flat_load_dwordx2 v[136:137], v[136:137] offset:32
	;; [unrolled: 2-line block ×3, first 2 shown]
	s_mov_b32 s17, 0
.LBB130_17:                             ;   Parent Loop BB130_14 Depth=1
                                        ; =>  This Inner Loop Header: Depth=2
	v_add_u32_e32 v134, s17, v153
	ds_read2_b64 v[144:147], v134 offset1:16
	ds_read2_b64 v[162:165], v134 offset0:32 offset1:48
	ds_read2_b64 v[166:169], v134 offset0:64 offset1:80
	;; [unrolled: 1-line block ×7, first 2 shown]
	v_add_u32_e32 v134, 0x800, v134
	ds_read2_b64 v[190:193], v134 offset1:16
	ds_read2_b64 v[194:197], v134 offset0:32 offset1:48
	ds_read2_b64 v[198:201], v134 offset0:64 offset1:80
	ds_read2_b64 v[202:205], v134 offset0:96 offset1:112
	ds_read2_b64 v[206:209], v134 offset0:128 offset1:144
	ds_read2_b64 v[210:213], v134 offset0:160 offset1:176
	ds_read2_b64 v[214:217], v134 offset0:192 offset1:208
	ds_read2_b64 v[218:221], v134 offset0:224 offset1:240
	v_add_u32_e32 v134, s17, v154
	ds_read2st64_b64 v[222:225], v134 offset1:4
	s_waitcnt lgkmcnt(0)
	v_max_f64 v[144:145], v[144:145], v[144:145]
	v_max_f64 v[146:147], v[146:147], v[146:147]
	v_max_f64 v[162:163], v[162:163], v[162:163]
	v_max_f64 v[164:165], v[164:165], v[164:165]
	v_max_f64 v[222:223], v[222:223], v[222:223]
	v_min_f64 v[226:227], v[144:145], v[222:223]
	v_add_f64 v[126:127], v[226:227], v[126:127]
	v_min_f64 v[226:227], v[146:147], v[222:223]
	v_add_f64 v[124:125], v[226:227], v[124:125]
	;; [unrolled: 2-line block ×3, first 2 shown]
	v_min_f64 v[226:227], v[164:165], v[222:223]
	v_max_f64 v[166:167], v[166:167], v[166:167]
	v_add_f64 v[120:121], v[226:227], v[120:121]
	v_min_f64 v[226:227], v[166:167], v[222:223]
	v_max_f64 v[168:169], v[168:169], v[168:169]
	v_add_f64 v[118:119], v[226:227], v[118:119]
	;; [unrolled: 3-line block ×26, first 2 shown]
	v_min_f64 v[226:227], v[216:217], v[222:223]
	v_max_f64 v[218:219], v[218:219], v[218:219]
	v_max_f64 v[220:221], v[220:221], v[220:221]
	v_add_f64 v[68:69], v[226:227], v[68:69]
	v_min_f64 v[226:227], v[218:219], v[222:223]
	v_min_f64 v[222:223], v[220:221], v[222:223]
	v_add_f64 v[64:65], v[222:223], v[64:65]
	v_max_f64 v[222:223], v[224:225], v[224:225]
	v_min_f64 v[144:145], v[144:145], v[222:223]
	v_add_f64 v[62:63], v[144:145], v[62:63]
	v_min_f64 v[144:145], v[146:147], v[222:223]
	v_add_f64 v[60:61], v[144:145], v[60:61]
	;; [unrolled: 2-line block ×31, first 2 shown]
	v_min_f64 v[144:145], v[220:221], v[222:223]
	s_add_i32 s17, s17, 8
	v_add_f64 v[66:67], v[226:227], v[66:67]
	v_add_f64 v[0:1], v[144:145], v[0:1]
	s_cmp_eq_u32 s17, 32
	s_cbranch_scc0 .LBB130_17
; %bb.18:                               ;   in Loop: Header=BB130_14 Depth=1
	s_add_i32 s9, s9, 8
	s_add_i32 s16, s16, 8
	s_cmp_ge_i32 s16, s8
	s_waitcnt vmcnt(0)
	ds_write2st64_b64 v159, v[140:141], v[142:143] offset1:4
	ds_write2st64_b64 v160, v[136:137], v[138:139] offset1:4
	s_waitcnt lgkmcnt(0)
	s_barrier
	s_cbranch_scc0 .LBB130_14
.LBB130_19:
	s_mov_b32 s8, 0
.LBB130_20:                             ; =>This Inner Loop Header: Depth=1
	v_add_u32_e32 v154, s8, v157
	v_add_u32_e32 v155, s8, v158
	ds_read2_b64 v[128:131], v154 offset1:16
	ds_read2_b64 v[132:135], v154 offset0:32 offset1:48
	ds_read2_b64 v[136:139], v154 offset0:64 offset1:80
	;; [unrolled: 1-line block ×7, first 2 shown]
	v_add_u32_e32 v154, 0x800, v154
	ds_read2st64_b64 v[168:171], v155 offset1:4
	ds_read2_b64 v[172:175], v154 offset1:16
	ds_read2_b64 v[176:179], v154 offset0:32 offset1:48
	ds_read2_b64 v[180:183], v154 offset0:64 offset1:80
	;; [unrolled: 1-line block ×7, first 2 shown]
	s_waitcnt lgkmcnt(14)
	v_max_f64 v[128:129], v[128:129], v[128:129]
	v_max_f64 v[130:131], v[130:131], v[130:131]
	;; [unrolled: 1-line block ×3, first 2 shown]
	s_waitcnt lgkmcnt(8)
	v_max_f64 v[154:155], v[168:169], v[168:169]
	v_max_f64 v[134:135], v[134:135], v[134:135]
	;; [unrolled: 1-line block ×15, first 2 shown]
	v_min_f64 v[170:171], v[128:129], v[154:155]
	v_min_f64 v[204:205], v[130:131], v[154:155]
	;; [unrolled: 1-line block ×16, first 2 shown]
	s_waitcnt lgkmcnt(7)
	v_max_f64 v[172:173], v[172:173], v[172:173]
	v_max_f64 v[174:175], v[174:175], v[174:175]
	s_waitcnt lgkmcnt(6)
	v_max_f64 v[176:177], v[176:177], v[176:177]
	v_max_f64 v[178:179], v[178:179], v[178:179]
	;; [unrolled: 3-line block ×8, first 2 shown]
	v_min_f64 v[128:129], v[128:129], v[168:169]
	v_min_f64 v[130:131], v[130:131], v[168:169]
	;; [unrolled: 1-line block ×16, first 2 shown]
	s_add_i32 s8, s8, 8
	v_add_f64 v[126:127], v[170:171], v[126:127]
	v_add_f64 v[124:125], v[204:205], v[124:125]
	v_add_f64 v[122:123], v[206:207], v[122:123]
	v_add_f64 v[120:121], v[208:209], v[120:121]
	v_add_f64 v[118:119], v[210:211], v[118:119]
	v_add_f64 v[116:117], v[212:213], v[116:117]
	v_add_f64 v[114:115], v[214:215], v[114:115]
	v_add_f64 v[112:113], v[216:217], v[112:113]
	v_add_f64 v[110:111], v[218:219], v[110:111]
	v_add_f64 v[108:109], v[220:221], v[108:109]
	v_add_f64 v[106:107], v[222:223], v[106:107]
	v_add_f64 v[104:105], v[224:225], v[104:105]
	v_add_f64 v[102:103], v[226:227], v[102:103]
	v_add_f64 v[100:101], v[228:229], v[100:101]
	v_add_f64 v[98:99], v[230:231], v[98:99]
	v_min_f64 v[170:171], v[172:173], v[154:155]
	v_min_f64 v[204:205], v[174:175], v[154:155]
	v_min_f64 v[206:207], v[176:177], v[154:155]
	v_min_f64 v[208:209], v[178:179], v[154:155]
	v_min_f64 v[210:211], v[180:181], v[154:155]
	v_min_f64 v[212:213], v[182:183], v[154:155]
	v_min_f64 v[214:215], v[184:185], v[154:155]
	v_min_f64 v[216:217], v[186:187], v[154:155]
	v_min_f64 v[218:219], v[188:189], v[154:155]
	v_min_f64 v[220:221], v[190:191], v[154:155]
	v_min_f64 v[222:223], v[192:193], v[154:155]
	v_min_f64 v[224:225], v[194:195], v[154:155]
	v_min_f64 v[226:227], v[196:197], v[154:155]
	v_min_f64 v[228:229], v[198:199], v[154:155]
	v_min_f64 v[230:231], v[200:201], v[154:155]
	v_min_f64 v[154:155], v[202:203], v[154:155]
	v_add_f64 v[62:63], v[128:129], v[62:63]
	v_add_f64 v[60:61], v[130:131], v[60:61]
	;; [unrolled: 1-line block ×16, first 2 shown]
	v_min_f64 v[128:129], v[172:173], v[168:169]
	v_min_f64 v[130:131], v[174:175], v[168:169]
	v_min_f64 v[132:133], v[176:177], v[168:169]
	v_min_f64 v[134:135], v[178:179], v[168:169]
	v_min_f64 v[136:137], v[180:181], v[168:169]
	v_min_f64 v[138:139], v[182:183], v[168:169]
	v_min_f64 v[140:141], v[184:185], v[168:169]
	v_min_f64 v[142:143], v[186:187], v[168:169]
	v_min_f64 v[144:145], v[188:189], v[168:169]
	v_min_f64 v[146:147], v[190:191], v[168:169]
	v_min_f64 v[150:151], v[192:193], v[168:169]
	v_min_f64 v[152:153], v[194:195], v[168:169]
	v_min_f64 v[160:161], v[196:197], v[168:169]
	v_min_f64 v[162:163], v[198:199], v[168:169]
	v_min_f64 v[164:165], v[200:201], v[168:169]
	v_min_f64 v[166:167], v[202:203], v[168:169]
	s_cmp_eq_u32 s8, 32
	v_add_f64 v[96:97], v[232:233], v[96:97]
	v_add_f64 v[94:95], v[170:171], v[94:95]
	;; [unrolled: 1-line block ×33, first 2 shown]
	s_cbranch_scc0 .LBB130_20
; %bb.21:
	s_load_dwordx2 s[14:15], s[0:1], 0x78
	s_load_dword s8, s[0:1], 0x58
	s_load_dword s9, s[0:1], 0x70
	v_add_u32_e32 v130, s10, v148
	v_add_u32_e32 v170, s11, v149
	s_waitcnt lgkmcnt(0)
	s_lshl_b64 s[0:1], s[14:15], 3
	s_add_u32 s0, s2, s0
	s_addc_u32 s1, s3, s1
	v_add_u32_e32 v128, 4, v130
	v_mad_i64_i32 v[132:133], s[2:3], v170, s9, 0
	v_ashrrev_i32_e32 v131, 31, v130
	v_ashrrev_i32_e32 v129, 31, v128
	v_lshl_add_u64 v[138:139], v[132:133], 3, s[0:1]
	v_mad_i64_i32 v[132:133], s[2:3], v170, s8, 0
	s_mov_b64 vcc, s[4:5]
	s_cbranch_vccz .LBB130_24
; %bb.22:
	v_add_f64 v[134:135], v[126:127], 0
	v_lshl_add_u64 v[136:137], v[130:131], 3, v[138:139]
	s_mov_b64 s[2:3], 0
	global_store_dwordx2 v[136:137], v[134:135], off
	v_lshl_add_u64 v[146:147], v[132:133], 3, s[12:13]
	v_lshlrev_b64 v[134:135], 3, v[130:131]
	s_cbranch_execz .LBB130_25
; %bb.23:
	v_mov_b64_e32 v[136:137], s[2:3]
	s_branch .LBB130_26
.LBB130_24:
	s_mov_b64 s[2:3], -1
	v_lshl_add_u64 v[146:147], v[132:133], 3, s[12:13]
	v_lshlrev_b64 v[134:135], 3, v[130:131]
.LBB130_25:
	v_lshl_add_u64 v[132:133], v[146:147], 0, v[134:135]
	flat_load_dwordx2 v[132:133], v[132:133]
	v_lshl_add_u64 v[136:137], v[138:139], 0, v[134:135]
	s_waitcnt vmcnt(0) lgkmcnt(0)
	v_fmac_f64_e32 v[126:127], s[6:7], v[132:133]
	global_store_dwordx2 v[136:137], v[126:127], off
	v_lshl_add_u64 v[126:127], v[128:129], 3, v[146:147]
	flat_load_dwordx2 v[126:127], v[126:127]
	s_waitcnt vmcnt(0) lgkmcnt(0)
	v_mul_f64 v[136:137], v[126:127], s[6:7]
.LBB130_26:
	v_add_u32_e32 v132, 8, v130
	v_add_u32_e32 v126, 12, v130
	v_ashrrev_i32_e32 v133, 31, v132
	v_ashrrev_i32_e32 v127, 31, v126
	v_add_f64 v[124:125], v[124:125], v[136:137]
	v_lshl_add_u64 v[136:137], v[128:129], 3, v[138:139]
	s_mov_b64 vcc, s[4:5]
	global_store_dwordx2 v[136:137], v[124:125], off
	s_cbranch_vccz .LBB130_29
; %bb.27:
	v_add_f64 v[124:125], v[122:123], 0
	v_lshl_add_u64 v[136:137], v[132:133], 3, v[138:139]
	s_mov_b64 s[2:3], 0
	global_store_dwordx2 v[136:137], v[124:125], off
	v_lshlrev_b64 v[136:137], 3, v[132:133]
	s_cbranch_execz .LBB130_30
; %bb.28:
	v_mov_b64_e32 v[140:141], s[2:3]
	s_branch .LBB130_31
.LBB130_29:
	s_mov_b64 s[2:3], -1
	v_lshlrev_b64 v[136:137], 3, v[132:133]
.LBB130_30:
	v_lshl_add_u64 v[124:125], v[146:147], 0, v[136:137]
	flat_load_dwordx2 v[124:125], v[124:125]
	v_lshl_add_u64 v[140:141], v[138:139], 0, v[136:137]
	s_waitcnt vmcnt(0) lgkmcnt(0)
	v_fmac_f64_e32 v[122:123], s[6:7], v[124:125]
	global_store_dwordx2 v[140:141], v[122:123], off
	v_lshl_add_u64 v[122:123], v[126:127], 3, v[146:147]
	flat_load_dwordx2 v[122:123], v[122:123]
	s_waitcnt vmcnt(0) lgkmcnt(0)
	v_mul_f64 v[140:141], v[122:123], s[6:7]
.LBB130_31:
	v_add_u32_e32 v124, 16, v130
	v_add_u32_e32 v122, 20, v130
	v_ashrrev_i32_e32 v125, 31, v124
	v_ashrrev_i32_e32 v123, 31, v122
	v_add_f64 v[120:121], v[120:121], v[140:141]
	v_lshl_add_u64 v[140:141], v[126:127], 3, v[138:139]
	s_mov_b64 vcc, s[4:5]
	global_store_dwordx2 v[140:141], v[120:121], off
	s_cbranch_vccz .LBB130_34
; %bb.32:
	v_add_f64 v[120:121], v[118:119], 0
	v_lshl_add_u64 v[140:141], v[124:125], 3, v[138:139]
	s_mov_b64 s[2:3], 0
	global_store_dwordx2 v[140:141], v[120:121], off
	v_lshlrev_b64 v[140:141], 3, v[124:125]
	s_cbranch_execz .LBB130_35
; %bb.33:
	v_mov_b64_e32 v[142:143], s[2:3]
	s_branch .LBB130_36
.LBB130_34:
	s_mov_b64 s[2:3], -1
	v_lshlrev_b64 v[140:141], 3, v[124:125]
.LBB130_35:
	v_lshl_add_u64 v[120:121], v[146:147], 0, v[140:141]
	flat_load_dwordx2 v[120:121], v[120:121]
	v_lshl_add_u64 v[142:143], v[138:139], 0, v[140:141]
	s_waitcnt vmcnt(0) lgkmcnt(0)
	v_fmac_f64_e32 v[118:119], s[6:7], v[120:121]
	global_store_dwordx2 v[142:143], v[118:119], off
	v_lshl_add_u64 v[118:119], v[122:123], 3, v[146:147]
	flat_load_dwordx2 v[118:119], v[118:119]
	s_waitcnt vmcnt(0) lgkmcnt(0)
	v_mul_f64 v[142:143], v[118:119], s[6:7]
.LBB130_36:
	;; [unrolled: 34-line block ×15, first 2 shown]
	v_add_f64 v[64:65], v[64:65], v[66:67]
	v_lshl_add_u64 v[66:67], v[70:71], 3, v[138:139]
	global_store_dwordx2 v[66:67], v[64:65], off
	v_add_u32_e32 v66, 64, v170
	v_mad_i64_i32 v[64:65], s[2:3], v66, s9, 0
	v_lshl_add_u64 v[64:65], v[64:65], 3, s[0:1]
	v_mad_i64_i32 v[66:67], s[0:1], v66, s8, 0
	s_mov_b64 vcc, s[4:5]
	s_cbranch_vccz .LBB130_104
; %bb.102:
	v_add_f64 v[138:139], v[62:63], 0
	v_lshl_add_u64 v[130:131], v[130:131], 3, v[64:65]
	s_mov_b64 s[0:1], 0
	global_store_dwordx2 v[130:131], v[138:139], off
	v_lshl_add_u64 v[66:67], v[66:67], 3, s[12:13]
	s_cbranch_execz .LBB130_105
; %bb.103:
	v_mov_b64_e32 v[62:63], s[0:1]
	s_branch .LBB130_106
.LBB130_104:
	s_mov_b64 s[0:1], -1
	v_lshl_add_u64 v[66:67], v[66:67], 3, s[12:13]
.LBB130_105:
	v_lshl_add_u64 v[130:131], v[66:67], 0, v[134:135]
	flat_load_dwordx2 v[130:131], v[130:131]
	v_lshl_add_u64 v[134:135], v[64:65], 0, v[134:135]
	s_waitcnt vmcnt(0) lgkmcnt(0)
	v_fmac_f64_e32 v[62:63], s[6:7], v[130:131]
	global_store_dwordx2 v[134:135], v[62:63], off
	v_lshl_add_u64 v[62:63], v[128:129], 3, v[66:67]
	flat_load_dwordx2 v[62:63], v[62:63]
	s_waitcnt vmcnt(0) lgkmcnt(0)
	v_mul_f64 v[62:63], v[62:63], s[6:7]
.LBB130_106:
	v_add_f64 v[60:61], v[60:61], v[62:63]
	v_lshl_add_u64 v[62:63], v[128:129], 3, v[64:65]
	s_mov_b64 vcc, s[4:5]
	global_store_dwordx2 v[62:63], v[60:61], off
	s_cbranch_vccz .LBB130_109
; %bb.107:
	v_add_f64 v[60:61], v[58:59], 0
	v_lshl_add_u64 v[62:63], v[132:133], 3, v[64:65]
	s_mov_b64 s[0:1], 0
	global_store_dwordx2 v[62:63], v[60:61], off
	s_cbranch_execz .LBB130_110
; %bb.108:
	v_mov_b64_e32 v[58:59], s[0:1]
	s_branch .LBB130_111
.LBB130_109:
	s_mov_b64 s[0:1], -1
.LBB130_110:
	v_lshl_add_u64 v[60:61], v[66:67], 0, v[136:137]
	flat_load_dwordx2 v[60:61], v[60:61]
	v_lshl_add_u64 v[62:63], v[64:65], 0, v[136:137]
	s_waitcnt vmcnt(0) lgkmcnt(0)
	v_fmac_f64_e32 v[58:59], s[6:7], v[60:61]
	global_store_dwordx2 v[62:63], v[58:59], off
	v_lshl_add_u64 v[58:59], v[126:127], 3, v[66:67]
	flat_load_dwordx2 v[58:59], v[58:59]
	s_waitcnt vmcnt(0) lgkmcnt(0)
	v_mul_f64 v[58:59], v[58:59], s[6:7]
.LBB130_111:
	v_add_f64 v[56:57], v[56:57], v[58:59]
	v_lshl_add_u64 v[58:59], v[126:127], 3, v[64:65]
	s_mov_b64 vcc, s[4:5]
	global_store_dwordx2 v[58:59], v[56:57], off
	s_cbranch_vccz .LBB130_114
; %bb.112:
	v_add_f64 v[56:57], v[54:55], 0
	v_lshl_add_u64 v[58:59], v[124:125], 3, v[64:65]
	s_mov_b64 s[0:1], 0
	global_store_dwordx2 v[58:59], v[56:57], off
	s_cbranch_execz .LBB130_115
; %bb.113:
	v_mov_b64_e32 v[54:55], s[0:1]
	s_branch .LBB130_116
.LBB130_114:
	s_mov_b64 s[0:1], -1
.LBB130_115:
	v_lshl_add_u64 v[56:57], v[66:67], 0, v[140:141]
	flat_load_dwordx2 v[56:57], v[56:57]
	v_lshl_add_u64 v[58:59], v[64:65], 0, v[140:141]
	s_waitcnt vmcnt(0) lgkmcnt(0)
	v_fmac_f64_e32 v[54:55], s[6:7], v[56:57]
	global_store_dwordx2 v[58:59], v[54:55], off
	v_lshl_add_u64 v[54:55], v[122:123], 3, v[66:67]
	flat_load_dwordx2 v[54:55], v[54:55]
	s_waitcnt vmcnt(0) lgkmcnt(0)
	v_mul_f64 v[54:55], v[54:55], s[6:7]
.LBB130_116:
	v_add_f64 v[52:53], v[52:53], v[54:55]
	v_lshl_add_u64 v[54:55], v[122:123], 3, v[64:65]
	s_mov_b64 vcc, s[4:5]
	global_store_dwordx2 v[54:55], v[52:53], off
	s_cbranch_vccz .LBB130_119
; %bb.117:
	v_add_f64 v[52:53], v[50:51], 0
	v_lshl_add_u64 v[54:55], v[120:121], 3, v[64:65]
	s_mov_b64 s[0:1], 0
	global_store_dwordx2 v[54:55], v[52:53], off
	s_cbranch_execz .LBB130_120
; %bb.118:
	v_mov_b64_e32 v[50:51], s[0:1]
	s_branch .LBB130_121
.LBB130_119:
	s_mov_b64 s[0:1], -1
.LBB130_120:
	v_lshl_add_u64 v[52:53], v[66:67], 0, v[142:143]
	flat_load_dwordx2 v[52:53], v[52:53]
	v_lshl_add_u64 v[54:55], v[64:65], 0, v[142:143]
	s_waitcnt vmcnt(0) lgkmcnt(0)
	v_fmac_f64_e32 v[50:51], s[6:7], v[52:53]
	global_store_dwordx2 v[54:55], v[50:51], off
	v_lshl_add_u64 v[50:51], v[118:119], 3, v[66:67]
	flat_load_dwordx2 v[50:51], v[50:51]
	s_waitcnt vmcnt(0) lgkmcnt(0)
	v_mul_f64 v[50:51], v[50:51], s[6:7]
.LBB130_121:
	v_add_f64 v[48:49], v[48:49], v[50:51]
	v_lshl_add_u64 v[50:51], v[118:119], 3, v[64:65]
	s_mov_b64 vcc, s[4:5]
	global_store_dwordx2 v[50:51], v[48:49], off
	s_cbranch_vccz .LBB130_124
; %bb.122:
	v_add_f64 v[48:49], v[46:47], 0
	v_lshl_add_u64 v[50:51], v[116:117], 3, v[64:65]
	s_mov_b64 s[0:1], 0
	global_store_dwordx2 v[50:51], v[48:49], off
	s_cbranch_execz .LBB130_125
; %bb.123:
	v_mov_b64_e32 v[46:47], s[0:1]
	s_branch .LBB130_126
.LBB130_124:
	s_mov_b64 s[0:1], -1
.LBB130_125:
	v_lshl_add_u64 v[48:49], v[66:67], 0, v[144:145]
	flat_load_dwordx2 v[48:49], v[48:49]
	v_lshl_add_u64 v[50:51], v[64:65], 0, v[144:145]
	s_waitcnt vmcnt(0) lgkmcnt(0)
	v_fmac_f64_e32 v[46:47], s[6:7], v[48:49]
	global_store_dwordx2 v[50:51], v[46:47], off
	v_lshl_add_u64 v[46:47], v[114:115], 3, v[66:67]
	flat_load_dwordx2 v[46:47], v[46:47]
	s_waitcnt vmcnt(0) lgkmcnt(0)
	v_mul_f64 v[46:47], v[46:47], s[6:7]
.LBB130_126:
	v_add_f64 v[44:45], v[44:45], v[46:47]
	v_lshl_add_u64 v[46:47], v[114:115], 3, v[64:65]
	s_mov_b64 vcc, s[4:5]
	global_store_dwordx2 v[46:47], v[44:45], off
	s_cbranch_vccz .LBB130_129
; %bb.127:
	v_add_f64 v[44:45], v[42:43], 0
	v_lshl_add_u64 v[46:47], v[112:113], 3, v[64:65]
	s_mov_b64 s[0:1], 0
	global_store_dwordx2 v[46:47], v[44:45], off
	s_cbranch_execz .LBB130_130
; %bb.128:
	v_mov_b64_e32 v[42:43], s[0:1]
	s_branch .LBB130_131
.LBB130_129:
	s_mov_b64 s[0:1], -1
.LBB130_130:
	v_lshl_add_u64 v[44:45], v[66:67], 0, v[148:149]
	flat_load_dwordx2 v[44:45], v[44:45]
	v_lshl_add_u64 v[46:47], v[64:65], 0, v[148:149]
	s_waitcnt vmcnt(0) lgkmcnt(0)
	v_fmac_f64_e32 v[42:43], s[6:7], v[44:45]
	global_store_dwordx2 v[46:47], v[42:43], off
	v_lshl_add_u64 v[42:43], v[110:111], 3, v[66:67]
	flat_load_dwordx2 v[42:43], v[42:43]
	s_waitcnt vmcnt(0) lgkmcnt(0)
	v_mul_f64 v[42:43], v[42:43], s[6:7]
.LBB130_131:
	v_add_f64 v[40:41], v[40:41], v[42:43]
	v_lshl_add_u64 v[42:43], v[110:111], 3, v[64:65]
	s_mov_b64 vcc, s[4:5]
	global_store_dwordx2 v[42:43], v[40:41], off
	s_cbranch_vccz .LBB130_134
; %bb.132:
	v_add_f64 v[40:41], v[38:39], 0
	v_lshl_add_u64 v[42:43], v[108:109], 3, v[64:65]
	s_mov_b64 s[0:1], 0
	global_store_dwordx2 v[42:43], v[40:41], off
	s_cbranch_execz .LBB130_135
; %bb.133:
	v_mov_b64_e32 v[38:39], s[0:1]
	s_branch .LBB130_136
.LBB130_134:
	s_mov_b64 s[0:1], -1
.LBB130_135:
	v_lshl_add_u64 v[40:41], v[66:67], 0, v[150:151]
	flat_load_dwordx2 v[40:41], v[40:41]
	v_lshl_add_u64 v[42:43], v[64:65], 0, v[150:151]
	s_waitcnt vmcnt(0) lgkmcnt(0)
	v_fmac_f64_e32 v[38:39], s[6:7], v[40:41]
	global_store_dwordx2 v[42:43], v[38:39], off
	v_lshl_add_u64 v[38:39], v[106:107], 3, v[66:67]
	flat_load_dwordx2 v[38:39], v[38:39]
	s_waitcnt vmcnt(0) lgkmcnt(0)
	v_mul_f64 v[38:39], v[38:39], s[6:7]
.LBB130_136:
	v_add_f64 v[36:37], v[36:37], v[38:39]
	v_lshl_add_u64 v[38:39], v[106:107], 3, v[64:65]
	s_mov_b64 vcc, s[4:5]
	global_store_dwordx2 v[38:39], v[36:37], off
	s_cbranch_vccz .LBB130_139
; %bb.137:
	v_add_f64 v[36:37], v[34:35], 0
	v_lshl_add_u64 v[38:39], v[104:105], 3, v[64:65]
	s_mov_b64 s[0:1], 0
	global_store_dwordx2 v[38:39], v[36:37], off
	s_cbranch_execz .LBB130_140
; %bb.138:
	v_mov_b64_e32 v[34:35], s[0:1]
	s_branch .LBB130_141
.LBB130_139:
	s_mov_b64 s[0:1], -1
.LBB130_140:
	v_lshl_add_u64 v[36:37], v[66:67], 0, v[152:153]
	flat_load_dwordx2 v[36:37], v[36:37]
	v_lshl_add_u64 v[38:39], v[64:65], 0, v[152:153]
	s_waitcnt vmcnt(0) lgkmcnt(0)
	v_fmac_f64_e32 v[34:35], s[6:7], v[36:37]
	global_store_dwordx2 v[38:39], v[34:35], off
	v_lshl_add_u64 v[34:35], v[102:103], 3, v[66:67]
	flat_load_dwordx2 v[34:35], v[34:35]
	s_waitcnt vmcnt(0) lgkmcnt(0)
	v_mul_f64 v[34:35], v[34:35], s[6:7]
.LBB130_141:
	v_add_f64 v[32:33], v[32:33], v[34:35]
	v_lshl_add_u64 v[34:35], v[102:103], 3, v[64:65]
	s_mov_b64 vcc, s[4:5]
	global_store_dwordx2 v[34:35], v[32:33], off
	s_cbranch_vccz .LBB130_144
; %bb.142:
	v_add_f64 v[32:33], v[30:31], 0
	v_lshl_add_u64 v[34:35], v[100:101], 3, v[64:65]
	s_mov_b64 s[0:1], 0
	global_store_dwordx2 v[34:35], v[32:33], off
	s_cbranch_execz .LBB130_145
; %bb.143:
	v_mov_b64_e32 v[30:31], s[0:1]
	s_branch .LBB130_146
.LBB130_144:
	s_mov_b64 s[0:1], -1
.LBB130_145:
	v_lshl_add_u64 v[32:33], v[66:67], 0, v[154:155]
	flat_load_dwordx2 v[32:33], v[32:33]
	v_lshl_add_u64 v[34:35], v[64:65], 0, v[154:155]
	s_waitcnt vmcnt(0) lgkmcnt(0)
	v_fmac_f64_e32 v[30:31], s[6:7], v[32:33]
	global_store_dwordx2 v[34:35], v[30:31], off
	v_lshl_add_u64 v[30:31], v[98:99], 3, v[66:67]
	flat_load_dwordx2 v[30:31], v[30:31]
	s_waitcnt vmcnt(0) lgkmcnt(0)
	v_mul_f64 v[30:31], v[30:31], s[6:7]
.LBB130_146:
	v_add_f64 v[28:29], v[28:29], v[30:31]
	v_lshl_add_u64 v[30:31], v[98:99], 3, v[64:65]
	s_mov_b64 vcc, s[4:5]
	global_store_dwordx2 v[30:31], v[28:29], off
	s_cbranch_vccz .LBB130_149
; %bb.147:
	v_add_f64 v[28:29], v[26:27], 0
	v_lshl_add_u64 v[30:31], v[96:97], 3, v[64:65]
	s_mov_b64 s[0:1], 0
	global_store_dwordx2 v[30:31], v[28:29], off
	s_cbranch_execz .LBB130_150
; %bb.148:
	v_mov_b64_e32 v[26:27], s[0:1]
	s_branch .LBB130_151
.LBB130_149:
	s_mov_b64 s[0:1], -1
.LBB130_150:
	v_lshl_add_u64 v[28:29], v[66:67], 0, v[156:157]
	flat_load_dwordx2 v[28:29], v[28:29]
	v_lshl_add_u64 v[30:31], v[64:65], 0, v[156:157]
	s_waitcnt vmcnt(0) lgkmcnt(0)
	v_fmac_f64_e32 v[26:27], s[6:7], v[28:29]
	global_store_dwordx2 v[30:31], v[26:27], off
	v_lshl_add_u64 v[26:27], v[94:95], 3, v[66:67]
	flat_load_dwordx2 v[26:27], v[26:27]
	s_waitcnt vmcnt(0) lgkmcnt(0)
	v_mul_f64 v[26:27], v[26:27], s[6:7]
.LBB130_151:
	v_add_f64 v[24:25], v[24:25], v[26:27]
	v_lshl_add_u64 v[26:27], v[94:95], 3, v[64:65]
	s_mov_b64 vcc, s[4:5]
	global_store_dwordx2 v[26:27], v[24:25], off
	s_cbranch_vccz .LBB130_154
; %bb.152:
	v_add_f64 v[24:25], v[22:23], 0
	v_lshl_add_u64 v[26:27], v[92:93], 3, v[64:65]
	s_mov_b64 s[0:1], 0
	global_store_dwordx2 v[26:27], v[24:25], off
	s_cbranch_execz .LBB130_155
; %bb.153:
	v_mov_b64_e32 v[22:23], s[0:1]
	s_branch .LBB130_156
.LBB130_154:
	s_mov_b64 s[0:1], -1
.LBB130_155:
	v_lshl_add_u64 v[24:25], v[66:67], 0, v[158:159]
	flat_load_dwordx2 v[24:25], v[24:25]
	v_lshl_add_u64 v[26:27], v[64:65], 0, v[158:159]
	s_waitcnt vmcnt(0) lgkmcnt(0)
	v_fmac_f64_e32 v[22:23], s[6:7], v[24:25]
	global_store_dwordx2 v[26:27], v[22:23], off
	v_lshl_add_u64 v[22:23], v[90:91], 3, v[66:67]
	flat_load_dwordx2 v[22:23], v[22:23]
	s_waitcnt vmcnt(0) lgkmcnt(0)
	v_mul_f64 v[22:23], v[22:23], s[6:7]
.LBB130_156:
	v_add_f64 v[20:21], v[20:21], v[22:23]
	v_lshl_add_u64 v[22:23], v[90:91], 3, v[64:65]
	s_mov_b64 vcc, s[4:5]
	global_store_dwordx2 v[22:23], v[20:21], off
	s_cbranch_vccz .LBB130_159
; %bb.157:
	v_add_f64 v[20:21], v[18:19], 0
	v_lshl_add_u64 v[22:23], v[88:89], 3, v[64:65]
	s_mov_b64 s[0:1], 0
	global_store_dwordx2 v[22:23], v[20:21], off
	s_cbranch_execz .LBB130_160
; %bb.158:
	v_mov_b64_e32 v[18:19], s[0:1]
	s_branch .LBB130_161
.LBB130_159:
	s_mov_b64 s[0:1], -1
.LBB130_160:
	v_lshl_add_u64 v[20:21], v[66:67], 0, v[160:161]
	flat_load_dwordx2 v[20:21], v[20:21]
	v_lshl_add_u64 v[22:23], v[64:65], 0, v[160:161]
	s_waitcnt vmcnt(0) lgkmcnt(0)
	v_fmac_f64_e32 v[18:19], s[6:7], v[20:21]
	global_store_dwordx2 v[22:23], v[18:19], off
	v_lshl_add_u64 v[18:19], v[86:87], 3, v[66:67]
	flat_load_dwordx2 v[18:19], v[18:19]
	s_waitcnt vmcnt(0) lgkmcnt(0)
	v_mul_f64 v[18:19], v[18:19], s[6:7]
.LBB130_161:
	v_add_f64 v[16:17], v[16:17], v[18:19]
	v_lshl_add_u64 v[18:19], v[86:87], 3, v[64:65]
	s_mov_b64 vcc, s[4:5]
	global_store_dwordx2 v[18:19], v[16:17], off
	s_cbranch_vccz .LBB130_164
; %bb.162:
	v_add_f64 v[16:17], v[14:15], 0
	v_lshl_add_u64 v[18:19], v[84:85], 3, v[64:65]
	s_mov_b64 s[0:1], 0
	global_store_dwordx2 v[18:19], v[16:17], off
	s_cbranch_execz .LBB130_165
; %bb.163:
	v_mov_b64_e32 v[14:15], s[0:1]
	s_branch .LBB130_166
.LBB130_164:
	s_mov_b64 s[0:1], -1
.LBB130_165:
	v_lshl_add_u64 v[16:17], v[66:67], 0, v[162:163]
	flat_load_dwordx2 v[16:17], v[16:17]
	v_lshl_add_u64 v[18:19], v[64:65], 0, v[162:163]
	s_waitcnt vmcnt(0) lgkmcnt(0)
	v_fmac_f64_e32 v[14:15], s[6:7], v[16:17]
	global_store_dwordx2 v[18:19], v[14:15], off
	v_lshl_add_u64 v[14:15], v[82:83], 3, v[66:67]
	flat_load_dwordx2 v[14:15], v[14:15]
	s_waitcnt vmcnt(0) lgkmcnt(0)
	v_mul_f64 v[14:15], v[14:15], s[6:7]
.LBB130_166:
	v_add_f64 v[12:13], v[12:13], v[14:15]
	v_lshl_add_u64 v[14:15], v[82:83], 3, v[64:65]
	s_mov_b64 vcc, s[4:5]
	global_store_dwordx2 v[14:15], v[12:13], off
	s_cbranch_vccz .LBB130_169
; %bb.167:
	v_add_f64 v[12:13], v[10:11], 0
	v_lshl_add_u64 v[14:15], v[80:81], 3, v[64:65]
	s_mov_b64 s[0:1], 0
	global_store_dwordx2 v[14:15], v[12:13], off
	s_cbranch_execz .LBB130_170
; %bb.168:
	v_mov_b64_e32 v[10:11], s[0:1]
	s_branch .LBB130_171
.LBB130_169:
	s_mov_b64 s[0:1], -1
.LBB130_170:
	v_lshl_add_u64 v[12:13], v[66:67], 0, v[164:165]
	flat_load_dwordx2 v[12:13], v[12:13]
	v_lshl_add_u64 v[14:15], v[64:65], 0, v[164:165]
	s_waitcnt vmcnt(0) lgkmcnt(0)
	v_fmac_f64_e32 v[10:11], s[6:7], v[12:13]
	global_store_dwordx2 v[14:15], v[10:11], off
	v_lshl_add_u64 v[10:11], v[78:79], 3, v[66:67]
	flat_load_dwordx2 v[10:11], v[10:11]
	s_waitcnt vmcnt(0) lgkmcnt(0)
	v_mul_f64 v[10:11], v[10:11], s[6:7]
.LBB130_171:
	v_add_f64 v[8:9], v[8:9], v[10:11]
	v_lshl_add_u64 v[10:11], v[78:79], 3, v[64:65]
	s_mov_b64 vcc, s[4:5]
	global_store_dwordx2 v[10:11], v[8:9], off
	s_cbranch_vccz .LBB130_174
; %bb.172:
	v_add_f64 v[8:9], v[6:7], 0
	v_lshl_add_u64 v[10:11], v[76:77], 3, v[64:65]
	s_mov_b64 s[0:1], 0
	global_store_dwordx2 v[10:11], v[8:9], off
	s_cbranch_execz .LBB130_175
; %bb.173:
	v_mov_b64_e32 v[6:7], s[0:1]
	s_branch .LBB130_176
.LBB130_174:
	s_mov_b64 s[0:1], -1
.LBB130_175:
	v_lshl_add_u64 v[8:9], v[66:67], 0, v[166:167]
	flat_load_dwordx2 v[8:9], v[8:9]
	v_lshl_add_u64 v[10:11], v[64:65], 0, v[166:167]
	s_waitcnt vmcnt(0) lgkmcnt(0)
	v_fmac_f64_e32 v[6:7], s[6:7], v[8:9]
	global_store_dwordx2 v[10:11], v[6:7], off
	v_lshl_add_u64 v[6:7], v[74:75], 3, v[66:67]
	flat_load_dwordx2 v[6:7], v[6:7]
	s_waitcnt vmcnt(0) lgkmcnt(0)
	v_mul_f64 v[6:7], v[6:7], s[6:7]
.LBB130_176:
	v_add_f64 v[4:5], v[4:5], v[6:7]
	v_lshl_add_u64 v[6:7], v[74:75], 3, v[64:65]
	s_mov_b64 vcc, s[4:5]
	global_store_dwordx2 v[6:7], v[4:5], off
	s_cbranch_vccz .LBB130_179
; %bb.177:
	v_add_f64 v[4:5], v[2:3], 0
	v_lshl_add_u64 v[6:7], v[72:73], 3, v[64:65]
	s_mov_b64 s[0:1], 0
	global_store_dwordx2 v[6:7], v[4:5], off
	s_cbranch_execz .LBB130_180
; %bb.178:
	v_mov_b64_e32 v[2:3], s[0:1]
	v_add_f64 v[0:1], v[0:1], v[2:3]
	v_lshl_add_u64 v[2:3], v[70:71], 3, v[64:65]
	global_store_dwordx2 v[2:3], v[0:1], off
	s_endpgm
.LBB130_179:
	s_mov_b64 s[0:1], -1
.LBB130_180:
	v_lshl_add_u64 v[4:5], v[66:67], 0, v[68:69]
	flat_load_dwordx2 v[4:5], v[4:5]
	v_lshl_add_u64 v[6:7], v[64:65], 0, v[68:69]
	s_waitcnt vmcnt(0) lgkmcnt(0)
	v_fmac_f64_e32 v[2:3], s[6:7], v[4:5]
	global_store_dwordx2 v[6:7], v[2:3], off
	v_lshl_add_u64 v[2:3], v[70:71], 3, v[66:67]
	flat_load_dwordx2 v[2:3], v[2:3]
	s_waitcnt vmcnt(0) lgkmcnt(0)
	v_mul_f64 v[2:3], v[2:3], s[6:7]
	v_add_f64 v[0:1], v[0:1], v[2:3]
	v_lshl_add_u64 v[2:3], v[70:71], 3, v[64:65]
	global_store_dwordx2 v[2:3], v[0:1], off
	s_endpgm
	.section	.rodata,"a",@progbits
	.p2align	6, 0x0
	.amdhsa_kernel _ZN12_GLOBAL__N_120geam_min_plus_kernelIdddLi4ELi64ELi128ELi128ELi4ELi64ELi4ELi4ELi64ELc78ELc78ELb1ELb0ELb0EdKPKdKPdEEviiiT16_PT17_ilS8_ilS6_S8_ilPT18_ili26rocblas_geam_ex_operation_
		.amdhsa_group_segment_fixed_size 16384
		.amdhsa_private_segment_fixed_size 0
		.amdhsa_kernarg_size 136
		.amdhsa_user_sgpr_count 2
		.amdhsa_user_sgpr_dispatch_ptr 0
		.amdhsa_user_sgpr_queue_ptr 0
		.amdhsa_user_sgpr_kernarg_segment_ptr 1
		.amdhsa_user_sgpr_dispatch_id 0
		.amdhsa_user_sgpr_kernarg_preload_length 0
		.amdhsa_user_sgpr_kernarg_preload_offset 0
		.amdhsa_user_sgpr_private_segment_size 0
		.amdhsa_uses_dynamic_stack 0
		.amdhsa_enable_private_segment 0
		.amdhsa_system_sgpr_workgroup_id_x 1
		.amdhsa_system_sgpr_workgroup_id_y 0
		.amdhsa_system_sgpr_workgroup_id_z 1
		.amdhsa_system_sgpr_workgroup_info 0
		.amdhsa_system_vgpr_workitem_id 1
		.amdhsa_next_free_vgpr 256
		.amdhsa_next_free_sgpr 24
		.amdhsa_accum_offset 256
		.amdhsa_reserve_vcc 1
		.amdhsa_float_round_mode_32 0
		.amdhsa_float_round_mode_16_64 0
		.amdhsa_float_denorm_mode_32 3
		.amdhsa_float_denorm_mode_16_64 3
		.amdhsa_dx10_clamp 1
		.amdhsa_ieee_mode 1
		.amdhsa_fp16_overflow 0
		.amdhsa_tg_split 0
		.amdhsa_exception_fp_ieee_invalid_op 0
		.amdhsa_exception_fp_denorm_src 0
		.amdhsa_exception_fp_ieee_div_zero 0
		.amdhsa_exception_fp_ieee_overflow 0
		.amdhsa_exception_fp_ieee_underflow 0
		.amdhsa_exception_fp_ieee_inexact 0
		.amdhsa_exception_int_div_zero 0
	.end_amdhsa_kernel
	.section	.text._ZN12_GLOBAL__N_120geam_min_plus_kernelIdddLi4ELi64ELi128ELi128ELi4ELi64ELi4ELi4ELi64ELc78ELc78ELb1ELb0ELb0EdKPKdKPdEEviiiT16_PT17_ilS8_ilS6_S8_ilPT18_ili26rocblas_geam_ex_operation_,"axG",@progbits,_ZN12_GLOBAL__N_120geam_min_plus_kernelIdddLi4ELi64ELi128ELi128ELi4ELi64ELi4ELi4ELi64ELc78ELc78ELb1ELb0ELb0EdKPKdKPdEEviiiT16_PT17_ilS8_ilS6_S8_ilPT18_ili26rocblas_geam_ex_operation_,comdat
.Lfunc_end130:
	.size	_ZN12_GLOBAL__N_120geam_min_plus_kernelIdddLi4ELi64ELi128ELi128ELi4ELi64ELi4ELi4ELi64ELc78ELc78ELb1ELb0ELb0EdKPKdKPdEEviiiT16_PT17_ilS8_ilS6_S8_ilPT18_ili26rocblas_geam_ex_operation_, .Lfunc_end130-_ZN12_GLOBAL__N_120geam_min_plus_kernelIdddLi4ELi64ELi128ELi128ELi4ELi64ELi4ELi4ELi64ELc78ELc78ELb1ELb0ELb0EdKPKdKPdEEviiiT16_PT17_ilS8_ilS6_S8_ilPT18_ili26rocblas_geam_ex_operation_
                                        ; -- End function
	.section	.AMDGPU.csdata,"",@progbits
; Kernel info:
; codeLenInByte = 12648
; NumSgprs: 30
; NumVgprs: 256
; NumAgprs: 0
; TotalNumVgprs: 256
; ScratchSize: 0
; MemoryBound: 0
; FloatMode: 240
; IeeeMode: 1
; LDSByteSize: 16384 bytes/workgroup (compile time only)
; SGPRBlocks: 3
; VGPRBlocks: 31
; NumSGPRsForWavesPerEU: 30
; NumVGPRsForWavesPerEU: 256
; AccumOffset: 256
; Occupancy: 2
; WaveLimiterHint : 1
; COMPUTE_PGM_RSRC2:SCRATCH_EN: 0
; COMPUTE_PGM_RSRC2:USER_SGPR: 2
; COMPUTE_PGM_RSRC2:TRAP_HANDLER: 0
; COMPUTE_PGM_RSRC2:TGID_X_EN: 1
; COMPUTE_PGM_RSRC2:TGID_Y_EN: 0
; COMPUTE_PGM_RSRC2:TGID_Z_EN: 1
; COMPUTE_PGM_RSRC2:TIDIG_COMP_CNT: 1
; COMPUTE_PGM_RSRC3_GFX90A:ACCUM_OFFSET: 63
; COMPUTE_PGM_RSRC3_GFX90A:TG_SPLIT: 0
	.section	.text._ZN12_GLOBAL__N_120geam_min_plus_kernelIdddLi4ELi64ELi128ELi128ELi4ELi64ELi4ELi4ELi64ELc78ELc78ELb0ELb0ELb0EdKPKdKPdEEviiiT16_PT17_ilS8_ilS6_S8_ilPT18_ili26rocblas_geam_ex_operation_,"axG",@progbits,_ZN12_GLOBAL__N_120geam_min_plus_kernelIdddLi4ELi64ELi128ELi128ELi4ELi64ELi4ELi4ELi64ELc78ELc78ELb0ELb0ELb0EdKPKdKPdEEviiiT16_PT17_ilS8_ilS6_S8_ilPT18_ili26rocblas_geam_ex_operation_,comdat
	.globl	_ZN12_GLOBAL__N_120geam_min_plus_kernelIdddLi4ELi64ELi128ELi128ELi4ELi64ELi4ELi4ELi64ELc78ELc78ELb0ELb0ELb0EdKPKdKPdEEviiiT16_PT17_ilS8_ilS6_S8_ilPT18_ili26rocblas_geam_ex_operation_ ; -- Begin function _ZN12_GLOBAL__N_120geam_min_plus_kernelIdddLi4ELi64ELi128ELi128ELi4ELi64ELi4ELi4ELi64ELc78ELc78ELb0ELb0ELb0EdKPKdKPdEEviiiT16_PT17_ilS8_ilS6_S8_ilPT18_ili26rocblas_geam_ex_operation_
	.p2align	8
	.type	_ZN12_GLOBAL__N_120geam_min_plus_kernelIdddLi4ELi64ELi128ELi128ELi4ELi64ELi4ELi4ELi64ELc78ELc78ELb0ELb0ELb0EdKPKdKPdEEviiiT16_PT17_ilS8_ilS6_S8_ilPT18_ili26rocblas_geam_ex_operation_,@function
_ZN12_GLOBAL__N_120geam_min_plus_kernelIdddLi4ELi64ELi128ELi128ELi4ELi64ELi4ELi4ELi64ELc78ELc78ELb0ELb0ELb0EdKPKdKPdEEviiiT16_PT17_ilS8_ilS6_S8_ilPT18_ili26rocblas_geam_ex_operation_: ; @_ZN12_GLOBAL__N_120geam_min_plus_kernelIdddLi4ELi64ELi128ELi128ELi4ELi64ELi4ELi4ELi64ELc78ELc78ELb0ELb0ELb0EdKPKdKPdEEviiiT16_PT17_ilS8_ilS6_S8_ilPT18_ili26rocblas_geam_ex_operation_
; %bb.0:
	s_load_dwordx4 s[12:15], s[0:1], 0x10
	s_load_dwordx4 s[4:7], s[0:1], 0x28
	s_mov_b32 s24, s3
	s_mov_b64 s[22:23], 0
	s_waitcnt lgkmcnt(0)
	v_cmp_eq_f64_e64 s[16:17], s[12:13], 0
	s_and_b64 vcc, exec, s[16:17]
	s_cbranch_vccnz .LBB131_2
; %bb.1:
	s_mov_b32 s25, 0
	s_lshl_b64 s[8:9], s[24:25], 3
	s_add_u32 s8, s14, s8
	s_addc_u32 s9, s15, s9
	s_load_dwordx2 s[8:9], s[8:9], 0x0
	s_lshl_b64 s[4:5], s[4:5], 3
	s_waitcnt lgkmcnt(0)
	s_add_u32 s22, s8, s4
	s_addc_u32 s23, s9, s5
.LBB131_2:
	s_load_dwordx4 s[8:11], s[0:1], 0x40
	s_load_dwordx2 s[4:5], s[0:1], 0x50
	s_andn2_b64 vcc, exec, s[16:17]
	s_cbranch_vccnz .LBB131_4
; %bb.3:
	s_mov_b32 s25, 0
	s_mov_b64 s[20:21], 0
	s_cbranch_execz .LBB131_5
	s_branch .LBB131_6
.LBB131_4:
                                        ; implicit-def: $sgpr20_sgpr21
.LBB131_5:
	s_mov_b32 s25, 0
	s_lshl_b64 s[14:15], s[24:25], 3
	s_add_u32 s6, s6, s14
	s_addc_u32 s7, s7, s15
	s_load_dwordx2 s[6:7], s[6:7], 0x0
	s_waitcnt lgkmcnt(0)
	s_lshl_b64 s[8:9], s[8:9], 3
	s_add_u32 s20, s6, s8
	s_addc_u32 s21, s7, s9
.LBB131_6:
	s_load_dwordx4 s[16:19], s[0:1], 0x60
	s_waitcnt lgkmcnt(0)
	v_cmp_eq_f64_e64 s[6:7], s[10:11], 0
	s_and_b64 s[6:7], exec, s[6:7]
	v_cmp_neq_f64_e64 s[26:27], s[12:13], 0
	s_mov_b64 s[8:9], 0
	s_mov_b64 vcc, s[6:7]
	s_cbranch_vccnz .LBB131_8
; %bb.7:
	s_lshl_b64 s[8:9], s[24:25], 3
	s_add_u32 s4, s4, s8
	s_addc_u32 s5, s5, s9
	s_load_dwordx2 s[4:5], s[4:5], 0x0
	s_lshl_b64 s[8:9], s[16:17], 3
	s_waitcnt lgkmcnt(0)
	s_add_u32 s8, s4, s8
	s_addc_u32 s9, s5, s9
.LBB131_8:
	s_load_dword s28, s[0:1], 0x20
	s_load_dword s3, s[0:1], 0x0
	s_lshl_b64 s[4:5], s[24:25], 3
	v_and_b32_e32 v144, 0x3ff, v0
	v_bfe_u32 v145, v0, 10, 10
	s_waitcnt lgkmcnt(0)
	s_ashr_i32 s24, s28, 31
	s_add_u32 s4, s18, s4
	s_addc_u32 s5, s19, s5
	s_add_i32 s3, s3, -1
	s_ashr_i32 s14, s3, 31
	s_lshr_b32 s14, s14, 25
	s_add_i32 s3, s3, s14
	s_ashr_i32 s3, s3, 7
	s_add_i32 s16, s3, 1
	v_cvt_f32_u32_e32 v1, s16
	s_load_dwordx2 s[14:15], s[4:5], 0x0
	s_not_b32 s3, s3
	v_lshl_add_u32 v4, v145, 2, v144
	v_rcp_iflag_f32_e32 v0, v1
	v_and_b32_e32 v142, 63, v4
	v_cndmask_b32_e64 v1, 0, 1, s[26:27]
	v_lshrrev_b32_e32 v146, 6, v4
	v_mul_f32_e32 v0, 0x4f7ffffe, v0
	v_cvt_u32_f32_e32 v0, v0
	s_nop 0
	v_readfirstlane_b32 s4, v0
	s_mul_i32 s3, s3, s4
	s_mul_hi_u32 s3, s4, s3
	s_add_i32 s4, s4, s3
	s_mul_hi_u32 s3, s2, s4
	s_mul_i32 s4, s3, s16
	s_sub_i32 s4, s2, s4
	s_add_i32 s5, s3, 1
	s_sub_i32 s17, s4, s16
	s_cmp_ge_u32 s4, s16
	s_cselect_b32 s3, s5, s3
	s_cselect_b32 s4, s17, s4
	s_add_i32 s5, s3, 1
	s_cmp_ge_u32 s4, s16
	s_cselect_b32 s3, s5, s3
	s_mul_i32 s4, s3, s16
	s_sub_i32 s2, s2, s4
	s_lshl_b32 s16, s2, 7
	v_or_b32_e32 v132, s16, v142
	v_cmp_ne_u32_e64 s[4:5], 1, v1
	s_andn2_b64 vcc, exec, s[26:27]
	v_ashrrev_i32_e32 v133, 31, v132
	s_cbranch_vccnz .LBB131_10
; %bb.9:
	v_mad_i64_i32 v[0:1], s[18:19], s28, v146, 0
	v_lshl_add_u64 v[0:1], v[0:1], 3, s[22:23]
	v_lshl_add_u64 v[0:1], v[132:133], 3, v[0:1]
	flat_load_dwordx2 v[2:3], v[0:1]
	flat_load_dwordx2 v[6:7], v[0:1] offset:512
	s_waitcnt vmcnt(0) lgkmcnt(0)
	v_mul_f64 v[0:1], v[2:3], s[12:13]
	v_mul_f64 v[2:3], v[6:7], s[12:13]
	s_branch .LBB131_11
.LBB131_10:
	v_mov_b64_e32 v[0:1], 0
	v_mov_b64_e32 v[2:3], 0
.LBB131_11:
	s_load_dword s18, s[0:1], 0x38
	v_lshrrev_b32_e32 v10, 2, v4
	s_lshl_b32 s17, s3, 7
	v_and_b32_e32 v147, 3, v144
	v_add_u32_e32 v139, s17, v10
	s_and_b64 vcc, exec, s[4:5]
	v_lshlrev_b32_e32 v4, 3, v147
	v_add_u32_e32 v138, 64, v139
	s_cbranch_vccnz .LBB131_15
; %bb.12:
	v_mov_b32_e32 v5, 0
	v_lshl_add_u64 v[6:7], s[20:21], 0, v[4:5]
	s_waitcnt lgkmcnt(0)
	v_mad_i64_i32 v[8:9], s[2:3], v139, s18, 0
	v_lshl_add_u64 v[8:9], v[8:9], 3, v[6:7]
	v_mad_i64_i32 v[12:13], s[2:3], v138, s18, 0
	v_lshl_add_u64 v[6:7], v[12:13], 3, v[6:7]
	flat_load_dwordx2 v[12:13], v[8:9]
	flat_load_dwordx2 v[14:15], v[6:7]
	s_waitcnt vmcnt(0) lgkmcnt(0)
	v_mul_f64 v[6:7], v[12:13], s[12:13]
	v_mul_f64 v[8:9], v[14:15], s[12:13]
	s_and_b64 vcc, exec, s[4:5]
	v_add_u32_e32 v148, 4, v146
	s_cbranch_vccnz .LBB131_16
.LBB131_13:
	v_mad_i64_i32 v[12:13], s[2:3], s28, v148, 0
	v_lshl_add_u64 v[12:13], v[12:13], 3, s[22:23]
	v_lshl_add_u64 v[12:13], v[132:133], 3, v[12:13]
	flat_load_dwordx2 v[14:15], v[12:13]
	flat_load_dwordx2 v[16:17], v[12:13] offset:512
	s_waitcnt vmcnt(0) lgkmcnt(0)
	v_mul_f64 v[128:129], v[14:15], s[12:13]
	v_mul_f64 v[130:131], v[16:17], s[12:13]
	s_and_b64 vcc, exec, s[4:5]
	s_cbranch_vccnz .LBB131_17
.LBB131_14:
	v_mov_b32_e32 v5, 0
	v_lshl_add_u64 v[12:13], s[20:21], 0, v[4:5]
	s_waitcnt lgkmcnt(0)
	v_mad_i64_i32 v[14:15], s[2:3], v139, s18, 0
	v_lshl_add_u64 v[14:15], v[14:15], 3, v[12:13]
	v_mad_i64_i32 v[16:17], s[2:3], v138, s18, 0
	v_lshl_add_u64 v[12:13], v[16:17], 3, v[12:13]
	flat_load_dwordx2 v[16:17], v[14:15] offset:32
	flat_load_dwordx2 v[18:19], v[12:13] offset:32
	s_waitcnt vmcnt(0) lgkmcnt(0)
	v_mul_f64 v[134:135], v[16:17], s[12:13]
	v_mul_f64 v[136:137], v[18:19], s[12:13]
	s_branch .LBB131_18
.LBB131_15:
	v_mov_b64_e32 v[6:7], 0
	v_mov_b64_e32 v[8:9], 0
	s_and_b64 vcc, exec, s[4:5]
	v_add_u32_e32 v148, 4, v146
	s_cbranch_vccz .LBB131_13
.LBB131_16:
	v_mov_b64_e32 v[128:129], 0
	v_mov_b64_e32 v[130:131], 0
	s_and_b64 vcc, exec, s[4:5]
	s_cbranch_vccz .LBB131_14
.LBB131_17:
	v_mov_b64_e32 v[134:135], 0
	v_mov_b64_e32 v[136:137], 0
.LBB131_18:
	v_lshlrev_b32_e32 v5, 3, v146
	v_lshl_add_u32 v149, v142, 5, v5
	v_lshl_or_b32 v141, v10, 5, v4
	v_lshlrev_b32_e32 v140, 5, v145
	ds_write2st64_b64 v149, v[0:1], v[2:3] offset1:4
	v_add_u32_e32 v150, 0x2000, v141
	ds_write2st64_b64 v141, v[6:7], v[8:9] offset0:16 offset1:20
	v_lshlrev_b32_e32 v151, 5, v144
	v_add_u32_e32 v152, 0x2000, v140
	s_mov_b32 s2, 0
	v_mov_b64_e32 v[126:127], 0
	v_mov_b64_e32 v[124:125], 0
	;; [unrolled: 1-line block ×64, first 2 shown]
	s_waitcnt lgkmcnt(0)
	s_barrier
.LBB131_19:                             ; =>This Inner Loop Header: Depth=1
	v_add_u32_e32 v143, s2, v151
	v_add_u32_e32 v153, s2, v152
	ds_read2_b64 v[154:157], v143 offset1:16
	ds_read2_b64 v[158:161], v143 offset0:32 offset1:48
	ds_read2_b64 v[162:165], v143 offset0:64 offset1:80
	;; [unrolled: 1-line block ×7, first 2 shown]
	ds_read2st64_b64 v[186:189], v153 offset1:4
	v_add_u32_e32 v143, 0x800, v143
	ds_read2_b64 v[190:193], v143 offset1:16
	ds_read2_b64 v[194:197], v143 offset0:32 offset1:48
	ds_read2_b64 v[198:201], v143 offset0:64 offset1:80
	ds_read2_b64 v[202:205], v143 offset0:96 offset1:112
	ds_read2_b64 v[206:209], v143 offset0:128 offset1:144
	ds_read2_b64 v[210:213], v143 offset0:160 offset1:176
	ds_read2_b64 v[214:217], v143 offset0:192 offset1:208
	ds_read2_b64 v[218:221], v143 offset0:224 offset1:240
	s_waitcnt lgkmcnt(14)
	v_max_f64 v[154:155], v[154:155], v[154:155]
	v_max_f64 v[156:157], v[156:157], v[156:157]
	;; [unrolled: 1-line block ×6, first 2 shown]
	s_waitcnt lgkmcnt(13)
	v_max_f64 v[166:167], v[166:167], v[166:167]
	v_max_f64 v[168:169], v[168:169], v[168:169]
	s_waitcnt lgkmcnt(12)
	v_max_f64 v[170:171], v[170:171], v[170:171]
	v_max_f64 v[172:173], v[172:173], v[172:173]
	s_waitcnt lgkmcnt(11)
	v_max_f64 v[174:175], v[174:175], v[174:175]
	v_max_f64 v[176:177], v[176:177], v[176:177]
	s_waitcnt lgkmcnt(10)
	v_max_f64 v[178:179], v[178:179], v[178:179]
	v_max_f64 v[180:181], v[180:181], v[180:181]
	s_waitcnt lgkmcnt(9)
	v_max_f64 v[182:183], v[182:183], v[182:183]
	v_max_f64 v[184:185], v[184:185], v[184:185]
	s_waitcnt lgkmcnt(8)
	v_max_f64 v[186:187], v[186:187], v[186:187]
	v_max_f64 v[188:189], v[188:189], v[188:189]
	s_waitcnt lgkmcnt(7)
	v_max_f64 v[190:191], v[190:191], v[190:191]
	v_max_f64 v[192:193], v[192:193], v[192:193]
	s_waitcnt lgkmcnt(6)
	v_max_f64 v[194:195], v[194:195], v[194:195]
	v_max_f64 v[196:197], v[196:197], v[196:197]
	s_waitcnt lgkmcnt(5)
	v_max_f64 v[198:199], v[198:199], v[198:199]
	v_max_f64 v[200:201], v[200:201], v[200:201]
	s_waitcnt lgkmcnt(4)
	v_max_f64 v[202:203], v[202:203], v[202:203]
	v_max_f64 v[204:205], v[204:205], v[204:205]
	s_waitcnt lgkmcnt(3)
	v_max_f64 v[206:207], v[206:207], v[206:207]
	v_max_f64 v[208:209], v[208:209], v[208:209]
	s_waitcnt lgkmcnt(2)
	v_max_f64 v[210:211], v[210:211], v[210:211]
	v_max_f64 v[212:213], v[212:213], v[212:213]
	s_waitcnt lgkmcnt(1)
	v_max_f64 v[214:215], v[214:215], v[214:215]
	v_max_f64 v[216:217], v[216:217], v[216:217]
	s_waitcnt lgkmcnt(0)
	v_max_f64 v[218:219], v[218:219], v[218:219]
	v_max_f64 v[220:221], v[220:221], v[220:221]
	v_min_f64 v[222:223], v[154:155], v[186:187]
	v_min_f64 v[224:225], v[156:157], v[186:187]
	;; [unrolled: 1-line block ×32, first 2 shown]
	s_add_i32 s2, s2, 8
	v_add_f64 v[62:63], v[154:155], v[62:63]
	v_add_f64 v[60:61], v[156:157], v[60:61]
	;; [unrolled: 1-line block ×16, first 2 shown]
	v_min_f64 v[154:155], v[190:191], v[186:187]
	v_min_f64 v[156:157], v[192:193], v[186:187]
	;; [unrolled: 1-line block ×32, first 2 shown]
	s_cmp_eq_u32 s2, 32
	v_add_f64 v[126:127], v[222:223], v[126:127]
	v_add_f64 v[124:125], v[224:225], v[124:125]
	;; [unrolled: 1-line block ×48, first 2 shown]
	s_cbranch_scc0 .LBB131_19
; %bb.20:
	s_load_dword s19, s[0:1], 0x8
	v_lshlrev_b32_e32 v142, 5, v142
	v_lshl_add_u32 v142, v146, 3, v142
	ds_write2st64_b64 v142, v[128:129], v[130:131] offset0:8 offset1:12
	ds_write2st64_b64 v141, v[134:135], v[136:137] offset0:24 offset1:28
	s_waitcnt lgkmcnt(0)
	s_cmp_gt_i32 s19, 8
	s_barrier
	s_cbranch_scc1 .LBB131_22
; %bb.21:
	v_add_u32_e32 v153, 0x1000, v151
	v_add_u32_e32 v154, 0x3000, v140
	s_cbranch_execz .LBB131_23
	s_branch .LBB131_39
.LBB131_22:
                                        ; implicit-def: $vgpr153
                                        ; implicit-def: $vgpr154
.LBB131_23:
	s_add_i32 s2, s19, -8
	v_mad_i64_i32 v[128:129], s[26:27], v139, s18, 0
	v_mad_i64_i32 v[130:131], s[18:19], v138, s18, 0
	v_or_b32_e32 v155, 0x1000, v142
	v_add_u32_e32 v156, 0x3000, v141
	v_lshl_add_u64 v[132:133], v[132:133], 3, s[22:23]
	v_add_u32_e32 v153, 0x1000, v151
	v_add_u32_e32 v154, 0x3000, v140
	s_mov_b32 s3, 8
	s_mov_b32 s18, 0
	v_mov_b32_e32 v135, 0
.LBB131_24:                             ; =>This Loop Header: Depth=1
                                        ;     Child Loop BB131_30 Depth 2
                                        ;     Child Loop BB131_37 Depth 2
	s_and_b64 vcc, exec, s[4:5]
	s_cbranch_vccnz .LBB131_27
; %bb.25:                               ;   in Loop: Header=BB131_24 Depth=1
	v_add_u32_e32 v138, s3, v146
	v_mad_u64_u32 v[136:137], s[22:23], v138, s28, 0
	v_mov_b32_e32 v134, v137
	v_mad_u64_u32 v[138:139], s[22:23], v138, s24, v[134:135]
	v_mov_b32_e32 v137, v138
	v_lshl_add_u64 v[136:137], v[136:137], 3, v[132:133]
	flat_load_dwordx2 v[138:139], v[136:137]
	flat_load_dwordx2 v[140:141], v[136:137] offset:512
	s_waitcnt vmcnt(0) lgkmcnt(0)
	v_mul_f64 v[136:137], v[138:139], s[12:13]
	v_mul_f64 v[138:139], v[140:141], s[12:13]
	s_and_b64 vcc, exec, s[4:5]
	s_cbranch_vccnz .LBB131_28
.LBB131_26:                             ;   in Loop: Header=BB131_24 Depth=1
	v_or_b32_e32 v134, s3, v147
	v_lshl_add_u64 v[140:141], v[134:135], 3, s[20:21]
	v_lshl_add_u64 v[142:143], v[128:129], 3, v[140:141]
	v_lshl_add_u64 v[140:141], v[130:131], 3, v[140:141]
	flat_load_dwordx2 v[142:143], v[142:143]
	s_nop 0
	flat_load_dwordx2 v[158:159], v[140:141]
	s_waitcnt vmcnt(0) lgkmcnt(0)
	v_mul_f64 v[140:141], v[142:143], s[12:13]
	v_mul_f64 v[142:143], v[158:159], s[12:13]
	s_branch .LBB131_29
.LBB131_27:                             ;   in Loop: Header=BB131_24 Depth=1
	v_mov_b64_e32 v[136:137], 0
	v_mov_b64_e32 v[138:139], 0
	s_and_b64 vcc, exec, s[4:5]
	s_cbranch_vccz .LBB131_26
.LBB131_28:                             ;   in Loop: Header=BB131_24 Depth=1
	v_mov_b64_e32 v[140:141], 0
	v_mov_b64_e32 v[142:143], 0
.LBB131_29:                             ;   in Loop: Header=BB131_24 Depth=1
	s_mov_b32 s19, 0
.LBB131_30:                             ;   Parent Loop BB131_24 Depth=1
                                        ; =>  This Inner Loop Header: Depth=2
	v_add_u32_e32 v134, s19, v153
	ds_read2_b64 v[158:161], v134 offset1:16
	ds_read2_b64 v[162:165], v134 offset0:32 offset1:48
	ds_read2_b64 v[166:169], v134 offset0:64 offset1:80
	;; [unrolled: 1-line block ×7, first 2 shown]
	v_add_u32_e32 v134, 0x800, v134
	ds_read2_b64 v[190:193], v134 offset1:16
	ds_read2_b64 v[194:197], v134 offset0:32 offset1:48
	ds_read2_b64 v[198:201], v134 offset0:64 offset1:80
	;; [unrolled: 1-line block ×7, first 2 shown]
	v_add_u32_e32 v134, s19, v154
	ds_read2st64_b64 v[222:225], v134 offset1:4
	s_waitcnt lgkmcnt(14)
	v_max_f64 v[158:159], v[158:159], v[158:159]
	v_max_f64 v[160:161], v[160:161], v[160:161]
	;; [unrolled: 1-line block ×4, first 2 shown]
	s_waitcnt lgkmcnt(0)
	v_max_f64 v[222:223], v[222:223], v[222:223]
	v_min_f64 v[226:227], v[158:159], v[222:223]
	v_add_f64 v[126:127], v[226:227], v[126:127]
	v_min_f64 v[226:227], v[160:161], v[222:223]
	v_add_f64 v[124:125], v[226:227], v[124:125]
	;; [unrolled: 2-line block ×3, first 2 shown]
	v_min_f64 v[226:227], v[164:165], v[222:223]
	v_max_f64 v[166:167], v[166:167], v[166:167]
	v_add_f64 v[120:121], v[226:227], v[120:121]
	v_min_f64 v[226:227], v[166:167], v[222:223]
	v_max_f64 v[168:169], v[168:169], v[168:169]
	v_add_f64 v[118:119], v[226:227], v[118:119]
	;; [unrolled: 3-line block ×26, first 2 shown]
	v_min_f64 v[226:227], v[216:217], v[222:223]
	v_max_f64 v[218:219], v[218:219], v[218:219]
	v_max_f64 v[220:221], v[220:221], v[220:221]
	v_add_f64 v[68:69], v[226:227], v[68:69]
	v_min_f64 v[226:227], v[218:219], v[222:223]
	v_min_f64 v[222:223], v[220:221], v[222:223]
	v_add_f64 v[64:65], v[222:223], v[64:65]
	v_max_f64 v[222:223], v[224:225], v[224:225]
	v_min_f64 v[158:159], v[158:159], v[222:223]
	v_add_f64 v[62:63], v[158:159], v[62:63]
	v_min_f64 v[158:159], v[160:161], v[222:223]
	v_add_f64 v[60:61], v[158:159], v[60:61]
	;; [unrolled: 2-line block ×31, first 2 shown]
	v_min_f64 v[158:159], v[220:221], v[222:223]
	s_add_i32 s19, s19, 8
	v_add_f64 v[66:67], v[226:227], v[66:67]
	v_add_f64 v[0:1], v[158:159], v[0:1]
	s_cmp_eq_u32 s19, 32
	s_cbranch_scc0 .LBB131_30
; %bb.31:                               ;   in Loop: Header=BB131_24 Depth=1
	s_and_b64 vcc, exec, s[4:5]
	ds_write2st64_b64 v149, v[136:137], v[138:139] offset1:4
	ds_write2st64_b64 v150, v[140:141], v[142:143] offset1:4
	s_waitcnt lgkmcnt(0)
	s_barrier
	s_cbranch_vccnz .LBB131_34
; %bb.32:                               ;   in Loop: Header=BB131_24 Depth=1
	v_add_u32_e32 v138, s3, v148
	v_mad_u64_u32 v[136:137], s[22:23], v138, s28, 0
	v_mov_b32_e32 v134, v137
	v_mad_u64_u32 v[138:139], s[22:23], v138, s24, v[134:135]
	v_mov_b32_e32 v137, v138
	v_lshl_add_u64 v[136:137], v[136:137], 3, v[132:133]
	flat_load_dwordx2 v[138:139], v[136:137]
	flat_load_dwordx2 v[140:141], v[136:137] offset:512
	s_waitcnt vmcnt(0) lgkmcnt(0)
	v_mul_f64 v[136:137], v[138:139], s[12:13]
	v_mul_f64 v[138:139], v[140:141], s[12:13]
	s_and_b64 vcc, exec, s[4:5]
	s_cbranch_vccnz .LBB131_35
.LBB131_33:                             ;   in Loop: Header=BB131_24 Depth=1
	v_or_b32_e32 v134, s3, v147
	v_lshl_add_u64 v[140:141], v[134:135], 3, s[20:21]
	v_lshl_add_u64 v[142:143], v[128:129], 3, v[140:141]
	;; [unrolled: 1-line block ×3, first 2 shown]
	flat_load_dwordx2 v[142:143], v[142:143] offset:32
	s_nop 0
	flat_load_dwordx2 v[158:159], v[140:141] offset:32
	s_waitcnt vmcnt(0) lgkmcnt(0)
	v_mul_f64 v[140:141], v[142:143], s[12:13]
	v_mul_f64 v[142:143], v[158:159], s[12:13]
	s_branch .LBB131_36
.LBB131_34:                             ;   in Loop: Header=BB131_24 Depth=1
	v_mov_b64_e32 v[136:137], 0
	v_mov_b64_e32 v[138:139], 0
	s_and_b64 vcc, exec, s[4:5]
	s_cbranch_vccz .LBB131_33
.LBB131_35:                             ;   in Loop: Header=BB131_24 Depth=1
	v_mov_b64_e32 v[140:141], 0
	v_mov_b64_e32 v[142:143], 0
.LBB131_36:                             ;   in Loop: Header=BB131_24 Depth=1
	s_mov_b32 s19, 0
.LBB131_37:                             ;   Parent Loop BB131_24 Depth=1
                                        ; =>  This Inner Loop Header: Depth=2
	v_add_u32_e32 v134, s19, v151
	ds_read2_b64 v[158:161], v134 offset1:16
	ds_read2_b64 v[162:165], v134 offset0:32 offset1:48
	ds_read2_b64 v[166:169], v134 offset0:64 offset1:80
	;; [unrolled: 1-line block ×7, first 2 shown]
	v_add_u32_e32 v134, 0x800, v134
	ds_read2_b64 v[190:193], v134 offset1:16
	ds_read2_b64 v[194:197], v134 offset0:32 offset1:48
	ds_read2_b64 v[198:201], v134 offset0:64 offset1:80
	;; [unrolled: 1-line block ×7, first 2 shown]
	v_add_u32_e32 v134, s19, v152
	ds_read2st64_b64 v[222:225], v134 offset1:4
	s_waitcnt lgkmcnt(14)
	v_max_f64 v[158:159], v[158:159], v[158:159]
	v_max_f64 v[160:161], v[160:161], v[160:161]
	;; [unrolled: 1-line block ×4, first 2 shown]
	s_waitcnt lgkmcnt(0)
	v_max_f64 v[222:223], v[222:223], v[222:223]
	v_min_f64 v[226:227], v[158:159], v[222:223]
	v_add_f64 v[126:127], v[226:227], v[126:127]
	v_min_f64 v[226:227], v[160:161], v[222:223]
	v_add_f64 v[124:125], v[226:227], v[124:125]
	;; [unrolled: 2-line block ×3, first 2 shown]
	v_min_f64 v[226:227], v[164:165], v[222:223]
	v_max_f64 v[166:167], v[166:167], v[166:167]
	v_add_f64 v[120:121], v[226:227], v[120:121]
	v_min_f64 v[226:227], v[166:167], v[222:223]
	v_max_f64 v[168:169], v[168:169], v[168:169]
	v_add_f64 v[118:119], v[226:227], v[118:119]
	;; [unrolled: 3-line block ×26, first 2 shown]
	v_min_f64 v[226:227], v[216:217], v[222:223]
	v_max_f64 v[218:219], v[218:219], v[218:219]
	v_max_f64 v[220:221], v[220:221], v[220:221]
	v_add_f64 v[68:69], v[226:227], v[68:69]
	v_min_f64 v[226:227], v[218:219], v[222:223]
	v_min_f64 v[222:223], v[220:221], v[222:223]
	v_add_f64 v[64:65], v[222:223], v[64:65]
	v_max_f64 v[222:223], v[224:225], v[224:225]
	v_min_f64 v[158:159], v[158:159], v[222:223]
	v_add_f64 v[62:63], v[158:159], v[62:63]
	v_min_f64 v[158:159], v[160:161], v[222:223]
	v_add_f64 v[60:61], v[158:159], v[60:61]
	;; [unrolled: 2-line block ×31, first 2 shown]
	v_min_f64 v[158:159], v[220:221], v[222:223]
	s_add_i32 s19, s19, 8
	v_add_f64 v[66:67], v[226:227], v[66:67]
	v_add_f64 v[0:1], v[158:159], v[0:1]
	s_cmp_eq_u32 s19, 32
	s_cbranch_scc0 .LBB131_37
; %bb.38:                               ;   in Loop: Header=BB131_24 Depth=1
	s_add_i32 s3, s3, 8
	s_add_i32 s18, s18, 8
	s_cmp_ge_i32 s18, s2
	ds_write2st64_b64 v155, v[136:137], v[138:139] offset1:4
	ds_write2st64_b64 v156, v[140:141], v[142:143] offset1:4
	s_waitcnt lgkmcnt(0)
	s_barrier
	s_cbranch_scc0 .LBB131_24
.LBB131_39:
	s_mov_b32 s2, 0
.LBB131_40:                             ; =>This Inner Loop Header: Depth=1
	v_add_u32_e32 v150, s2, v153
	v_add_u32_e32 v151, s2, v154
	ds_read2_b64 v[128:131], v150 offset1:16
	ds_read2_b64 v[132:135], v150 offset0:32 offset1:48
	ds_read2_b64 v[136:139], v150 offset0:64 offset1:80
	ds_read2_b64 v[140:143], v150 offset0:96 offset1:112
	ds_read2_b64 v[146:149], v150 offset0:128 offset1:144
	ds_read2_b64 v[156:159], v150 offset0:160 offset1:176
	ds_read2_b64 v[160:163], v150 offset0:192 offset1:208
	ds_read2_b64 v[164:167], v150 offset0:224 offset1:240
	v_add_u32_e32 v150, 0x800, v150
	ds_read2st64_b64 v[168:171], v151 offset1:4
	ds_read2_b64 v[172:175], v150 offset1:16
	ds_read2_b64 v[176:179], v150 offset0:32 offset1:48
	ds_read2_b64 v[180:183], v150 offset0:64 offset1:80
	ds_read2_b64 v[184:187], v150 offset0:96 offset1:112
	ds_read2_b64 v[188:191], v150 offset0:128 offset1:144
	ds_read2_b64 v[192:195], v150 offset0:160 offset1:176
	ds_read2_b64 v[196:199], v150 offset0:192 offset1:208
	ds_read2_b64 v[200:203], v150 offset0:224 offset1:240
	s_waitcnt lgkmcnt(14)
	v_max_f64 v[128:129], v[128:129], v[128:129]
	v_max_f64 v[130:131], v[130:131], v[130:131]
	;; [unrolled: 1-line block ×3, first 2 shown]
	s_waitcnt lgkmcnt(8)
	v_max_f64 v[150:151], v[168:169], v[168:169]
	v_max_f64 v[134:135], v[134:135], v[134:135]
	;; [unrolled: 1-line block ×15, first 2 shown]
	v_min_f64 v[170:171], v[128:129], v[150:151]
	v_min_f64 v[204:205], v[130:131], v[150:151]
	;; [unrolled: 1-line block ×16, first 2 shown]
	s_waitcnt lgkmcnt(7)
	v_max_f64 v[172:173], v[172:173], v[172:173]
	v_max_f64 v[174:175], v[174:175], v[174:175]
	s_waitcnt lgkmcnt(6)
	v_max_f64 v[176:177], v[176:177], v[176:177]
	v_max_f64 v[178:179], v[178:179], v[178:179]
	;; [unrolled: 3-line block ×8, first 2 shown]
	v_min_f64 v[128:129], v[128:129], v[168:169]
	v_min_f64 v[130:131], v[130:131], v[168:169]
	v_min_f64 v[132:133], v[132:133], v[168:169]
	v_min_f64 v[134:135], v[134:135], v[168:169]
	v_min_f64 v[136:137], v[136:137], v[168:169]
	v_min_f64 v[138:139], v[138:139], v[168:169]
	v_min_f64 v[140:141], v[140:141], v[168:169]
	v_min_f64 v[142:143], v[142:143], v[168:169]
	v_min_f64 v[146:147], v[146:147], v[168:169]
	v_min_f64 v[148:149], v[148:149], v[168:169]
	v_min_f64 v[156:157], v[156:157], v[168:169]
	v_min_f64 v[158:159], v[158:159], v[168:169]
	v_min_f64 v[160:161], v[160:161], v[168:169]
	v_min_f64 v[162:163], v[162:163], v[168:169]
	v_min_f64 v[164:165], v[164:165], v[168:169]
	v_min_f64 v[166:167], v[166:167], v[168:169]
	s_add_i32 s2, s2, 8
	v_add_f64 v[126:127], v[170:171], v[126:127]
	v_add_f64 v[124:125], v[204:205], v[124:125]
	;; [unrolled: 1-line block ×15, first 2 shown]
	v_min_f64 v[170:171], v[172:173], v[150:151]
	v_min_f64 v[204:205], v[174:175], v[150:151]
	;; [unrolled: 1-line block ×16, first 2 shown]
	v_add_f64 v[62:63], v[128:129], v[62:63]
	v_add_f64 v[60:61], v[130:131], v[60:61]
	;; [unrolled: 1-line block ×16, first 2 shown]
	v_min_f64 v[128:129], v[172:173], v[168:169]
	v_min_f64 v[130:131], v[174:175], v[168:169]
	;; [unrolled: 1-line block ×16, first 2 shown]
	s_cmp_eq_u32 s2, 32
	v_add_f64 v[96:97], v[232:233], v[96:97]
	v_add_f64 v[94:95], v[170:171], v[94:95]
	;; [unrolled: 1-line block ×33, first 2 shown]
	s_cbranch_scc0 .LBB131_40
; %bb.41:
	s_load_dwordx2 s[2:3], s[0:1], 0x78
	s_load_dword s4, s[0:1], 0x58
	s_load_dword s5, s[0:1], 0x70
	v_add_u32_e32 v130, s16, v144
	v_add_u32_e32 v170, s17, v145
	s_waitcnt lgkmcnt(0)
	s_lshl_b64 s[0:1], s[2:3], 3
	s_add_u32 s0, s14, s0
	s_addc_u32 s1, s15, s1
	v_add_u32_e32 v128, 4, v130
	v_mad_i64_i32 v[132:133], s[2:3], v170, s5, 0
	v_ashrrev_i32_e32 v131, 31, v130
	v_ashrrev_i32_e32 v129, 31, v128
	v_lshl_add_u64 v[138:139], v[132:133], 3, s[0:1]
	v_mad_i64_i32 v[132:133], s[2:3], v170, s4, 0
	s_mov_b64 vcc, s[6:7]
	s_cbranch_vccz .LBB131_44
; %bb.42:
	v_add_f64 v[134:135], v[126:127], 0
	v_lshl_add_u64 v[136:137], v[130:131], 3, v[138:139]
	s_mov_b64 s[2:3], 0
	global_store_dwordx2 v[136:137], v[134:135], off
	v_lshl_add_u64 v[146:147], v[132:133], 3, s[8:9]
	v_lshlrev_b64 v[134:135], 3, v[130:131]
	s_cbranch_execz .LBB131_45
; %bb.43:
	v_mov_b64_e32 v[136:137], s[2:3]
	s_branch .LBB131_46
.LBB131_44:
	s_mov_b64 s[2:3], -1
	v_lshl_add_u64 v[146:147], v[132:133], 3, s[8:9]
	v_lshlrev_b64 v[134:135], 3, v[130:131]
.LBB131_45:
	v_lshl_add_u64 v[132:133], v[146:147], 0, v[134:135]
	flat_load_dwordx2 v[132:133], v[132:133]
	v_lshl_add_u64 v[136:137], v[138:139], 0, v[134:135]
	s_waitcnt vmcnt(0) lgkmcnt(0)
	v_fmac_f64_e32 v[126:127], s[10:11], v[132:133]
	global_store_dwordx2 v[136:137], v[126:127], off
	v_lshl_add_u64 v[126:127], v[128:129], 3, v[146:147]
	flat_load_dwordx2 v[126:127], v[126:127]
	s_waitcnt vmcnt(0) lgkmcnt(0)
	v_mul_f64 v[136:137], v[126:127], s[10:11]
.LBB131_46:
	v_add_u32_e32 v132, 8, v130
	v_add_u32_e32 v126, 12, v130
	v_ashrrev_i32_e32 v133, 31, v132
	v_ashrrev_i32_e32 v127, 31, v126
	v_add_f64 v[124:125], v[124:125], v[136:137]
	v_lshl_add_u64 v[136:137], v[128:129], 3, v[138:139]
	s_mov_b64 vcc, s[6:7]
	global_store_dwordx2 v[136:137], v[124:125], off
	s_cbranch_vccz .LBB131_49
; %bb.47:
	v_add_f64 v[124:125], v[122:123], 0
	v_lshl_add_u64 v[136:137], v[132:133], 3, v[138:139]
	s_mov_b64 s[2:3], 0
	global_store_dwordx2 v[136:137], v[124:125], off
	v_lshlrev_b64 v[136:137], 3, v[132:133]
	s_cbranch_execz .LBB131_50
; %bb.48:
	v_mov_b64_e32 v[140:141], s[2:3]
	s_branch .LBB131_51
.LBB131_49:
	s_mov_b64 s[2:3], -1
	v_lshlrev_b64 v[136:137], 3, v[132:133]
.LBB131_50:
	v_lshl_add_u64 v[124:125], v[146:147], 0, v[136:137]
	flat_load_dwordx2 v[124:125], v[124:125]
	v_lshl_add_u64 v[140:141], v[138:139], 0, v[136:137]
	s_waitcnt vmcnt(0) lgkmcnt(0)
	v_fmac_f64_e32 v[122:123], s[10:11], v[124:125]
	global_store_dwordx2 v[140:141], v[122:123], off
	v_lshl_add_u64 v[122:123], v[126:127], 3, v[146:147]
	flat_load_dwordx2 v[122:123], v[122:123]
	s_waitcnt vmcnt(0) lgkmcnt(0)
	v_mul_f64 v[140:141], v[122:123], s[10:11]
.LBB131_51:
	v_add_u32_e32 v124, 16, v130
	v_add_u32_e32 v122, 20, v130
	v_ashrrev_i32_e32 v125, 31, v124
	v_ashrrev_i32_e32 v123, 31, v122
	v_add_f64 v[120:121], v[120:121], v[140:141]
	v_lshl_add_u64 v[140:141], v[126:127], 3, v[138:139]
	s_mov_b64 vcc, s[6:7]
	global_store_dwordx2 v[140:141], v[120:121], off
	s_cbranch_vccz .LBB131_54
; %bb.52:
	v_add_f64 v[120:121], v[118:119], 0
	v_lshl_add_u64 v[140:141], v[124:125], 3, v[138:139]
	s_mov_b64 s[2:3], 0
	global_store_dwordx2 v[140:141], v[120:121], off
	v_lshlrev_b64 v[140:141], 3, v[124:125]
	s_cbranch_execz .LBB131_55
; %bb.53:
	v_mov_b64_e32 v[142:143], s[2:3]
	s_branch .LBB131_56
.LBB131_54:
	s_mov_b64 s[2:3], -1
	v_lshlrev_b64 v[140:141], 3, v[124:125]
.LBB131_55:
	v_lshl_add_u64 v[120:121], v[146:147], 0, v[140:141]
	flat_load_dwordx2 v[120:121], v[120:121]
	v_lshl_add_u64 v[142:143], v[138:139], 0, v[140:141]
	s_waitcnt vmcnt(0) lgkmcnt(0)
	v_fmac_f64_e32 v[118:119], s[10:11], v[120:121]
	global_store_dwordx2 v[142:143], v[118:119], off
	v_lshl_add_u64 v[118:119], v[122:123], 3, v[146:147]
	flat_load_dwordx2 v[118:119], v[118:119]
	s_waitcnt vmcnt(0) lgkmcnt(0)
	v_mul_f64 v[142:143], v[118:119], s[10:11]
.LBB131_56:
	;; [unrolled: 34-line block ×15, first 2 shown]
	v_add_f64 v[64:65], v[64:65], v[66:67]
	v_lshl_add_u64 v[66:67], v[70:71], 3, v[138:139]
	global_store_dwordx2 v[66:67], v[64:65], off
	v_add_u32_e32 v66, 64, v170
	v_mad_i64_i32 v[64:65], s[2:3], v66, s5, 0
	v_lshl_add_u64 v[64:65], v[64:65], 3, s[0:1]
	v_mad_i64_i32 v[66:67], s[0:1], v66, s4, 0
	s_mov_b64 vcc, s[6:7]
	s_cbranch_vccz .LBB131_124
; %bb.122:
	v_add_f64 v[138:139], v[62:63], 0
	v_lshl_add_u64 v[130:131], v[130:131], 3, v[64:65]
	s_mov_b64 s[0:1], 0
	global_store_dwordx2 v[130:131], v[138:139], off
	v_lshl_add_u64 v[66:67], v[66:67], 3, s[8:9]
	s_cbranch_execz .LBB131_125
; %bb.123:
	v_mov_b64_e32 v[62:63], s[0:1]
	s_branch .LBB131_126
.LBB131_124:
	s_mov_b64 s[0:1], -1
	v_lshl_add_u64 v[66:67], v[66:67], 3, s[8:9]
.LBB131_125:
	v_lshl_add_u64 v[130:131], v[66:67], 0, v[134:135]
	flat_load_dwordx2 v[130:131], v[130:131]
	v_lshl_add_u64 v[134:135], v[64:65], 0, v[134:135]
	s_waitcnt vmcnt(0) lgkmcnt(0)
	v_fmac_f64_e32 v[62:63], s[10:11], v[130:131]
	global_store_dwordx2 v[134:135], v[62:63], off
	v_lshl_add_u64 v[62:63], v[128:129], 3, v[66:67]
	flat_load_dwordx2 v[62:63], v[62:63]
	s_waitcnt vmcnt(0) lgkmcnt(0)
	v_mul_f64 v[62:63], v[62:63], s[10:11]
.LBB131_126:
	v_add_f64 v[60:61], v[60:61], v[62:63]
	v_lshl_add_u64 v[62:63], v[128:129], 3, v[64:65]
	s_mov_b64 vcc, s[6:7]
	global_store_dwordx2 v[62:63], v[60:61], off
	s_cbranch_vccz .LBB131_129
; %bb.127:
	v_add_f64 v[60:61], v[58:59], 0
	v_lshl_add_u64 v[62:63], v[132:133], 3, v[64:65]
	s_mov_b64 s[0:1], 0
	global_store_dwordx2 v[62:63], v[60:61], off
	s_cbranch_execz .LBB131_130
; %bb.128:
	v_mov_b64_e32 v[58:59], s[0:1]
	s_branch .LBB131_131
.LBB131_129:
	s_mov_b64 s[0:1], -1
.LBB131_130:
	v_lshl_add_u64 v[60:61], v[66:67], 0, v[136:137]
	flat_load_dwordx2 v[60:61], v[60:61]
	v_lshl_add_u64 v[62:63], v[64:65], 0, v[136:137]
	s_waitcnt vmcnt(0) lgkmcnt(0)
	v_fmac_f64_e32 v[58:59], s[10:11], v[60:61]
	global_store_dwordx2 v[62:63], v[58:59], off
	v_lshl_add_u64 v[58:59], v[126:127], 3, v[66:67]
	flat_load_dwordx2 v[58:59], v[58:59]
	s_waitcnt vmcnt(0) lgkmcnt(0)
	v_mul_f64 v[58:59], v[58:59], s[10:11]
.LBB131_131:
	v_add_f64 v[56:57], v[56:57], v[58:59]
	v_lshl_add_u64 v[58:59], v[126:127], 3, v[64:65]
	s_mov_b64 vcc, s[6:7]
	global_store_dwordx2 v[58:59], v[56:57], off
	s_cbranch_vccz .LBB131_134
; %bb.132:
	v_add_f64 v[56:57], v[54:55], 0
	v_lshl_add_u64 v[58:59], v[124:125], 3, v[64:65]
	s_mov_b64 s[0:1], 0
	global_store_dwordx2 v[58:59], v[56:57], off
	s_cbranch_execz .LBB131_135
; %bb.133:
	v_mov_b64_e32 v[54:55], s[0:1]
	s_branch .LBB131_136
.LBB131_134:
	s_mov_b64 s[0:1], -1
.LBB131_135:
	v_lshl_add_u64 v[56:57], v[66:67], 0, v[140:141]
	flat_load_dwordx2 v[56:57], v[56:57]
	v_lshl_add_u64 v[58:59], v[64:65], 0, v[140:141]
	s_waitcnt vmcnt(0) lgkmcnt(0)
	v_fmac_f64_e32 v[54:55], s[10:11], v[56:57]
	global_store_dwordx2 v[58:59], v[54:55], off
	v_lshl_add_u64 v[54:55], v[122:123], 3, v[66:67]
	flat_load_dwordx2 v[54:55], v[54:55]
	s_waitcnt vmcnt(0) lgkmcnt(0)
	v_mul_f64 v[54:55], v[54:55], s[10:11]
.LBB131_136:
	;; [unrolled: 28-line block ×14, first 2 shown]
	v_add_f64 v[4:5], v[4:5], v[6:7]
	v_lshl_add_u64 v[6:7], v[74:75], 3, v[64:65]
	s_mov_b64 vcc, s[6:7]
	global_store_dwordx2 v[6:7], v[4:5], off
	s_cbranch_vccz .LBB131_199
; %bb.197:
	v_add_f64 v[4:5], v[2:3], 0
	v_lshl_add_u64 v[6:7], v[72:73], 3, v[64:65]
	s_mov_b64 s[0:1], 0
	global_store_dwordx2 v[6:7], v[4:5], off
	s_cbranch_execz .LBB131_200
; %bb.198:
	v_mov_b64_e32 v[2:3], s[0:1]
	v_add_f64 v[0:1], v[0:1], v[2:3]
	v_lshl_add_u64 v[2:3], v[70:71], 3, v[64:65]
	global_store_dwordx2 v[2:3], v[0:1], off
	s_endpgm
.LBB131_199:
	s_mov_b64 s[0:1], -1
.LBB131_200:
	v_lshl_add_u64 v[4:5], v[66:67], 0, v[68:69]
	flat_load_dwordx2 v[4:5], v[4:5]
	v_lshl_add_u64 v[6:7], v[64:65], 0, v[68:69]
	s_waitcnt vmcnt(0) lgkmcnt(0)
	v_fmac_f64_e32 v[2:3], s[10:11], v[4:5]
	global_store_dwordx2 v[6:7], v[2:3], off
	v_lshl_add_u64 v[2:3], v[70:71], 3, v[66:67]
	flat_load_dwordx2 v[2:3], v[2:3]
	s_waitcnt vmcnt(0) lgkmcnt(0)
	v_mul_f64 v[2:3], v[2:3], s[10:11]
	v_add_f64 v[0:1], v[0:1], v[2:3]
	v_lshl_add_u64 v[2:3], v[70:71], 3, v[64:65]
	global_store_dwordx2 v[2:3], v[0:1], off
	s_endpgm
	.section	.rodata,"a",@progbits
	.p2align	6, 0x0
	.amdhsa_kernel _ZN12_GLOBAL__N_120geam_min_plus_kernelIdddLi4ELi64ELi128ELi128ELi4ELi64ELi4ELi4ELi64ELc78ELc78ELb0ELb0ELb0EdKPKdKPdEEviiiT16_PT17_ilS8_ilS6_S8_ilPT18_ili26rocblas_geam_ex_operation_
		.amdhsa_group_segment_fixed_size 16384
		.amdhsa_private_segment_fixed_size 0
		.amdhsa_kernarg_size 136
		.amdhsa_user_sgpr_count 2
		.amdhsa_user_sgpr_dispatch_ptr 0
		.amdhsa_user_sgpr_queue_ptr 0
		.amdhsa_user_sgpr_kernarg_segment_ptr 1
		.amdhsa_user_sgpr_dispatch_id 0
		.amdhsa_user_sgpr_kernarg_preload_length 0
		.amdhsa_user_sgpr_kernarg_preload_offset 0
		.amdhsa_user_sgpr_private_segment_size 0
		.amdhsa_uses_dynamic_stack 0
		.amdhsa_enable_private_segment 0
		.amdhsa_system_sgpr_workgroup_id_x 1
		.amdhsa_system_sgpr_workgroup_id_y 0
		.amdhsa_system_sgpr_workgroup_id_z 1
		.amdhsa_system_sgpr_workgroup_info 0
		.amdhsa_system_vgpr_workitem_id 1
		.amdhsa_next_free_vgpr 254
		.amdhsa_next_free_sgpr 29
		.amdhsa_accum_offset 256
		.amdhsa_reserve_vcc 1
		.amdhsa_float_round_mode_32 0
		.amdhsa_float_round_mode_16_64 0
		.amdhsa_float_denorm_mode_32 3
		.amdhsa_float_denorm_mode_16_64 3
		.amdhsa_dx10_clamp 1
		.amdhsa_ieee_mode 1
		.amdhsa_fp16_overflow 0
		.amdhsa_tg_split 0
		.amdhsa_exception_fp_ieee_invalid_op 0
		.amdhsa_exception_fp_denorm_src 0
		.amdhsa_exception_fp_ieee_div_zero 0
		.amdhsa_exception_fp_ieee_overflow 0
		.amdhsa_exception_fp_ieee_underflow 0
		.amdhsa_exception_fp_ieee_inexact 0
		.amdhsa_exception_int_div_zero 0
	.end_amdhsa_kernel
	.section	.text._ZN12_GLOBAL__N_120geam_min_plus_kernelIdddLi4ELi64ELi128ELi128ELi4ELi64ELi4ELi4ELi64ELc78ELc78ELb0ELb0ELb0EdKPKdKPdEEviiiT16_PT17_ilS8_ilS6_S8_ilPT18_ili26rocblas_geam_ex_operation_,"axG",@progbits,_ZN12_GLOBAL__N_120geam_min_plus_kernelIdddLi4ELi64ELi128ELi128ELi4ELi64ELi4ELi4ELi64ELc78ELc78ELb0ELb0ELb0EdKPKdKPdEEviiiT16_PT17_ilS8_ilS6_S8_ilPT18_ili26rocblas_geam_ex_operation_,comdat
.Lfunc_end131:
	.size	_ZN12_GLOBAL__N_120geam_min_plus_kernelIdddLi4ELi64ELi128ELi128ELi4ELi64ELi4ELi4ELi64ELc78ELc78ELb0ELb0ELb0EdKPKdKPdEEviiiT16_PT17_ilS8_ilS6_S8_ilPT18_ili26rocblas_geam_ex_operation_, .Lfunc_end131-_ZN12_GLOBAL__N_120geam_min_plus_kernelIdddLi4ELi64ELi128ELi128ELi4ELi64ELi4ELi4ELi64ELc78ELc78ELb0ELb0ELb0EdKPKdKPdEEviiiT16_PT17_ilS8_ilS6_S8_ilPT18_ili26rocblas_geam_ex_operation_
                                        ; -- End function
	.section	.AMDGPU.csdata,"",@progbits
; Kernel info:
; codeLenInByte = 13096
; NumSgprs: 35
; NumVgprs: 254
; NumAgprs: 0
; TotalNumVgprs: 254
; ScratchSize: 0
; MemoryBound: 0
; FloatMode: 240
; IeeeMode: 1
; LDSByteSize: 16384 bytes/workgroup (compile time only)
; SGPRBlocks: 4
; VGPRBlocks: 31
; NumSGPRsForWavesPerEU: 35
; NumVGPRsForWavesPerEU: 254
; AccumOffset: 256
; Occupancy: 2
; WaveLimiterHint : 1
; COMPUTE_PGM_RSRC2:SCRATCH_EN: 0
; COMPUTE_PGM_RSRC2:USER_SGPR: 2
; COMPUTE_PGM_RSRC2:TRAP_HANDLER: 0
; COMPUTE_PGM_RSRC2:TGID_X_EN: 1
; COMPUTE_PGM_RSRC2:TGID_Y_EN: 0
; COMPUTE_PGM_RSRC2:TGID_Z_EN: 1
; COMPUTE_PGM_RSRC2:TIDIG_COMP_CNT: 1
; COMPUTE_PGM_RSRC3_GFX90A:ACCUM_OFFSET: 63
; COMPUTE_PGM_RSRC3_GFX90A:TG_SPLIT: 0
	.section	.text._ZN12_GLOBAL__N_120geam_min_plus_kernelIdddLi4ELi64ELi128ELi128ELi4ELi64ELi4ELi4ELi64ELc78ELc78ELb0ELb1ELb0EPKdKS2_KPdEEviiiT16_PT17_ilS8_ilS6_S8_ilPT18_ili26rocblas_geam_ex_operation_,"axG",@progbits,_ZN12_GLOBAL__N_120geam_min_plus_kernelIdddLi4ELi64ELi128ELi128ELi4ELi64ELi4ELi4ELi64ELc78ELc78ELb0ELb1ELb0EPKdKS2_KPdEEviiiT16_PT17_ilS8_ilS6_S8_ilPT18_ili26rocblas_geam_ex_operation_,comdat
	.globl	_ZN12_GLOBAL__N_120geam_min_plus_kernelIdddLi4ELi64ELi128ELi128ELi4ELi64ELi4ELi4ELi64ELc78ELc78ELb0ELb1ELb0EPKdKS2_KPdEEviiiT16_PT17_ilS8_ilS6_S8_ilPT18_ili26rocblas_geam_ex_operation_ ; -- Begin function _ZN12_GLOBAL__N_120geam_min_plus_kernelIdddLi4ELi64ELi128ELi128ELi4ELi64ELi4ELi4ELi64ELc78ELc78ELb0ELb1ELb0EPKdKS2_KPdEEviiiT16_PT17_ilS8_ilS6_S8_ilPT18_ili26rocblas_geam_ex_operation_
	.p2align	8
	.type	_ZN12_GLOBAL__N_120geam_min_plus_kernelIdddLi4ELi64ELi128ELi128ELi4ELi64ELi4ELi4ELi64ELc78ELc78ELb0ELb1ELb0EPKdKS2_KPdEEviiiT16_PT17_ilS8_ilS6_S8_ilPT18_ili26rocblas_geam_ex_operation_,@function
_ZN12_GLOBAL__N_120geam_min_plus_kernelIdddLi4ELi64ELi128ELi128ELi4ELi64ELi4ELi4ELi64ELc78ELc78ELb0ELb1ELb0EPKdKS2_KPdEEviiiT16_PT17_ilS8_ilS6_S8_ilPT18_ili26rocblas_geam_ex_operation_: ; @_ZN12_GLOBAL__N_120geam_min_plus_kernelIdddLi4ELi64ELi128ELi128ELi4ELi64ELi4ELi4ELi64ELc78ELc78ELb0ELb1ELb0EPKdKS2_KPdEEviiiT16_PT17_ilS8_ilS6_S8_ilPT18_ili26rocblas_geam_ex_operation_
; %bb.0:
	s_load_dwordx4 s[12:15], s[0:1], 0x10
	s_load_dwordx4 s[4:7], s[0:1], 0x28
	s_mov_b32 s8, s3
	s_mov_b32 s9, 0
	s_lshl_b64 s[22:23], s[8:9], 3
	s_waitcnt lgkmcnt(0)
	s_add_u32 s18, s12, s22
	s_load_dwordx4 s[8:11], s[0:1], 0x40
	s_addc_u32 s19, s13, s23
	s_load_dwordx2 s[16:17], s[18:19], 0x0
	s_load_dwordx2 s[12:13], s[0:1], 0x50
	s_mov_b64 s[18:19], 0
	s_waitcnt lgkmcnt(0)
	s_add_u32 s10, s10, s22
	v_cmp_eq_f64_e64 s[20:21], s[16:17], 0
	s_addc_u32 s11, s11, s23
	v_cmp_neq_f64_e64 s[24:25], s[16:17], 0
	s_and_b64 vcc, exec, s[20:21]
	s_mov_b64 s[20:21], 0
	s_cbranch_vccnz .LBB132_2
; %bb.1:
	s_add_u32 s14, s14, s22
	s_addc_u32 s15, s15, s23
	s_load_dwordx2 s[14:15], s[14:15], 0x0
	s_lshl_b64 s[4:5], s[4:5], 3
	s_waitcnt lgkmcnt(0)
	s_add_u32 s20, s14, s4
	s_addc_u32 s21, s15, s5
.LBB132_2:
	s_load_dwordx2 s[70:71], s[10:11], 0x0
	s_andn2_b64 vcc, exec, s[24:25]
	s_cbranch_vccnz .LBB132_4
; %bb.3:
	s_add_u32 s4, s6, s22
	s_addc_u32 s5, s7, s23
	s_load_dwordx2 s[4:5], s[4:5], 0x0
	s_lshl_b64 s[6:7], s[8:9], 3
	s_waitcnt lgkmcnt(0)
	s_add_u32 s18, s4, s6
	s_addc_u32 s19, s5, s7
.LBB132_4:
	s_load_dwordx4 s[4:7], s[0:1], 0x60
	s_waitcnt lgkmcnt(0)
	v_cmp_eq_f64_e64 s[8:9], s[70:71], 0
	s_mov_b64 s[76:77], 0
	v_cmp_neq_f64_e64 s[10:11], s[70:71], 0
	s_and_b64 vcc, exec, s[8:9]
	s_cbranch_vccnz .LBB132_6
; %bb.5:
	s_add_u32 s8, s12, s22
	s_addc_u32 s9, s13, s23
	s_load_dwordx2 s[8:9], s[8:9], 0x0
	s_lshl_b64 s[4:5], s[4:5], 3
	s_waitcnt lgkmcnt(0)
	s_add_u32 s76, s8, s4
	s_addc_u32 s77, s9, s5
.LBB132_6:
	s_load_dwordx4 s[72:75], s[0:1], 0x0
	s_load_dword s26, s[0:1], 0x20
	s_add_u32 s4, s6, s22
	s_addc_u32 s5, s7, s23
	v_and_b32_e32 v144, 0x3ff, v0
	s_waitcnt lgkmcnt(0)
	s_add_i32 s3, s72, -1
	s_ashr_i32 s6, s3, 31
	s_lshr_b32 s6, s6, 25
	s_add_i32 s3, s3, s6
	s_ashr_i32 s3, s3, 7
	s_add_i32 s6, s3, 1
	v_cvt_f32_u32_e32 v1, s6
	v_bfe_u32 v145, v0, 10, 10
	s_load_dwordx2 s[12:13], s[4:5], 0x0
	s_not_b32 s3, s3
	v_rcp_iflag_f32_e32 v0, v1
	v_lshl_add_u32 v8, v145, 2, v144
	v_lshrrev_b32_e32 v146, 6, v8
	v_and_b32_e32 v142, 63, v8
	v_mul_f32_e32 v0, 0x4f7ffffe, v0
	v_cvt_u32_f32_e32 v0, v0
	v_cmp_le_i32_e32 vcc, s74, v146
	v_cmp_eq_f64_e64 s[14:15], s[16:17], 0
	v_readfirstlane_b32 s4, v0
	s_mul_i32 s3, s3, s4
	s_mul_hi_u32 s3, s4, s3
	s_add_i32 s4, s4, s3
	s_mul_hi_u32 s3, s2, s4
	s_mul_i32 s4, s3, s6
	s_sub_i32 s4, s2, s4
	s_add_i32 s5, s3, 1
	s_sub_i32 s7, s4, s6
	s_cmp_ge_u32 s4, s6
	s_cselect_b32 s3, s5, s3
	s_cselect_b32 s4, s7, s4
	s_add_i32 s5, s3, 1
	s_cmp_ge_u32 s4, s6
	s_cselect_b32 s8, s5, s3
	s_mul_i32 s3, s8, s6
	s_sub_i32 s2, s2, s3
	s_add_i32 s27, s74, -1
	s_lshl_b32 s24, s2, 7
	v_min_i32_e32 v2, s27, v146
	v_or_b32_e32 v128, s24, v142
	v_mad_i64_i32 v[2:3], s[2:3], s26, v2, 0
	v_cmp_le_i32_e64 s[2:3], s72, v128
	s_or_b64 s[4:5], s[2:3], vcc
	v_mov_b64_e32 v[0:1], 0
	s_or_b64 s[4:5], s[14:15], s[4:5]
	v_lshl_add_u64 v[6:7], v[2:3], 3, s[20:21]
	s_xor_b64 s[6:7], s[4:5], -1
	v_ashrrev_i32_e32 v129, 31, v128
	v_mov_b64_e32 v[2:3], v[0:1]
	s_and_saveexec_b64 s[4:5], s[6:7]
	s_cbranch_execz .LBB132_8
; %bb.7:
	v_lshl_add_u64 v[2:3], v[128:129], 3, v[6:7]
	flat_load_dwordx2 v[2:3], v[2:3]
	s_waitcnt vmcnt(0) lgkmcnt(0)
	v_mul_f64 v[2:3], s[16:17], v[2:3]
.LBB132_8:
	s_or_b64 exec, exec, s[4:5]
	v_or_b32_e32 v4, 64, v128
	v_cmp_le_i32_e64 s[4:5], s72, v4
	s_or_b64 s[6:7], s[4:5], vcc
	s_or_b64 s[6:7], s[14:15], s[6:7]
	s_xor_b64 s[22:23], s[6:7], -1
	v_mov_b64_e32 v[4:5], v[0:1]
	s_and_saveexec_b64 s[6:7], s[22:23]
	s_cbranch_execz .LBB132_10
; %bb.9:
	v_lshl_add_u64 v[4:5], v[128:129], 3, v[6:7]
	flat_load_dwordx2 v[4:5], v[4:5] offset:512
	s_waitcnt vmcnt(0) lgkmcnt(0)
	v_mul_f64 v[4:5], s[16:17], v[4:5]
.LBB132_10:
	s_or_b64 exec, exec, s[6:7]
	v_lshrrev_b32_e32 v10, 2, v8
	s_lshl_b32 s25, s8, 7
	s_load_dword s29, s[0:1], 0x38
	v_and_b32_e32 v147, 3, v144
	v_add_u32_e32 v138, s25, v10
	v_cmp_le_i32_e32 vcc, s74, v147
	v_cmp_le_i32_e64 s[6:7], s73, v138
	v_min_i32_e32 v6, s27, v147
	s_or_b64 s[8:9], vcc, s[6:7]
	v_ashrrev_i32_e32 v7, 31, v6
	s_or_b64 s[8:9], s[14:15], s[8:9]
	v_lshl_add_u64 v[8:9], v[6:7], 3, s[18:19]
	s_xor_b64 s[22:23], s[8:9], -1
	s_and_saveexec_b64 s[8:9], s[22:23]
	s_cbranch_execz .LBB132_12
; %bb.11:
	s_waitcnt lgkmcnt(0)
	v_mad_i64_i32 v[0:1], s[22:23], v138, s29, 0
	v_lshl_add_u64 v[0:1], v[0:1], 3, v[8:9]
	flat_load_dwordx2 v[0:1], v[0:1]
	s_waitcnt vmcnt(0) lgkmcnt(0)
	v_mul_f64 v[0:1], s[16:17], v[0:1]
.LBB132_12:
	s_or_b64 exec, exec, s[8:9]
	v_add_u32_e32 v139, 64, v138
	v_cmp_le_i32_e64 s[8:9], s73, v139
	s_or_b64 s[22:23], vcc, s[8:9]
	s_or_b64 s[22:23], s[14:15], s[22:23]
	v_mov_b64_e32 v[130:131], 0
	s_xor_b64 s[30:31], s[22:23], -1
	v_mov_b64_e32 v[6:7], v[130:131]
	s_and_saveexec_b64 s[22:23], s[30:31]
	s_cbranch_execz .LBB132_14
; %bb.13:
	s_waitcnt lgkmcnt(0)
	v_mad_i64_i32 v[6:7], s[30:31], v139, s29, 0
	v_lshl_add_u64 v[6:7], v[6:7], 3, v[8:9]
	flat_load_dwordx2 v[6:7], v[6:7]
	s_waitcnt vmcnt(0) lgkmcnt(0)
	v_mul_f64 v[6:7], s[16:17], v[6:7]
.LBB132_14:
	s_or_b64 exec, exec, s[22:23]
	v_add_u32_e32 v8, 4, v146
	v_cmp_le_i32_e32 vcc, s74, v8
	v_min_i32_e32 v8, s27, v8
	v_mad_i64_i32 v[8:9], s[22:23], s26, v8, 0
	s_or_b64 s[22:23], s[2:3], vcc
	s_or_b64 s[22:23], s[14:15], s[22:23]
	v_lshl_add_u64 v[8:9], v[8:9], 3, s[20:21]
	s_xor_b64 s[30:31], s[22:23], -1
	s_and_saveexec_b64 s[22:23], s[30:31]
	s_cbranch_execz .LBB132_16
; %bb.15:
	v_lshl_add_u64 v[12:13], v[128:129], 3, v[8:9]
	flat_load_dwordx2 v[12:13], v[12:13]
	s_waitcnt vmcnt(0) lgkmcnt(0)
	v_mul_f64 v[130:131], s[16:17], v[12:13]
.LBB132_16:
	s_or_b64 exec, exec, s[22:23]
	s_or_b64 s[22:23], s[4:5], vcc
	s_or_b64 s[22:23], s[14:15], s[22:23]
	v_mov_b64_e32 v[132:133], 0
	s_xor_b64 s[30:31], s[22:23], -1
	v_mov_b64_e32 v[134:135], v[132:133]
	s_and_saveexec_b64 s[22:23], s[30:31]
	s_cbranch_execz .LBB132_18
; %bb.17:
	v_lshl_add_u64 v[8:9], v[128:129], 3, v[8:9]
	flat_load_dwordx2 v[8:9], v[8:9] offset:512
	s_waitcnt vmcnt(0) lgkmcnt(0)
	v_mul_f64 v[134:135], s[16:17], v[8:9]
.LBB132_18:
	s_or_b64 exec, exec, s[22:23]
	v_or_b32_e32 v8, 4, v147
	v_cmp_le_i32_e32 vcc, s74, v8
	v_min_i32_e32 v8, s27, v8
	s_or_b64 s[22:23], vcc, s[6:7]
	v_ashrrev_i32_e32 v9, 31, v8
	s_or_b64 s[22:23], s[14:15], s[22:23]
	v_lshl_add_u64 v[8:9], v[8:9], 3, s[18:19]
	s_xor_b64 s[30:31], s[22:23], -1
	s_and_saveexec_b64 s[22:23], s[30:31]
	s_cbranch_execz .LBB132_20
; %bb.19:
	s_waitcnt lgkmcnt(0)
	v_mad_i64_i32 v[12:13], s[30:31], v138, s29, 0
	v_lshl_add_u64 v[12:13], v[12:13], 3, v[8:9]
	flat_load_dwordx2 v[12:13], v[12:13]
	s_waitcnt vmcnt(0) lgkmcnt(0)
	v_mul_f64 v[132:133], s[16:17], v[12:13]
.LBB132_20:
	s_or_b64 exec, exec, s[22:23]
	s_or_b64 s[22:23], vcc, s[8:9]
	s_or_b64 s[22:23], s[14:15], s[22:23]
	v_mov_b64_e32 v[124:125], 0
	s_xor_b64 s[30:31], s[22:23], -1
	v_mov_b64_e32 v[136:137], v[124:125]
	s_and_saveexec_b64 s[22:23], s[30:31]
	s_cbranch_execz .LBB132_22
; %bb.21:
	s_waitcnt lgkmcnt(0)
	v_mad_i64_i32 v[12:13], s[30:31], v139, s29, 0
	v_lshl_add_u64 v[8:9], v[12:13], 3, v[8:9]
	flat_load_dwordx2 v[8:9], v[8:9]
	s_waitcnt vmcnt(0) lgkmcnt(0)
	v_mul_f64 v[136:137], s[16:17], v[8:9]
.LBB132_22:
	s_or_b64 exec, exec, s[22:23]
	v_lshlrev_b32_e32 v8, 3, v146
	v_lshl_add_u32 v148, v142, 5, v8
	ds_write2st64_b64 v148, v[2:3], v[4:5] offset1:4
	v_lshlrev_b32_e32 v2, 3, v147
	v_lshl_or_b32 v141, v10, 5, v2
	v_lshlrev_b32_e32 v140, 5, v145
	v_add_u32_e32 v149, 0x2000, v141
	ds_write2st64_b64 v141, v[0:1], v[6:7] offset0:16 offset1:20
	v_lshlrev_b32_e32 v150, 5, v144
	v_add_u32_e32 v151, 0x2000, v140
	s_mov_b32 s22, 0
	v_mov_b64_e32 v[126:127], v[124:125]
	v_mov_b64_e32 v[122:123], v[124:125]
	;; [unrolled: 1-line block ×63, first 2 shown]
	s_waitcnt lgkmcnt(0)
	s_barrier
.LBB132_23:                             ; =>This Inner Loop Header: Depth=1
	v_add_u32_e32 v143, s22, v150
	v_add_u32_e32 v184, s22, v151
	ds_read2_b64 v[152:155], v143 offset1:16
	ds_read2_b64 v[156:159], v143 offset0:32 offset1:48
	ds_read2_b64 v[160:163], v143 offset0:64 offset1:80
	;; [unrolled: 1-line block ×7, first 2 shown]
	ds_read2st64_b64 v[184:187], v184 offset1:4
	v_add_u32_e32 v143, 0x800, v143
	ds_read2_b64 v[188:191], v143 offset1:16
	ds_read2_b64 v[192:195], v143 offset0:32 offset1:48
	ds_read2_b64 v[196:199], v143 offset0:64 offset1:80
	;; [unrolled: 1-line block ×7, first 2 shown]
	s_waitcnt lgkmcnt(14)
	v_max_f64 v[152:153], v[152:153], v[152:153]
	v_max_f64 v[154:155], v[154:155], v[154:155]
	;; [unrolled: 1-line block ×6, first 2 shown]
	s_waitcnt lgkmcnt(13)
	v_max_f64 v[164:165], v[164:165], v[164:165]
	v_max_f64 v[166:167], v[166:167], v[166:167]
	s_waitcnt lgkmcnt(12)
	v_max_f64 v[168:169], v[168:169], v[168:169]
	v_max_f64 v[170:171], v[170:171], v[170:171]
	;; [unrolled: 3-line block ×14, first 2 shown]
	v_min_f64 v[220:221], v[152:153], v[184:185]
	v_min_f64 v[222:223], v[154:155], v[184:185]
	;; [unrolled: 1-line block ×32, first 2 shown]
	s_add_i32 s22, s22, 8
	v_add_f64 v[62:63], v[152:153], v[62:63]
	v_add_f64 v[60:61], v[154:155], v[60:61]
	;; [unrolled: 1-line block ×16, first 2 shown]
	v_min_f64 v[152:153], v[188:189], v[184:185]
	v_min_f64 v[154:155], v[190:191], v[184:185]
	;; [unrolled: 1-line block ×32, first 2 shown]
	s_cmp_eq_u32 s22, 32
	v_add_f64 v[124:125], v[220:221], v[124:125]
	v_add_f64 v[126:127], v[222:223], v[126:127]
	;; [unrolled: 1-line block ×48, first 2 shown]
	s_cbranch_scc0 .LBB132_23
; %bb.24:
	v_lshlrev_b32_e32 v142, 5, v142
	v_lshl_add_u32 v142, v146, 3, v142
	s_cmp_gt_i32 s74, 8
	ds_write2st64_b64 v142, v[130:131], v[134:135] offset0:8 offset1:12
	ds_write2st64_b64 v141, v[132:133], v[136:137] offset0:24 offset1:28
	s_waitcnt lgkmcnt(0)
	s_barrier
	s_cbranch_scc1 .LBB132_26
; %bb.25:
	v_add_u32_e32 v152, 0x1000, v150
	v_add_u32_e32 v153, 0x3000, v140
	s_cbranch_execz .LBB132_27
	s_branch .LBB132_49
.LBB132_26:
                                        ; implicit-def: $vgpr152
                                        ; implicit-def: $vgpr153
.LBB132_27:
	v_or_b32_e32 v154, 0x1000, v142
	v_add_u32_e32 v155, 0x3000, v141
	s_add_i32 s28, s74, -8
	v_mad_i64_i32 v[130:131], s[22:23], v138, s29, 0
	v_mad_i64_i32 v[132:133], s[22:23], v139, s29, 0
	v_add_u32_e32 v152, 0x1000, v150
	v_add_u32_e32 v153, 0x3000, v140
	s_mov_b32 s29, 8
	s_mov_b32 s30, 0
.LBB132_28:                             ; =>This Loop Header: Depth=1
                                        ;     Child Loop BB132_37 Depth 2
                                        ;     Child Loop BB132_47 Depth 2
	v_add_u32_e32 v134, s29, v146
	v_cmp_le_i32_e32 vcc, s74, v134
	v_min_i32_e32 v134, s27, v134
	v_mad_i64_i32 v[134:135], s[22:23], v134, s26, 0
	s_or_b64 s[22:23], s[2:3], vcc
	v_lshl_add_u64 v[136:137], v[134:135], 3, s[20:21]
	s_or_b64 s[22:23], s[14:15], s[22:23]
	v_mov_b64_e32 v[134:135], 0
	s_xor_b64 s[34:35], s[22:23], -1
	v_lshl_add_u64 v[138:139], v[128:129], 3, v[136:137]
	v_mov_b64_e32 v[136:137], v[134:135]
	s_and_saveexec_b64 s[22:23], s[34:35]
	s_cbranch_execz .LBB132_30
; %bb.29:                               ;   in Loop: Header=BB132_28 Depth=1
	flat_load_dwordx2 v[136:137], v[138:139]
	s_waitcnt vmcnt(0) lgkmcnt(0)
	v_mul_f64 v[136:137], s[16:17], v[136:137]
.LBB132_30:                             ;   in Loop: Header=BB132_28 Depth=1
	s_or_b64 exec, exec, s[22:23]
	s_or_b64 s[22:23], s[4:5], vcc
	s_or_b64 s[22:23], s[14:15], s[22:23]
	s_xor_b64 s[34:35], s[22:23], -1
	s_and_saveexec_b64 s[22:23], s[34:35]
	s_cbranch_execz .LBB132_32
; %bb.31:                               ;   in Loop: Header=BB132_28 Depth=1
	flat_load_dwordx2 v[134:135], v[138:139] offset:512
	s_waitcnt vmcnt(0) lgkmcnt(0)
	v_mul_f64 v[134:135], s[16:17], v[134:135]
.LBB132_32:                             ;   in Loop: Header=BB132_28 Depth=1
	s_or_b64 exec, exec, s[22:23]
	v_or_b32_e32 v156, s29, v147
	v_cmp_le_i32_e32 vcc, s74, v156
	v_min_i32_e32 v138, s27, v156
	v_ashrrev_i32_e32 v139, 31, v138
	s_or_b64 s[22:23], s[6:7], vcc
	v_lshl_add_u64 v[142:143], v[138:139], 3, s[18:19]
	s_or_b64 s[22:23], s[14:15], s[22:23]
	v_mov_b64_e32 v[138:139], 0
	s_xor_b64 s[34:35], s[22:23], -1
	v_mov_b64_e32 v[140:141], v[138:139]
	s_and_saveexec_b64 s[22:23], s[34:35]
	s_cbranch_execz .LBB132_34
; %bb.33:                               ;   in Loop: Header=BB132_28 Depth=1
	v_lshl_add_u64 v[140:141], v[130:131], 3, v[142:143]
	flat_load_dwordx2 v[140:141], v[140:141]
	s_waitcnt vmcnt(0) lgkmcnt(0)
	v_mul_f64 v[140:141], s[16:17], v[140:141]
.LBB132_34:                             ;   in Loop: Header=BB132_28 Depth=1
	s_or_b64 exec, exec, s[22:23]
	s_or_b64 s[22:23], s[8:9], vcc
	s_or_b64 s[22:23], s[14:15], s[22:23]
	s_xor_b64 s[34:35], s[22:23], -1
	s_and_saveexec_b64 s[22:23], s[34:35]
	s_cbranch_execz .LBB132_36
; %bb.35:                               ;   in Loop: Header=BB132_28 Depth=1
	v_lshl_add_u64 v[138:139], v[132:133], 3, v[142:143]
	flat_load_dwordx2 v[138:139], v[138:139]
	s_waitcnt vmcnt(0) lgkmcnt(0)
	v_mul_f64 v[138:139], s[16:17], v[138:139]
.LBB132_36:                             ;   in Loop: Header=BB132_28 Depth=1
	s_or_b64 exec, exec, s[22:23]
	s_mov_b32 s22, 0
.LBB132_37:                             ;   Parent Loop BB132_28 Depth=1
                                        ; =>  This Inner Loop Header: Depth=2
	v_add_u32_e32 v142, s22, v152
	ds_read2_b64 v[158:161], v142 offset1:16
	ds_read2_b64 v[162:165], v142 offset0:32 offset1:48
	ds_read2_b64 v[166:169], v142 offset0:64 offset1:80
	;; [unrolled: 1-line block ×7, first 2 shown]
	v_add_u32_e32 v142, 0x800, v142
	ds_read2_b64 v[190:193], v142 offset1:16
	ds_read2_b64 v[194:197], v142 offset0:32 offset1:48
	ds_read2_b64 v[198:201], v142 offset0:64 offset1:80
	ds_read2_b64 v[202:205], v142 offset0:96 offset1:112
	ds_read2_b64 v[206:209], v142 offset0:128 offset1:144
	ds_read2_b64 v[210:213], v142 offset0:160 offset1:176
	ds_read2_b64 v[214:217], v142 offset0:192 offset1:208
	ds_read2_b64 v[218:221], v142 offset0:224 offset1:240
	v_add_u32_e32 v142, s22, v153
	ds_read2st64_b64 v[222:225], v142 offset1:4
	s_waitcnt lgkmcnt(14)
	v_max_f64 v[158:159], v[158:159], v[158:159]
	v_max_f64 v[160:161], v[160:161], v[160:161]
	;; [unrolled: 1-line block ×4, first 2 shown]
	s_waitcnt lgkmcnt(0)
	v_max_f64 v[142:143], v[222:223], v[222:223]
	v_min_f64 v[222:223], v[158:159], v[142:143]
	v_add_f64 v[124:125], v[222:223], v[124:125]
	v_min_f64 v[222:223], v[160:161], v[142:143]
	v_add_f64 v[126:127], v[222:223], v[126:127]
	;; [unrolled: 2-line block ×3, first 2 shown]
	v_min_f64 v[222:223], v[164:165], v[142:143]
	v_max_f64 v[166:167], v[166:167], v[166:167]
	v_add_f64 v[120:121], v[222:223], v[120:121]
	v_min_f64 v[222:223], v[166:167], v[142:143]
	v_max_f64 v[168:169], v[168:169], v[168:169]
	v_add_f64 v[118:119], v[222:223], v[118:119]
	;; [unrolled: 3-line block ×26, first 2 shown]
	v_min_f64 v[222:223], v[216:217], v[142:143]
	v_max_f64 v[218:219], v[218:219], v[218:219]
	v_max_f64 v[220:221], v[220:221], v[220:221]
	v_add_f64 v[68:69], v[222:223], v[68:69]
	v_min_f64 v[222:223], v[218:219], v[142:143]
	v_min_f64 v[142:143], v[220:221], v[142:143]
	v_add_f64 v[64:65], v[142:143], v[64:65]
	v_max_f64 v[142:143], v[224:225], v[224:225]
	v_min_f64 v[158:159], v[158:159], v[142:143]
	v_add_f64 v[62:63], v[158:159], v[62:63]
	v_min_f64 v[158:159], v[160:161], v[142:143]
	v_add_f64 v[60:61], v[158:159], v[60:61]
	;; [unrolled: 2-line block ×30, first 2 shown]
	v_min_f64 v[158:159], v[218:219], v[142:143]
	v_min_f64 v[142:143], v[220:221], v[142:143]
	s_add_i32 s22, s22, 8
	v_add_f64 v[66:67], v[222:223], v[66:67]
	v_add_f64 v[2:3], v[158:159], v[2:3]
	;; [unrolled: 1-line block ×3, first 2 shown]
	s_cmp_eq_u32 s22, 32
	s_cbranch_scc0 .LBB132_37
; %bb.38:                               ;   in Loop: Header=BB132_28 Depth=1
	ds_write2st64_b64 v148, v[136:137], v[134:135] offset1:4
	ds_write2st64_b64 v149, v[140:141], v[138:139] offset1:4
	v_add3_u32 v134, v146, s29, 4
	v_cmp_le_i32_e32 vcc, s74, v134
	v_min_i32_e32 v134, s27, v134
	v_mad_i64_i32 v[134:135], s[22:23], v134, s26, 0
	s_or_b64 s[22:23], s[2:3], vcc
	v_lshl_add_u64 v[136:137], v[134:135], 3, s[20:21]
	s_or_b64 s[22:23], s[14:15], s[22:23]
	v_mov_b64_e32 v[134:135], 0
	s_xor_b64 s[34:35], s[22:23], -1
	v_lshl_add_u64 v[138:139], v[128:129], 3, v[136:137]
	v_mov_b64_e32 v[136:137], v[134:135]
	s_waitcnt lgkmcnt(0)
	s_barrier
	s_and_saveexec_b64 s[22:23], s[34:35]
	s_cbranch_execz .LBB132_40
; %bb.39:                               ;   in Loop: Header=BB132_28 Depth=1
	flat_load_dwordx2 v[136:137], v[138:139]
	s_waitcnt vmcnt(0) lgkmcnt(0)
	v_mul_f64 v[136:137], s[16:17], v[136:137]
.LBB132_40:                             ;   in Loop: Header=BB132_28 Depth=1
	s_or_b64 exec, exec, s[22:23]
	s_or_b64 s[22:23], s[4:5], vcc
	s_or_b64 s[22:23], s[14:15], s[22:23]
	s_xor_b64 s[34:35], s[22:23], -1
	s_and_saveexec_b64 s[22:23], s[34:35]
	s_cbranch_execz .LBB132_42
; %bb.41:                               ;   in Loop: Header=BB132_28 Depth=1
	flat_load_dwordx2 v[134:135], v[138:139] offset:512
	s_waitcnt vmcnt(0) lgkmcnt(0)
	v_mul_f64 v[134:135], s[16:17], v[134:135]
.LBB132_42:                             ;   in Loop: Header=BB132_28 Depth=1
	s_or_b64 exec, exec, s[22:23]
	v_or_b32_e32 v138, 4, v156
	v_cmp_le_i32_e32 vcc, s74, v138
	v_min_i32_e32 v138, s27, v138
	v_ashrrev_i32_e32 v139, 31, v138
	s_or_b64 s[22:23], s[6:7], vcc
	v_lshl_add_u64 v[142:143], v[138:139], 3, s[18:19]
	s_or_b64 s[22:23], s[14:15], s[22:23]
	v_mov_b64_e32 v[138:139], 0
	s_xor_b64 s[34:35], s[22:23], -1
	v_mov_b64_e32 v[140:141], v[138:139]
	s_and_saveexec_b64 s[22:23], s[34:35]
	s_cbranch_execz .LBB132_44
; %bb.43:                               ;   in Loop: Header=BB132_28 Depth=1
	v_lshl_add_u64 v[140:141], v[130:131], 3, v[142:143]
	flat_load_dwordx2 v[140:141], v[140:141]
	s_waitcnt vmcnt(0) lgkmcnt(0)
	v_mul_f64 v[140:141], s[16:17], v[140:141]
.LBB132_44:                             ;   in Loop: Header=BB132_28 Depth=1
	s_or_b64 exec, exec, s[22:23]
	s_or_b64 s[22:23], s[8:9], vcc
	s_or_b64 s[22:23], s[14:15], s[22:23]
	s_xor_b64 s[34:35], s[22:23], -1
	s_and_saveexec_b64 s[22:23], s[34:35]
	s_cbranch_execz .LBB132_46
; %bb.45:                               ;   in Loop: Header=BB132_28 Depth=1
	v_lshl_add_u64 v[138:139], v[132:133], 3, v[142:143]
	flat_load_dwordx2 v[138:139], v[138:139]
	s_waitcnt vmcnt(0) lgkmcnt(0)
	v_mul_f64 v[138:139], s[16:17], v[138:139]
.LBB132_46:                             ;   in Loop: Header=BB132_28 Depth=1
	s_or_b64 exec, exec, s[22:23]
	s_mov_b32 s22, 0
.LBB132_47:                             ;   Parent Loop BB132_28 Depth=1
                                        ; =>  This Inner Loop Header: Depth=2
	v_add_u32_e32 v142, s22, v150
	v_add_u32_e32 v143, s22, v151
	ds_read2_b64 v[156:159], v142 offset1:16
	ds_read2_b64 v[160:163], v142 offset0:32 offset1:48
	ds_read2_b64 v[164:167], v142 offset0:64 offset1:80
	;; [unrolled: 1-line block ×7, first 2 shown]
	v_add_u32_e32 v142, 0x800, v142
	ds_read2st64_b64 v[188:191], v143 offset1:4
	ds_read2_b64 v[192:195], v142 offset1:16
	ds_read2_b64 v[196:199], v142 offset0:32 offset1:48
	ds_read2_b64 v[200:203], v142 offset0:64 offset1:80
	;; [unrolled: 1-line block ×7, first 2 shown]
	s_waitcnt lgkmcnt(14)
	v_max_f64 v[156:157], v[156:157], v[156:157]
	v_max_f64 v[158:159], v[158:159], v[158:159]
	;; [unrolled: 1-line block ×3, first 2 shown]
	s_waitcnt lgkmcnt(8)
	v_max_f64 v[142:143], v[188:189], v[188:189]
	v_max_f64 v[162:163], v[162:163], v[162:163]
	;; [unrolled: 1-line block ×15, first 2 shown]
	v_min_f64 v[190:191], v[156:157], v[142:143]
	v_min_f64 v[224:225], v[158:159], v[142:143]
	;; [unrolled: 1-line block ×16, first 2 shown]
	s_waitcnt lgkmcnt(7)
	v_max_f64 v[192:193], v[192:193], v[192:193]
	v_max_f64 v[194:195], v[194:195], v[194:195]
	s_waitcnt lgkmcnt(6)
	v_max_f64 v[196:197], v[196:197], v[196:197]
	v_max_f64 v[198:199], v[198:199], v[198:199]
	;; [unrolled: 3-line block ×8, first 2 shown]
	v_min_f64 v[156:157], v[156:157], v[188:189]
	v_min_f64 v[158:159], v[158:159], v[188:189]
	;; [unrolled: 1-line block ×16, first 2 shown]
	s_add_i32 s22, s22, 8
	v_add_f64 v[124:125], v[190:191], v[124:125]
	v_add_f64 v[126:127], v[224:225], v[126:127]
	;; [unrolled: 1-line block ×15, first 2 shown]
	v_min_f64 v[190:191], v[192:193], v[142:143]
	v_min_f64 v[224:225], v[194:195], v[142:143]
	;; [unrolled: 1-line block ×16, first 2 shown]
	v_add_f64 v[62:63], v[156:157], v[62:63]
	v_add_f64 v[60:61], v[158:159], v[60:61]
	;; [unrolled: 1-line block ×16, first 2 shown]
	v_min_f64 v[156:157], v[192:193], v[188:189]
	v_min_f64 v[158:159], v[194:195], v[188:189]
	;; [unrolled: 1-line block ×16, first 2 shown]
	s_cmp_eq_u32 s22, 32
	v_add_f64 v[96:97], v[252:253], v[96:97]
	v_add_f64 v[94:95], v[190:191], v[94:95]
	v_add_f64 v[92:93], v[224:225], v[92:93]
	v_add_f64 v[90:91], v[226:227], v[90:91]
	v_add_f64 v[88:89], v[228:229], v[88:89]
	v_add_f64 v[86:87], v[230:231], v[86:87]
	v_add_f64 v[84:85], v[232:233], v[84:85]
	v_add_f64 v[82:83], v[234:235], v[82:83]
	v_add_f64 v[80:81], v[236:237], v[80:81]
	v_add_f64 v[78:79], v[238:239], v[78:79]
	v_add_f64 v[76:77], v[240:241], v[76:77]
	v_add_f64 v[74:75], v[242:243], v[74:75]
	v_add_f64 v[72:73], v[244:245], v[72:73]
	v_add_f64 v[70:71], v[246:247], v[70:71]
	v_add_f64 v[68:69], v[248:249], v[68:69]
	v_add_f64 v[66:67], v[250:251], v[66:67]
	v_add_f64 v[64:65], v[142:143], v[64:65]
	v_add_f64 v[30:31], v[156:157], v[30:31]
	v_add_f64 v[28:29], v[158:159], v[28:29]
	v_add_f64 v[26:27], v[160:161], v[26:27]
	v_add_f64 v[24:25], v[162:163], v[24:25]
	v_add_f64 v[22:23], v[164:165], v[22:23]
	v_add_f64 v[20:21], v[166:167], v[20:21]
	v_add_f64 v[18:19], v[168:169], v[18:19]
	v_add_f64 v[16:17], v[170:171], v[16:17]
	v_add_f64 v[14:15], v[172:173], v[14:15]
	v_add_f64 v[12:13], v[174:175], v[12:13]
	v_add_f64 v[10:11], v[176:177], v[10:11]
	v_add_f64 v[8:9], v[178:179], v[8:9]
	v_add_f64 v[6:7], v[180:181], v[6:7]
	v_add_f64 v[4:5], v[182:183], v[4:5]
	v_add_f64 v[2:3], v[184:185], v[2:3]
	v_add_f64 v[0:1], v[186:187], v[0:1]
	s_cbranch_scc0 .LBB132_47
; %bb.48:                               ;   in Loop: Header=BB132_28 Depth=1
	s_add_i32 s29, s29, 8
	s_add_i32 s30, s30, 8
	s_cmp_ge_i32 s30, s28
	ds_write2st64_b64 v154, v[136:137], v[134:135] offset1:4
	ds_write2st64_b64 v155, v[140:141], v[138:139] offset1:4
	s_waitcnt lgkmcnt(0)
	s_barrier
	s_cbranch_scc0 .LBB132_28
.LBB132_49:
	s_mov_b32 s2, 0
.LBB132_50:                             ; =>This Inner Loop Header: Depth=1
	v_add_u32_e32 v150, s2, v152
	v_add_u32_e32 v151, s2, v153
	ds_read2_b64 v[128:131], v150 offset1:16
	ds_read2_b64 v[132:135], v150 offset0:32 offset1:48
	ds_read2_b64 v[136:139], v150 offset0:64 offset1:80
	;; [unrolled: 1-line block ×7, first 2 shown]
	v_add_u32_e32 v150, 0x800, v150
	ds_read2st64_b64 v[166:169], v151 offset1:4
	ds_read2_b64 v[170:173], v150 offset1:16
	ds_read2_b64 v[174:177], v150 offset0:32 offset1:48
	ds_read2_b64 v[178:181], v150 offset0:64 offset1:80
	;; [unrolled: 1-line block ×7, first 2 shown]
	s_waitcnt lgkmcnt(14)
	v_max_f64 v[128:129], v[128:129], v[128:129]
	v_max_f64 v[130:131], v[130:131], v[130:131]
	;; [unrolled: 1-line block ×3, first 2 shown]
	s_waitcnt lgkmcnt(8)
	v_max_f64 v[150:151], v[166:167], v[166:167]
	v_max_f64 v[134:135], v[134:135], v[134:135]
	;; [unrolled: 1-line block ×15, first 2 shown]
	v_min_f64 v[168:169], v[128:129], v[150:151]
	v_min_f64 v[202:203], v[130:131], v[150:151]
	;; [unrolled: 1-line block ×16, first 2 shown]
	s_waitcnt lgkmcnt(7)
	v_max_f64 v[170:171], v[170:171], v[170:171]
	v_max_f64 v[172:173], v[172:173], v[172:173]
	s_waitcnt lgkmcnt(6)
	v_max_f64 v[174:175], v[174:175], v[174:175]
	v_max_f64 v[176:177], v[176:177], v[176:177]
	;; [unrolled: 3-line block ×8, first 2 shown]
	v_min_f64 v[128:129], v[128:129], v[166:167]
	v_min_f64 v[130:131], v[130:131], v[166:167]
	;; [unrolled: 1-line block ×16, first 2 shown]
	s_add_i32 s2, s2, 8
	v_add_f64 v[124:125], v[168:169], v[124:125]
	v_add_f64 v[126:127], v[202:203], v[126:127]
	;; [unrolled: 1-line block ×15, first 2 shown]
	v_min_f64 v[168:169], v[170:171], v[150:151]
	v_min_f64 v[202:203], v[172:173], v[150:151]
	;; [unrolled: 1-line block ×16, first 2 shown]
	v_add_f64 v[62:63], v[128:129], v[62:63]
	v_add_f64 v[60:61], v[130:131], v[60:61]
	;; [unrolled: 1-line block ×16, first 2 shown]
	v_min_f64 v[128:129], v[170:171], v[166:167]
	v_min_f64 v[130:131], v[172:173], v[166:167]
	;; [unrolled: 1-line block ×16, first 2 shown]
	s_cmp_eq_u32 s2, 32
	v_add_f64 v[96:97], v[230:231], v[96:97]
	v_add_f64 v[94:95], v[168:169], v[94:95]
	;; [unrolled: 1-line block ×33, first 2 shown]
	s_cbranch_scc0 .LBB132_50
; %bb.51:
	s_load_dwordx2 s[2:3], s[0:1], 0x78
	s_load_dword s78, s[0:1], 0x58
	s_load_dword s33, s[0:1], 0x70
	v_add_u32_e32 v136, s25, v145
	v_add_u32_e32 v128, s24, v144
	s_waitcnt lgkmcnt(0)
	s_lshl_b64 s[0:1], s[2:3], 3
	s_add_u32 s74, s12, s0
	s_addc_u32 s75, s13, s1
	v_mad_i64_i32 v[130:131], s[0:1], v136, s78, 0
	v_cmp_gt_i32_e64 s[24:25], s73, v136
	v_lshl_add_u64 v[132:133], v[130:131], 3, s[76:77]
	v_mad_i64_i32 v[130:131], s[0:1], v136, s33, 0
	v_cmp_gt_i32_e64 s[2:3], s72, v128
	v_cndmask_b32_e64 v134, 0, 1, s[10:11]
	v_lshl_add_u64 v[130:131], v[130:131], 3, s[74:75]
	s_and_b64 s[6:7], s[24:25], s[2:3]
	v_ashrrev_i32_e32 v129, 31, v128
	v_cmp_ne_u32_e64 s[0:1], 1, v134
	s_and_saveexec_b64 s[4:5], s[6:7]
	s_cbranch_execz .LBB132_56
; %bb.52:
	s_and_b64 vcc, exec, s[0:1]
	s_cbranch_vccnz .LBB132_54
; %bb.53:
	v_lshl_add_u64 v[134:135], v[128:129], 3, v[132:133]
	flat_load_dwordx2 v[134:135], v[134:135]
	s_waitcnt vmcnt(0) lgkmcnt(0)
	v_mul_f64 v[134:135], s[70:71], v[134:135]
	s_branch .LBB132_55
.LBB132_54:
	v_mov_b64_e32 v[134:135], 0
.LBB132_55:
	v_add_f64 v[124:125], v[124:125], v[134:135]
	v_lshl_add_u64 v[134:135], v[128:129], 3, v[130:131]
	global_store_dwordx2 v[134:135], v[124:125], off
.LBB132_56:
	s_or_b64 exec, exec, s[4:5]
	v_add_u32_e32 v124, 4, v128
	v_cmp_gt_i32_e64 s[4:5], s72, v124
	s_and_b64 s[8:9], s[24:25], s[4:5]
	v_ashrrev_i32_e32 v125, 31, v124
	s_and_saveexec_b64 s[6:7], s[8:9]
	s_cbranch_execz .LBB132_61
; %bb.57:
	s_and_b64 vcc, exec, s[0:1]
	s_cbranch_vccnz .LBB132_59
; %bb.58:
	v_lshl_add_u64 v[134:135], v[124:125], 3, v[132:133]
	flat_load_dwordx2 v[134:135], v[134:135]
	s_waitcnt vmcnt(0) lgkmcnt(0)
	v_mul_f64 v[134:135], s[70:71], v[134:135]
	s_branch .LBB132_60
.LBB132_59:
	v_mov_b64_e32 v[134:135], 0
.LBB132_60:
	v_add_f64 v[126:127], v[126:127], v[134:135]
	v_lshl_add_u64 v[134:135], v[124:125], 3, v[130:131]
	global_store_dwordx2 v[134:135], v[126:127], off
.LBB132_61:
	s_or_b64 exec, exec, s[6:7]
	v_add_u32_e32 v126, 8, v128
	v_cmp_gt_i32_e64 s[6:7], s72, v126
	s_and_b64 s[10:11], s[24:25], s[6:7]
	v_ashrrev_i32_e32 v127, 31, v126
	s_and_saveexec_b64 s[8:9], s[10:11]
	s_cbranch_execz .LBB132_66
; %bb.62:
	s_and_b64 vcc, exec, s[0:1]
	s_cbranch_vccnz .LBB132_64
; %bb.63:
	v_lshl_add_u64 v[134:135], v[126:127], 3, v[132:133]
	flat_load_dwordx2 v[134:135], v[134:135]
	s_waitcnt vmcnt(0) lgkmcnt(0)
	v_mul_f64 v[134:135], s[70:71], v[134:135]
	s_branch .LBB132_65
.LBB132_64:
	v_mov_b64_e32 v[134:135], 0
.LBB132_65:
	v_add_f64 v[122:123], v[122:123], v[134:135]
	v_lshl_add_u64 v[134:135], v[126:127], 3, v[130:131]
	global_store_dwordx2 v[134:135], v[122:123], off
.LBB132_66:
	s_or_b64 exec, exec, s[8:9]
	v_add_u32_e32 v122, 12, v128
	v_cmp_gt_i32_e64 s[8:9], s72, v122
	s_and_b64 s[12:13], s[24:25], s[8:9]
	v_ashrrev_i32_e32 v123, 31, v122
	s_and_saveexec_b64 s[10:11], s[12:13]
	s_cbranch_execz .LBB132_71
; %bb.67:
	s_and_b64 vcc, exec, s[0:1]
	s_cbranch_vccnz .LBB132_69
; %bb.68:
	v_lshl_add_u64 v[134:135], v[122:123], 3, v[132:133]
	flat_load_dwordx2 v[134:135], v[134:135]
	s_waitcnt vmcnt(0) lgkmcnt(0)
	v_mul_f64 v[134:135], s[70:71], v[134:135]
	s_branch .LBB132_70
.LBB132_69:
	v_mov_b64_e32 v[134:135], 0
.LBB132_70:
	v_add_f64 v[120:121], v[120:121], v[134:135]
	v_lshl_add_u64 v[134:135], v[122:123], 3, v[130:131]
	global_store_dwordx2 v[134:135], v[120:121], off
.LBB132_71:
	s_or_b64 exec, exec, s[10:11]
	v_add_u32_e32 v120, 16, v128
	v_cmp_gt_i32_e64 s[10:11], s72, v120
	s_and_b64 s[14:15], s[24:25], s[10:11]
	v_ashrrev_i32_e32 v121, 31, v120
	s_and_saveexec_b64 s[12:13], s[14:15]
	s_cbranch_execz .LBB132_76
; %bb.72:
	s_and_b64 vcc, exec, s[0:1]
	s_cbranch_vccnz .LBB132_74
; %bb.73:
	v_lshl_add_u64 v[134:135], v[120:121], 3, v[132:133]
	flat_load_dwordx2 v[134:135], v[134:135]
	s_waitcnt vmcnt(0) lgkmcnt(0)
	v_mul_f64 v[134:135], s[70:71], v[134:135]
	s_branch .LBB132_75
.LBB132_74:
	v_mov_b64_e32 v[134:135], 0
.LBB132_75:
	v_add_f64 v[118:119], v[118:119], v[134:135]
	v_lshl_add_u64 v[134:135], v[120:121], 3, v[130:131]
	global_store_dwordx2 v[134:135], v[118:119], off
.LBB132_76:
	s_or_b64 exec, exec, s[12:13]
	v_add_u32_e32 v118, 20, v128
	v_cmp_gt_i32_e64 s[12:13], s72, v118
	s_and_b64 s[16:17], s[24:25], s[12:13]
	v_ashrrev_i32_e32 v119, 31, v118
	s_and_saveexec_b64 s[14:15], s[16:17]
	s_cbranch_execz .LBB132_81
; %bb.77:
	s_and_b64 vcc, exec, s[0:1]
	s_cbranch_vccnz .LBB132_79
; %bb.78:
	v_lshl_add_u64 v[134:135], v[118:119], 3, v[132:133]
	flat_load_dwordx2 v[134:135], v[134:135]
	s_waitcnt vmcnt(0) lgkmcnt(0)
	v_mul_f64 v[134:135], s[70:71], v[134:135]
	s_branch .LBB132_80
.LBB132_79:
	v_mov_b64_e32 v[134:135], 0
.LBB132_80:
	v_add_f64 v[116:117], v[116:117], v[134:135]
	v_lshl_add_u64 v[134:135], v[118:119], 3, v[130:131]
	global_store_dwordx2 v[134:135], v[116:117], off
.LBB132_81:
	s_or_b64 exec, exec, s[14:15]
	v_add_u32_e32 v116, 24, v128
	v_cmp_gt_i32_e64 s[14:15], s72, v116
	s_and_b64 s[18:19], s[24:25], s[14:15]
	v_ashrrev_i32_e32 v117, 31, v116
	s_and_saveexec_b64 s[16:17], s[18:19]
	s_cbranch_execz .LBB132_86
; %bb.82:
	s_and_b64 vcc, exec, s[0:1]
	s_cbranch_vccnz .LBB132_84
; %bb.83:
	v_lshl_add_u64 v[134:135], v[116:117], 3, v[132:133]
	flat_load_dwordx2 v[134:135], v[134:135]
	s_waitcnt vmcnt(0) lgkmcnt(0)
	v_mul_f64 v[134:135], s[70:71], v[134:135]
	s_branch .LBB132_85
.LBB132_84:
	v_mov_b64_e32 v[134:135], 0
.LBB132_85:
	v_add_f64 v[114:115], v[114:115], v[134:135]
	v_lshl_add_u64 v[134:135], v[116:117], 3, v[130:131]
	global_store_dwordx2 v[134:135], v[114:115], off
.LBB132_86:
	s_or_b64 exec, exec, s[16:17]
	v_add_u32_e32 v114, 28, v128
	v_cmp_gt_i32_e64 s[16:17], s72, v114
	s_and_b64 s[20:21], s[24:25], s[16:17]
	v_ashrrev_i32_e32 v115, 31, v114
	s_and_saveexec_b64 s[18:19], s[20:21]
	s_cbranch_execz .LBB132_91
; %bb.87:
	s_and_b64 vcc, exec, s[0:1]
	s_cbranch_vccnz .LBB132_89
; %bb.88:
	v_lshl_add_u64 v[134:135], v[114:115], 3, v[132:133]
	flat_load_dwordx2 v[134:135], v[134:135]
	s_waitcnt vmcnt(0) lgkmcnt(0)
	v_mul_f64 v[134:135], s[70:71], v[134:135]
	s_branch .LBB132_90
.LBB132_89:
	v_mov_b64_e32 v[134:135], 0
.LBB132_90:
	v_add_f64 v[112:113], v[112:113], v[134:135]
	v_lshl_add_u64 v[134:135], v[114:115], 3, v[130:131]
	global_store_dwordx2 v[134:135], v[112:113], off
.LBB132_91:
	s_or_b64 exec, exec, s[18:19]
	v_add_u32_e32 v112, 32, v128
	v_cmp_gt_i32_e64 s[18:19], s72, v112
	s_and_b64 s[22:23], s[24:25], s[18:19]
	v_ashrrev_i32_e32 v113, 31, v112
	s_and_saveexec_b64 s[20:21], s[22:23]
	s_cbranch_execz .LBB132_96
; %bb.92:
	s_and_b64 vcc, exec, s[0:1]
	s_cbranch_vccnz .LBB132_94
; %bb.93:
	v_lshl_add_u64 v[134:135], v[112:113], 3, v[132:133]
	flat_load_dwordx2 v[134:135], v[134:135]
	s_waitcnt vmcnt(0) lgkmcnt(0)
	v_mul_f64 v[134:135], s[70:71], v[134:135]
	s_branch .LBB132_95
.LBB132_94:
	v_mov_b64_e32 v[134:135], 0
.LBB132_95:
	v_add_f64 v[110:111], v[110:111], v[134:135]
	v_lshl_add_u64 v[134:135], v[112:113], 3, v[130:131]
	global_store_dwordx2 v[134:135], v[110:111], off
.LBB132_96:
	s_or_b64 exec, exec, s[20:21]
	v_add_u32_e32 v110, 36, v128
	v_cmp_gt_i32_e64 s[20:21], s72, v110
	s_and_b64 s[26:27], s[24:25], s[20:21]
	v_ashrrev_i32_e32 v111, 31, v110
	s_and_saveexec_b64 s[22:23], s[26:27]
	s_cbranch_execz .LBB132_101
; %bb.97:
	s_and_b64 vcc, exec, s[0:1]
	s_cbranch_vccnz .LBB132_99
; %bb.98:
	v_lshl_add_u64 v[134:135], v[110:111], 3, v[132:133]
	flat_load_dwordx2 v[134:135], v[134:135]
	s_waitcnt vmcnt(0) lgkmcnt(0)
	v_mul_f64 v[134:135], s[70:71], v[134:135]
	s_branch .LBB132_100
.LBB132_99:
	v_mov_b64_e32 v[134:135], 0
.LBB132_100:
	v_add_f64 v[108:109], v[108:109], v[134:135]
	v_lshl_add_u64 v[134:135], v[110:111], 3, v[130:131]
	global_store_dwordx2 v[134:135], v[108:109], off
.LBB132_101:
	s_or_b64 exec, exec, s[22:23]
	v_add_u32_e32 v108, 40, v128
	v_cmp_gt_i32_e64 s[22:23], s72, v108
	s_and_b64 s[28:29], s[24:25], s[22:23]
	v_ashrrev_i32_e32 v109, 31, v108
	s_and_saveexec_b64 s[26:27], s[28:29]
	s_cbranch_execz .LBB132_106
; %bb.102:
	s_and_b64 vcc, exec, s[0:1]
	s_cbranch_vccnz .LBB132_104
; %bb.103:
	v_lshl_add_u64 v[134:135], v[108:109], 3, v[132:133]
	flat_load_dwordx2 v[134:135], v[134:135]
	s_waitcnt vmcnt(0) lgkmcnt(0)
	v_mul_f64 v[134:135], s[70:71], v[134:135]
	s_branch .LBB132_105
.LBB132_104:
	v_mov_b64_e32 v[134:135], 0
.LBB132_105:
	v_add_f64 v[106:107], v[106:107], v[134:135]
	v_lshl_add_u64 v[134:135], v[108:109], 3, v[130:131]
	global_store_dwordx2 v[134:135], v[106:107], off
.LBB132_106:
	s_or_b64 exec, exec, s[26:27]
	v_add_u32_e32 v106, 44, v128
	v_cmp_gt_i32_e64 s[26:27], s72, v106
	s_and_b64 s[30:31], s[24:25], s[26:27]
	v_ashrrev_i32_e32 v107, 31, v106
	s_and_saveexec_b64 s[28:29], s[30:31]
	s_cbranch_execz .LBB132_111
; %bb.107:
	s_and_b64 vcc, exec, s[0:1]
	s_cbranch_vccnz .LBB132_109
; %bb.108:
	v_lshl_add_u64 v[134:135], v[106:107], 3, v[132:133]
	flat_load_dwordx2 v[134:135], v[134:135]
	s_waitcnt vmcnt(0) lgkmcnt(0)
	v_mul_f64 v[134:135], s[70:71], v[134:135]
	s_branch .LBB132_110
.LBB132_109:
	v_mov_b64_e32 v[134:135], 0
.LBB132_110:
	v_add_f64 v[104:105], v[104:105], v[134:135]
	v_lshl_add_u64 v[134:135], v[106:107], 3, v[130:131]
	global_store_dwordx2 v[134:135], v[104:105], off
.LBB132_111:
	s_or_b64 exec, exec, s[28:29]
	v_add_u32_e32 v104, 48, v128
	v_cmp_gt_i32_e64 s[28:29], s72, v104
	s_and_b64 s[34:35], s[24:25], s[28:29]
	v_ashrrev_i32_e32 v105, 31, v104
	s_and_saveexec_b64 s[30:31], s[34:35]
	s_cbranch_execz .LBB132_116
; %bb.112:
	s_and_b64 vcc, exec, s[0:1]
	s_cbranch_vccnz .LBB132_114
; %bb.113:
	v_lshl_add_u64 v[134:135], v[104:105], 3, v[132:133]
	flat_load_dwordx2 v[134:135], v[134:135]
	s_waitcnt vmcnt(0) lgkmcnt(0)
	v_mul_f64 v[134:135], s[70:71], v[134:135]
	s_branch .LBB132_115
.LBB132_114:
	v_mov_b64_e32 v[134:135], 0
.LBB132_115:
	v_add_f64 v[102:103], v[102:103], v[134:135]
	v_lshl_add_u64 v[134:135], v[104:105], 3, v[130:131]
	global_store_dwordx2 v[134:135], v[102:103], off
.LBB132_116:
	s_or_b64 exec, exec, s[30:31]
	v_add_u32_e32 v102, 52, v128
	v_cmp_gt_i32_e64 s[30:31], s72, v102
	s_and_b64 s[36:37], s[24:25], s[30:31]
	v_ashrrev_i32_e32 v103, 31, v102
	s_and_saveexec_b64 s[34:35], s[36:37]
	s_cbranch_execz .LBB132_121
; %bb.117:
	s_and_b64 vcc, exec, s[0:1]
	s_cbranch_vccnz .LBB132_119
; %bb.118:
	v_lshl_add_u64 v[134:135], v[102:103], 3, v[132:133]
	flat_load_dwordx2 v[134:135], v[134:135]
	s_waitcnt vmcnt(0) lgkmcnt(0)
	v_mul_f64 v[134:135], s[70:71], v[134:135]
	s_branch .LBB132_120
.LBB132_119:
	v_mov_b64_e32 v[134:135], 0
.LBB132_120:
	v_add_f64 v[100:101], v[100:101], v[134:135]
	v_lshl_add_u64 v[134:135], v[102:103], 3, v[130:131]
	global_store_dwordx2 v[134:135], v[100:101], off
.LBB132_121:
	s_or_b64 exec, exec, s[34:35]
	v_add_u32_e32 v100, 56, v128
	v_cmp_gt_i32_e64 s[34:35], s72, v100
	s_and_b64 s[38:39], s[24:25], s[34:35]
	v_ashrrev_i32_e32 v101, 31, v100
	s_and_saveexec_b64 s[36:37], s[38:39]
	s_cbranch_execz .LBB132_126
; %bb.122:
	s_and_b64 vcc, exec, s[0:1]
	s_cbranch_vccnz .LBB132_124
; %bb.123:
	v_lshl_add_u64 v[134:135], v[100:101], 3, v[132:133]
	flat_load_dwordx2 v[134:135], v[134:135]
	s_waitcnt vmcnt(0) lgkmcnt(0)
	v_mul_f64 v[134:135], s[70:71], v[134:135]
	s_branch .LBB132_125
.LBB132_124:
	v_mov_b64_e32 v[134:135], 0
.LBB132_125:
	v_add_f64 v[98:99], v[98:99], v[134:135]
	v_lshl_add_u64 v[134:135], v[100:101], 3, v[130:131]
	global_store_dwordx2 v[134:135], v[98:99], off
.LBB132_126:
	s_or_b64 exec, exec, s[36:37]
	v_add_u32_e32 v98, 60, v128
	v_cmp_gt_i32_e64 s[36:37], s72, v98
	s_and_b64 s[40:41], s[24:25], s[36:37]
	v_ashrrev_i32_e32 v99, 31, v98
	s_and_saveexec_b64 s[38:39], s[40:41]
	s_cbranch_execz .LBB132_131
; %bb.127:
	s_and_b64 vcc, exec, s[0:1]
	s_cbranch_vccnz .LBB132_129
; %bb.128:
	v_lshl_add_u64 v[134:135], v[98:99], 3, v[132:133]
	flat_load_dwordx2 v[134:135], v[134:135]
	s_waitcnt vmcnt(0) lgkmcnt(0)
	v_mul_f64 v[134:135], s[70:71], v[134:135]
	s_branch .LBB132_130
.LBB132_129:
	v_mov_b64_e32 v[134:135], 0
.LBB132_130:
	v_add_f64 v[96:97], v[96:97], v[134:135]
	v_lshl_add_u64 v[134:135], v[98:99], 3, v[130:131]
	global_store_dwordx2 v[134:135], v[96:97], off
.LBB132_131:
	s_or_b64 exec, exec, s[38:39]
	v_add_u32_e32 v96, 64, v128
	v_cmp_gt_i32_e64 s[38:39], s72, v96
	s_and_b64 s[42:43], s[24:25], s[38:39]
	v_ashrrev_i32_e32 v97, 31, v96
	s_and_saveexec_b64 s[40:41], s[42:43]
	s_cbranch_execz .LBB132_136
; %bb.132:
	s_and_b64 vcc, exec, s[0:1]
	s_cbranch_vccnz .LBB132_134
; %bb.133:
	v_lshl_add_u64 v[134:135], v[96:97], 3, v[132:133]
	flat_load_dwordx2 v[134:135], v[134:135]
	s_waitcnt vmcnt(0) lgkmcnt(0)
	v_mul_f64 v[134:135], s[70:71], v[134:135]
	s_branch .LBB132_135
.LBB132_134:
	v_mov_b64_e32 v[134:135], 0
.LBB132_135:
	v_add_f64 v[94:95], v[94:95], v[134:135]
	v_lshl_add_u64 v[134:135], v[96:97], 3, v[130:131]
	global_store_dwordx2 v[134:135], v[94:95], off
.LBB132_136:
	s_or_b64 exec, exec, s[40:41]
	v_add_u32_e32 v94, 0x44, v128
	v_cmp_gt_i32_e64 s[40:41], s72, v94
	s_and_b64 s[44:45], s[24:25], s[40:41]
	v_ashrrev_i32_e32 v95, 31, v94
	s_and_saveexec_b64 s[42:43], s[44:45]
	s_cbranch_execz .LBB132_141
; %bb.137:
	s_and_b64 vcc, exec, s[0:1]
	s_cbranch_vccnz .LBB132_139
; %bb.138:
	v_lshl_add_u64 v[134:135], v[94:95], 3, v[132:133]
	flat_load_dwordx2 v[134:135], v[134:135]
	s_waitcnt vmcnt(0) lgkmcnt(0)
	v_mul_f64 v[134:135], s[70:71], v[134:135]
	s_branch .LBB132_140
.LBB132_139:
	v_mov_b64_e32 v[134:135], 0
.LBB132_140:
	v_add_f64 v[92:93], v[92:93], v[134:135]
	v_lshl_add_u64 v[134:135], v[94:95], 3, v[130:131]
	global_store_dwordx2 v[134:135], v[92:93], off
.LBB132_141:
	s_or_b64 exec, exec, s[42:43]
	v_add_u32_e32 v92, 0x48, v128
	v_cmp_gt_i32_e64 s[42:43], s72, v92
	s_and_b64 s[46:47], s[24:25], s[42:43]
	v_ashrrev_i32_e32 v93, 31, v92
	s_and_saveexec_b64 s[44:45], s[46:47]
	s_cbranch_execz .LBB132_146
; %bb.142:
	s_and_b64 vcc, exec, s[0:1]
	s_cbranch_vccnz .LBB132_144
; %bb.143:
	v_lshl_add_u64 v[134:135], v[92:93], 3, v[132:133]
	flat_load_dwordx2 v[134:135], v[134:135]
	s_waitcnt vmcnt(0) lgkmcnt(0)
	v_mul_f64 v[134:135], s[70:71], v[134:135]
	s_branch .LBB132_145
.LBB132_144:
	v_mov_b64_e32 v[134:135], 0
.LBB132_145:
	v_add_f64 v[90:91], v[90:91], v[134:135]
	v_lshl_add_u64 v[134:135], v[92:93], 3, v[130:131]
	global_store_dwordx2 v[134:135], v[90:91], off
.LBB132_146:
	s_or_b64 exec, exec, s[44:45]
	v_add_u32_e32 v90, 0x4c, v128
	v_cmp_gt_i32_e64 s[44:45], s72, v90
	s_and_b64 s[48:49], s[24:25], s[44:45]
	v_ashrrev_i32_e32 v91, 31, v90
	s_and_saveexec_b64 s[46:47], s[48:49]
	s_cbranch_execz .LBB132_151
; %bb.147:
	s_and_b64 vcc, exec, s[0:1]
	s_cbranch_vccnz .LBB132_149
; %bb.148:
	v_lshl_add_u64 v[134:135], v[90:91], 3, v[132:133]
	flat_load_dwordx2 v[134:135], v[134:135]
	s_waitcnt vmcnt(0) lgkmcnt(0)
	v_mul_f64 v[134:135], s[70:71], v[134:135]
	s_branch .LBB132_150
.LBB132_149:
	v_mov_b64_e32 v[134:135], 0
.LBB132_150:
	v_add_f64 v[88:89], v[88:89], v[134:135]
	v_lshl_add_u64 v[134:135], v[90:91], 3, v[130:131]
	global_store_dwordx2 v[134:135], v[88:89], off
.LBB132_151:
	s_or_b64 exec, exec, s[46:47]
	v_add_u32_e32 v88, 0x50, v128
	v_cmp_gt_i32_e64 s[46:47], s72, v88
	s_and_b64 s[50:51], s[24:25], s[46:47]
	v_ashrrev_i32_e32 v89, 31, v88
	s_and_saveexec_b64 s[48:49], s[50:51]
	s_cbranch_execz .LBB132_156
; %bb.152:
	s_and_b64 vcc, exec, s[0:1]
	s_cbranch_vccnz .LBB132_154
; %bb.153:
	v_lshl_add_u64 v[134:135], v[88:89], 3, v[132:133]
	flat_load_dwordx2 v[134:135], v[134:135]
	s_waitcnt vmcnt(0) lgkmcnt(0)
	v_mul_f64 v[134:135], s[70:71], v[134:135]
	s_branch .LBB132_155
.LBB132_154:
	v_mov_b64_e32 v[134:135], 0
.LBB132_155:
	v_add_f64 v[86:87], v[86:87], v[134:135]
	v_lshl_add_u64 v[134:135], v[88:89], 3, v[130:131]
	global_store_dwordx2 v[134:135], v[86:87], off
.LBB132_156:
	s_or_b64 exec, exec, s[48:49]
	v_add_u32_e32 v86, 0x54, v128
	v_cmp_gt_i32_e64 s[48:49], s72, v86
	s_and_b64 s[52:53], s[24:25], s[48:49]
	v_ashrrev_i32_e32 v87, 31, v86
	s_and_saveexec_b64 s[50:51], s[52:53]
	s_cbranch_execz .LBB132_161
; %bb.157:
	s_and_b64 vcc, exec, s[0:1]
	s_cbranch_vccnz .LBB132_159
; %bb.158:
	v_lshl_add_u64 v[134:135], v[86:87], 3, v[132:133]
	flat_load_dwordx2 v[134:135], v[134:135]
	s_waitcnt vmcnt(0) lgkmcnt(0)
	v_mul_f64 v[134:135], s[70:71], v[134:135]
	s_branch .LBB132_160
.LBB132_159:
	v_mov_b64_e32 v[134:135], 0
.LBB132_160:
	v_add_f64 v[84:85], v[84:85], v[134:135]
	v_lshl_add_u64 v[134:135], v[86:87], 3, v[130:131]
	global_store_dwordx2 v[134:135], v[84:85], off
.LBB132_161:
	s_or_b64 exec, exec, s[50:51]
	v_add_u32_e32 v84, 0x58, v128
	v_cmp_gt_i32_e64 s[50:51], s72, v84
	s_and_b64 s[54:55], s[24:25], s[50:51]
	v_ashrrev_i32_e32 v85, 31, v84
	s_and_saveexec_b64 s[52:53], s[54:55]
	s_cbranch_execz .LBB132_166
; %bb.162:
	s_and_b64 vcc, exec, s[0:1]
	s_cbranch_vccnz .LBB132_164
; %bb.163:
	v_lshl_add_u64 v[134:135], v[84:85], 3, v[132:133]
	flat_load_dwordx2 v[134:135], v[134:135]
	s_waitcnt vmcnt(0) lgkmcnt(0)
	v_mul_f64 v[134:135], s[70:71], v[134:135]
	s_branch .LBB132_165
.LBB132_164:
	v_mov_b64_e32 v[134:135], 0
.LBB132_165:
	v_add_f64 v[82:83], v[82:83], v[134:135]
	v_lshl_add_u64 v[134:135], v[84:85], 3, v[130:131]
	global_store_dwordx2 v[134:135], v[82:83], off
.LBB132_166:
	s_or_b64 exec, exec, s[52:53]
	v_add_u32_e32 v82, 0x5c, v128
	v_cmp_gt_i32_e64 s[52:53], s72, v82
	s_and_b64 s[56:57], s[24:25], s[52:53]
	v_ashrrev_i32_e32 v83, 31, v82
	s_and_saveexec_b64 s[54:55], s[56:57]
	s_cbranch_execz .LBB132_171
; %bb.167:
	s_and_b64 vcc, exec, s[0:1]
	s_cbranch_vccnz .LBB132_169
; %bb.168:
	v_lshl_add_u64 v[134:135], v[82:83], 3, v[132:133]
	flat_load_dwordx2 v[134:135], v[134:135]
	s_waitcnt vmcnt(0) lgkmcnt(0)
	v_mul_f64 v[134:135], s[70:71], v[134:135]
	s_branch .LBB132_170
.LBB132_169:
	v_mov_b64_e32 v[134:135], 0
.LBB132_170:
	v_add_f64 v[80:81], v[80:81], v[134:135]
	v_lshl_add_u64 v[134:135], v[82:83], 3, v[130:131]
	global_store_dwordx2 v[134:135], v[80:81], off
.LBB132_171:
	s_or_b64 exec, exec, s[54:55]
	v_add_u32_e32 v80, 0x60, v128
	v_cmp_gt_i32_e64 s[54:55], s72, v80
	s_and_b64 s[58:59], s[24:25], s[54:55]
	v_ashrrev_i32_e32 v81, 31, v80
	s_and_saveexec_b64 s[56:57], s[58:59]
	s_cbranch_execz .LBB132_176
; %bb.172:
	s_and_b64 vcc, exec, s[0:1]
	s_cbranch_vccnz .LBB132_174
; %bb.173:
	v_lshl_add_u64 v[134:135], v[80:81], 3, v[132:133]
	flat_load_dwordx2 v[134:135], v[134:135]
	s_waitcnt vmcnt(0) lgkmcnt(0)
	v_mul_f64 v[134:135], s[70:71], v[134:135]
	s_branch .LBB132_175
.LBB132_174:
	v_mov_b64_e32 v[134:135], 0
.LBB132_175:
	v_add_f64 v[78:79], v[78:79], v[134:135]
	v_lshl_add_u64 v[134:135], v[80:81], 3, v[130:131]
	global_store_dwordx2 v[134:135], v[78:79], off
.LBB132_176:
	s_or_b64 exec, exec, s[56:57]
	v_add_u32_e32 v78, 0x64, v128
	v_cmp_gt_i32_e64 s[56:57], s72, v78
	s_and_b64 s[60:61], s[24:25], s[56:57]
	v_ashrrev_i32_e32 v79, 31, v78
	s_and_saveexec_b64 s[58:59], s[60:61]
	s_cbranch_execz .LBB132_181
; %bb.177:
	s_and_b64 vcc, exec, s[0:1]
	s_cbranch_vccnz .LBB132_179
; %bb.178:
	v_lshl_add_u64 v[134:135], v[78:79], 3, v[132:133]
	flat_load_dwordx2 v[134:135], v[134:135]
	s_waitcnt vmcnt(0) lgkmcnt(0)
	v_mul_f64 v[134:135], s[70:71], v[134:135]
	s_branch .LBB132_180
.LBB132_179:
	v_mov_b64_e32 v[134:135], 0
.LBB132_180:
	v_add_f64 v[76:77], v[76:77], v[134:135]
	v_lshl_add_u64 v[134:135], v[78:79], 3, v[130:131]
	global_store_dwordx2 v[134:135], v[76:77], off
.LBB132_181:
	s_or_b64 exec, exec, s[58:59]
	v_add_u32_e32 v76, 0x68, v128
	v_cmp_gt_i32_e64 s[58:59], s72, v76
	s_and_b64 s[62:63], s[24:25], s[58:59]
	v_ashrrev_i32_e32 v77, 31, v76
	s_and_saveexec_b64 s[60:61], s[62:63]
	s_cbranch_execz .LBB132_186
; %bb.182:
	s_and_b64 vcc, exec, s[0:1]
	s_cbranch_vccnz .LBB132_184
; %bb.183:
	v_lshl_add_u64 v[134:135], v[76:77], 3, v[132:133]
	flat_load_dwordx2 v[134:135], v[134:135]
	s_waitcnt vmcnt(0) lgkmcnt(0)
	v_mul_f64 v[134:135], s[70:71], v[134:135]
	s_branch .LBB132_185
.LBB132_184:
	v_mov_b64_e32 v[134:135], 0
.LBB132_185:
	v_add_f64 v[74:75], v[74:75], v[134:135]
	v_lshl_add_u64 v[134:135], v[76:77], 3, v[130:131]
	global_store_dwordx2 v[134:135], v[74:75], off
.LBB132_186:
	s_or_b64 exec, exec, s[60:61]
	v_add_u32_e32 v74, 0x6c, v128
	v_cmp_gt_i32_e64 s[60:61], s72, v74
	s_and_b64 s[64:65], s[24:25], s[60:61]
	v_ashrrev_i32_e32 v75, 31, v74
	s_and_saveexec_b64 s[62:63], s[64:65]
	s_cbranch_execz .LBB132_191
; %bb.187:
	s_and_b64 vcc, exec, s[0:1]
	s_cbranch_vccnz .LBB132_189
; %bb.188:
	v_lshl_add_u64 v[134:135], v[74:75], 3, v[132:133]
	flat_load_dwordx2 v[134:135], v[134:135]
	s_waitcnt vmcnt(0) lgkmcnt(0)
	v_mul_f64 v[134:135], s[70:71], v[134:135]
	s_branch .LBB132_190
.LBB132_189:
	v_mov_b64_e32 v[134:135], 0
.LBB132_190:
	v_add_f64 v[72:73], v[72:73], v[134:135]
	v_lshl_add_u64 v[134:135], v[74:75], 3, v[130:131]
	global_store_dwordx2 v[134:135], v[72:73], off
.LBB132_191:
	s_or_b64 exec, exec, s[62:63]
	v_add_u32_e32 v72, 0x70, v128
	v_cmp_gt_i32_e64 s[62:63], s72, v72
	s_and_b64 s[66:67], s[24:25], s[62:63]
	v_ashrrev_i32_e32 v73, 31, v72
	s_and_saveexec_b64 s[64:65], s[66:67]
	s_cbranch_execz .LBB132_196
; %bb.192:
	s_and_b64 vcc, exec, s[0:1]
	s_cbranch_vccnz .LBB132_194
; %bb.193:
	v_lshl_add_u64 v[134:135], v[72:73], 3, v[132:133]
	flat_load_dwordx2 v[134:135], v[134:135]
	s_waitcnt vmcnt(0) lgkmcnt(0)
	v_mul_f64 v[134:135], s[70:71], v[134:135]
	s_branch .LBB132_195
.LBB132_194:
	v_mov_b64_e32 v[134:135], 0
.LBB132_195:
	v_add_f64 v[70:71], v[70:71], v[134:135]
	v_lshl_add_u64 v[134:135], v[72:73], 3, v[130:131]
	global_store_dwordx2 v[134:135], v[70:71], off
.LBB132_196:
	s_or_b64 exec, exec, s[64:65]
	v_add_u32_e32 v70, 0x74, v128
	v_cmp_gt_i32_e64 s[64:65], s72, v70
	s_and_b64 s[68:69], s[24:25], s[64:65]
	v_ashrrev_i32_e32 v71, 31, v70
	s_and_saveexec_b64 s[66:67], s[68:69]
	s_cbranch_execz .LBB132_201
; %bb.197:
	s_and_b64 vcc, exec, s[0:1]
	s_cbranch_vccnz .LBB132_199
; %bb.198:
	v_lshl_add_u64 v[134:135], v[70:71], 3, v[132:133]
	flat_load_dwordx2 v[134:135], v[134:135]
	s_waitcnt vmcnt(0) lgkmcnt(0)
	v_mul_f64 v[134:135], s[70:71], v[134:135]
	s_branch .LBB132_200
.LBB132_199:
	v_mov_b64_e32 v[134:135], 0
.LBB132_200:
	v_add_f64 v[68:69], v[68:69], v[134:135]
	v_lshl_add_u64 v[134:135], v[70:71], 3, v[130:131]
	global_store_dwordx2 v[134:135], v[68:69], off
.LBB132_201:
	s_or_b64 exec, exec, s[66:67]
	v_add_u32_e32 v68, 0x78, v128
	v_cmp_gt_i32_e64 s[66:67], s72, v68
	s_and_b64 s[80:81], s[24:25], s[66:67]
	v_ashrrev_i32_e32 v69, 31, v68
	s_and_saveexec_b64 s[68:69], s[80:81]
	s_cbranch_execz .LBB132_206
; %bb.202:
	s_and_b64 vcc, exec, s[0:1]
	s_cbranch_vccnz .LBB132_204
; %bb.203:
	v_lshl_add_u64 v[134:135], v[68:69], 3, v[132:133]
	flat_load_dwordx2 v[134:135], v[134:135]
	s_waitcnt vmcnt(0) lgkmcnt(0)
	v_mul_f64 v[134:135], s[70:71], v[134:135]
	s_branch .LBB132_205
.LBB132_204:
	v_mov_b64_e32 v[134:135], 0
.LBB132_205:
	v_add_f64 v[66:67], v[66:67], v[134:135]
	v_lshl_add_u64 v[134:135], v[68:69], 3, v[130:131]
	global_store_dwordx2 v[134:135], v[66:67], off
.LBB132_206:
	s_or_b64 exec, exec, s[68:69]
	v_add_u32_e32 v66, 0x7c, v128
	v_cmp_gt_i32_e64 s[68:69], s72, v66
	s_and_b64 s[80:81], s[24:25], s[68:69]
	v_ashrrev_i32_e32 v67, 31, v66
	s_and_saveexec_b64 s[24:25], s[80:81]
	s_cbranch_execz .LBB132_211
; %bb.207:
	s_and_b64 vcc, exec, s[0:1]
	s_cbranch_vccnz .LBB132_209
; %bb.208:
	v_lshl_add_u64 v[132:133], v[66:67], 3, v[132:133]
	flat_load_dwordx2 v[132:133], v[132:133]
	s_waitcnt vmcnt(0) lgkmcnt(0)
	v_mul_f64 v[132:133], s[70:71], v[132:133]
	s_branch .LBB132_210
.LBB132_209:
	v_mov_b64_e32 v[132:133], 0
.LBB132_210:
	v_add_f64 v[64:65], v[64:65], v[132:133]
	v_lshl_add_u64 v[130:131], v[66:67], 3, v[130:131]
	global_store_dwordx2 v[130:131], v[64:65], off
.LBB132_211:
	s_or_b64 exec, exec, s[24:25]
	v_add_u32_e32 v132, 64, v136
	v_cmp_gt_i32_e64 s[24:25], s73, v132
	v_mad_i64_i32 v[64:65], s[72:73], v132, s78, 0
	v_lshl_add_u64 v[130:131], v[64:65], 3, s[76:77]
	v_mad_i64_i32 v[64:65], s[72:73], v132, s33, 0
	v_lshl_add_u64 v[64:65], v[64:65], 3, s[74:75]
	s_and_b64 s[2:3], s[24:25], s[2:3]
	s_and_saveexec_b64 s[72:73], s[2:3]
	s_xor_b64 s[2:3], exec, s[72:73]
	s_cbranch_execnz .LBB132_244
; %bb.212:
	s_or_b64 exec, exec, s[2:3]
	s_and_b64 s[4:5], s[24:25], s[4:5]
	s_and_saveexec_b64 s[2:3], s[4:5]
	s_cbranch_execnz .LBB132_248
.LBB132_213:
	s_or_b64 exec, exec, s[2:3]
	s_and_b64 s[4:5], s[24:25], s[6:7]
	s_and_saveexec_b64 s[2:3], s[4:5]
	s_cbranch_execnz .LBB132_252
.LBB132_214:
	s_or_b64 exec, exec, s[2:3]
	s_and_b64 s[4:5], s[24:25], s[8:9]
	s_and_saveexec_b64 s[2:3], s[4:5]
	s_cbranch_execnz .LBB132_256
.LBB132_215:
	s_or_b64 exec, exec, s[2:3]
	s_and_b64 s[4:5], s[24:25], s[10:11]
	s_and_saveexec_b64 s[2:3], s[4:5]
	s_cbranch_execnz .LBB132_260
.LBB132_216:
	s_or_b64 exec, exec, s[2:3]
	s_and_b64 s[4:5], s[24:25], s[12:13]
	s_and_saveexec_b64 s[2:3], s[4:5]
	s_cbranch_execnz .LBB132_264
.LBB132_217:
	s_or_b64 exec, exec, s[2:3]
	s_and_b64 s[4:5], s[24:25], s[14:15]
	s_and_saveexec_b64 s[2:3], s[4:5]
	s_cbranch_execnz .LBB132_268
.LBB132_218:
	s_or_b64 exec, exec, s[2:3]
	s_and_b64 s[4:5], s[24:25], s[16:17]
	s_and_saveexec_b64 s[2:3], s[4:5]
	s_cbranch_execnz .LBB132_272
.LBB132_219:
	s_or_b64 exec, exec, s[2:3]
	s_and_b64 s[4:5], s[24:25], s[18:19]
	s_and_saveexec_b64 s[2:3], s[4:5]
	s_cbranch_execnz .LBB132_276
.LBB132_220:
	s_or_b64 exec, exec, s[2:3]
	s_and_b64 s[4:5], s[24:25], s[20:21]
	s_and_saveexec_b64 s[2:3], s[4:5]
	s_cbranch_execnz .LBB132_280
.LBB132_221:
	s_or_b64 exec, exec, s[2:3]
	s_and_b64 s[4:5], s[24:25], s[22:23]
	s_and_saveexec_b64 s[2:3], s[4:5]
	s_cbranch_execnz .LBB132_284
.LBB132_222:
	s_or_b64 exec, exec, s[2:3]
	s_and_b64 s[4:5], s[24:25], s[26:27]
	s_and_saveexec_b64 s[2:3], s[4:5]
	s_cbranch_execnz .LBB132_288
.LBB132_223:
	s_or_b64 exec, exec, s[2:3]
	s_and_b64 s[4:5], s[24:25], s[28:29]
	s_and_saveexec_b64 s[2:3], s[4:5]
	s_cbranch_execnz .LBB132_292
.LBB132_224:
	s_or_b64 exec, exec, s[2:3]
	s_and_b64 s[4:5], s[24:25], s[30:31]
	s_and_saveexec_b64 s[2:3], s[4:5]
	s_cbranch_execnz .LBB132_296
.LBB132_225:
	s_or_b64 exec, exec, s[2:3]
	s_and_b64 s[4:5], s[24:25], s[34:35]
	s_and_saveexec_b64 s[2:3], s[4:5]
	s_cbranch_execnz .LBB132_300
.LBB132_226:
	s_or_b64 exec, exec, s[2:3]
	s_and_b64 s[4:5], s[24:25], s[36:37]
	s_and_saveexec_b64 s[2:3], s[4:5]
	s_cbranch_execnz .LBB132_304
.LBB132_227:
	s_or_b64 exec, exec, s[2:3]
	s_and_b64 s[4:5], s[24:25], s[38:39]
	s_and_saveexec_b64 s[2:3], s[4:5]
	s_cbranch_execnz .LBB132_308
.LBB132_228:
	s_or_b64 exec, exec, s[2:3]
	s_and_b64 s[4:5], s[24:25], s[40:41]
	s_and_saveexec_b64 s[2:3], s[4:5]
	s_cbranch_execnz .LBB132_312
.LBB132_229:
	s_or_b64 exec, exec, s[2:3]
	s_and_b64 s[4:5], s[24:25], s[42:43]
	s_and_saveexec_b64 s[2:3], s[4:5]
	s_cbranch_execnz .LBB132_316
.LBB132_230:
	s_or_b64 exec, exec, s[2:3]
	s_and_b64 s[4:5], s[24:25], s[44:45]
	s_and_saveexec_b64 s[2:3], s[4:5]
	s_cbranch_execnz .LBB132_320
.LBB132_231:
	s_or_b64 exec, exec, s[2:3]
	s_and_b64 s[4:5], s[24:25], s[46:47]
	s_and_saveexec_b64 s[2:3], s[4:5]
	s_cbranch_execnz .LBB132_324
.LBB132_232:
	s_or_b64 exec, exec, s[2:3]
	s_and_b64 s[4:5], s[24:25], s[48:49]
	s_and_saveexec_b64 s[2:3], s[4:5]
	s_cbranch_execnz .LBB132_328
.LBB132_233:
	s_or_b64 exec, exec, s[2:3]
	s_and_b64 s[4:5], s[24:25], s[50:51]
	s_and_saveexec_b64 s[2:3], s[4:5]
	s_cbranch_execnz .LBB132_332
.LBB132_234:
	s_or_b64 exec, exec, s[2:3]
	s_and_b64 s[4:5], s[24:25], s[52:53]
	s_and_saveexec_b64 s[2:3], s[4:5]
	s_cbranch_execnz .LBB132_336
.LBB132_235:
	s_or_b64 exec, exec, s[2:3]
	s_and_b64 s[4:5], s[24:25], s[54:55]
	s_and_saveexec_b64 s[2:3], s[4:5]
	s_cbranch_execnz .LBB132_340
.LBB132_236:
	s_or_b64 exec, exec, s[2:3]
	s_and_b64 s[4:5], s[24:25], s[56:57]
	s_and_saveexec_b64 s[2:3], s[4:5]
	s_cbranch_execnz .LBB132_344
.LBB132_237:
	s_or_b64 exec, exec, s[2:3]
	s_and_b64 s[4:5], s[24:25], s[58:59]
	s_and_saveexec_b64 s[2:3], s[4:5]
	s_cbranch_execnz .LBB132_348
.LBB132_238:
	s_or_b64 exec, exec, s[2:3]
	s_and_b64 s[4:5], s[24:25], s[60:61]
	s_and_saveexec_b64 s[2:3], s[4:5]
	s_cbranch_execnz .LBB132_352
.LBB132_239:
	s_or_b64 exec, exec, s[2:3]
	s_and_b64 s[4:5], s[24:25], s[62:63]
	s_and_saveexec_b64 s[2:3], s[4:5]
	s_cbranch_execnz .LBB132_356
.LBB132_240:
	s_or_b64 exec, exec, s[2:3]
	s_and_b64 s[4:5], s[24:25], s[64:65]
	s_and_saveexec_b64 s[2:3], s[4:5]
	s_cbranch_execnz .LBB132_360
.LBB132_241:
	s_or_b64 exec, exec, s[2:3]
	s_and_b64 s[4:5], s[24:25], s[66:67]
	s_and_saveexec_b64 s[2:3], s[4:5]
	s_cbranch_execnz .LBB132_364
.LBB132_242:
	s_or_b64 exec, exec, s[2:3]
	s_and_b64 s[2:3], s[24:25], s[68:69]
	s_and_saveexec_b64 s[4:5], s[2:3]
	s_cbranch_execnz .LBB132_368
.LBB132_243:
	s_endpgm
.LBB132_244:
	s_and_b64 vcc, exec, s[0:1]
	s_cbranch_vccnz .LBB132_246
; %bb.245:
	v_lshl_add_u64 v[132:133], v[128:129], 3, v[130:131]
	flat_load_dwordx2 v[132:133], v[132:133]
	s_waitcnt vmcnt(0) lgkmcnt(0)
	v_mul_f64 v[132:133], s[70:71], v[132:133]
	s_branch .LBB132_247
.LBB132_246:
	v_mov_b64_e32 v[132:133], 0
.LBB132_247:
	v_add_f64 v[62:63], v[62:63], v[132:133]
	v_lshl_add_u64 v[128:129], v[128:129], 3, v[64:65]
	global_store_dwordx2 v[128:129], v[62:63], off
	s_or_b64 exec, exec, s[2:3]
	s_and_b64 s[4:5], s[24:25], s[4:5]
	s_and_saveexec_b64 s[2:3], s[4:5]
	s_cbranch_execz .LBB132_213
.LBB132_248:
	s_and_b64 vcc, exec, s[0:1]
	s_cbranch_vccnz .LBB132_250
; %bb.249:
	v_lshl_add_u64 v[62:63], v[124:125], 3, v[130:131]
	flat_load_dwordx2 v[62:63], v[62:63]
	s_waitcnt vmcnt(0) lgkmcnt(0)
	v_mul_f64 v[62:63], s[70:71], v[62:63]
	s_branch .LBB132_251
.LBB132_250:
	v_mov_b64_e32 v[62:63], 0
.LBB132_251:
	v_add_f64 v[60:61], v[60:61], v[62:63]
	v_lshl_add_u64 v[62:63], v[124:125], 3, v[64:65]
	global_store_dwordx2 v[62:63], v[60:61], off
	s_or_b64 exec, exec, s[2:3]
	s_and_b64 s[4:5], s[24:25], s[6:7]
	s_and_saveexec_b64 s[2:3], s[4:5]
	s_cbranch_execz .LBB132_214
.LBB132_252:
	s_and_b64 vcc, exec, s[0:1]
	s_cbranch_vccnz .LBB132_254
; %bb.253:
	v_lshl_add_u64 v[60:61], v[126:127], 3, v[130:131]
	flat_load_dwordx2 v[60:61], v[60:61]
	s_waitcnt vmcnt(0) lgkmcnt(0)
	v_mul_f64 v[60:61], s[70:71], v[60:61]
	s_branch .LBB132_255
.LBB132_254:
	v_mov_b64_e32 v[60:61], 0
.LBB132_255:
	v_add_f64 v[58:59], v[58:59], v[60:61]
	v_lshl_add_u64 v[60:61], v[126:127], 3, v[64:65]
	global_store_dwordx2 v[60:61], v[58:59], off
	s_or_b64 exec, exec, s[2:3]
	s_and_b64 s[4:5], s[24:25], s[8:9]
	s_and_saveexec_b64 s[2:3], s[4:5]
	s_cbranch_execz .LBB132_215
.LBB132_256:
	s_and_b64 vcc, exec, s[0:1]
	s_cbranch_vccnz .LBB132_258
; %bb.257:
	v_lshl_add_u64 v[58:59], v[122:123], 3, v[130:131]
	flat_load_dwordx2 v[58:59], v[58:59]
	s_waitcnt vmcnt(0) lgkmcnt(0)
	v_mul_f64 v[58:59], s[70:71], v[58:59]
	s_branch .LBB132_259
.LBB132_258:
	v_mov_b64_e32 v[58:59], 0
.LBB132_259:
	v_add_f64 v[56:57], v[56:57], v[58:59]
	v_lshl_add_u64 v[58:59], v[122:123], 3, v[64:65]
	global_store_dwordx2 v[58:59], v[56:57], off
	s_or_b64 exec, exec, s[2:3]
	s_and_b64 s[4:5], s[24:25], s[10:11]
	s_and_saveexec_b64 s[2:3], s[4:5]
	s_cbranch_execz .LBB132_216
.LBB132_260:
	s_and_b64 vcc, exec, s[0:1]
	s_cbranch_vccnz .LBB132_262
; %bb.261:
	v_lshl_add_u64 v[56:57], v[120:121], 3, v[130:131]
	flat_load_dwordx2 v[56:57], v[56:57]
	s_waitcnt vmcnt(0) lgkmcnt(0)
	v_mul_f64 v[56:57], s[70:71], v[56:57]
	s_branch .LBB132_263
.LBB132_262:
	v_mov_b64_e32 v[56:57], 0
.LBB132_263:
	v_add_f64 v[54:55], v[54:55], v[56:57]
	v_lshl_add_u64 v[56:57], v[120:121], 3, v[64:65]
	global_store_dwordx2 v[56:57], v[54:55], off
	s_or_b64 exec, exec, s[2:3]
	s_and_b64 s[4:5], s[24:25], s[12:13]
	s_and_saveexec_b64 s[2:3], s[4:5]
	s_cbranch_execz .LBB132_217
.LBB132_264:
	s_and_b64 vcc, exec, s[0:1]
	s_cbranch_vccnz .LBB132_266
; %bb.265:
	v_lshl_add_u64 v[54:55], v[118:119], 3, v[130:131]
	flat_load_dwordx2 v[54:55], v[54:55]
	s_waitcnt vmcnt(0) lgkmcnt(0)
	v_mul_f64 v[54:55], s[70:71], v[54:55]
	s_branch .LBB132_267
.LBB132_266:
	v_mov_b64_e32 v[54:55], 0
.LBB132_267:
	v_add_f64 v[52:53], v[52:53], v[54:55]
	v_lshl_add_u64 v[54:55], v[118:119], 3, v[64:65]
	global_store_dwordx2 v[54:55], v[52:53], off
	s_or_b64 exec, exec, s[2:3]
	s_and_b64 s[4:5], s[24:25], s[14:15]
	s_and_saveexec_b64 s[2:3], s[4:5]
	s_cbranch_execz .LBB132_218
.LBB132_268:
	s_and_b64 vcc, exec, s[0:1]
	s_cbranch_vccnz .LBB132_270
; %bb.269:
	v_lshl_add_u64 v[52:53], v[116:117], 3, v[130:131]
	flat_load_dwordx2 v[52:53], v[52:53]
	s_waitcnt vmcnt(0) lgkmcnt(0)
	v_mul_f64 v[52:53], s[70:71], v[52:53]
	s_branch .LBB132_271
.LBB132_270:
	v_mov_b64_e32 v[52:53], 0
.LBB132_271:
	v_add_f64 v[50:51], v[50:51], v[52:53]
	v_lshl_add_u64 v[52:53], v[116:117], 3, v[64:65]
	global_store_dwordx2 v[52:53], v[50:51], off
	s_or_b64 exec, exec, s[2:3]
	s_and_b64 s[4:5], s[24:25], s[16:17]
	s_and_saveexec_b64 s[2:3], s[4:5]
	s_cbranch_execz .LBB132_219
.LBB132_272:
	s_and_b64 vcc, exec, s[0:1]
	s_cbranch_vccnz .LBB132_274
; %bb.273:
	v_lshl_add_u64 v[50:51], v[114:115], 3, v[130:131]
	flat_load_dwordx2 v[50:51], v[50:51]
	s_waitcnt vmcnt(0) lgkmcnt(0)
	v_mul_f64 v[50:51], s[70:71], v[50:51]
	s_branch .LBB132_275
.LBB132_274:
	v_mov_b64_e32 v[50:51], 0
.LBB132_275:
	v_add_f64 v[48:49], v[48:49], v[50:51]
	v_lshl_add_u64 v[50:51], v[114:115], 3, v[64:65]
	global_store_dwordx2 v[50:51], v[48:49], off
	s_or_b64 exec, exec, s[2:3]
	s_and_b64 s[4:5], s[24:25], s[18:19]
	s_and_saveexec_b64 s[2:3], s[4:5]
	s_cbranch_execz .LBB132_220
.LBB132_276:
	s_and_b64 vcc, exec, s[0:1]
	s_cbranch_vccnz .LBB132_278
; %bb.277:
	v_lshl_add_u64 v[48:49], v[112:113], 3, v[130:131]
	flat_load_dwordx2 v[48:49], v[48:49]
	s_waitcnt vmcnt(0) lgkmcnt(0)
	v_mul_f64 v[48:49], s[70:71], v[48:49]
	s_branch .LBB132_279
.LBB132_278:
	v_mov_b64_e32 v[48:49], 0
.LBB132_279:
	v_add_f64 v[46:47], v[46:47], v[48:49]
	v_lshl_add_u64 v[48:49], v[112:113], 3, v[64:65]
	global_store_dwordx2 v[48:49], v[46:47], off
	s_or_b64 exec, exec, s[2:3]
	s_and_b64 s[4:5], s[24:25], s[20:21]
	s_and_saveexec_b64 s[2:3], s[4:5]
	s_cbranch_execz .LBB132_221
.LBB132_280:
	s_and_b64 vcc, exec, s[0:1]
	s_cbranch_vccnz .LBB132_282
; %bb.281:
	v_lshl_add_u64 v[46:47], v[110:111], 3, v[130:131]
	flat_load_dwordx2 v[46:47], v[46:47]
	s_waitcnt vmcnt(0) lgkmcnt(0)
	v_mul_f64 v[46:47], s[70:71], v[46:47]
	s_branch .LBB132_283
.LBB132_282:
	v_mov_b64_e32 v[46:47], 0
.LBB132_283:
	v_add_f64 v[44:45], v[44:45], v[46:47]
	v_lshl_add_u64 v[46:47], v[110:111], 3, v[64:65]
	global_store_dwordx2 v[46:47], v[44:45], off
	s_or_b64 exec, exec, s[2:3]
	s_and_b64 s[4:5], s[24:25], s[22:23]
	s_and_saveexec_b64 s[2:3], s[4:5]
	s_cbranch_execz .LBB132_222
.LBB132_284:
	s_and_b64 vcc, exec, s[0:1]
	s_cbranch_vccnz .LBB132_286
; %bb.285:
	v_lshl_add_u64 v[44:45], v[108:109], 3, v[130:131]
	flat_load_dwordx2 v[44:45], v[44:45]
	s_waitcnt vmcnt(0) lgkmcnt(0)
	v_mul_f64 v[44:45], s[70:71], v[44:45]
	s_branch .LBB132_287
.LBB132_286:
	v_mov_b64_e32 v[44:45], 0
.LBB132_287:
	v_add_f64 v[42:43], v[42:43], v[44:45]
	v_lshl_add_u64 v[44:45], v[108:109], 3, v[64:65]
	global_store_dwordx2 v[44:45], v[42:43], off
	s_or_b64 exec, exec, s[2:3]
	s_and_b64 s[4:5], s[24:25], s[26:27]
	s_and_saveexec_b64 s[2:3], s[4:5]
	s_cbranch_execz .LBB132_223
.LBB132_288:
	s_and_b64 vcc, exec, s[0:1]
	s_cbranch_vccnz .LBB132_290
; %bb.289:
	v_lshl_add_u64 v[42:43], v[106:107], 3, v[130:131]
	flat_load_dwordx2 v[42:43], v[42:43]
	s_waitcnt vmcnt(0) lgkmcnt(0)
	v_mul_f64 v[42:43], s[70:71], v[42:43]
	s_branch .LBB132_291
.LBB132_290:
	v_mov_b64_e32 v[42:43], 0
.LBB132_291:
	v_add_f64 v[40:41], v[40:41], v[42:43]
	v_lshl_add_u64 v[42:43], v[106:107], 3, v[64:65]
	global_store_dwordx2 v[42:43], v[40:41], off
	s_or_b64 exec, exec, s[2:3]
	s_and_b64 s[4:5], s[24:25], s[28:29]
	s_and_saveexec_b64 s[2:3], s[4:5]
	s_cbranch_execz .LBB132_224
.LBB132_292:
	s_and_b64 vcc, exec, s[0:1]
	s_cbranch_vccnz .LBB132_294
; %bb.293:
	v_lshl_add_u64 v[40:41], v[104:105], 3, v[130:131]
	flat_load_dwordx2 v[40:41], v[40:41]
	s_waitcnt vmcnt(0) lgkmcnt(0)
	v_mul_f64 v[40:41], s[70:71], v[40:41]
	s_branch .LBB132_295
.LBB132_294:
	v_mov_b64_e32 v[40:41], 0
.LBB132_295:
	v_add_f64 v[38:39], v[38:39], v[40:41]
	v_lshl_add_u64 v[40:41], v[104:105], 3, v[64:65]
	global_store_dwordx2 v[40:41], v[38:39], off
	s_or_b64 exec, exec, s[2:3]
	s_and_b64 s[4:5], s[24:25], s[30:31]
	s_and_saveexec_b64 s[2:3], s[4:5]
	s_cbranch_execz .LBB132_225
.LBB132_296:
	s_and_b64 vcc, exec, s[0:1]
	s_cbranch_vccnz .LBB132_298
; %bb.297:
	v_lshl_add_u64 v[38:39], v[102:103], 3, v[130:131]
	flat_load_dwordx2 v[38:39], v[38:39]
	s_waitcnt vmcnt(0) lgkmcnt(0)
	v_mul_f64 v[38:39], s[70:71], v[38:39]
	s_branch .LBB132_299
.LBB132_298:
	v_mov_b64_e32 v[38:39], 0
.LBB132_299:
	v_add_f64 v[36:37], v[36:37], v[38:39]
	v_lshl_add_u64 v[38:39], v[102:103], 3, v[64:65]
	global_store_dwordx2 v[38:39], v[36:37], off
	s_or_b64 exec, exec, s[2:3]
	s_and_b64 s[4:5], s[24:25], s[34:35]
	s_and_saveexec_b64 s[2:3], s[4:5]
	s_cbranch_execz .LBB132_226
.LBB132_300:
	s_and_b64 vcc, exec, s[0:1]
	s_cbranch_vccnz .LBB132_302
; %bb.301:
	v_lshl_add_u64 v[36:37], v[100:101], 3, v[130:131]
	flat_load_dwordx2 v[36:37], v[36:37]
	s_waitcnt vmcnt(0) lgkmcnt(0)
	v_mul_f64 v[36:37], s[70:71], v[36:37]
	s_branch .LBB132_303
.LBB132_302:
	v_mov_b64_e32 v[36:37], 0
.LBB132_303:
	v_add_f64 v[34:35], v[34:35], v[36:37]
	v_lshl_add_u64 v[36:37], v[100:101], 3, v[64:65]
	global_store_dwordx2 v[36:37], v[34:35], off
	s_or_b64 exec, exec, s[2:3]
	s_and_b64 s[4:5], s[24:25], s[36:37]
	s_and_saveexec_b64 s[2:3], s[4:5]
	s_cbranch_execz .LBB132_227
.LBB132_304:
	s_and_b64 vcc, exec, s[0:1]
	s_cbranch_vccnz .LBB132_306
; %bb.305:
	v_lshl_add_u64 v[34:35], v[98:99], 3, v[130:131]
	flat_load_dwordx2 v[34:35], v[34:35]
	s_waitcnt vmcnt(0) lgkmcnt(0)
	v_mul_f64 v[34:35], s[70:71], v[34:35]
	s_branch .LBB132_307
.LBB132_306:
	v_mov_b64_e32 v[34:35], 0
.LBB132_307:
	v_add_f64 v[32:33], v[32:33], v[34:35]
	v_lshl_add_u64 v[34:35], v[98:99], 3, v[64:65]
	global_store_dwordx2 v[34:35], v[32:33], off
	s_or_b64 exec, exec, s[2:3]
	s_and_b64 s[4:5], s[24:25], s[38:39]
	s_and_saveexec_b64 s[2:3], s[4:5]
	s_cbranch_execz .LBB132_228
.LBB132_308:
	s_and_b64 vcc, exec, s[0:1]
	s_cbranch_vccnz .LBB132_310
; %bb.309:
	v_lshl_add_u64 v[32:33], v[96:97], 3, v[130:131]
	flat_load_dwordx2 v[32:33], v[32:33]
	s_waitcnt vmcnt(0) lgkmcnt(0)
	v_mul_f64 v[32:33], s[70:71], v[32:33]
	s_branch .LBB132_311
.LBB132_310:
	v_mov_b64_e32 v[32:33], 0
.LBB132_311:
	v_add_f64 v[30:31], v[30:31], v[32:33]
	v_lshl_add_u64 v[32:33], v[96:97], 3, v[64:65]
	global_store_dwordx2 v[32:33], v[30:31], off
	s_or_b64 exec, exec, s[2:3]
	s_and_b64 s[4:5], s[24:25], s[40:41]
	s_and_saveexec_b64 s[2:3], s[4:5]
	s_cbranch_execz .LBB132_229
.LBB132_312:
	s_and_b64 vcc, exec, s[0:1]
	s_cbranch_vccnz .LBB132_314
; %bb.313:
	v_lshl_add_u64 v[30:31], v[94:95], 3, v[130:131]
	flat_load_dwordx2 v[30:31], v[30:31]
	s_waitcnt vmcnt(0) lgkmcnt(0)
	v_mul_f64 v[30:31], s[70:71], v[30:31]
	s_branch .LBB132_315
.LBB132_314:
	v_mov_b64_e32 v[30:31], 0
.LBB132_315:
	v_add_f64 v[28:29], v[28:29], v[30:31]
	v_lshl_add_u64 v[30:31], v[94:95], 3, v[64:65]
	global_store_dwordx2 v[30:31], v[28:29], off
	s_or_b64 exec, exec, s[2:3]
	s_and_b64 s[4:5], s[24:25], s[42:43]
	s_and_saveexec_b64 s[2:3], s[4:5]
	s_cbranch_execz .LBB132_230
.LBB132_316:
	s_and_b64 vcc, exec, s[0:1]
	s_cbranch_vccnz .LBB132_318
; %bb.317:
	v_lshl_add_u64 v[28:29], v[92:93], 3, v[130:131]
	flat_load_dwordx2 v[28:29], v[28:29]
	s_waitcnt vmcnt(0) lgkmcnt(0)
	v_mul_f64 v[28:29], s[70:71], v[28:29]
	s_branch .LBB132_319
.LBB132_318:
	v_mov_b64_e32 v[28:29], 0
.LBB132_319:
	v_add_f64 v[26:27], v[26:27], v[28:29]
	v_lshl_add_u64 v[28:29], v[92:93], 3, v[64:65]
	global_store_dwordx2 v[28:29], v[26:27], off
	s_or_b64 exec, exec, s[2:3]
	s_and_b64 s[4:5], s[24:25], s[44:45]
	s_and_saveexec_b64 s[2:3], s[4:5]
	s_cbranch_execz .LBB132_231
.LBB132_320:
	s_and_b64 vcc, exec, s[0:1]
	s_cbranch_vccnz .LBB132_322
; %bb.321:
	v_lshl_add_u64 v[26:27], v[90:91], 3, v[130:131]
	flat_load_dwordx2 v[26:27], v[26:27]
	s_waitcnt vmcnt(0) lgkmcnt(0)
	v_mul_f64 v[26:27], s[70:71], v[26:27]
	s_branch .LBB132_323
.LBB132_322:
	v_mov_b64_e32 v[26:27], 0
.LBB132_323:
	v_add_f64 v[24:25], v[24:25], v[26:27]
	v_lshl_add_u64 v[26:27], v[90:91], 3, v[64:65]
	global_store_dwordx2 v[26:27], v[24:25], off
	s_or_b64 exec, exec, s[2:3]
	s_and_b64 s[4:5], s[24:25], s[46:47]
	s_and_saveexec_b64 s[2:3], s[4:5]
	s_cbranch_execz .LBB132_232
.LBB132_324:
	s_and_b64 vcc, exec, s[0:1]
	s_cbranch_vccnz .LBB132_326
; %bb.325:
	v_lshl_add_u64 v[24:25], v[88:89], 3, v[130:131]
	flat_load_dwordx2 v[24:25], v[24:25]
	s_waitcnt vmcnt(0) lgkmcnt(0)
	v_mul_f64 v[24:25], s[70:71], v[24:25]
	s_branch .LBB132_327
.LBB132_326:
	v_mov_b64_e32 v[24:25], 0
.LBB132_327:
	v_add_f64 v[22:23], v[22:23], v[24:25]
	v_lshl_add_u64 v[24:25], v[88:89], 3, v[64:65]
	global_store_dwordx2 v[24:25], v[22:23], off
	s_or_b64 exec, exec, s[2:3]
	s_and_b64 s[4:5], s[24:25], s[48:49]
	s_and_saveexec_b64 s[2:3], s[4:5]
	s_cbranch_execz .LBB132_233
.LBB132_328:
	s_and_b64 vcc, exec, s[0:1]
	s_cbranch_vccnz .LBB132_330
; %bb.329:
	v_lshl_add_u64 v[22:23], v[86:87], 3, v[130:131]
	flat_load_dwordx2 v[22:23], v[22:23]
	s_waitcnt vmcnt(0) lgkmcnt(0)
	v_mul_f64 v[22:23], s[70:71], v[22:23]
	s_branch .LBB132_331
.LBB132_330:
	v_mov_b64_e32 v[22:23], 0
.LBB132_331:
	v_add_f64 v[20:21], v[20:21], v[22:23]
	v_lshl_add_u64 v[22:23], v[86:87], 3, v[64:65]
	global_store_dwordx2 v[22:23], v[20:21], off
	s_or_b64 exec, exec, s[2:3]
	s_and_b64 s[4:5], s[24:25], s[50:51]
	s_and_saveexec_b64 s[2:3], s[4:5]
	s_cbranch_execz .LBB132_234
.LBB132_332:
	s_and_b64 vcc, exec, s[0:1]
	s_cbranch_vccnz .LBB132_334
; %bb.333:
	v_lshl_add_u64 v[20:21], v[84:85], 3, v[130:131]
	flat_load_dwordx2 v[20:21], v[20:21]
	s_waitcnt vmcnt(0) lgkmcnt(0)
	v_mul_f64 v[20:21], s[70:71], v[20:21]
	s_branch .LBB132_335
.LBB132_334:
	v_mov_b64_e32 v[20:21], 0
.LBB132_335:
	v_add_f64 v[18:19], v[18:19], v[20:21]
	v_lshl_add_u64 v[20:21], v[84:85], 3, v[64:65]
	global_store_dwordx2 v[20:21], v[18:19], off
	s_or_b64 exec, exec, s[2:3]
	s_and_b64 s[4:5], s[24:25], s[52:53]
	s_and_saveexec_b64 s[2:3], s[4:5]
	s_cbranch_execz .LBB132_235
.LBB132_336:
	s_and_b64 vcc, exec, s[0:1]
	s_cbranch_vccnz .LBB132_338
; %bb.337:
	v_lshl_add_u64 v[18:19], v[82:83], 3, v[130:131]
	flat_load_dwordx2 v[18:19], v[18:19]
	s_waitcnt vmcnt(0) lgkmcnt(0)
	v_mul_f64 v[18:19], s[70:71], v[18:19]
	s_branch .LBB132_339
.LBB132_338:
	v_mov_b64_e32 v[18:19], 0
.LBB132_339:
	v_add_f64 v[16:17], v[16:17], v[18:19]
	v_lshl_add_u64 v[18:19], v[82:83], 3, v[64:65]
	global_store_dwordx2 v[18:19], v[16:17], off
	s_or_b64 exec, exec, s[2:3]
	s_and_b64 s[4:5], s[24:25], s[54:55]
	s_and_saveexec_b64 s[2:3], s[4:5]
	s_cbranch_execz .LBB132_236
.LBB132_340:
	s_and_b64 vcc, exec, s[0:1]
	s_cbranch_vccnz .LBB132_342
; %bb.341:
	v_lshl_add_u64 v[16:17], v[80:81], 3, v[130:131]
	flat_load_dwordx2 v[16:17], v[16:17]
	s_waitcnt vmcnt(0) lgkmcnt(0)
	v_mul_f64 v[16:17], s[70:71], v[16:17]
	s_branch .LBB132_343
.LBB132_342:
	v_mov_b64_e32 v[16:17], 0
.LBB132_343:
	v_add_f64 v[14:15], v[14:15], v[16:17]
	v_lshl_add_u64 v[16:17], v[80:81], 3, v[64:65]
	global_store_dwordx2 v[16:17], v[14:15], off
	s_or_b64 exec, exec, s[2:3]
	s_and_b64 s[4:5], s[24:25], s[56:57]
	s_and_saveexec_b64 s[2:3], s[4:5]
	s_cbranch_execz .LBB132_237
.LBB132_344:
	s_and_b64 vcc, exec, s[0:1]
	s_cbranch_vccnz .LBB132_346
; %bb.345:
	v_lshl_add_u64 v[14:15], v[78:79], 3, v[130:131]
	flat_load_dwordx2 v[14:15], v[14:15]
	s_waitcnt vmcnt(0) lgkmcnt(0)
	v_mul_f64 v[14:15], s[70:71], v[14:15]
	s_branch .LBB132_347
.LBB132_346:
	v_mov_b64_e32 v[14:15], 0
.LBB132_347:
	v_add_f64 v[12:13], v[12:13], v[14:15]
	v_lshl_add_u64 v[14:15], v[78:79], 3, v[64:65]
	global_store_dwordx2 v[14:15], v[12:13], off
	s_or_b64 exec, exec, s[2:3]
	s_and_b64 s[4:5], s[24:25], s[58:59]
	s_and_saveexec_b64 s[2:3], s[4:5]
	s_cbranch_execz .LBB132_238
.LBB132_348:
	s_and_b64 vcc, exec, s[0:1]
	s_cbranch_vccnz .LBB132_350
; %bb.349:
	v_lshl_add_u64 v[12:13], v[76:77], 3, v[130:131]
	flat_load_dwordx2 v[12:13], v[12:13]
	s_waitcnt vmcnt(0) lgkmcnt(0)
	v_mul_f64 v[12:13], s[70:71], v[12:13]
	s_branch .LBB132_351
.LBB132_350:
	v_mov_b64_e32 v[12:13], 0
.LBB132_351:
	v_add_f64 v[10:11], v[10:11], v[12:13]
	v_lshl_add_u64 v[12:13], v[76:77], 3, v[64:65]
	global_store_dwordx2 v[12:13], v[10:11], off
	s_or_b64 exec, exec, s[2:3]
	s_and_b64 s[4:5], s[24:25], s[60:61]
	s_and_saveexec_b64 s[2:3], s[4:5]
	s_cbranch_execz .LBB132_239
.LBB132_352:
	s_and_b64 vcc, exec, s[0:1]
	s_cbranch_vccnz .LBB132_354
; %bb.353:
	v_lshl_add_u64 v[10:11], v[74:75], 3, v[130:131]
	flat_load_dwordx2 v[10:11], v[10:11]
	s_waitcnt vmcnt(0) lgkmcnt(0)
	v_mul_f64 v[10:11], s[70:71], v[10:11]
	s_branch .LBB132_355
.LBB132_354:
	v_mov_b64_e32 v[10:11], 0
.LBB132_355:
	v_add_f64 v[8:9], v[8:9], v[10:11]
	v_lshl_add_u64 v[10:11], v[74:75], 3, v[64:65]
	global_store_dwordx2 v[10:11], v[8:9], off
	s_or_b64 exec, exec, s[2:3]
	s_and_b64 s[4:5], s[24:25], s[62:63]
	s_and_saveexec_b64 s[2:3], s[4:5]
	s_cbranch_execz .LBB132_240
.LBB132_356:
	s_and_b64 vcc, exec, s[0:1]
	s_cbranch_vccnz .LBB132_358
; %bb.357:
	v_lshl_add_u64 v[8:9], v[72:73], 3, v[130:131]
	flat_load_dwordx2 v[8:9], v[8:9]
	s_waitcnt vmcnt(0) lgkmcnt(0)
	v_mul_f64 v[8:9], s[70:71], v[8:9]
	s_branch .LBB132_359
.LBB132_358:
	v_mov_b64_e32 v[8:9], 0
.LBB132_359:
	v_add_f64 v[6:7], v[6:7], v[8:9]
	v_lshl_add_u64 v[8:9], v[72:73], 3, v[64:65]
	global_store_dwordx2 v[8:9], v[6:7], off
	s_or_b64 exec, exec, s[2:3]
	s_and_b64 s[4:5], s[24:25], s[64:65]
	s_and_saveexec_b64 s[2:3], s[4:5]
	s_cbranch_execz .LBB132_241
.LBB132_360:
	s_and_b64 vcc, exec, s[0:1]
	s_cbranch_vccnz .LBB132_362
; %bb.361:
	v_lshl_add_u64 v[6:7], v[70:71], 3, v[130:131]
	flat_load_dwordx2 v[6:7], v[6:7]
	s_waitcnt vmcnt(0) lgkmcnt(0)
	v_mul_f64 v[6:7], s[70:71], v[6:7]
	s_branch .LBB132_363
.LBB132_362:
	v_mov_b64_e32 v[6:7], 0
.LBB132_363:
	v_add_f64 v[4:5], v[4:5], v[6:7]
	v_lshl_add_u64 v[6:7], v[70:71], 3, v[64:65]
	global_store_dwordx2 v[6:7], v[4:5], off
	s_or_b64 exec, exec, s[2:3]
	s_and_b64 s[4:5], s[24:25], s[66:67]
	s_and_saveexec_b64 s[2:3], s[4:5]
	s_cbranch_execz .LBB132_242
.LBB132_364:
	s_and_b64 vcc, exec, s[0:1]
	s_cbranch_vccnz .LBB132_366
; %bb.365:
	v_lshl_add_u64 v[4:5], v[68:69], 3, v[130:131]
	flat_load_dwordx2 v[4:5], v[4:5]
	s_waitcnt vmcnt(0) lgkmcnt(0)
	v_mul_f64 v[4:5], s[70:71], v[4:5]
	s_branch .LBB132_367
.LBB132_366:
	v_mov_b64_e32 v[4:5], 0
.LBB132_367:
	v_add_f64 v[2:3], v[2:3], v[4:5]
	v_lshl_add_u64 v[4:5], v[68:69], 3, v[64:65]
	global_store_dwordx2 v[4:5], v[2:3], off
	s_or_b64 exec, exec, s[2:3]
	s_and_b64 s[2:3], s[24:25], s[68:69]
	s_and_saveexec_b64 s[4:5], s[2:3]
	s_cbranch_execz .LBB132_243
.LBB132_368:
	s_and_b64 vcc, exec, s[0:1]
	s_cbranch_vccnz .LBB132_370
; %bb.369:
	v_lshl_add_u64 v[2:3], v[66:67], 3, v[130:131]
	flat_load_dwordx2 v[2:3], v[2:3]
	s_waitcnt vmcnt(0) lgkmcnt(0)
	v_mul_f64 v[2:3], s[70:71], v[2:3]
	v_add_f64 v[0:1], v[0:1], v[2:3]
	v_lshl_add_u64 v[2:3], v[66:67], 3, v[64:65]
	global_store_dwordx2 v[2:3], v[0:1], off
	s_endpgm
.LBB132_370:
	v_mov_b64_e32 v[2:3], 0
	v_add_f64 v[0:1], v[0:1], v[2:3]
	v_lshl_add_u64 v[2:3], v[66:67], 3, v[64:65]
	global_store_dwordx2 v[2:3], v[0:1], off
	s_endpgm
	.section	.rodata,"a",@progbits
	.p2align	6, 0x0
	.amdhsa_kernel _ZN12_GLOBAL__N_120geam_min_plus_kernelIdddLi4ELi64ELi128ELi128ELi4ELi64ELi4ELi4ELi64ELc78ELc78ELb0ELb1ELb0EPKdKS2_KPdEEviiiT16_PT17_ilS8_ilS6_S8_ilPT18_ili26rocblas_geam_ex_operation_
		.amdhsa_group_segment_fixed_size 16384
		.amdhsa_private_segment_fixed_size 0
		.amdhsa_kernarg_size 136
		.amdhsa_user_sgpr_count 2
		.amdhsa_user_sgpr_dispatch_ptr 0
		.amdhsa_user_sgpr_queue_ptr 0
		.amdhsa_user_sgpr_kernarg_segment_ptr 1
		.amdhsa_user_sgpr_dispatch_id 0
		.amdhsa_user_sgpr_kernarg_preload_length 0
		.amdhsa_user_sgpr_kernarg_preload_offset 0
		.amdhsa_user_sgpr_private_segment_size 0
		.amdhsa_uses_dynamic_stack 0
		.amdhsa_enable_private_segment 0
		.amdhsa_system_sgpr_workgroup_id_x 1
		.amdhsa_system_sgpr_workgroup_id_y 0
		.amdhsa_system_sgpr_workgroup_id_z 1
		.amdhsa_system_sgpr_workgroup_info 0
		.amdhsa_system_vgpr_workitem_id 1
		.amdhsa_next_free_vgpr 254
		.amdhsa_next_free_sgpr 82
		.amdhsa_accum_offset 256
		.amdhsa_reserve_vcc 1
		.amdhsa_float_round_mode_32 0
		.amdhsa_float_round_mode_16_64 0
		.amdhsa_float_denorm_mode_32 3
		.amdhsa_float_denorm_mode_16_64 3
		.amdhsa_dx10_clamp 1
		.amdhsa_ieee_mode 1
		.amdhsa_fp16_overflow 0
		.amdhsa_tg_split 0
		.amdhsa_exception_fp_ieee_invalid_op 0
		.amdhsa_exception_fp_denorm_src 0
		.amdhsa_exception_fp_ieee_div_zero 0
		.amdhsa_exception_fp_ieee_overflow 0
		.amdhsa_exception_fp_ieee_underflow 0
		.amdhsa_exception_fp_ieee_inexact 0
		.amdhsa_exception_int_div_zero 0
	.end_amdhsa_kernel
	.section	.text._ZN12_GLOBAL__N_120geam_min_plus_kernelIdddLi4ELi64ELi128ELi128ELi4ELi64ELi4ELi4ELi64ELc78ELc78ELb0ELb1ELb0EPKdKS2_KPdEEviiiT16_PT17_ilS8_ilS6_S8_ilPT18_ili26rocblas_geam_ex_operation_,"axG",@progbits,_ZN12_GLOBAL__N_120geam_min_plus_kernelIdddLi4ELi64ELi128ELi128ELi4ELi64ELi4ELi4ELi64ELc78ELc78ELb0ELb1ELb0EPKdKS2_KPdEEviiiT16_PT17_ilS8_ilS6_S8_ilPT18_ili26rocblas_geam_ex_operation_,comdat
.Lfunc_end132:
	.size	_ZN12_GLOBAL__N_120geam_min_plus_kernelIdddLi4ELi64ELi128ELi128ELi4ELi64ELi4ELi4ELi64ELc78ELc78ELb0ELb1ELb0EPKdKS2_KPdEEviiiT16_PT17_ilS8_ilS6_S8_ilPT18_ili26rocblas_geam_ex_operation_, .Lfunc_end132-_ZN12_GLOBAL__N_120geam_min_plus_kernelIdddLi4ELi64ELi128ELi128ELi4ELi64ELi4ELi4ELi64ELc78ELc78ELb0ELb1ELb0EPKdKS2_KPdEEviiiT16_PT17_ilS8_ilS6_S8_ilPT18_ili26rocblas_geam_ex_operation_
                                        ; -- End function
	.section	.AMDGPU.csdata,"",@progbits
; Kernel info:
; codeLenInByte = 14808
; NumSgprs: 88
; NumVgprs: 254
; NumAgprs: 0
; TotalNumVgprs: 254
; ScratchSize: 0
; MemoryBound: 0
; FloatMode: 240
; IeeeMode: 1
; LDSByteSize: 16384 bytes/workgroup (compile time only)
; SGPRBlocks: 10
; VGPRBlocks: 31
; NumSGPRsForWavesPerEU: 88
; NumVGPRsForWavesPerEU: 254
; AccumOffset: 256
; Occupancy: 2
; WaveLimiterHint : 1
; COMPUTE_PGM_RSRC2:SCRATCH_EN: 0
; COMPUTE_PGM_RSRC2:USER_SGPR: 2
; COMPUTE_PGM_RSRC2:TRAP_HANDLER: 0
; COMPUTE_PGM_RSRC2:TGID_X_EN: 1
; COMPUTE_PGM_RSRC2:TGID_Y_EN: 0
; COMPUTE_PGM_RSRC2:TGID_Z_EN: 1
; COMPUTE_PGM_RSRC2:TIDIG_COMP_CNT: 1
; COMPUTE_PGM_RSRC3_GFX90A:ACCUM_OFFSET: 63
; COMPUTE_PGM_RSRC3_GFX90A:TG_SPLIT: 0
	.section	.text._ZN12_GLOBAL__N_120geam_min_plus_kernelIdddLi4ELi64ELi128ELi128ELi4ELi64ELi4ELi4ELi64ELc78ELc78ELb1ELb1ELb0EdKPKdKPdEEviiiT16_PT17_ilS8_ilS6_S8_ilPT18_ili26rocblas_geam_ex_operation_,"axG",@progbits,_ZN12_GLOBAL__N_120geam_min_plus_kernelIdddLi4ELi64ELi128ELi128ELi4ELi64ELi4ELi4ELi64ELc78ELc78ELb1ELb1ELb0EdKPKdKPdEEviiiT16_PT17_ilS8_ilS6_S8_ilPT18_ili26rocblas_geam_ex_operation_,comdat
	.globl	_ZN12_GLOBAL__N_120geam_min_plus_kernelIdddLi4ELi64ELi128ELi128ELi4ELi64ELi4ELi4ELi64ELc78ELc78ELb1ELb1ELb0EdKPKdKPdEEviiiT16_PT17_ilS8_ilS6_S8_ilPT18_ili26rocblas_geam_ex_operation_ ; -- Begin function _ZN12_GLOBAL__N_120geam_min_plus_kernelIdddLi4ELi64ELi128ELi128ELi4ELi64ELi4ELi4ELi64ELc78ELc78ELb1ELb1ELb0EdKPKdKPdEEviiiT16_PT17_ilS8_ilS6_S8_ilPT18_ili26rocblas_geam_ex_operation_
	.p2align	8
	.type	_ZN12_GLOBAL__N_120geam_min_plus_kernelIdddLi4ELi64ELi128ELi128ELi4ELi64ELi4ELi4ELi64ELc78ELc78ELb1ELb1ELb0EdKPKdKPdEEviiiT16_PT17_ilS8_ilS6_S8_ilPT18_ili26rocblas_geam_ex_operation_,@function
_ZN12_GLOBAL__N_120geam_min_plus_kernelIdddLi4ELi64ELi128ELi128ELi4ELi64ELi4ELi4ELi64ELc78ELc78ELb1ELb1ELb0EdKPKdKPdEEviiiT16_PT17_ilS8_ilS6_S8_ilPT18_ili26rocblas_geam_ex_operation_: ; @_ZN12_GLOBAL__N_120geam_min_plus_kernelIdddLi4ELi64ELi128ELi128ELi4ELi64ELi4ELi4ELi64ELc78ELc78ELb1ELb1ELb0EdKPKdKPdEEviiiT16_PT17_ilS8_ilS6_S8_ilPT18_ili26rocblas_geam_ex_operation_
; %bb.0:
	s_load_dwordx4 s[8:11], s[0:1], 0x10
	s_load_dwordx4 s[4:7], s[0:1], 0x28
	s_mov_b32 s12, s3
	s_mov_b64 s[14:15], 0
	s_waitcnt lgkmcnt(0)
	v_cmp_eq_f64_e64 s[16:17], s[8:9], 0
	s_and_b64 vcc, exec, s[16:17]
	s_cbranch_vccnz .LBB133_2
; %bb.1:
	s_mov_b32 s13, 0
	s_lshl_b64 s[8:9], s[12:13], 3
	s_add_u32 s8, s10, s8
	s_addc_u32 s9, s11, s9
	s_load_dwordx2 s[8:9], s[8:9], 0x0
	s_lshl_b64 s[4:5], s[4:5], 3
	s_waitcnt lgkmcnt(0)
	s_add_u32 s14, s8, s4
	s_addc_u32 s15, s9, s5
.LBB133_2:
	s_load_dwordx4 s[68:71], s[0:1], 0x40
	s_load_dwordx2 s[8:9], s[0:1], 0x50
	s_andn2_b64 vcc, exec, s[16:17]
	s_cbranch_vccnz .LBB133_4
; %bb.3:
	s_mov_b32 s13, 0
	s_mov_b64 s[16:17], 0
	s_cbranch_execz .LBB133_5
	s_branch .LBB133_6
.LBB133_4:
                                        ; implicit-def: $sgpr16_sgpr17
.LBB133_5:
	s_mov_b32 s13, 0
	s_lshl_b64 s[4:5], s[12:13], 3
	s_add_u32 s4, s6, s4
	s_addc_u32 s5, s7, s5
	s_load_dwordx2 s[4:5], s[4:5], 0x0
	s_waitcnt lgkmcnt(0)
	s_lshl_b64 s[6:7], s[68:69], 3
	s_add_u32 s16, s4, s6
	s_addc_u32 s17, s5, s7
.LBB133_6:
	s_load_dwordx4 s[4:7], s[0:1], 0x60
	s_waitcnt lgkmcnt(0)
	v_cmp_eq_f64_e64 s[18:19], s[70:71], 0
	s_mov_b64 s[76:77], 0
	v_cmp_neq_f64_e64 s[10:11], s[70:71], 0
	s_and_b64 vcc, exec, s[18:19]
	s_cbranch_vccnz .LBB133_8
; %bb.7:
	s_lshl_b64 s[18:19], s[12:13], 3
	s_add_u32 s8, s8, s18
	s_addc_u32 s9, s9, s19
	s_load_dwordx2 s[8:9], s[8:9], 0x0
	s_lshl_b64 s[4:5], s[4:5], 3
	s_waitcnt lgkmcnt(0)
	s_add_u32 s76, s8, s4
	s_addc_u32 s77, s9, s5
.LBB133_8:
	s_load_dwordx4 s[72:75], s[0:1], 0x0
	s_load_dword s22, s[0:1], 0x20
	s_lshl_b64 s[4:5], s[12:13], 3
	s_add_u32 s4, s6, s4
	s_addc_u32 s5, s7, s5
	s_waitcnt lgkmcnt(0)
	s_add_i32 s3, s72, -1
	s_ashr_i32 s6, s3, 31
	s_lshr_b32 s6, s6, 25
	s_add_i32 s3, s3, s6
	s_ashr_i32 s3, s3, 7
	s_add_i32 s6, s3, 1
	v_cvt_f32_u32_e32 v1, s6
	v_and_b32_e32 v148, 0x3ff, v0
	v_bfe_u32 v149, v0, 10, 10
	s_load_dwordx2 s[12:13], s[4:5], 0x0
	v_rcp_iflag_f32_e32 v1, v1
	s_not_b32 s3, s3
	v_lshl_add_u32 v6, v149, 2, v148
	v_and_b32_e32 v142, 63, v6
	v_mul_f32_e32 v0, 0x4f7ffffe, v1
	v_cvt_u32_f32_e32 v0, v0
	v_lshrrev_b32_e32 v150, 6, v6
	v_cmp_le_i32_e32 vcc, s74, v150
	v_readfirstlane_b32 s4, v0
	s_mul_i32 s3, s3, s4
	s_mul_hi_u32 s3, s4, s3
	s_add_i32 s4, s4, s3
	s_mul_hi_u32 s3, s2, s4
	s_mul_i32 s4, s3, s6
	s_sub_i32 s4, s2, s4
	s_add_i32 s5, s3, 1
	s_sub_i32 s7, s4, s6
	s_cmp_ge_u32 s4, s6
	s_cselect_b32 s3, s5, s3
	s_cselect_b32 s4, s7, s4
	s_add_i32 s5, s3, 1
	s_cmp_ge_u32 s4, s6
	s_cselect_b32 s8, s5, s3
	s_mul_i32 s3, s8, s6
	s_sub_i32 s2, s2, s3
	s_lshl_b32 s20, s2, 7
	v_or_b32_e32 v128, s20, v142
	v_mad_i64_i32 v[0:1], s[2:3], s22, v150, 0
	v_cmp_le_i32_e64 s[2:3], s72, v128
	v_lshl_add_u64 v[4:5], v[0:1], 3, s[14:15]
	s_or_b64 s[4:5], s[2:3], vcc
	v_mov_b64_e32 v[0:1], 0
	s_xor_b64 s[6:7], s[4:5], -1
	v_ashrrev_i32_e32 v129, 31, v128
	v_mov_b64_e32 v[2:3], v[0:1]
	s_and_saveexec_b64 s[4:5], s[6:7]
	s_cbranch_execz .LBB133_10
; %bb.9:
	v_lshl_add_u64 v[2:3], v[128:129], 3, v[4:5]
	flat_load_dwordx2 v[2:3], v[2:3]
.LBB133_10:
	s_or_b64 exec, exec, s[4:5]
	v_or_b32_e32 v7, 64, v128
	v_cmp_le_i32_e64 s[4:5], s72, v7
	s_or_b64 s[6:7], s[4:5], vcc
	s_ashr_i32 s23, s22, 31
	s_xor_b64 s[18:19], s[6:7], -1
	s_and_saveexec_b64 s[6:7], s[18:19]
	s_cbranch_execz .LBB133_12
; %bb.11:
	v_lshl_add_u64 v[0:1], v[128:129], 3, v[4:5]
	flat_load_dwordx2 v[0:1], v[0:1] offset:512
.LBB133_12:
	s_or_b64 exec, exec, s[6:7]
	s_load_dword s25, s[0:1], 0x38
	v_lshrrev_b32_e32 v14, 2, v6
	s_lshl_b32 s21, s8, 7
	v_and_b32_e32 v151, 3, v148
	v_add_u32_e32 v138, s21, v14
	v_cmp_le_i32_e32 vcc, s74, v151
	v_cmp_le_i32_e64 s[6:7], s73, v138
	v_lshlrev_b32_e32 v4, 3, v151
	v_mov_b32_e32 v5, 0
	s_or_b64 s[8:9], vcc, s[6:7]
	v_mov_b64_e32 v[6:7], 0
	v_lshl_add_u64 v[10:11], s[16:17], 0, v[4:5]
	s_xor_b64 s[18:19], s[8:9], -1
	v_mov_b64_e32 v[8:9], v[6:7]
	s_and_saveexec_b64 s[8:9], s[18:19]
	s_cbranch_execz .LBB133_14
; %bb.13:
	s_waitcnt lgkmcnt(0)
	v_mad_i64_i32 v[8:9], s[18:19], v138, s25, 0
	v_lshl_add_u64 v[8:9], v[8:9], 3, v[10:11]
	flat_load_dwordx2 v[8:9], v[8:9]
.LBB133_14:
	s_or_b64 exec, exec, s[8:9]
	v_add_u32_e32 v139, 64, v138
	v_cmp_le_i32_e64 s[8:9], s73, v139
	s_or_b64 s[18:19], vcc, s[8:9]
	s_xor_b64 s[26:27], s[18:19], -1
	s_and_saveexec_b64 s[18:19], s[26:27]
	s_cbranch_execz .LBB133_16
; %bb.15:
	s_waitcnt lgkmcnt(0)
	v_mad_i64_i32 v[6:7], s[26:27], v139, s25, 0
	v_lshl_add_u64 v[6:7], v[6:7], 3, v[10:11]
	flat_load_dwordx2 v[6:7], v[6:7]
.LBB133_16:
	s_or_b64 exec, exec, s[18:19]
	v_add_u32_e32 v5, 4, v150
	v_cmp_le_i32_e32 vcc, s74, v5
	v_mad_i64_i32 v[12:13], s[18:19], s22, v5, 0
	s_or_b64 s[18:19], s[2:3], vcc
	v_mov_b64_e32 v[130:131], 0
	v_lshl_add_u64 v[12:13], v[12:13], 3, s[14:15]
	s_xor_b64 s[26:27], s[18:19], -1
	v_mov_b64_e32 v[132:133], v[130:131]
	s_and_saveexec_b64 s[18:19], s[26:27]
	s_cbranch_execz .LBB133_18
; %bb.17:
	v_lshl_add_u64 v[16:17], v[128:129], 3, v[12:13]
	flat_load_dwordx2 v[132:133], v[16:17]
.LBB133_18:
	s_or_b64 exec, exec, s[18:19]
	s_or_b64 s[18:19], s[4:5], vcc
	s_xor_b64 s[26:27], s[18:19], -1
	s_and_saveexec_b64 s[18:19], s[26:27]
	s_cbranch_execz .LBB133_20
; %bb.19:
	v_lshl_add_u64 v[12:13], v[128:129], 3, v[12:13]
	flat_load_dwordx2 v[130:131], v[12:13] offset:512
.LBB133_20:
	s_or_b64 exec, exec, s[18:19]
	v_or_b32_e32 v5, 4, v151
	v_cmp_le_i32_e32 vcc, s74, v5
	s_or_b64 s[18:19], vcc, s[6:7]
	v_mov_b64_e32 v[134:135], 0
	s_xor_b64 s[26:27], s[18:19], -1
	v_mov_b64_e32 v[136:137], v[134:135]
	s_and_saveexec_b64 s[18:19], s[26:27]
	s_cbranch_execz .LBB133_22
; %bb.21:
	s_waitcnt lgkmcnt(0)
	v_mad_i64_i32 v[12:13], s[26:27], v138, s25, 0
	v_lshl_add_u64 v[12:13], v[12:13], 3, v[10:11]
	flat_load_dwordx2 v[136:137], v[12:13] offset:32
.LBB133_22:
	s_or_b64 exec, exec, s[18:19]
	s_or_b64 s[18:19], vcc, s[8:9]
	s_xor_b64 s[26:27], s[18:19], -1
	s_and_saveexec_b64 s[18:19], s[26:27]
	s_cbranch_execz .LBB133_24
; %bb.23:
	s_waitcnt lgkmcnt(0)
	v_mad_i64_i32 v[12:13], s[26:27], v139, s25, 0
	v_lshl_add_u64 v[10:11], v[12:13], 3, v[10:11]
	flat_load_dwordx2 v[134:135], v[10:11] offset:32
.LBB133_24:
	s_or_b64 exec, exec, s[18:19]
	v_lshlrev_b32_e32 v5, 3, v150
	v_lshl_add_u32 v152, v142, 5, v5
	v_lshl_or_b32 v141, v14, 5, v4
	v_lshlrev_b32_e32 v140, 5, v149
	v_mov_b64_e32 v[126:127], 0
	s_waitcnt vmcnt(0) lgkmcnt(0)
	ds_write2st64_b64 v152, v[2:3], v[0:1] offset1:4
	v_add_u32_e32 v153, 0x2000, v141
	ds_write2st64_b64 v141, v[8:9], v[6:7] offset0:16 offset1:20
	v_lshlrev_b32_e32 v154, 5, v148
	v_add_u32_e32 v155, 0x2000, v140
	s_mov_b32 s18, 0
	v_mov_b64_e32 v[124:125], v[126:127]
	v_mov_b64_e32 v[122:123], v[126:127]
	;; [unrolled: 1-line block ×63, first 2 shown]
	s_waitcnt lgkmcnt(0)
	s_barrier
.LBB133_25:                             ; =>This Inner Loop Header: Depth=1
	v_add_u32_e32 v143, s18, v154
	v_add_u32_e32 v184, s18, v155
	ds_read2_b64 v[144:147], v143 offset1:16
	ds_read2_b64 v[156:159], v143 offset0:32 offset1:48
	ds_read2_b64 v[160:163], v143 offset0:64 offset1:80
	;; [unrolled: 1-line block ×7, first 2 shown]
	ds_read2st64_b64 v[184:187], v184 offset1:4
	v_add_u32_e32 v143, 0x800, v143
	ds_read2_b64 v[188:191], v143 offset1:16
	ds_read2_b64 v[192:195], v143 offset0:32 offset1:48
	ds_read2_b64 v[196:199], v143 offset0:64 offset1:80
	;; [unrolled: 1-line block ×7, first 2 shown]
	s_waitcnt lgkmcnt(14)
	v_max_f64 v[144:145], v[144:145], v[144:145]
	v_max_f64 v[146:147], v[146:147], v[146:147]
	;; [unrolled: 1-line block ×6, first 2 shown]
	s_waitcnt lgkmcnt(13)
	v_max_f64 v[164:165], v[164:165], v[164:165]
	v_max_f64 v[166:167], v[166:167], v[166:167]
	s_waitcnt lgkmcnt(12)
	v_max_f64 v[168:169], v[168:169], v[168:169]
	v_max_f64 v[170:171], v[170:171], v[170:171]
	s_waitcnt lgkmcnt(11)
	v_max_f64 v[172:173], v[172:173], v[172:173]
	v_max_f64 v[174:175], v[174:175], v[174:175]
	s_waitcnt lgkmcnt(10)
	v_max_f64 v[176:177], v[176:177], v[176:177]
	v_max_f64 v[178:179], v[178:179], v[178:179]
	s_waitcnt lgkmcnt(9)
	v_max_f64 v[180:181], v[180:181], v[180:181]
	v_max_f64 v[182:183], v[182:183], v[182:183]
	s_waitcnt lgkmcnt(8)
	v_max_f64 v[184:185], v[184:185], v[184:185]
	v_max_f64 v[186:187], v[186:187], v[186:187]
	s_waitcnt lgkmcnt(7)
	v_max_f64 v[188:189], v[188:189], v[188:189]
	v_max_f64 v[190:191], v[190:191], v[190:191]
	s_waitcnt lgkmcnt(6)
	v_max_f64 v[192:193], v[192:193], v[192:193]
	v_max_f64 v[194:195], v[194:195], v[194:195]
	s_waitcnt lgkmcnt(5)
	v_max_f64 v[196:197], v[196:197], v[196:197]
	v_max_f64 v[198:199], v[198:199], v[198:199]
	s_waitcnt lgkmcnt(4)
	v_max_f64 v[200:201], v[200:201], v[200:201]
	v_max_f64 v[202:203], v[202:203], v[202:203]
	s_waitcnt lgkmcnt(3)
	v_max_f64 v[204:205], v[204:205], v[204:205]
	v_max_f64 v[206:207], v[206:207], v[206:207]
	s_waitcnt lgkmcnt(2)
	v_max_f64 v[208:209], v[208:209], v[208:209]
	v_max_f64 v[210:211], v[210:211], v[210:211]
	s_waitcnt lgkmcnt(1)
	v_max_f64 v[212:213], v[212:213], v[212:213]
	v_max_f64 v[214:215], v[214:215], v[214:215]
	s_waitcnt lgkmcnt(0)
	v_max_f64 v[216:217], v[216:217], v[216:217]
	v_max_f64 v[218:219], v[218:219], v[218:219]
	v_min_f64 v[220:221], v[144:145], v[184:185]
	v_min_f64 v[222:223], v[146:147], v[184:185]
	;; [unrolled: 1-line block ×32, first 2 shown]
	s_add_i32 s18, s18, 8
	v_add_f64 v[62:63], v[144:145], v[62:63]
	v_add_f64 v[60:61], v[146:147], v[60:61]
	;; [unrolled: 1-line block ×16, first 2 shown]
	v_min_f64 v[144:145], v[188:189], v[184:185]
	v_min_f64 v[146:147], v[190:191], v[184:185]
	;; [unrolled: 1-line block ×32, first 2 shown]
	s_cmp_eq_u32 s18, 32
	v_add_f64 v[126:127], v[220:221], v[126:127]
	v_add_f64 v[124:125], v[222:223], v[124:125]
	;; [unrolled: 1-line block ×48, first 2 shown]
	s_cbranch_scc0 .LBB133_25
; %bb.26:
	v_lshlrev_b32_e32 v142, 5, v142
	v_lshl_add_u32 v142, v150, 3, v142
	s_cmp_gt_i32 s74, 8
	ds_write2st64_b64 v142, v[132:133], v[130:131] offset0:8 offset1:12
	ds_write2st64_b64 v141, v[136:137], v[134:135] offset0:24 offset1:28
	s_waitcnt lgkmcnt(0)
	s_barrier
	s_cbranch_scc1 .LBB133_28
; %bb.27:
	v_add_u32_e32 v156, 0x1000, v154
	v_add_u32_e32 v157, 0x3000, v140
	s_cbranch_execz .LBB133_29
	s_branch .LBB133_51
.LBB133_28:
                                        ; implicit-def: $vgpr156
                                        ; implicit-def: $vgpr157
.LBB133_29:
	v_or_b32_e32 v158, 0x1000, v142
	v_add_u32_e32 v159, 0x3000, v141
	s_add_i32 s24, s74, -8
	v_mad_i64_i32 v[130:131], s[18:19], v138, s25, 0
	v_mad_i64_i32 v[132:133], s[18:19], v139, s25, 0
	v_add_u32_e32 v156, 0x1000, v154
	v_add_u32_e32 v157, 0x3000, v140
	s_mov_b32 s25, 8
	s_mov_b32 s26, 0
	v_mov_b32_e32 v135, 0
.LBB133_30:                             ; =>This Loop Header: Depth=1
                                        ;     Child Loop BB133_39 Depth 2
                                        ;     Child Loop BB133_49 Depth 2
	v_add_u32_e32 v138, s25, v150
	v_mad_u64_u32 v[136:137], s[18:19], v138, s22, 0
	v_mov_b32_e32 v134, v137
	v_cmp_le_i32_e32 vcc, s74, v138
	v_mad_u64_u32 v[138:139], s[18:19], v138, s23, v[134:135]
	v_mov_b32_e32 v137, v138
	v_lshl_add_u64 v[136:137], v[136:137], 3, s[14:15]
	s_or_b64 s[18:19], s[2:3], vcc
	v_mov_b64_e32 v[140:141], 0
	s_xor_b64 s[28:29], s[18:19], -1
	v_lshl_add_u64 v[136:137], v[128:129], 3, v[136:137]
	v_mov_b64_e32 v[142:143], v[140:141]
	s_and_saveexec_b64 s[18:19], s[28:29]
	s_cbranch_execz .LBB133_32
; %bb.31:                               ;   in Loop: Header=BB133_30 Depth=1
	flat_load_dwordx2 v[142:143], v[136:137]
.LBB133_32:                             ;   in Loop: Header=BB133_30 Depth=1
	s_or_b64 exec, exec, s[18:19]
	s_or_b64 s[18:19], s[4:5], vcc
	s_xor_b64 s[28:29], s[18:19], -1
	s_and_saveexec_b64 s[18:19], s[28:29]
	s_cbranch_execz .LBB133_34
; %bb.33:                               ;   in Loop: Header=BB133_30 Depth=1
	flat_load_dwordx2 v[140:141], v[136:137] offset:512
.LBB133_34:                             ;   in Loop: Header=BB133_30 Depth=1
	s_or_b64 exec, exec, s[18:19]
	v_or_b32_e32 v134, s25, v151
	v_cmp_le_i32_e32 vcc, s74, v134
	v_lshl_add_u64 v[138:139], v[134:135], 3, s[16:17]
	s_or_b64 s[18:19], s[6:7], vcc
	v_mov_b64_e32 v[144:145], 0
	s_xor_b64 s[28:29], s[18:19], -1
	v_lshl_add_u64 v[136:137], v[130:131], 3, v[138:139]
	v_mov_b64_e32 v[146:147], v[144:145]
	s_and_saveexec_b64 s[18:19], s[28:29]
	s_cbranch_execz .LBB133_36
; %bb.35:                               ;   in Loop: Header=BB133_30 Depth=1
	flat_load_dwordx2 v[146:147], v[136:137]
.LBB133_36:                             ;   in Loop: Header=BB133_30 Depth=1
	s_or_b64 exec, exec, s[18:19]
	s_or_b64 s[18:19], s[8:9], vcc
	s_xor_b64 s[28:29], s[18:19], -1
	v_lshl_add_u64 v[138:139], v[132:133], 3, v[138:139]
	s_and_saveexec_b64 s[18:19], s[28:29]
	s_cbranch_execz .LBB133_38
; %bb.37:                               ;   in Loop: Header=BB133_30 Depth=1
	flat_load_dwordx2 v[144:145], v[138:139]
.LBB133_38:                             ;   in Loop: Header=BB133_30 Depth=1
	s_or_b64 exec, exec, s[18:19]
	s_mov_b32 s18, 0
.LBB133_39:                             ;   Parent Loop BB133_30 Depth=1
                                        ; =>  This Inner Loop Header: Depth=2
	v_add_u32_e32 v192, s18, v156
	v_add_u32_e32 v220, 0x800, v192
	;; [unrolled: 1-line block ×3, first 2 shown]
	ds_read2_b64 v[160:163], v192 offset1:16
	ds_read2_b64 v[164:167], v192 offset0:32 offset1:48
	ds_read2_b64 v[168:171], v192 offset0:64 offset1:80
	;; [unrolled: 1-line block ×7, first 2 shown]
	ds_read2_b64 v[192:195], v220 offset1:16
	ds_read2_b64 v[196:199], v220 offset0:32 offset1:48
	ds_read2_b64 v[200:203], v220 offset0:64 offset1:80
	;; [unrolled: 1-line block ×7, first 2 shown]
	ds_read2st64_b64 v[224:227], v224 offset1:4
	s_waitcnt lgkmcnt(0)
	v_max_f64 v[160:161], v[160:161], v[160:161]
	v_max_f64 v[162:163], v[162:163], v[162:163]
	;; [unrolled: 1-line block ×5, first 2 shown]
	v_min_f64 v[228:229], v[160:161], v[224:225]
	v_add_f64 v[126:127], v[228:229], v[126:127]
	v_min_f64 v[228:229], v[162:163], v[224:225]
	v_add_f64 v[124:125], v[228:229], v[124:125]
	;; [unrolled: 2-line block ×3, first 2 shown]
	v_min_f64 v[228:229], v[166:167], v[224:225]
	v_max_f64 v[168:169], v[168:169], v[168:169]
	v_add_f64 v[120:121], v[228:229], v[120:121]
	v_min_f64 v[228:229], v[168:169], v[224:225]
	v_max_f64 v[170:171], v[170:171], v[170:171]
	v_add_f64 v[118:119], v[228:229], v[118:119]
	;; [unrolled: 3-line block ×26, first 2 shown]
	v_min_f64 v[228:229], v[218:219], v[224:225]
	v_max_f64 v[220:221], v[220:221], v[220:221]
	v_max_f64 v[222:223], v[222:223], v[222:223]
	v_add_f64 v[68:69], v[228:229], v[68:69]
	v_min_f64 v[228:229], v[220:221], v[224:225]
	v_min_f64 v[224:225], v[222:223], v[224:225]
	v_add_f64 v[64:65], v[224:225], v[64:65]
	v_max_f64 v[224:225], v[226:227], v[226:227]
	v_min_f64 v[160:161], v[160:161], v[224:225]
	v_add_f64 v[62:63], v[160:161], v[62:63]
	v_min_f64 v[160:161], v[162:163], v[224:225]
	v_add_f64 v[60:61], v[160:161], v[60:61]
	;; [unrolled: 2-line block ×31, first 2 shown]
	v_min_f64 v[160:161], v[222:223], v[224:225]
	s_add_i32 s18, s18, 8
	v_add_f64 v[66:67], v[228:229], v[66:67]
	v_add_f64 v[0:1], v[160:161], v[0:1]
	s_cmp_eq_u32 s18, 32
	s_cbranch_scc0 .LBB133_39
; %bb.40:                               ;   in Loop: Header=BB133_30 Depth=1
	s_waitcnt vmcnt(0)
	ds_write2st64_b64 v152, v[142:143], v[140:141] offset1:4
	ds_write2st64_b64 v153, v[146:147], v[144:145] offset1:4
	v_add3_u32 v143, v150, s25, 4
	v_mad_u64_u32 v[140:141], s[18:19], v143, s22, 0
	v_mov_b32_e32 v142, v141
	v_cmp_le_i32_e32 vcc, s74, v143
	v_mad_u64_u32 v[142:143], s[18:19], v143, s23, v[142:143]
	v_mov_b32_e32 v141, v142
	v_lshl_add_u64 v[142:143], v[140:141], 3, s[14:15]
	s_or_b64 s[18:19], s[2:3], vcc
	v_mov_b64_e32 v[140:141], 0
	s_xor_b64 s[28:29], s[18:19], -1
	v_lshl_add_u64 v[144:145], v[128:129], 3, v[142:143]
	v_mov_b64_e32 v[142:143], v[140:141]
	s_waitcnt lgkmcnt(0)
	s_barrier
	s_and_saveexec_b64 s[18:19], s[28:29]
	s_cbranch_execz .LBB133_42
; %bb.41:                               ;   in Loop: Header=BB133_30 Depth=1
	flat_load_dwordx2 v[142:143], v[144:145]
.LBB133_42:                             ;   in Loop: Header=BB133_30 Depth=1
	s_or_b64 exec, exec, s[18:19]
	s_or_b64 s[18:19], s[4:5], vcc
	s_xor_b64 s[28:29], s[18:19], -1
	s_and_saveexec_b64 s[18:19], s[28:29]
	s_cbranch_execz .LBB133_44
; %bb.43:                               ;   in Loop: Header=BB133_30 Depth=1
	flat_load_dwordx2 v[140:141], v[144:145] offset:512
.LBB133_44:                             ;   in Loop: Header=BB133_30 Depth=1
	s_or_b64 exec, exec, s[18:19]
	v_or_b32_e32 v134, 4, v134
	v_cmp_le_i32_e32 vcc, s74, v134
	s_or_b64 s[18:19], s[6:7], vcc
	v_mov_b64_e32 v[144:145], 0
	s_xor_b64 s[28:29], s[18:19], -1
	v_mov_b64_e32 v[146:147], v[144:145]
	s_and_saveexec_b64 s[18:19], s[28:29]
	s_cbranch_execz .LBB133_46
; %bb.45:                               ;   in Loop: Header=BB133_30 Depth=1
	flat_load_dwordx2 v[146:147], v[136:137] offset:32
.LBB133_46:                             ;   in Loop: Header=BB133_30 Depth=1
	s_or_b64 exec, exec, s[18:19]
	s_or_b64 s[18:19], s[8:9], vcc
	s_xor_b64 s[28:29], s[18:19], -1
	s_and_saveexec_b64 s[18:19], s[28:29]
	s_cbranch_execz .LBB133_48
; %bb.47:                               ;   in Loop: Header=BB133_30 Depth=1
	flat_load_dwordx2 v[144:145], v[138:139] offset:32
.LBB133_48:                             ;   in Loop: Header=BB133_30 Depth=1
	s_or_b64 exec, exec, s[18:19]
	s_mov_b32 s18, 0
.LBB133_49:                             ;   Parent Loop BB133_30 Depth=1
                                        ; =>  This Inner Loop Header: Depth=2
	v_add_u32_e32 v134, s18, v154
	ds_read2_b64 v[136:139], v134 offset1:16
	ds_read2_b64 v[160:163], v134 offset0:32 offset1:48
	ds_read2_b64 v[164:167], v134 offset0:64 offset1:80
	;; [unrolled: 1-line block ×7, first 2 shown]
	v_add_u32_e32 v134, 0x800, v134
	ds_read2_b64 v[188:191], v134 offset1:16
	ds_read2_b64 v[192:195], v134 offset0:32 offset1:48
	ds_read2_b64 v[196:199], v134 offset0:64 offset1:80
	;; [unrolled: 1-line block ×7, first 2 shown]
	v_add_u32_e32 v134, s18, v155
	ds_read2st64_b64 v[220:223], v134 offset1:4
	s_waitcnt lgkmcnt(0)
	v_max_f64 v[136:137], v[136:137], v[136:137]
	v_max_f64 v[138:139], v[138:139], v[138:139]
	;; [unrolled: 1-line block ×5, first 2 shown]
	v_min_f64 v[224:225], v[136:137], v[220:221]
	v_add_f64 v[126:127], v[224:225], v[126:127]
	v_min_f64 v[224:225], v[138:139], v[220:221]
	v_add_f64 v[124:125], v[224:225], v[124:125]
	v_min_f64 v[224:225], v[160:161], v[220:221]
	v_add_f64 v[122:123], v[224:225], v[122:123]
	v_min_f64 v[224:225], v[162:163], v[220:221]
	v_max_f64 v[164:165], v[164:165], v[164:165]
	v_add_f64 v[120:121], v[224:225], v[120:121]
	v_min_f64 v[224:225], v[164:165], v[220:221]
	v_max_f64 v[166:167], v[166:167], v[166:167]
	v_add_f64 v[118:119], v[224:225], v[118:119]
	;; [unrolled: 3-line block ×26, first 2 shown]
	v_min_f64 v[224:225], v[214:215], v[220:221]
	v_max_f64 v[216:217], v[216:217], v[216:217]
	v_max_f64 v[218:219], v[218:219], v[218:219]
	v_add_f64 v[68:69], v[224:225], v[68:69]
	v_min_f64 v[224:225], v[216:217], v[220:221]
	v_min_f64 v[220:221], v[218:219], v[220:221]
	v_add_f64 v[64:65], v[220:221], v[64:65]
	v_max_f64 v[220:221], v[222:223], v[222:223]
	v_min_f64 v[136:137], v[136:137], v[220:221]
	v_add_f64 v[62:63], v[136:137], v[62:63]
	v_min_f64 v[136:137], v[138:139], v[220:221]
	v_add_f64 v[60:61], v[136:137], v[60:61]
	;; [unrolled: 2-line block ×31, first 2 shown]
	v_min_f64 v[136:137], v[218:219], v[220:221]
	s_add_i32 s18, s18, 8
	v_add_f64 v[66:67], v[224:225], v[66:67]
	v_add_f64 v[0:1], v[136:137], v[0:1]
	s_cmp_eq_u32 s18, 32
	s_cbranch_scc0 .LBB133_49
; %bb.50:                               ;   in Loop: Header=BB133_30 Depth=1
	s_add_i32 s25, s25, 8
	s_add_i32 s26, s26, 8
	s_cmp_ge_i32 s26, s24
	s_waitcnt vmcnt(0)
	ds_write2st64_b64 v158, v[142:143], v[140:141] offset1:4
	ds_write2st64_b64 v159, v[146:147], v[144:145] offset1:4
	s_waitcnt lgkmcnt(0)
	s_barrier
	s_cbranch_scc0 .LBB133_30
.LBB133_51:
	s_mov_b32 s2, 0
.LBB133_52:                             ; =>This Inner Loop Header: Depth=1
	v_add_u32_e32 v154, s2, v156
	v_add_u32_e32 v155, s2, v157
	ds_read2_b64 v[128:131], v154 offset1:16
	ds_read2_b64 v[132:135], v154 offset0:32 offset1:48
	ds_read2_b64 v[136:139], v154 offset0:64 offset1:80
	;; [unrolled: 1-line block ×7, first 2 shown]
	v_add_u32_e32 v154, 0x800, v154
	ds_read2st64_b64 v[166:169], v155 offset1:4
	ds_read2_b64 v[170:173], v154 offset1:16
	ds_read2_b64 v[174:177], v154 offset0:32 offset1:48
	ds_read2_b64 v[178:181], v154 offset0:64 offset1:80
	;; [unrolled: 1-line block ×7, first 2 shown]
	s_waitcnt lgkmcnt(14)
	v_max_f64 v[128:129], v[128:129], v[128:129]
	v_max_f64 v[130:131], v[130:131], v[130:131]
	;; [unrolled: 1-line block ×3, first 2 shown]
	s_waitcnt lgkmcnt(8)
	v_max_f64 v[154:155], v[166:167], v[166:167]
	v_max_f64 v[134:135], v[134:135], v[134:135]
	;; [unrolled: 1-line block ×15, first 2 shown]
	v_min_f64 v[168:169], v[128:129], v[154:155]
	v_min_f64 v[202:203], v[130:131], v[154:155]
	v_min_f64 v[204:205], v[132:133], v[154:155]
	v_min_f64 v[206:207], v[134:135], v[154:155]
	v_min_f64 v[208:209], v[136:137], v[154:155]
	v_min_f64 v[210:211], v[138:139], v[154:155]
	v_min_f64 v[212:213], v[140:141], v[154:155]
	v_min_f64 v[214:215], v[142:143], v[154:155]
	v_min_f64 v[216:217], v[144:145], v[154:155]
	v_min_f64 v[218:219], v[146:147], v[154:155]
	v_min_f64 v[220:221], v[150:151], v[154:155]
	v_min_f64 v[222:223], v[152:153], v[154:155]
	v_min_f64 v[224:225], v[158:159], v[154:155]
	v_min_f64 v[226:227], v[160:161], v[154:155]
	v_min_f64 v[228:229], v[162:163], v[154:155]
	v_min_f64 v[230:231], v[164:165], v[154:155]
	s_waitcnt lgkmcnt(7)
	v_max_f64 v[170:171], v[170:171], v[170:171]
	v_max_f64 v[172:173], v[172:173], v[172:173]
	s_waitcnt lgkmcnt(6)
	v_max_f64 v[174:175], v[174:175], v[174:175]
	v_max_f64 v[176:177], v[176:177], v[176:177]
	;; [unrolled: 3-line block ×8, first 2 shown]
	v_min_f64 v[128:129], v[128:129], v[166:167]
	v_min_f64 v[130:131], v[130:131], v[166:167]
	;; [unrolled: 1-line block ×16, first 2 shown]
	s_add_i32 s2, s2, 8
	v_add_f64 v[126:127], v[168:169], v[126:127]
	v_add_f64 v[124:125], v[202:203], v[124:125]
	;; [unrolled: 1-line block ×15, first 2 shown]
	v_min_f64 v[168:169], v[170:171], v[154:155]
	v_min_f64 v[202:203], v[172:173], v[154:155]
	;; [unrolled: 1-line block ×16, first 2 shown]
	v_add_f64 v[62:63], v[128:129], v[62:63]
	v_add_f64 v[60:61], v[130:131], v[60:61]
	;; [unrolled: 1-line block ×16, first 2 shown]
	v_min_f64 v[128:129], v[170:171], v[166:167]
	v_min_f64 v[130:131], v[172:173], v[166:167]
	v_min_f64 v[132:133], v[174:175], v[166:167]
	v_min_f64 v[134:135], v[176:177], v[166:167]
	v_min_f64 v[136:137], v[178:179], v[166:167]
	v_min_f64 v[138:139], v[180:181], v[166:167]
	v_min_f64 v[140:141], v[182:183], v[166:167]
	v_min_f64 v[142:143], v[184:185], v[166:167]
	v_min_f64 v[144:145], v[186:187], v[166:167]
	v_min_f64 v[146:147], v[188:189], v[166:167]
	v_min_f64 v[150:151], v[190:191], v[166:167]
	v_min_f64 v[152:153], v[192:193], v[166:167]
	v_min_f64 v[158:159], v[194:195], v[166:167]
	v_min_f64 v[160:161], v[196:197], v[166:167]
	v_min_f64 v[162:163], v[198:199], v[166:167]
	v_min_f64 v[164:165], v[200:201], v[166:167]
	s_cmp_eq_u32 s2, 32
	v_add_f64 v[96:97], v[230:231], v[96:97]
	v_add_f64 v[94:95], v[168:169], v[94:95]
	;; [unrolled: 1-line block ×33, first 2 shown]
	s_cbranch_scc0 .LBB133_52
; %bb.53:
	s_load_dwordx2 s[2:3], s[0:1], 0x78
	s_load_dword s78, s[0:1], 0x58
	s_load_dword s33, s[0:1], 0x70
	v_add_u32_e32 v136, s21, v149
	v_add_u32_e32 v128, s20, v148
	s_waitcnt lgkmcnt(0)
	s_lshl_b64 s[0:1], s[2:3], 3
	s_add_u32 s74, s12, s0
	s_addc_u32 s75, s13, s1
	v_mad_i64_i32 v[130:131], s[0:1], v136, s78, 0
	v_cmp_gt_i32_e64 s[24:25], s73, v136
	v_lshl_add_u64 v[132:133], v[130:131], 3, s[76:77]
	v_mad_i64_i32 v[130:131], s[0:1], v136, s33, 0
	v_cmp_gt_i32_e64 s[2:3], s72, v128
	v_cndmask_b32_e64 v134, 0, 1, s[10:11]
	v_lshl_add_u64 v[130:131], v[130:131], 3, s[74:75]
	s_and_b64 s[6:7], s[24:25], s[2:3]
	v_ashrrev_i32_e32 v129, 31, v128
	v_cmp_ne_u32_e64 s[0:1], 1, v134
	s_and_saveexec_b64 s[4:5], s[6:7]
	s_cbranch_execz .LBB133_58
; %bb.54:
	s_and_b64 vcc, exec, s[0:1]
	s_cbranch_vccnz .LBB133_56
; %bb.55:
	v_lshl_add_u64 v[134:135], v[128:129], 3, v[132:133]
	flat_load_dwordx2 v[134:135], v[134:135]
	s_waitcnt vmcnt(0) lgkmcnt(0)
	v_mul_f64 v[134:135], v[134:135], s[70:71]
	s_branch .LBB133_57
.LBB133_56:
	v_mov_b64_e32 v[134:135], 0
.LBB133_57:
	v_add_f64 v[126:127], v[126:127], v[134:135]
	v_lshl_add_u64 v[134:135], v[128:129], 3, v[130:131]
	global_store_dwordx2 v[134:135], v[126:127], off
.LBB133_58:
	s_or_b64 exec, exec, s[4:5]
	v_add_u32_e32 v126, 4, v128
	v_cmp_gt_i32_e64 s[4:5], s72, v126
	s_and_b64 s[8:9], s[24:25], s[4:5]
	v_ashrrev_i32_e32 v127, 31, v126
	s_and_saveexec_b64 s[6:7], s[8:9]
	s_cbranch_execz .LBB133_63
; %bb.59:
	s_and_b64 vcc, exec, s[0:1]
	s_cbranch_vccnz .LBB133_61
; %bb.60:
	v_lshl_add_u64 v[134:135], v[126:127], 3, v[132:133]
	flat_load_dwordx2 v[134:135], v[134:135]
	s_waitcnt vmcnt(0) lgkmcnt(0)
	v_mul_f64 v[134:135], v[134:135], s[70:71]
	s_branch .LBB133_62
.LBB133_61:
	v_mov_b64_e32 v[134:135], 0
.LBB133_62:
	v_add_f64 v[124:125], v[124:125], v[134:135]
	v_lshl_add_u64 v[134:135], v[126:127], 3, v[130:131]
	global_store_dwordx2 v[134:135], v[124:125], off
.LBB133_63:
	s_or_b64 exec, exec, s[6:7]
	v_add_u32_e32 v124, 8, v128
	v_cmp_gt_i32_e64 s[6:7], s72, v124
	s_and_b64 s[10:11], s[24:25], s[6:7]
	v_ashrrev_i32_e32 v125, 31, v124
	;; [unrolled: 23-line block ×31, first 2 shown]
	s_and_saveexec_b64 s[24:25], s[80:81]
	s_cbranch_execz .LBB133_213
; %bb.209:
	s_and_b64 vcc, exec, s[0:1]
	s_cbranch_vccnz .LBB133_211
; %bb.210:
	v_lshl_add_u64 v[132:133], v[66:67], 3, v[132:133]
	flat_load_dwordx2 v[132:133], v[132:133]
	s_waitcnt vmcnt(0) lgkmcnt(0)
	v_mul_f64 v[132:133], v[132:133], s[70:71]
	s_branch .LBB133_212
.LBB133_211:
	v_mov_b64_e32 v[132:133], 0
.LBB133_212:
	v_add_f64 v[64:65], v[64:65], v[132:133]
	v_lshl_add_u64 v[130:131], v[66:67], 3, v[130:131]
	global_store_dwordx2 v[130:131], v[64:65], off
.LBB133_213:
	s_or_b64 exec, exec, s[24:25]
	v_add_u32_e32 v132, 64, v136
	v_cmp_gt_i32_e64 s[24:25], s73, v132
	v_mad_i64_i32 v[64:65], s[72:73], v132, s78, 0
	v_lshl_add_u64 v[130:131], v[64:65], 3, s[76:77]
	v_mad_i64_i32 v[64:65], s[72:73], v132, s33, 0
	v_lshl_add_u64 v[64:65], v[64:65], 3, s[74:75]
	s_and_b64 s[2:3], s[24:25], s[2:3]
	s_and_saveexec_b64 s[72:73], s[2:3]
	s_xor_b64 s[2:3], exec, s[72:73]
	s_cbranch_execnz .LBB133_246
; %bb.214:
	s_or_b64 exec, exec, s[2:3]
	s_and_b64 s[4:5], s[24:25], s[4:5]
	s_and_saveexec_b64 s[2:3], s[4:5]
	s_cbranch_execnz .LBB133_250
.LBB133_215:
	s_or_b64 exec, exec, s[2:3]
	s_and_b64 s[4:5], s[24:25], s[6:7]
	s_and_saveexec_b64 s[2:3], s[4:5]
	s_cbranch_execnz .LBB133_254
.LBB133_216:
	s_or_b64 exec, exec, s[2:3]
	s_and_b64 s[4:5], s[24:25], s[8:9]
	s_and_saveexec_b64 s[2:3], s[4:5]
	s_cbranch_execnz .LBB133_258
.LBB133_217:
	s_or_b64 exec, exec, s[2:3]
	s_and_b64 s[4:5], s[24:25], s[10:11]
	s_and_saveexec_b64 s[2:3], s[4:5]
	s_cbranch_execnz .LBB133_262
.LBB133_218:
	s_or_b64 exec, exec, s[2:3]
	s_and_b64 s[4:5], s[24:25], s[12:13]
	s_and_saveexec_b64 s[2:3], s[4:5]
	s_cbranch_execnz .LBB133_266
.LBB133_219:
	s_or_b64 exec, exec, s[2:3]
	s_and_b64 s[4:5], s[24:25], s[14:15]
	s_and_saveexec_b64 s[2:3], s[4:5]
	s_cbranch_execnz .LBB133_270
.LBB133_220:
	s_or_b64 exec, exec, s[2:3]
	s_and_b64 s[4:5], s[24:25], s[16:17]
	s_and_saveexec_b64 s[2:3], s[4:5]
	s_cbranch_execnz .LBB133_274
.LBB133_221:
	s_or_b64 exec, exec, s[2:3]
	s_and_b64 s[4:5], s[24:25], s[18:19]
	s_and_saveexec_b64 s[2:3], s[4:5]
	s_cbranch_execnz .LBB133_278
.LBB133_222:
	s_or_b64 exec, exec, s[2:3]
	s_and_b64 s[4:5], s[24:25], s[20:21]
	s_and_saveexec_b64 s[2:3], s[4:5]
	s_cbranch_execnz .LBB133_282
.LBB133_223:
	s_or_b64 exec, exec, s[2:3]
	s_and_b64 s[4:5], s[24:25], s[22:23]
	s_and_saveexec_b64 s[2:3], s[4:5]
	s_cbranch_execnz .LBB133_286
.LBB133_224:
	s_or_b64 exec, exec, s[2:3]
	s_and_b64 s[4:5], s[24:25], s[26:27]
	s_and_saveexec_b64 s[2:3], s[4:5]
	s_cbranch_execnz .LBB133_290
.LBB133_225:
	s_or_b64 exec, exec, s[2:3]
	s_and_b64 s[4:5], s[24:25], s[28:29]
	s_and_saveexec_b64 s[2:3], s[4:5]
	s_cbranch_execnz .LBB133_294
.LBB133_226:
	s_or_b64 exec, exec, s[2:3]
	s_and_b64 s[4:5], s[24:25], s[30:31]
	s_and_saveexec_b64 s[2:3], s[4:5]
	s_cbranch_execnz .LBB133_298
.LBB133_227:
	s_or_b64 exec, exec, s[2:3]
	s_and_b64 s[4:5], s[24:25], s[34:35]
	s_and_saveexec_b64 s[2:3], s[4:5]
	s_cbranch_execnz .LBB133_302
.LBB133_228:
	s_or_b64 exec, exec, s[2:3]
	s_and_b64 s[4:5], s[24:25], s[36:37]
	s_and_saveexec_b64 s[2:3], s[4:5]
	s_cbranch_execnz .LBB133_306
.LBB133_229:
	s_or_b64 exec, exec, s[2:3]
	s_and_b64 s[4:5], s[24:25], s[38:39]
	s_and_saveexec_b64 s[2:3], s[4:5]
	s_cbranch_execnz .LBB133_310
.LBB133_230:
	s_or_b64 exec, exec, s[2:3]
	s_and_b64 s[4:5], s[24:25], s[40:41]
	s_and_saveexec_b64 s[2:3], s[4:5]
	s_cbranch_execnz .LBB133_314
.LBB133_231:
	s_or_b64 exec, exec, s[2:3]
	s_and_b64 s[4:5], s[24:25], s[42:43]
	s_and_saveexec_b64 s[2:3], s[4:5]
	s_cbranch_execnz .LBB133_318
.LBB133_232:
	s_or_b64 exec, exec, s[2:3]
	s_and_b64 s[4:5], s[24:25], s[44:45]
	s_and_saveexec_b64 s[2:3], s[4:5]
	s_cbranch_execnz .LBB133_322
.LBB133_233:
	s_or_b64 exec, exec, s[2:3]
	s_and_b64 s[4:5], s[24:25], s[46:47]
	s_and_saveexec_b64 s[2:3], s[4:5]
	s_cbranch_execnz .LBB133_326
.LBB133_234:
	s_or_b64 exec, exec, s[2:3]
	s_and_b64 s[4:5], s[24:25], s[48:49]
	s_and_saveexec_b64 s[2:3], s[4:5]
	s_cbranch_execnz .LBB133_330
.LBB133_235:
	s_or_b64 exec, exec, s[2:3]
	s_and_b64 s[4:5], s[24:25], s[50:51]
	s_and_saveexec_b64 s[2:3], s[4:5]
	s_cbranch_execnz .LBB133_334
.LBB133_236:
	s_or_b64 exec, exec, s[2:3]
	s_and_b64 s[4:5], s[24:25], s[52:53]
	s_and_saveexec_b64 s[2:3], s[4:5]
	s_cbranch_execnz .LBB133_338
.LBB133_237:
	s_or_b64 exec, exec, s[2:3]
	s_and_b64 s[4:5], s[24:25], s[54:55]
	s_and_saveexec_b64 s[2:3], s[4:5]
	s_cbranch_execnz .LBB133_342
.LBB133_238:
	s_or_b64 exec, exec, s[2:3]
	s_and_b64 s[4:5], s[24:25], s[56:57]
	s_and_saveexec_b64 s[2:3], s[4:5]
	s_cbranch_execnz .LBB133_346
.LBB133_239:
	s_or_b64 exec, exec, s[2:3]
	s_and_b64 s[4:5], s[24:25], s[58:59]
	s_and_saveexec_b64 s[2:3], s[4:5]
	s_cbranch_execnz .LBB133_350
.LBB133_240:
	s_or_b64 exec, exec, s[2:3]
	s_and_b64 s[4:5], s[24:25], s[60:61]
	s_and_saveexec_b64 s[2:3], s[4:5]
	s_cbranch_execnz .LBB133_354
.LBB133_241:
	s_or_b64 exec, exec, s[2:3]
	s_and_b64 s[4:5], s[24:25], s[62:63]
	s_and_saveexec_b64 s[2:3], s[4:5]
	s_cbranch_execnz .LBB133_358
.LBB133_242:
	s_or_b64 exec, exec, s[2:3]
	s_and_b64 s[4:5], s[24:25], s[64:65]
	s_and_saveexec_b64 s[2:3], s[4:5]
	s_cbranch_execnz .LBB133_362
.LBB133_243:
	s_or_b64 exec, exec, s[2:3]
	s_and_b64 s[4:5], s[24:25], s[66:67]
	s_and_saveexec_b64 s[2:3], s[4:5]
	s_cbranch_execnz .LBB133_366
.LBB133_244:
	s_or_b64 exec, exec, s[2:3]
	s_and_b64 s[2:3], s[24:25], s[68:69]
	s_and_saveexec_b64 s[4:5], s[2:3]
	s_cbranch_execnz .LBB133_370
.LBB133_245:
	s_endpgm
.LBB133_246:
	s_and_b64 vcc, exec, s[0:1]
	s_cbranch_vccnz .LBB133_248
; %bb.247:
	v_lshl_add_u64 v[132:133], v[128:129], 3, v[130:131]
	flat_load_dwordx2 v[132:133], v[132:133]
	s_waitcnt vmcnt(0) lgkmcnt(0)
	v_mul_f64 v[132:133], v[132:133], s[70:71]
	s_branch .LBB133_249
.LBB133_248:
	v_mov_b64_e32 v[132:133], 0
.LBB133_249:
	v_add_f64 v[62:63], v[62:63], v[132:133]
	v_lshl_add_u64 v[128:129], v[128:129], 3, v[64:65]
	global_store_dwordx2 v[128:129], v[62:63], off
	s_or_b64 exec, exec, s[2:3]
	s_and_b64 s[4:5], s[24:25], s[4:5]
	s_and_saveexec_b64 s[2:3], s[4:5]
	s_cbranch_execz .LBB133_215
.LBB133_250:
	s_and_b64 vcc, exec, s[0:1]
	s_cbranch_vccnz .LBB133_252
; %bb.251:
	v_lshl_add_u64 v[62:63], v[126:127], 3, v[130:131]
	flat_load_dwordx2 v[62:63], v[62:63]
	s_waitcnt vmcnt(0) lgkmcnt(0)
	v_mul_f64 v[62:63], v[62:63], s[70:71]
	s_branch .LBB133_253
.LBB133_252:
	v_mov_b64_e32 v[62:63], 0
.LBB133_253:
	v_add_f64 v[60:61], v[60:61], v[62:63]
	v_lshl_add_u64 v[62:63], v[126:127], 3, v[64:65]
	global_store_dwordx2 v[62:63], v[60:61], off
	s_or_b64 exec, exec, s[2:3]
	s_and_b64 s[4:5], s[24:25], s[6:7]
	s_and_saveexec_b64 s[2:3], s[4:5]
	s_cbranch_execz .LBB133_216
.LBB133_254:
	s_and_b64 vcc, exec, s[0:1]
	s_cbranch_vccnz .LBB133_256
; %bb.255:
	v_lshl_add_u64 v[60:61], v[124:125], 3, v[130:131]
	flat_load_dwordx2 v[60:61], v[60:61]
	s_waitcnt vmcnt(0) lgkmcnt(0)
	v_mul_f64 v[60:61], v[60:61], s[70:71]
	s_branch .LBB133_257
.LBB133_256:
	v_mov_b64_e32 v[60:61], 0
.LBB133_257:
	v_add_f64 v[58:59], v[58:59], v[60:61]
	v_lshl_add_u64 v[60:61], v[124:125], 3, v[64:65]
	global_store_dwordx2 v[60:61], v[58:59], off
	s_or_b64 exec, exec, s[2:3]
	s_and_b64 s[4:5], s[24:25], s[8:9]
	s_and_saveexec_b64 s[2:3], s[4:5]
	s_cbranch_execz .LBB133_217
.LBB133_258:
	s_and_b64 vcc, exec, s[0:1]
	s_cbranch_vccnz .LBB133_260
; %bb.259:
	v_lshl_add_u64 v[58:59], v[122:123], 3, v[130:131]
	flat_load_dwordx2 v[58:59], v[58:59]
	s_waitcnt vmcnt(0) lgkmcnt(0)
	v_mul_f64 v[58:59], v[58:59], s[70:71]
	s_branch .LBB133_261
.LBB133_260:
	v_mov_b64_e32 v[58:59], 0
.LBB133_261:
	v_add_f64 v[56:57], v[56:57], v[58:59]
	v_lshl_add_u64 v[58:59], v[122:123], 3, v[64:65]
	global_store_dwordx2 v[58:59], v[56:57], off
	s_or_b64 exec, exec, s[2:3]
	s_and_b64 s[4:5], s[24:25], s[10:11]
	s_and_saveexec_b64 s[2:3], s[4:5]
	s_cbranch_execz .LBB133_218
.LBB133_262:
	s_and_b64 vcc, exec, s[0:1]
	s_cbranch_vccnz .LBB133_264
; %bb.263:
	v_lshl_add_u64 v[56:57], v[120:121], 3, v[130:131]
	flat_load_dwordx2 v[56:57], v[56:57]
	s_waitcnt vmcnt(0) lgkmcnt(0)
	v_mul_f64 v[56:57], v[56:57], s[70:71]
	s_branch .LBB133_265
.LBB133_264:
	v_mov_b64_e32 v[56:57], 0
.LBB133_265:
	v_add_f64 v[54:55], v[54:55], v[56:57]
	v_lshl_add_u64 v[56:57], v[120:121], 3, v[64:65]
	global_store_dwordx2 v[56:57], v[54:55], off
	s_or_b64 exec, exec, s[2:3]
	s_and_b64 s[4:5], s[24:25], s[12:13]
	s_and_saveexec_b64 s[2:3], s[4:5]
	s_cbranch_execz .LBB133_219
.LBB133_266:
	s_and_b64 vcc, exec, s[0:1]
	s_cbranch_vccnz .LBB133_268
; %bb.267:
	v_lshl_add_u64 v[54:55], v[118:119], 3, v[130:131]
	flat_load_dwordx2 v[54:55], v[54:55]
	s_waitcnt vmcnt(0) lgkmcnt(0)
	v_mul_f64 v[54:55], v[54:55], s[70:71]
	s_branch .LBB133_269
.LBB133_268:
	v_mov_b64_e32 v[54:55], 0
.LBB133_269:
	v_add_f64 v[52:53], v[52:53], v[54:55]
	v_lshl_add_u64 v[54:55], v[118:119], 3, v[64:65]
	global_store_dwordx2 v[54:55], v[52:53], off
	s_or_b64 exec, exec, s[2:3]
	s_and_b64 s[4:5], s[24:25], s[14:15]
	s_and_saveexec_b64 s[2:3], s[4:5]
	s_cbranch_execz .LBB133_220
.LBB133_270:
	s_and_b64 vcc, exec, s[0:1]
	s_cbranch_vccnz .LBB133_272
; %bb.271:
	v_lshl_add_u64 v[52:53], v[116:117], 3, v[130:131]
	flat_load_dwordx2 v[52:53], v[52:53]
	s_waitcnt vmcnt(0) lgkmcnt(0)
	v_mul_f64 v[52:53], v[52:53], s[70:71]
	s_branch .LBB133_273
.LBB133_272:
	v_mov_b64_e32 v[52:53], 0
.LBB133_273:
	v_add_f64 v[50:51], v[50:51], v[52:53]
	v_lshl_add_u64 v[52:53], v[116:117], 3, v[64:65]
	global_store_dwordx2 v[52:53], v[50:51], off
	s_or_b64 exec, exec, s[2:3]
	s_and_b64 s[4:5], s[24:25], s[16:17]
	s_and_saveexec_b64 s[2:3], s[4:5]
	s_cbranch_execz .LBB133_221
.LBB133_274:
	s_and_b64 vcc, exec, s[0:1]
	s_cbranch_vccnz .LBB133_276
; %bb.275:
	v_lshl_add_u64 v[50:51], v[114:115], 3, v[130:131]
	flat_load_dwordx2 v[50:51], v[50:51]
	s_waitcnt vmcnt(0) lgkmcnt(0)
	v_mul_f64 v[50:51], v[50:51], s[70:71]
	s_branch .LBB133_277
.LBB133_276:
	v_mov_b64_e32 v[50:51], 0
.LBB133_277:
	v_add_f64 v[48:49], v[48:49], v[50:51]
	v_lshl_add_u64 v[50:51], v[114:115], 3, v[64:65]
	global_store_dwordx2 v[50:51], v[48:49], off
	s_or_b64 exec, exec, s[2:3]
	s_and_b64 s[4:5], s[24:25], s[18:19]
	s_and_saveexec_b64 s[2:3], s[4:5]
	s_cbranch_execz .LBB133_222
.LBB133_278:
	s_and_b64 vcc, exec, s[0:1]
	s_cbranch_vccnz .LBB133_280
; %bb.279:
	v_lshl_add_u64 v[48:49], v[112:113], 3, v[130:131]
	flat_load_dwordx2 v[48:49], v[48:49]
	s_waitcnt vmcnt(0) lgkmcnt(0)
	v_mul_f64 v[48:49], v[48:49], s[70:71]
	s_branch .LBB133_281
.LBB133_280:
	v_mov_b64_e32 v[48:49], 0
.LBB133_281:
	v_add_f64 v[46:47], v[46:47], v[48:49]
	v_lshl_add_u64 v[48:49], v[112:113], 3, v[64:65]
	global_store_dwordx2 v[48:49], v[46:47], off
	s_or_b64 exec, exec, s[2:3]
	s_and_b64 s[4:5], s[24:25], s[20:21]
	s_and_saveexec_b64 s[2:3], s[4:5]
	s_cbranch_execz .LBB133_223
.LBB133_282:
	s_and_b64 vcc, exec, s[0:1]
	s_cbranch_vccnz .LBB133_284
; %bb.283:
	v_lshl_add_u64 v[46:47], v[110:111], 3, v[130:131]
	flat_load_dwordx2 v[46:47], v[46:47]
	s_waitcnt vmcnt(0) lgkmcnt(0)
	v_mul_f64 v[46:47], v[46:47], s[70:71]
	s_branch .LBB133_285
.LBB133_284:
	v_mov_b64_e32 v[46:47], 0
.LBB133_285:
	v_add_f64 v[44:45], v[44:45], v[46:47]
	v_lshl_add_u64 v[46:47], v[110:111], 3, v[64:65]
	global_store_dwordx2 v[46:47], v[44:45], off
	s_or_b64 exec, exec, s[2:3]
	s_and_b64 s[4:5], s[24:25], s[22:23]
	s_and_saveexec_b64 s[2:3], s[4:5]
	s_cbranch_execz .LBB133_224
.LBB133_286:
	s_and_b64 vcc, exec, s[0:1]
	s_cbranch_vccnz .LBB133_288
; %bb.287:
	v_lshl_add_u64 v[44:45], v[108:109], 3, v[130:131]
	flat_load_dwordx2 v[44:45], v[44:45]
	s_waitcnt vmcnt(0) lgkmcnt(0)
	v_mul_f64 v[44:45], v[44:45], s[70:71]
	s_branch .LBB133_289
.LBB133_288:
	v_mov_b64_e32 v[44:45], 0
.LBB133_289:
	v_add_f64 v[42:43], v[42:43], v[44:45]
	v_lshl_add_u64 v[44:45], v[108:109], 3, v[64:65]
	global_store_dwordx2 v[44:45], v[42:43], off
	s_or_b64 exec, exec, s[2:3]
	s_and_b64 s[4:5], s[24:25], s[26:27]
	s_and_saveexec_b64 s[2:3], s[4:5]
	s_cbranch_execz .LBB133_225
.LBB133_290:
	s_and_b64 vcc, exec, s[0:1]
	s_cbranch_vccnz .LBB133_292
; %bb.291:
	v_lshl_add_u64 v[42:43], v[106:107], 3, v[130:131]
	flat_load_dwordx2 v[42:43], v[42:43]
	s_waitcnt vmcnt(0) lgkmcnt(0)
	v_mul_f64 v[42:43], v[42:43], s[70:71]
	s_branch .LBB133_293
.LBB133_292:
	v_mov_b64_e32 v[42:43], 0
.LBB133_293:
	v_add_f64 v[40:41], v[40:41], v[42:43]
	v_lshl_add_u64 v[42:43], v[106:107], 3, v[64:65]
	global_store_dwordx2 v[42:43], v[40:41], off
	s_or_b64 exec, exec, s[2:3]
	s_and_b64 s[4:5], s[24:25], s[28:29]
	s_and_saveexec_b64 s[2:3], s[4:5]
	s_cbranch_execz .LBB133_226
.LBB133_294:
	s_and_b64 vcc, exec, s[0:1]
	s_cbranch_vccnz .LBB133_296
; %bb.295:
	v_lshl_add_u64 v[40:41], v[104:105], 3, v[130:131]
	flat_load_dwordx2 v[40:41], v[40:41]
	s_waitcnt vmcnt(0) lgkmcnt(0)
	v_mul_f64 v[40:41], v[40:41], s[70:71]
	s_branch .LBB133_297
.LBB133_296:
	v_mov_b64_e32 v[40:41], 0
.LBB133_297:
	v_add_f64 v[38:39], v[38:39], v[40:41]
	v_lshl_add_u64 v[40:41], v[104:105], 3, v[64:65]
	global_store_dwordx2 v[40:41], v[38:39], off
	s_or_b64 exec, exec, s[2:3]
	s_and_b64 s[4:5], s[24:25], s[30:31]
	s_and_saveexec_b64 s[2:3], s[4:5]
	s_cbranch_execz .LBB133_227
.LBB133_298:
	s_and_b64 vcc, exec, s[0:1]
	s_cbranch_vccnz .LBB133_300
; %bb.299:
	v_lshl_add_u64 v[38:39], v[102:103], 3, v[130:131]
	flat_load_dwordx2 v[38:39], v[38:39]
	s_waitcnt vmcnt(0) lgkmcnt(0)
	v_mul_f64 v[38:39], v[38:39], s[70:71]
	s_branch .LBB133_301
.LBB133_300:
	v_mov_b64_e32 v[38:39], 0
.LBB133_301:
	v_add_f64 v[36:37], v[36:37], v[38:39]
	v_lshl_add_u64 v[38:39], v[102:103], 3, v[64:65]
	global_store_dwordx2 v[38:39], v[36:37], off
	s_or_b64 exec, exec, s[2:3]
	s_and_b64 s[4:5], s[24:25], s[34:35]
	s_and_saveexec_b64 s[2:3], s[4:5]
	s_cbranch_execz .LBB133_228
.LBB133_302:
	s_and_b64 vcc, exec, s[0:1]
	s_cbranch_vccnz .LBB133_304
; %bb.303:
	v_lshl_add_u64 v[36:37], v[100:101], 3, v[130:131]
	flat_load_dwordx2 v[36:37], v[36:37]
	s_waitcnt vmcnt(0) lgkmcnt(0)
	v_mul_f64 v[36:37], v[36:37], s[70:71]
	s_branch .LBB133_305
.LBB133_304:
	v_mov_b64_e32 v[36:37], 0
.LBB133_305:
	v_add_f64 v[34:35], v[34:35], v[36:37]
	v_lshl_add_u64 v[36:37], v[100:101], 3, v[64:65]
	global_store_dwordx2 v[36:37], v[34:35], off
	s_or_b64 exec, exec, s[2:3]
	s_and_b64 s[4:5], s[24:25], s[36:37]
	s_and_saveexec_b64 s[2:3], s[4:5]
	s_cbranch_execz .LBB133_229
.LBB133_306:
	s_and_b64 vcc, exec, s[0:1]
	s_cbranch_vccnz .LBB133_308
; %bb.307:
	v_lshl_add_u64 v[34:35], v[98:99], 3, v[130:131]
	flat_load_dwordx2 v[34:35], v[34:35]
	s_waitcnt vmcnt(0) lgkmcnt(0)
	v_mul_f64 v[34:35], v[34:35], s[70:71]
	s_branch .LBB133_309
.LBB133_308:
	v_mov_b64_e32 v[34:35], 0
.LBB133_309:
	v_add_f64 v[32:33], v[32:33], v[34:35]
	v_lshl_add_u64 v[34:35], v[98:99], 3, v[64:65]
	global_store_dwordx2 v[34:35], v[32:33], off
	s_or_b64 exec, exec, s[2:3]
	s_and_b64 s[4:5], s[24:25], s[38:39]
	s_and_saveexec_b64 s[2:3], s[4:5]
	s_cbranch_execz .LBB133_230
.LBB133_310:
	s_and_b64 vcc, exec, s[0:1]
	s_cbranch_vccnz .LBB133_312
; %bb.311:
	v_lshl_add_u64 v[32:33], v[96:97], 3, v[130:131]
	flat_load_dwordx2 v[32:33], v[32:33]
	s_waitcnt vmcnt(0) lgkmcnt(0)
	v_mul_f64 v[32:33], v[32:33], s[70:71]
	s_branch .LBB133_313
.LBB133_312:
	v_mov_b64_e32 v[32:33], 0
.LBB133_313:
	v_add_f64 v[30:31], v[30:31], v[32:33]
	v_lshl_add_u64 v[32:33], v[96:97], 3, v[64:65]
	global_store_dwordx2 v[32:33], v[30:31], off
	s_or_b64 exec, exec, s[2:3]
	s_and_b64 s[4:5], s[24:25], s[40:41]
	s_and_saveexec_b64 s[2:3], s[4:5]
	s_cbranch_execz .LBB133_231
.LBB133_314:
	s_and_b64 vcc, exec, s[0:1]
	s_cbranch_vccnz .LBB133_316
; %bb.315:
	v_lshl_add_u64 v[30:31], v[94:95], 3, v[130:131]
	flat_load_dwordx2 v[30:31], v[30:31]
	s_waitcnt vmcnt(0) lgkmcnt(0)
	v_mul_f64 v[30:31], v[30:31], s[70:71]
	s_branch .LBB133_317
.LBB133_316:
	v_mov_b64_e32 v[30:31], 0
.LBB133_317:
	v_add_f64 v[28:29], v[28:29], v[30:31]
	v_lshl_add_u64 v[30:31], v[94:95], 3, v[64:65]
	global_store_dwordx2 v[30:31], v[28:29], off
	s_or_b64 exec, exec, s[2:3]
	s_and_b64 s[4:5], s[24:25], s[42:43]
	s_and_saveexec_b64 s[2:3], s[4:5]
	s_cbranch_execz .LBB133_232
.LBB133_318:
	s_and_b64 vcc, exec, s[0:1]
	s_cbranch_vccnz .LBB133_320
; %bb.319:
	v_lshl_add_u64 v[28:29], v[92:93], 3, v[130:131]
	flat_load_dwordx2 v[28:29], v[28:29]
	s_waitcnt vmcnt(0) lgkmcnt(0)
	v_mul_f64 v[28:29], v[28:29], s[70:71]
	s_branch .LBB133_321
.LBB133_320:
	v_mov_b64_e32 v[28:29], 0
.LBB133_321:
	v_add_f64 v[26:27], v[26:27], v[28:29]
	v_lshl_add_u64 v[28:29], v[92:93], 3, v[64:65]
	global_store_dwordx2 v[28:29], v[26:27], off
	s_or_b64 exec, exec, s[2:3]
	s_and_b64 s[4:5], s[24:25], s[44:45]
	s_and_saveexec_b64 s[2:3], s[4:5]
	s_cbranch_execz .LBB133_233
.LBB133_322:
	s_and_b64 vcc, exec, s[0:1]
	s_cbranch_vccnz .LBB133_324
; %bb.323:
	v_lshl_add_u64 v[26:27], v[90:91], 3, v[130:131]
	flat_load_dwordx2 v[26:27], v[26:27]
	s_waitcnt vmcnt(0) lgkmcnt(0)
	v_mul_f64 v[26:27], v[26:27], s[70:71]
	s_branch .LBB133_325
.LBB133_324:
	v_mov_b64_e32 v[26:27], 0
.LBB133_325:
	v_add_f64 v[24:25], v[24:25], v[26:27]
	v_lshl_add_u64 v[26:27], v[90:91], 3, v[64:65]
	global_store_dwordx2 v[26:27], v[24:25], off
	s_or_b64 exec, exec, s[2:3]
	s_and_b64 s[4:5], s[24:25], s[46:47]
	s_and_saveexec_b64 s[2:3], s[4:5]
	s_cbranch_execz .LBB133_234
.LBB133_326:
	s_and_b64 vcc, exec, s[0:1]
	s_cbranch_vccnz .LBB133_328
; %bb.327:
	v_lshl_add_u64 v[24:25], v[88:89], 3, v[130:131]
	flat_load_dwordx2 v[24:25], v[24:25]
	s_waitcnt vmcnt(0) lgkmcnt(0)
	v_mul_f64 v[24:25], v[24:25], s[70:71]
	s_branch .LBB133_329
.LBB133_328:
	v_mov_b64_e32 v[24:25], 0
.LBB133_329:
	v_add_f64 v[22:23], v[22:23], v[24:25]
	v_lshl_add_u64 v[24:25], v[88:89], 3, v[64:65]
	global_store_dwordx2 v[24:25], v[22:23], off
	s_or_b64 exec, exec, s[2:3]
	s_and_b64 s[4:5], s[24:25], s[48:49]
	s_and_saveexec_b64 s[2:3], s[4:5]
	s_cbranch_execz .LBB133_235
.LBB133_330:
	s_and_b64 vcc, exec, s[0:1]
	s_cbranch_vccnz .LBB133_332
; %bb.331:
	v_lshl_add_u64 v[22:23], v[86:87], 3, v[130:131]
	flat_load_dwordx2 v[22:23], v[22:23]
	s_waitcnt vmcnt(0) lgkmcnt(0)
	v_mul_f64 v[22:23], v[22:23], s[70:71]
	s_branch .LBB133_333
.LBB133_332:
	v_mov_b64_e32 v[22:23], 0
.LBB133_333:
	v_add_f64 v[20:21], v[20:21], v[22:23]
	v_lshl_add_u64 v[22:23], v[86:87], 3, v[64:65]
	global_store_dwordx2 v[22:23], v[20:21], off
	s_or_b64 exec, exec, s[2:3]
	s_and_b64 s[4:5], s[24:25], s[50:51]
	s_and_saveexec_b64 s[2:3], s[4:5]
	s_cbranch_execz .LBB133_236
.LBB133_334:
	s_and_b64 vcc, exec, s[0:1]
	s_cbranch_vccnz .LBB133_336
; %bb.335:
	v_lshl_add_u64 v[20:21], v[84:85], 3, v[130:131]
	flat_load_dwordx2 v[20:21], v[20:21]
	s_waitcnt vmcnt(0) lgkmcnt(0)
	v_mul_f64 v[20:21], v[20:21], s[70:71]
	s_branch .LBB133_337
.LBB133_336:
	v_mov_b64_e32 v[20:21], 0
.LBB133_337:
	v_add_f64 v[18:19], v[18:19], v[20:21]
	v_lshl_add_u64 v[20:21], v[84:85], 3, v[64:65]
	global_store_dwordx2 v[20:21], v[18:19], off
	s_or_b64 exec, exec, s[2:3]
	s_and_b64 s[4:5], s[24:25], s[52:53]
	s_and_saveexec_b64 s[2:3], s[4:5]
	s_cbranch_execz .LBB133_237
.LBB133_338:
	s_and_b64 vcc, exec, s[0:1]
	s_cbranch_vccnz .LBB133_340
; %bb.339:
	v_lshl_add_u64 v[18:19], v[82:83], 3, v[130:131]
	flat_load_dwordx2 v[18:19], v[18:19]
	s_waitcnt vmcnt(0) lgkmcnt(0)
	v_mul_f64 v[18:19], v[18:19], s[70:71]
	s_branch .LBB133_341
.LBB133_340:
	v_mov_b64_e32 v[18:19], 0
.LBB133_341:
	v_add_f64 v[16:17], v[16:17], v[18:19]
	v_lshl_add_u64 v[18:19], v[82:83], 3, v[64:65]
	global_store_dwordx2 v[18:19], v[16:17], off
	s_or_b64 exec, exec, s[2:3]
	s_and_b64 s[4:5], s[24:25], s[54:55]
	s_and_saveexec_b64 s[2:3], s[4:5]
	s_cbranch_execz .LBB133_238
.LBB133_342:
	s_and_b64 vcc, exec, s[0:1]
	s_cbranch_vccnz .LBB133_344
; %bb.343:
	v_lshl_add_u64 v[16:17], v[80:81], 3, v[130:131]
	flat_load_dwordx2 v[16:17], v[16:17]
	s_waitcnt vmcnt(0) lgkmcnt(0)
	v_mul_f64 v[16:17], v[16:17], s[70:71]
	s_branch .LBB133_345
.LBB133_344:
	v_mov_b64_e32 v[16:17], 0
.LBB133_345:
	v_add_f64 v[14:15], v[14:15], v[16:17]
	v_lshl_add_u64 v[16:17], v[80:81], 3, v[64:65]
	global_store_dwordx2 v[16:17], v[14:15], off
	s_or_b64 exec, exec, s[2:3]
	s_and_b64 s[4:5], s[24:25], s[56:57]
	s_and_saveexec_b64 s[2:3], s[4:5]
	s_cbranch_execz .LBB133_239
.LBB133_346:
	s_and_b64 vcc, exec, s[0:1]
	s_cbranch_vccnz .LBB133_348
; %bb.347:
	v_lshl_add_u64 v[14:15], v[78:79], 3, v[130:131]
	flat_load_dwordx2 v[14:15], v[14:15]
	s_waitcnt vmcnt(0) lgkmcnt(0)
	v_mul_f64 v[14:15], v[14:15], s[70:71]
	s_branch .LBB133_349
.LBB133_348:
	v_mov_b64_e32 v[14:15], 0
.LBB133_349:
	v_add_f64 v[12:13], v[12:13], v[14:15]
	v_lshl_add_u64 v[14:15], v[78:79], 3, v[64:65]
	global_store_dwordx2 v[14:15], v[12:13], off
	s_or_b64 exec, exec, s[2:3]
	s_and_b64 s[4:5], s[24:25], s[58:59]
	s_and_saveexec_b64 s[2:3], s[4:5]
	s_cbranch_execz .LBB133_240
.LBB133_350:
	s_and_b64 vcc, exec, s[0:1]
	s_cbranch_vccnz .LBB133_352
; %bb.351:
	v_lshl_add_u64 v[12:13], v[76:77], 3, v[130:131]
	flat_load_dwordx2 v[12:13], v[12:13]
	s_waitcnt vmcnt(0) lgkmcnt(0)
	v_mul_f64 v[12:13], v[12:13], s[70:71]
	s_branch .LBB133_353
.LBB133_352:
	v_mov_b64_e32 v[12:13], 0
.LBB133_353:
	v_add_f64 v[10:11], v[10:11], v[12:13]
	v_lshl_add_u64 v[12:13], v[76:77], 3, v[64:65]
	global_store_dwordx2 v[12:13], v[10:11], off
	s_or_b64 exec, exec, s[2:3]
	s_and_b64 s[4:5], s[24:25], s[60:61]
	s_and_saveexec_b64 s[2:3], s[4:5]
	s_cbranch_execz .LBB133_241
.LBB133_354:
	s_and_b64 vcc, exec, s[0:1]
	s_cbranch_vccnz .LBB133_356
; %bb.355:
	v_lshl_add_u64 v[10:11], v[74:75], 3, v[130:131]
	flat_load_dwordx2 v[10:11], v[10:11]
	s_waitcnt vmcnt(0) lgkmcnt(0)
	v_mul_f64 v[10:11], v[10:11], s[70:71]
	s_branch .LBB133_357
.LBB133_356:
	v_mov_b64_e32 v[10:11], 0
.LBB133_357:
	v_add_f64 v[8:9], v[8:9], v[10:11]
	v_lshl_add_u64 v[10:11], v[74:75], 3, v[64:65]
	global_store_dwordx2 v[10:11], v[8:9], off
	s_or_b64 exec, exec, s[2:3]
	s_and_b64 s[4:5], s[24:25], s[62:63]
	s_and_saveexec_b64 s[2:3], s[4:5]
	s_cbranch_execz .LBB133_242
.LBB133_358:
	s_and_b64 vcc, exec, s[0:1]
	s_cbranch_vccnz .LBB133_360
; %bb.359:
	v_lshl_add_u64 v[8:9], v[72:73], 3, v[130:131]
	flat_load_dwordx2 v[8:9], v[8:9]
	s_waitcnt vmcnt(0) lgkmcnt(0)
	v_mul_f64 v[8:9], v[8:9], s[70:71]
	s_branch .LBB133_361
.LBB133_360:
	v_mov_b64_e32 v[8:9], 0
.LBB133_361:
	v_add_f64 v[6:7], v[6:7], v[8:9]
	v_lshl_add_u64 v[8:9], v[72:73], 3, v[64:65]
	global_store_dwordx2 v[8:9], v[6:7], off
	s_or_b64 exec, exec, s[2:3]
	s_and_b64 s[4:5], s[24:25], s[64:65]
	s_and_saveexec_b64 s[2:3], s[4:5]
	s_cbranch_execz .LBB133_243
.LBB133_362:
	s_and_b64 vcc, exec, s[0:1]
	s_cbranch_vccnz .LBB133_364
; %bb.363:
	v_lshl_add_u64 v[6:7], v[70:71], 3, v[130:131]
	flat_load_dwordx2 v[6:7], v[6:7]
	s_waitcnt vmcnt(0) lgkmcnt(0)
	v_mul_f64 v[6:7], v[6:7], s[70:71]
	s_branch .LBB133_365
.LBB133_364:
	v_mov_b64_e32 v[6:7], 0
.LBB133_365:
	v_add_f64 v[4:5], v[4:5], v[6:7]
	v_lshl_add_u64 v[6:7], v[70:71], 3, v[64:65]
	global_store_dwordx2 v[6:7], v[4:5], off
	s_or_b64 exec, exec, s[2:3]
	s_and_b64 s[4:5], s[24:25], s[66:67]
	s_and_saveexec_b64 s[2:3], s[4:5]
	s_cbranch_execz .LBB133_244
.LBB133_366:
	s_and_b64 vcc, exec, s[0:1]
	s_cbranch_vccnz .LBB133_368
; %bb.367:
	v_lshl_add_u64 v[4:5], v[68:69], 3, v[130:131]
	flat_load_dwordx2 v[4:5], v[4:5]
	s_waitcnt vmcnt(0) lgkmcnt(0)
	v_mul_f64 v[4:5], v[4:5], s[70:71]
	s_branch .LBB133_369
.LBB133_368:
	v_mov_b64_e32 v[4:5], 0
.LBB133_369:
	v_add_f64 v[2:3], v[2:3], v[4:5]
	v_lshl_add_u64 v[4:5], v[68:69], 3, v[64:65]
	global_store_dwordx2 v[4:5], v[2:3], off
	s_or_b64 exec, exec, s[2:3]
	s_and_b64 s[2:3], s[24:25], s[68:69]
	s_and_saveexec_b64 s[4:5], s[2:3]
	s_cbranch_execz .LBB133_245
.LBB133_370:
	s_and_b64 vcc, exec, s[0:1]
	s_cbranch_vccnz .LBB133_372
; %bb.371:
	v_lshl_add_u64 v[2:3], v[66:67], 3, v[130:131]
	flat_load_dwordx2 v[2:3], v[2:3]
	s_waitcnt vmcnt(0) lgkmcnt(0)
	v_mul_f64 v[2:3], v[2:3], s[70:71]
	v_add_f64 v[0:1], v[0:1], v[2:3]
	v_lshl_add_u64 v[2:3], v[66:67], 3, v[64:65]
	global_store_dwordx2 v[2:3], v[0:1], off
	s_endpgm
.LBB133_372:
	v_mov_b64_e32 v[2:3], 0
	v_add_f64 v[0:1], v[0:1], v[2:3]
	v_lshl_add_u64 v[2:3], v[66:67], 3, v[64:65]
	global_store_dwordx2 v[2:3], v[0:1], off
	s_endpgm
	.section	.rodata,"a",@progbits
	.p2align	6, 0x0
	.amdhsa_kernel _ZN12_GLOBAL__N_120geam_min_plus_kernelIdddLi4ELi64ELi128ELi128ELi4ELi64ELi4ELi4ELi64ELc78ELc78ELb1ELb1ELb0EdKPKdKPdEEviiiT16_PT17_ilS8_ilS6_S8_ilPT18_ili26rocblas_geam_ex_operation_
		.amdhsa_group_segment_fixed_size 16384
		.amdhsa_private_segment_fixed_size 0
		.amdhsa_kernarg_size 136
		.amdhsa_user_sgpr_count 2
		.amdhsa_user_sgpr_dispatch_ptr 0
		.amdhsa_user_sgpr_queue_ptr 0
		.amdhsa_user_sgpr_kernarg_segment_ptr 1
		.amdhsa_user_sgpr_dispatch_id 0
		.amdhsa_user_sgpr_kernarg_preload_length 0
		.amdhsa_user_sgpr_kernarg_preload_offset 0
		.amdhsa_user_sgpr_private_segment_size 0
		.amdhsa_uses_dynamic_stack 0
		.amdhsa_enable_private_segment 0
		.amdhsa_system_sgpr_workgroup_id_x 1
		.amdhsa_system_sgpr_workgroup_id_y 0
		.amdhsa_system_sgpr_workgroup_id_z 1
		.amdhsa_system_sgpr_workgroup_info 0
		.amdhsa_system_vgpr_workitem_id 1
		.amdhsa_next_free_vgpr 252
		.amdhsa_next_free_sgpr 82
		.amdhsa_accum_offset 252
		.amdhsa_reserve_vcc 1
		.amdhsa_float_round_mode_32 0
		.amdhsa_float_round_mode_16_64 0
		.amdhsa_float_denorm_mode_32 3
		.amdhsa_float_denorm_mode_16_64 3
		.amdhsa_dx10_clamp 1
		.amdhsa_ieee_mode 1
		.amdhsa_fp16_overflow 0
		.amdhsa_tg_split 0
		.amdhsa_exception_fp_ieee_invalid_op 0
		.amdhsa_exception_fp_denorm_src 0
		.amdhsa_exception_fp_ieee_div_zero 0
		.amdhsa_exception_fp_ieee_overflow 0
		.amdhsa_exception_fp_ieee_underflow 0
		.amdhsa_exception_fp_ieee_inexact 0
		.amdhsa_exception_int_div_zero 0
	.end_amdhsa_kernel
	.section	.text._ZN12_GLOBAL__N_120geam_min_plus_kernelIdddLi4ELi64ELi128ELi128ELi4ELi64ELi4ELi4ELi64ELc78ELc78ELb1ELb1ELb0EdKPKdKPdEEviiiT16_PT17_ilS8_ilS6_S8_ilPT18_ili26rocblas_geam_ex_operation_,"axG",@progbits,_ZN12_GLOBAL__N_120geam_min_plus_kernelIdddLi4ELi64ELi128ELi128ELi4ELi64ELi4ELi4ELi64ELc78ELc78ELb1ELb1ELb0EdKPKdKPdEEviiiT16_PT17_ilS8_ilS6_S8_ilPT18_ili26rocblas_geam_ex_operation_,comdat
.Lfunc_end133:
	.size	_ZN12_GLOBAL__N_120geam_min_plus_kernelIdddLi4ELi64ELi128ELi128ELi4ELi64ELi4ELi4ELi64ELc78ELc78ELb1ELb1ELb0EdKPKdKPdEEviiiT16_PT17_ilS8_ilS6_S8_ilPT18_ili26rocblas_geam_ex_operation_, .Lfunc_end133-_ZN12_GLOBAL__N_120geam_min_plus_kernelIdddLi4ELi64ELi128ELi128ELi4ELi64ELi4ELi4ELi64ELc78ELc78ELb1ELb1ELb0EdKPKdKPdEEviiiT16_PT17_ilS8_ilS6_S8_ilPT18_ili26rocblas_geam_ex_operation_
                                        ; -- End function
	.section	.AMDGPU.csdata,"",@progbits
; Kernel info:
; codeLenInByte = 14460
; NumSgprs: 88
; NumVgprs: 252
; NumAgprs: 0
; TotalNumVgprs: 252
; ScratchSize: 0
; MemoryBound: 0
; FloatMode: 240
; IeeeMode: 1
; LDSByteSize: 16384 bytes/workgroup (compile time only)
; SGPRBlocks: 10
; VGPRBlocks: 31
; NumSGPRsForWavesPerEU: 88
; NumVGPRsForWavesPerEU: 252
; AccumOffset: 252
; Occupancy: 2
; WaveLimiterHint : 1
; COMPUTE_PGM_RSRC2:SCRATCH_EN: 0
; COMPUTE_PGM_RSRC2:USER_SGPR: 2
; COMPUTE_PGM_RSRC2:TRAP_HANDLER: 0
; COMPUTE_PGM_RSRC2:TGID_X_EN: 1
; COMPUTE_PGM_RSRC2:TGID_Y_EN: 0
; COMPUTE_PGM_RSRC2:TGID_Z_EN: 1
; COMPUTE_PGM_RSRC2:TIDIG_COMP_CNT: 1
; COMPUTE_PGM_RSRC3_GFX90A:ACCUM_OFFSET: 62
; COMPUTE_PGM_RSRC3_GFX90A:TG_SPLIT: 0
	.section	.text._ZN12_GLOBAL__N_120geam_min_plus_kernelIdddLi4ELi64ELi128ELi128ELi4ELi64ELi4ELi4ELi64ELc78ELc78ELb0ELb1ELb0EdKPKdKPdEEviiiT16_PT17_ilS8_ilS6_S8_ilPT18_ili26rocblas_geam_ex_operation_,"axG",@progbits,_ZN12_GLOBAL__N_120geam_min_plus_kernelIdddLi4ELi64ELi128ELi128ELi4ELi64ELi4ELi4ELi64ELc78ELc78ELb0ELb1ELb0EdKPKdKPdEEviiiT16_PT17_ilS8_ilS6_S8_ilPT18_ili26rocblas_geam_ex_operation_,comdat
	.globl	_ZN12_GLOBAL__N_120geam_min_plus_kernelIdddLi4ELi64ELi128ELi128ELi4ELi64ELi4ELi4ELi64ELc78ELc78ELb0ELb1ELb0EdKPKdKPdEEviiiT16_PT17_ilS8_ilS6_S8_ilPT18_ili26rocblas_geam_ex_operation_ ; -- Begin function _ZN12_GLOBAL__N_120geam_min_plus_kernelIdddLi4ELi64ELi128ELi128ELi4ELi64ELi4ELi4ELi64ELc78ELc78ELb0ELb1ELb0EdKPKdKPdEEviiiT16_PT17_ilS8_ilS6_S8_ilPT18_ili26rocblas_geam_ex_operation_
	.p2align	8
	.type	_ZN12_GLOBAL__N_120geam_min_plus_kernelIdddLi4ELi64ELi128ELi128ELi4ELi64ELi4ELi4ELi64ELc78ELc78ELb0ELb1ELb0EdKPKdKPdEEviiiT16_PT17_ilS8_ilS6_S8_ilPT18_ili26rocblas_geam_ex_operation_,@function
_ZN12_GLOBAL__N_120geam_min_plus_kernelIdddLi4ELi64ELi128ELi128ELi4ELi64ELi4ELi4ELi64ELc78ELc78ELb0ELb1ELb0EdKPKdKPdEEviiiT16_PT17_ilS8_ilS6_S8_ilPT18_ili26rocblas_geam_ex_operation_: ; @_ZN12_GLOBAL__N_120geam_min_plus_kernelIdddLi4ELi64ELi128ELi128ELi4ELi64ELi4ELi4ELi64ELc78ELc78ELb0ELb1ELb0EdKPKdKPdEEviiiT16_PT17_ilS8_ilS6_S8_ilPT18_ili26rocblas_geam_ex_operation_
; %bb.0:
	s_load_dwordx4 s[12:15], s[0:1], 0x10
	s_load_dwordx4 s[4:7], s[0:1], 0x28
	s_mov_b32 s8, s3
	s_mov_b64 s[16:17], 0
	s_waitcnt lgkmcnt(0)
	v_cmp_eq_f64_e64 s[10:11], s[12:13], 0
	s_and_b64 vcc, exec, s[10:11]
	s_cbranch_vccnz .LBB134_2
; %bb.1:
	s_mov_b32 s9, 0
	s_lshl_b64 s[16:17], s[8:9], 3
	s_add_u32 s14, s14, s16
	s_addc_u32 s15, s15, s17
	s_load_dwordx2 s[14:15], s[14:15], 0x0
	s_lshl_b64 s[4:5], s[4:5], 3
	s_waitcnt lgkmcnt(0)
	s_add_u32 s16, s14, s4
	s_addc_u32 s17, s15, s5
.LBB134_2:
	s_load_dwordx4 s[68:71], s[0:1], 0x40
	s_load_dwordx2 s[14:15], s[0:1], 0x50
	s_andn2_b64 vcc, exec, s[10:11]
	s_cbranch_vccnz .LBB134_4
; %bb.3:
	s_mov_b32 s9, 0
	s_mov_b64 s[18:19], 0
	s_cbranch_execz .LBB134_5
	s_branch .LBB134_6
.LBB134_4:
                                        ; implicit-def: $sgpr18_sgpr19
.LBB134_5:
	s_mov_b32 s9, 0
	s_lshl_b64 s[4:5], s[8:9], 3
	s_add_u32 s4, s6, s4
	s_addc_u32 s5, s7, s5
	s_load_dwordx2 s[4:5], s[4:5], 0x0
	s_waitcnt lgkmcnt(0)
	s_lshl_b64 s[6:7], s[68:69], 3
	s_add_u32 s18, s4, s6
	s_addc_u32 s19, s5, s7
.LBB134_6:
	s_load_dwordx4 s[4:7], s[0:1], 0x60
	s_waitcnt lgkmcnt(0)
	v_cmp_eq_f64_e64 s[20:21], s[70:71], 0
	s_mov_b64 s[76:77], 0
	v_cmp_neq_f64_e64 s[10:11], s[70:71], 0
	s_and_b64 vcc, exec, s[20:21]
	s_cbranch_vccnz .LBB134_8
; %bb.7:
	s_lshl_b64 s[20:21], s[8:9], 3
	s_add_u32 s14, s14, s20
	s_addc_u32 s15, s15, s21
	s_load_dwordx2 s[14:15], s[14:15], 0x0
	s_lshl_b64 s[4:5], s[4:5], 3
	s_waitcnt lgkmcnt(0)
	s_add_u32 s76, s14, s4
	s_addc_u32 s77, s15, s5
.LBB134_8:
	s_load_dwordx4 s[72:75], s[0:1], 0x0
	s_load_dword s26, s[0:1], 0x20
	s_lshl_b64 s[4:5], s[8:9], 3
	s_add_u32 s4, s6, s4
	s_addc_u32 s5, s7, s5
	s_waitcnt lgkmcnt(0)
	s_add_i32 s3, s72, -1
	s_ashr_i32 s6, s3, 31
	s_lshr_b32 s6, s6, 25
	s_add_i32 s3, s3, s6
	s_ashr_i32 s3, s3, 7
	s_add_i32 s6, s3, 1
	v_cvt_f32_u32_e32 v1, s6
	v_and_b32_e32 v144, 0x3ff, v0
	v_bfe_u32 v145, v0, 10, 10
	s_load_dwordx2 s[14:15], s[4:5], 0x0
	v_rcp_iflag_f32_e32 v1, v1
	s_not_b32 s3, s3
	v_lshl_add_u32 v8, v145, 2, v144
	v_lshrrev_b32_e32 v146, 6, v8
	v_mul_f32_e32 v0, 0x4f7ffffe, v1
	v_cvt_u32_f32_e32 v0, v0
	v_and_b32_e32 v142, 63, v8
	v_cmp_le_i32_e32 vcc, s74, v146
	v_cmp_eq_f64_e64 s[20:21], s[12:13], 0
	v_readfirstlane_b32 s4, v0
	s_mul_i32 s3, s3, s4
	s_mul_hi_u32 s3, s4, s3
	s_add_i32 s4, s4, s3
	s_mul_hi_u32 s3, s2, s4
	s_mul_i32 s4, s3, s6
	s_sub_i32 s4, s2, s4
	s_add_i32 s5, s3, 1
	s_sub_i32 s7, s4, s6
	s_cmp_ge_u32 s4, s6
	s_cselect_b32 s3, s5, s3
	s_cselect_b32 s4, s7, s4
	s_add_i32 s5, s3, 1
	s_cmp_ge_u32 s4, s6
	s_cselect_b32 s8, s5, s3
	s_mul_i32 s3, s8, s6
	s_sub_i32 s2, s2, s3
	s_add_i32 s27, s74, -1
	s_lshl_b32 s24, s2, 7
	v_min_i32_e32 v2, s27, v146
	v_or_b32_e32 v128, s24, v142
	v_mad_i64_i32 v[2:3], s[2:3], s26, v2, 0
	v_cmp_le_i32_e64 s[2:3], s72, v128
	s_or_b64 s[4:5], s[2:3], vcc
	v_mov_b64_e32 v[0:1], 0
	s_or_b64 s[4:5], s[20:21], s[4:5]
	v_lshl_add_u64 v[6:7], v[2:3], 3, s[16:17]
	s_xor_b64 s[6:7], s[4:5], -1
	v_ashrrev_i32_e32 v129, 31, v128
	v_mov_b64_e32 v[2:3], v[0:1]
	s_and_saveexec_b64 s[4:5], s[6:7]
	s_cbranch_execz .LBB134_10
; %bb.9:
	v_lshl_add_u64 v[2:3], v[128:129], 3, v[6:7]
	flat_load_dwordx2 v[2:3], v[2:3]
	s_waitcnt vmcnt(0) lgkmcnt(0)
	v_mul_f64 v[2:3], v[2:3], s[12:13]
.LBB134_10:
	s_or_b64 exec, exec, s[4:5]
	v_or_b32_e32 v4, 64, v128
	v_cmp_le_i32_e64 s[4:5], s72, v4
	s_or_b64 s[6:7], s[4:5], vcc
	s_or_b64 s[6:7], s[20:21], s[6:7]
	s_xor_b64 s[22:23], s[6:7], -1
	v_mov_b64_e32 v[4:5], v[0:1]
	s_and_saveexec_b64 s[6:7], s[22:23]
	s_cbranch_execz .LBB134_12
; %bb.11:
	v_lshl_add_u64 v[4:5], v[128:129], 3, v[6:7]
	flat_load_dwordx2 v[4:5], v[4:5] offset:512
	s_waitcnt vmcnt(0) lgkmcnt(0)
	v_mul_f64 v[4:5], v[4:5], s[12:13]
.LBB134_12:
	s_or_b64 exec, exec, s[6:7]
	v_lshrrev_b32_e32 v10, 2, v8
	s_lshl_b32 s25, s8, 7
	s_load_dword s29, s[0:1], 0x38
	v_and_b32_e32 v147, 3, v144
	v_add_u32_e32 v138, s25, v10
	v_cmp_le_i32_e32 vcc, s74, v147
	v_cmp_le_i32_e64 s[6:7], s73, v138
	v_min_i32_e32 v6, s27, v147
	s_or_b64 s[8:9], vcc, s[6:7]
	v_ashrrev_i32_e32 v7, 31, v6
	s_or_b64 s[8:9], s[20:21], s[8:9]
	v_lshl_add_u64 v[8:9], v[6:7], 3, s[18:19]
	s_xor_b64 s[22:23], s[8:9], -1
	s_and_saveexec_b64 s[8:9], s[22:23]
	s_cbranch_execz .LBB134_14
; %bb.13:
	s_waitcnt lgkmcnt(0)
	v_mad_i64_i32 v[0:1], s[22:23], v138, s29, 0
	v_lshl_add_u64 v[0:1], v[0:1], 3, v[8:9]
	flat_load_dwordx2 v[0:1], v[0:1]
	s_waitcnt vmcnt(0) lgkmcnt(0)
	v_mul_f64 v[0:1], v[0:1], s[12:13]
.LBB134_14:
	s_or_b64 exec, exec, s[8:9]
	v_add_u32_e32 v139, 64, v138
	v_cmp_le_i32_e64 s[8:9], s73, v139
	s_or_b64 s[22:23], vcc, s[8:9]
	s_or_b64 s[22:23], s[20:21], s[22:23]
	v_mov_b64_e32 v[130:131], 0
	s_xor_b64 s[30:31], s[22:23], -1
	v_mov_b64_e32 v[6:7], v[130:131]
	s_and_saveexec_b64 s[22:23], s[30:31]
	s_cbranch_execz .LBB134_16
; %bb.15:
	s_waitcnt lgkmcnt(0)
	v_mad_i64_i32 v[6:7], s[30:31], v139, s29, 0
	v_lshl_add_u64 v[6:7], v[6:7], 3, v[8:9]
	flat_load_dwordx2 v[6:7], v[6:7]
	s_waitcnt vmcnt(0) lgkmcnt(0)
	v_mul_f64 v[6:7], v[6:7], s[12:13]
.LBB134_16:
	s_or_b64 exec, exec, s[22:23]
	v_add_u32_e32 v8, 4, v146
	v_cmp_le_i32_e32 vcc, s74, v8
	v_min_i32_e32 v8, s27, v8
	v_mad_i64_i32 v[8:9], s[22:23], s26, v8, 0
	s_or_b64 s[22:23], s[2:3], vcc
	s_or_b64 s[22:23], s[20:21], s[22:23]
	v_lshl_add_u64 v[8:9], v[8:9], 3, s[16:17]
	s_xor_b64 s[30:31], s[22:23], -1
	s_and_saveexec_b64 s[22:23], s[30:31]
	s_cbranch_execz .LBB134_18
; %bb.17:
	v_lshl_add_u64 v[12:13], v[128:129], 3, v[8:9]
	flat_load_dwordx2 v[12:13], v[12:13]
	s_waitcnt vmcnt(0) lgkmcnt(0)
	v_mul_f64 v[130:131], v[12:13], s[12:13]
.LBB134_18:
	s_or_b64 exec, exec, s[22:23]
	s_or_b64 s[22:23], s[4:5], vcc
	s_or_b64 s[22:23], s[20:21], s[22:23]
	v_mov_b64_e32 v[132:133], 0
	s_xor_b64 s[30:31], s[22:23], -1
	v_mov_b64_e32 v[134:135], v[132:133]
	s_and_saveexec_b64 s[22:23], s[30:31]
	s_cbranch_execz .LBB134_20
; %bb.19:
	v_lshl_add_u64 v[8:9], v[128:129], 3, v[8:9]
	flat_load_dwordx2 v[8:9], v[8:9] offset:512
	s_waitcnt vmcnt(0) lgkmcnt(0)
	v_mul_f64 v[134:135], v[8:9], s[12:13]
.LBB134_20:
	s_or_b64 exec, exec, s[22:23]
	v_or_b32_e32 v8, 4, v147
	v_cmp_le_i32_e32 vcc, s74, v8
	v_min_i32_e32 v8, s27, v8
	s_or_b64 s[22:23], vcc, s[6:7]
	v_ashrrev_i32_e32 v9, 31, v8
	s_or_b64 s[22:23], s[20:21], s[22:23]
	v_lshl_add_u64 v[8:9], v[8:9], 3, s[18:19]
	s_xor_b64 s[30:31], s[22:23], -1
	s_and_saveexec_b64 s[22:23], s[30:31]
	s_cbranch_execz .LBB134_22
; %bb.21:
	s_waitcnt lgkmcnt(0)
	v_mad_i64_i32 v[12:13], s[30:31], v138, s29, 0
	v_lshl_add_u64 v[12:13], v[12:13], 3, v[8:9]
	flat_load_dwordx2 v[12:13], v[12:13]
	s_waitcnt vmcnt(0) lgkmcnt(0)
	v_mul_f64 v[132:133], v[12:13], s[12:13]
.LBB134_22:
	s_or_b64 exec, exec, s[22:23]
	s_or_b64 s[22:23], vcc, s[8:9]
	s_or_b64 s[22:23], s[20:21], s[22:23]
	v_mov_b64_e32 v[124:125], 0
	s_xor_b64 s[30:31], s[22:23], -1
	v_mov_b64_e32 v[136:137], v[124:125]
	s_and_saveexec_b64 s[22:23], s[30:31]
	s_cbranch_execz .LBB134_24
; %bb.23:
	s_waitcnt lgkmcnt(0)
	v_mad_i64_i32 v[12:13], s[30:31], v139, s29, 0
	v_lshl_add_u64 v[8:9], v[12:13], 3, v[8:9]
	flat_load_dwordx2 v[8:9], v[8:9]
	s_waitcnt vmcnt(0) lgkmcnt(0)
	v_mul_f64 v[136:137], v[8:9], s[12:13]
.LBB134_24:
	s_or_b64 exec, exec, s[22:23]
	v_lshlrev_b32_e32 v8, 3, v146
	v_lshl_add_u32 v148, v142, 5, v8
	ds_write2st64_b64 v148, v[2:3], v[4:5] offset1:4
	v_lshlrev_b32_e32 v2, 3, v147
	v_lshl_or_b32 v141, v10, 5, v2
	v_lshlrev_b32_e32 v140, 5, v145
	v_add_u32_e32 v149, 0x2000, v141
	ds_write2st64_b64 v141, v[0:1], v[6:7] offset0:16 offset1:20
	v_lshlrev_b32_e32 v150, 5, v144
	v_add_u32_e32 v151, 0x2000, v140
	s_mov_b32 s22, 0
	v_mov_b64_e32 v[126:127], v[124:125]
	v_mov_b64_e32 v[122:123], v[124:125]
	;; [unrolled: 1-line block ×63, first 2 shown]
	s_waitcnt lgkmcnt(0)
	s_barrier
.LBB134_25:                             ; =>This Inner Loop Header: Depth=1
	v_add_u32_e32 v143, s22, v150
	v_add_u32_e32 v184, s22, v151
	ds_read2_b64 v[152:155], v143 offset1:16
	ds_read2_b64 v[156:159], v143 offset0:32 offset1:48
	ds_read2_b64 v[160:163], v143 offset0:64 offset1:80
	;; [unrolled: 1-line block ×7, first 2 shown]
	ds_read2st64_b64 v[184:187], v184 offset1:4
	v_add_u32_e32 v143, 0x800, v143
	ds_read2_b64 v[188:191], v143 offset1:16
	ds_read2_b64 v[192:195], v143 offset0:32 offset1:48
	ds_read2_b64 v[196:199], v143 offset0:64 offset1:80
	;; [unrolled: 1-line block ×7, first 2 shown]
	s_waitcnt lgkmcnt(14)
	v_max_f64 v[152:153], v[152:153], v[152:153]
	v_max_f64 v[154:155], v[154:155], v[154:155]
	;; [unrolled: 1-line block ×6, first 2 shown]
	s_waitcnt lgkmcnt(13)
	v_max_f64 v[164:165], v[164:165], v[164:165]
	v_max_f64 v[166:167], v[166:167], v[166:167]
	s_waitcnt lgkmcnt(12)
	v_max_f64 v[168:169], v[168:169], v[168:169]
	v_max_f64 v[170:171], v[170:171], v[170:171]
	;; [unrolled: 3-line block ×14, first 2 shown]
	v_min_f64 v[220:221], v[152:153], v[184:185]
	v_min_f64 v[222:223], v[154:155], v[184:185]
	;; [unrolled: 1-line block ×32, first 2 shown]
	s_add_i32 s22, s22, 8
	v_add_f64 v[62:63], v[152:153], v[62:63]
	v_add_f64 v[60:61], v[154:155], v[60:61]
	;; [unrolled: 1-line block ×16, first 2 shown]
	v_min_f64 v[152:153], v[188:189], v[184:185]
	v_min_f64 v[154:155], v[190:191], v[184:185]
	;; [unrolled: 1-line block ×32, first 2 shown]
	s_cmp_eq_u32 s22, 32
	v_add_f64 v[124:125], v[220:221], v[124:125]
	v_add_f64 v[126:127], v[222:223], v[126:127]
	;; [unrolled: 1-line block ×48, first 2 shown]
	s_cbranch_scc0 .LBB134_25
; %bb.26:
	v_lshlrev_b32_e32 v142, 5, v142
	v_lshl_add_u32 v142, v146, 3, v142
	s_cmp_gt_i32 s74, 8
	ds_write2st64_b64 v142, v[130:131], v[134:135] offset0:8 offset1:12
	ds_write2st64_b64 v141, v[132:133], v[136:137] offset0:24 offset1:28
	s_waitcnt lgkmcnt(0)
	s_barrier
	s_cbranch_scc1 .LBB134_28
; %bb.27:
	v_add_u32_e32 v152, 0x1000, v150
	v_add_u32_e32 v153, 0x3000, v140
	s_cbranch_execz .LBB134_29
	s_branch .LBB134_51
.LBB134_28:
                                        ; implicit-def: $vgpr152
                                        ; implicit-def: $vgpr153
.LBB134_29:
	v_or_b32_e32 v154, 0x1000, v142
	v_add_u32_e32 v155, 0x3000, v141
	s_add_i32 s28, s74, -8
	v_mad_i64_i32 v[130:131], s[22:23], v138, s29, 0
	v_mad_i64_i32 v[132:133], s[22:23], v139, s29, 0
	v_add_u32_e32 v152, 0x1000, v150
	v_add_u32_e32 v153, 0x3000, v140
	s_mov_b32 s29, 8
	s_mov_b32 s30, 0
.LBB134_30:                             ; =>This Loop Header: Depth=1
                                        ;     Child Loop BB134_39 Depth 2
                                        ;     Child Loop BB134_49 Depth 2
	v_add_u32_e32 v134, s29, v146
	v_cmp_le_i32_e32 vcc, s74, v134
	v_min_i32_e32 v134, s27, v134
	v_mad_i64_i32 v[134:135], s[22:23], v134, s26, 0
	s_or_b64 s[22:23], s[2:3], vcc
	v_lshl_add_u64 v[136:137], v[134:135], 3, s[16:17]
	s_or_b64 s[22:23], s[20:21], s[22:23]
	v_mov_b64_e32 v[134:135], 0
	s_xor_b64 s[34:35], s[22:23], -1
	v_lshl_add_u64 v[138:139], v[128:129], 3, v[136:137]
	v_mov_b64_e32 v[136:137], v[134:135]
	s_and_saveexec_b64 s[22:23], s[34:35]
	s_cbranch_execz .LBB134_32
; %bb.31:                               ;   in Loop: Header=BB134_30 Depth=1
	flat_load_dwordx2 v[136:137], v[138:139]
	s_waitcnt vmcnt(0) lgkmcnt(0)
	v_mul_f64 v[136:137], v[136:137], s[12:13]
.LBB134_32:                             ;   in Loop: Header=BB134_30 Depth=1
	s_or_b64 exec, exec, s[22:23]
	s_or_b64 s[22:23], s[4:5], vcc
	s_or_b64 s[22:23], s[20:21], s[22:23]
	s_xor_b64 s[34:35], s[22:23], -1
	s_and_saveexec_b64 s[22:23], s[34:35]
	s_cbranch_execz .LBB134_34
; %bb.33:                               ;   in Loop: Header=BB134_30 Depth=1
	flat_load_dwordx2 v[134:135], v[138:139] offset:512
	s_waitcnt vmcnt(0) lgkmcnt(0)
	v_mul_f64 v[134:135], v[134:135], s[12:13]
.LBB134_34:                             ;   in Loop: Header=BB134_30 Depth=1
	s_or_b64 exec, exec, s[22:23]
	v_or_b32_e32 v156, s29, v147
	v_cmp_le_i32_e32 vcc, s74, v156
	v_min_i32_e32 v138, s27, v156
	v_ashrrev_i32_e32 v139, 31, v138
	s_or_b64 s[22:23], s[6:7], vcc
	v_lshl_add_u64 v[142:143], v[138:139], 3, s[18:19]
	s_or_b64 s[22:23], s[20:21], s[22:23]
	v_mov_b64_e32 v[138:139], 0
	s_xor_b64 s[34:35], s[22:23], -1
	v_mov_b64_e32 v[140:141], v[138:139]
	s_and_saveexec_b64 s[22:23], s[34:35]
	s_cbranch_execz .LBB134_36
; %bb.35:                               ;   in Loop: Header=BB134_30 Depth=1
	v_lshl_add_u64 v[140:141], v[130:131], 3, v[142:143]
	flat_load_dwordx2 v[140:141], v[140:141]
	s_waitcnt vmcnt(0) lgkmcnt(0)
	v_mul_f64 v[140:141], v[140:141], s[12:13]
.LBB134_36:                             ;   in Loop: Header=BB134_30 Depth=1
	s_or_b64 exec, exec, s[22:23]
	s_or_b64 s[22:23], s[8:9], vcc
	s_or_b64 s[22:23], s[20:21], s[22:23]
	s_xor_b64 s[34:35], s[22:23], -1
	s_and_saveexec_b64 s[22:23], s[34:35]
	s_cbranch_execz .LBB134_38
; %bb.37:                               ;   in Loop: Header=BB134_30 Depth=1
	v_lshl_add_u64 v[138:139], v[132:133], 3, v[142:143]
	flat_load_dwordx2 v[138:139], v[138:139]
	s_waitcnt vmcnt(0) lgkmcnt(0)
	v_mul_f64 v[138:139], v[138:139], s[12:13]
.LBB134_38:                             ;   in Loop: Header=BB134_30 Depth=1
	s_or_b64 exec, exec, s[22:23]
	s_mov_b32 s22, 0
.LBB134_39:                             ;   Parent Loop BB134_30 Depth=1
                                        ; =>  This Inner Loop Header: Depth=2
	v_add_u32_e32 v142, s22, v152
	ds_read2_b64 v[158:161], v142 offset1:16
	ds_read2_b64 v[162:165], v142 offset0:32 offset1:48
	ds_read2_b64 v[166:169], v142 offset0:64 offset1:80
	;; [unrolled: 1-line block ×7, first 2 shown]
	v_add_u32_e32 v142, 0x800, v142
	ds_read2_b64 v[190:193], v142 offset1:16
	ds_read2_b64 v[194:197], v142 offset0:32 offset1:48
	ds_read2_b64 v[198:201], v142 offset0:64 offset1:80
	;; [unrolled: 1-line block ×7, first 2 shown]
	v_add_u32_e32 v142, s22, v153
	ds_read2st64_b64 v[222:225], v142 offset1:4
	s_waitcnt lgkmcnt(14)
	v_max_f64 v[158:159], v[158:159], v[158:159]
	v_max_f64 v[160:161], v[160:161], v[160:161]
	;; [unrolled: 1-line block ×4, first 2 shown]
	s_waitcnt lgkmcnt(0)
	v_max_f64 v[142:143], v[222:223], v[222:223]
	v_min_f64 v[222:223], v[158:159], v[142:143]
	v_add_f64 v[124:125], v[222:223], v[124:125]
	v_min_f64 v[222:223], v[160:161], v[142:143]
	v_add_f64 v[126:127], v[222:223], v[126:127]
	;; [unrolled: 2-line block ×3, first 2 shown]
	v_min_f64 v[222:223], v[164:165], v[142:143]
	v_max_f64 v[166:167], v[166:167], v[166:167]
	v_add_f64 v[120:121], v[222:223], v[120:121]
	v_min_f64 v[222:223], v[166:167], v[142:143]
	v_max_f64 v[168:169], v[168:169], v[168:169]
	v_add_f64 v[118:119], v[222:223], v[118:119]
	v_min_f64 v[222:223], v[168:169], v[142:143]
	v_max_f64 v[170:171], v[170:171], v[170:171]
	v_add_f64 v[116:117], v[222:223], v[116:117]
	v_min_f64 v[222:223], v[170:171], v[142:143]
	v_max_f64 v[172:173], v[172:173], v[172:173]
	v_add_f64 v[114:115], v[222:223], v[114:115]
	v_min_f64 v[222:223], v[172:173], v[142:143]
	v_max_f64 v[174:175], v[174:175], v[174:175]
	v_add_f64 v[112:113], v[222:223], v[112:113]
	v_min_f64 v[222:223], v[174:175], v[142:143]
	v_max_f64 v[176:177], v[176:177], v[176:177]
	v_add_f64 v[110:111], v[222:223], v[110:111]
	v_min_f64 v[222:223], v[176:177], v[142:143]
	v_max_f64 v[178:179], v[178:179], v[178:179]
	v_add_f64 v[108:109], v[222:223], v[108:109]
	v_min_f64 v[222:223], v[178:179], v[142:143]
	v_max_f64 v[180:181], v[180:181], v[180:181]
	v_add_f64 v[106:107], v[222:223], v[106:107]
	v_min_f64 v[222:223], v[180:181], v[142:143]
	v_max_f64 v[182:183], v[182:183], v[182:183]
	v_add_f64 v[104:105], v[222:223], v[104:105]
	v_min_f64 v[222:223], v[182:183], v[142:143]
	v_max_f64 v[184:185], v[184:185], v[184:185]
	v_add_f64 v[102:103], v[222:223], v[102:103]
	v_min_f64 v[222:223], v[184:185], v[142:143]
	v_max_f64 v[186:187], v[186:187], v[186:187]
	v_add_f64 v[100:101], v[222:223], v[100:101]
	v_min_f64 v[222:223], v[186:187], v[142:143]
	v_max_f64 v[188:189], v[188:189], v[188:189]
	v_add_f64 v[98:99], v[222:223], v[98:99]
	v_min_f64 v[222:223], v[188:189], v[142:143]
	v_max_f64 v[190:191], v[190:191], v[190:191]
	v_add_f64 v[96:97], v[222:223], v[96:97]
	v_min_f64 v[222:223], v[190:191], v[142:143]
	v_max_f64 v[192:193], v[192:193], v[192:193]
	v_add_f64 v[94:95], v[222:223], v[94:95]
	v_min_f64 v[222:223], v[192:193], v[142:143]
	v_max_f64 v[194:195], v[194:195], v[194:195]
	v_add_f64 v[92:93], v[222:223], v[92:93]
	v_min_f64 v[222:223], v[194:195], v[142:143]
	v_max_f64 v[196:197], v[196:197], v[196:197]
	v_add_f64 v[90:91], v[222:223], v[90:91]
	v_min_f64 v[222:223], v[196:197], v[142:143]
	v_max_f64 v[198:199], v[198:199], v[198:199]
	v_add_f64 v[88:89], v[222:223], v[88:89]
	v_min_f64 v[222:223], v[198:199], v[142:143]
	v_max_f64 v[200:201], v[200:201], v[200:201]
	v_add_f64 v[86:87], v[222:223], v[86:87]
	v_min_f64 v[222:223], v[200:201], v[142:143]
	v_max_f64 v[202:203], v[202:203], v[202:203]
	v_add_f64 v[84:85], v[222:223], v[84:85]
	v_min_f64 v[222:223], v[202:203], v[142:143]
	v_max_f64 v[204:205], v[204:205], v[204:205]
	v_add_f64 v[82:83], v[222:223], v[82:83]
	v_min_f64 v[222:223], v[204:205], v[142:143]
	v_max_f64 v[206:207], v[206:207], v[206:207]
	v_add_f64 v[80:81], v[222:223], v[80:81]
	v_min_f64 v[222:223], v[206:207], v[142:143]
	v_max_f64 v[208:209], v[208:209], v[208:209]
	v_add_f64 v[78:79], v[222:223], v[78:79]
	v_min_f64 v[222:223], v[208:209], v[142:143]
	v_max_f64 v[210:211], v[210:211], v[210:211]
	v_add_f64 v[76:77], v[222:223], v[76:77]
	v_min_f64 v[222:223], v[210:211], v[142:143]
	v_max_f64 v[212:213], v[212:213], v[212:213]
	v_add_f64 v[74:75], v[222:223], v[74:75]
	v_min_f64 v[222:223], v[212:213], v[142:143]
	v_max_f64 v[214:215], v[214:215], v[214:215]
	v_add_f64 v[72:73], v[222:223], v[72:73]
	v_min_f64 v[222:223], v[214:215], v[142:143]
	v_max_f64 v[216:217], v[216:217], v[216:217]
	v_add_f64 v[70:71], v[222:223], v[70:71]
	v_min_f64 v[222:223], v[216:217], v[142:143]
	v_max_f64 v[218:219], v[218:219], v[218:219]
	v_max_f64 v[220:221], v[220:221], v[220:221]
	v_add_f64 v[68:69], v[222:223], v[68:69]
	v_min_f64 v[222:223], v[218:219], v[142:143]
	v_min_f64 v[142:143], v[220:221], v[142:143]
	v_add_f64 v[64:65], v[142:143], v[64:65]
	v_max_f64 v[142:143], v[224:225], v[224:225]
	v_min_f64 v[158:159], v[158:159], v[142:143]
	v_add_f64 v[62:63], v[158:159], v[62:63]
	v_min_f64 v[158:159], v[160:161], v[142:143]
	v_add_f64 v[60:61], v[158:159], v[60:61]
	;; [unrolled: 2-line block ×30, first 2 shown]
	v_min_f64 v[158:159], v[218:219], v[142:143]
	v_min_f64 v[142:143], v[220:221], v[142:143]
	s_add_i32 s22, s22, 8
	v_add_f64 v[66:67], v[222:223], v[66:67]
	v_add_f64 v[2:3], v[158:159], v[2:3]
	;; [unrolled: 1-line block ×3, first 2 shown]
	s_cmp_eq_u32 s22, 32
	s_cbranch_scc0 .LBB134_39
; %bb.40:                               ;   in Loop: Header=BB134_30 Depth=1
	ds_write2st64_b64 v148, v[136:137], v[134:135] offset1:4
	ds_write2st64_b64 v149, v[140:141], v[138:139] offset1:4
	v_add3_u32 v134, v146, s29, 4
	v_cmp_le_i32_e32 vcc, s74, v134
	v_min_i32_e32 v134, s27, v134
	v_mad_i64_i32 v[134:135], s[22:23], v134, s26, 0
	s_or_b64 s[22:23], s[2:3], vcc
	v_lshl_add_u64 v[136:137], v[134:135], 3, s[16:17]
	s_or_b64 s[22:23], s[20:21], s[22:23]
	v_mov_b64_e32 v[134:135], 0
	s_xor_b64 s[34:35], s[22:23], -1
	v_lshl_add_u64 v[138:139], v[128:129], 3, v[136:137]
	v_mov_b64_e32 v[136:137], v[134:135]
	s_waitcnt lgkmcnt(0)
	s_barrier
	s_and_saveexec_b64 s[22:23], s[34:35]
	s_cbranch_execz .LBB134_42
; %bb.41:                               ;   in Loop: Header=BB134_30 Depth=1
	flat_load_dwordx2 v[136:137], v[138:139]
	s_waitcnt vmcnt(0) lgkmcnt(0)
	v_mul_f64 v[136:137], v[136:137], s[12:13]
.LBB134_42:                             ;   in Loop: Header=BB134_30 Depth=1
	s_or_b64 exec, exec, s[22:23]
	s_or_b64 s[22:23], s[4:5], vcc
	s_or_b64 s[22:23], s[20:21], s[22:23]
	s_xor_b64 s[34:35], s[22:23], -1
	s_and_saveexec_b64 s[22:23], s[34:35]
	s_cbranch_execz .LBB134_44
; %bb.43:                               ;   in Loop: Header=BB134_30 Depth=1
	flat_load_dwordx2 v[134:135], v[138:139] offset:512
	s_waitcnt vmcnt(0) lgkmcnt(0)
	v_mul_f64 v[134:135], v[134:135], s[12:13]
.LBB134_44:                             ;   in Loop: Header=BB134_30 Depth=1
	s_or_b64 exec, exec, s[22:23]
	v_or_b32_e32 v138, 4, v156
	v_cmp_le_i32_e32 vcc, s74, v138
	v_min_i32_e32 v138, s27, v138
	v_ashrrev_i32_e32 v139, 31, v138
	s_or_b64 s[22:23], s[6:7], vcc
	v_lshl_add_u64 v[142:143], v[138:139], 3, s[18:19]
	s_or_b64 s[22:23], s[20:21], s[22:23]
	v_mov_b64_e32 v[138:139], 0
	s_xor_b64 s[34:35], s[22:23], -1
	v_mov_b64_e32 v[140:141], v[138:139]
	s_and_saveexec_b64 s[22:23], s[34:35]
	s_cbranch_execz .LBB134_46
; %bb.45:                               ;   in Loop: Header=BB134_30 Depth=1
	v_lshl_add_u64 v[140:141], v[130:131], 3, v[142:143]
	flat_load_dwordx2 v[140:141], v[140:141]
	s_waitcnt vmcnt(0) lgkmcnt(0)
	v_mul_f64 v[140:141], v[140:141], s[12:13]
.LBB134_46:                             ;   in Loop: Header=BB134_30 Depth=1
	s_or_b64 exec, exec, s[22:23]
	s_or_b64 s[22:23], s[8:9], vcc
	s_or_b64 s[22:23], s[20:21], s[22:23]
	s_xor_b64 s[34:35], s[22:23], -1
	s_and_saveexec_b64 s[22:23], s[34:35]
	s_cbranch_execz .LBB134_48
; %bb.47:                               ;   in Loop: Header=BB134_30 Depth=1
	v_lshl_add_u64 v[138:139], v[132:133], 3, v[142:143]
	flat_load_dwordx2 v[138:139], v[138:139]
	s_waitcnt vmcnt(0) lgkmcnt(0)
	v_mul_f64 v[138:139], v[138:139], s[12:13]
.LBB134_48:                             ;   in Loop: Header=BB134_30 Depth=1
	s_or_b64 exec, exec, s[22:23]
	s_mov_b32 s22, 0
.LBB134_49:                             ;   Parent Loop BB134_30 Depth=1
                                        ; =>  This Inner Loop Header: Depth=2
	v_add_u32_e32 v142, s22, v150
	v_add_u32_e32 v143, s22, v151
	ds_read2_b64 v[156:159], v142 offset1:16
	ds_read2_b64 v[160:163], v142 offset0:32 offset1:48
	ds_read2_b64 v[164:167], v142 offset0:64 offset1:80
	;; [unrolled: 1-line block ×7, first 2 shown]
	v_add_u32_e32 v142, 0x800, v142
	ds_read2st64_b64 v[188:191], v143 offset1:4
	ds_read2_b64 v[192:195], v142 offset1:16
	ds_read2_b64 v[196:199], v142 offset0:32 offset1:48
	ds_read2_b64 v[200:203], v142 offset0:64 offset1:80
	;; [unrolled: 1-line block ×7, first 2 shown]
	s_waitcnt lgkmcnt(14)
	v_max_f64 v[156:157], v[156:157], v[156:157]
	v_max_f64 v[158:159], v[158:159], v[158:159]
	;; [unrolled: 1-line block ×3, first 2 shown]
	s_waitcnt lgkmcnt(8)
	v_max_f64 v[142:143], v[188:189], v[188:189]
	v_max_f64 v[162:163], v[162:163], v[162:163]
	;; [unrolled: 1-line block ×15, first 2 shown]
	v_min_f64 v[190:191], v[156:157], v[142:143]
	v_min_f64 v[224:225], v[158:159], v[142:143]
	;; [unrolled: 1-line block ×16, first 2 shown]
	s_waitcnt lgkmcnt(7)
	v_max_f64 v[192:193], v[192:193], v[192:193]
	v_max_f64 v[194:195], v[194:195], v[194:195]
	s_waitcnt lgkmcnt(6)
	v_max_f64 v[196:197], v[196:197], v[196:197]
	v_max_f64 v[198:199], v[198:199], v[198:199]
	;; [unrolled: 3-line block ×8, first 2 shown]
	v_min_f64 v[156:157], v[156:157], v[188:189]
	v_min_f64 v[158:159], v[158:159], v[188:189]
	;; [unrolled: 1-line block ×16, first 2 shown]
	s_add_i32 s22, s22, 8
	v_add_f64 v[124:125], v[190:191], v[124:125]
	v_add_f64 v[126:127], v[224:225], v[126:127]
	;; [unrolled: 1-line block ×15, first 2 shown]
	v_min_f64 v[190:191], v[192:193], v[142:143]
	v_min_f64 v[224:225], v[194:195], v[142:143]
	;; [unrolled: 1-line block ×16, first 2 shown]
	v_add_f64 v[62:63], v[156:157], v[62:63]
	v_add_f64 v[60:61], v[158:159], v[60:61]
	v_add_f64 v[58:59], v[160:161], v[58:59]
	v_add_f64 v[56:57], v[162:163], v[56:57]
	v_add_f64 v[54:55], v[164:165], v[54:55]
	v_add_f64 v[52:53], v[166:167], v[52:53]
	v_add_f64 v[50:51], v[168:169], v[50:51]
	v_add_f64 v[48:49], v[170:171], v[48:49]
	v_add_f64 v[46:47], v[172:173], v[46:47]
	v_add_f64 v[44:45], v[174:175], v[44:45]
	v_add_f64 v[42:43], v[176:177], v[42:43]
	v_add_f64 v[40:41], v[178:179], v[40:41]
	v_add_f64 v[38:39], v[180:181], v[38:39]
	v_add_f64 v[36:37], v[182:183], v[36:37]
	v_add_f64 v[34:35], v[184:185], v[34:35]
	v_add_f64 v[32:33], v[186:187], v[32:33]
	v_min_f64 v[156:157], v[192:193], v[188:189]
	v_min_f64 v[158:159], v[194:195], v[188:189]
	;; [unrolled: 1-line block ×16, first 2 shown]
	s_cmp_eq_u32 s22, 32
	v_add_f64 v[96:97], v[252:253], v[96:97]
	v_add_f64 v[94:95], v[190:191], v[94:95]
	;; [unrolled: 1-line block ×33, first 2 shown]
	s_cbranch_scc0 .LBB134_49
; %bb.50:                               ;   in Loop: Header=BB134_30 Depth=1
	s_add_i32 s29, s29, 8
	s_add_i32 s30, s30, 8
	s_cmp_ge_i32 s30, s28
	ds_write2st64_b64 v154, v[136:137], v[134:135] offset1:4
	ds_write2st64_b64 v155, v[140:141], v[138:139] offset1:4
	s_waitcnt lgkmcnt(0)
	s_barrier
	s_cbranch_scc0 .LBB134_30
.LBB134_51:
	s_mov_b32 s2, 0
.LBB134_52:                             ; =>This Inner Loop Header: Depth=1
	v_add_u32_e32 v150, s2, v152
	v_add_u32_e32 v151, s2, v153
	ds_read2_b64 v[128:131], v150 offset1:16
	ds_read2_b64 v[132:135], v150 offset0:32 offset1:48
	ds_read2_b64 v[136:139], v150 offset0:64 offset1:80
	;; [unrolled: 1-line block ×7, first 2 shown]
	v_add_u32_e32 v150, 0x800, v150
	ds_read2st64_b64 v[166:169], v151 offset1:4
	ds_read2_b64 v[170:173], v150 offset1:16
	ds_read2_b64 v[174:177], v150 offset0:32 offset1:48
	ds_read2_b64 v[178:181], v150 offset0:64 offset1:80
	;; [unrolled: 1-line block ×7, first 2 shown]
	s_waitcnt lgkmcnt(14)
	v_max_f64 v[128:129], v[128:129], v[128:129]
	v_max_f64 v[130:131], v[130:131], v[130:131]
	;; [unrolled: 1-line block ×3, first 2 shown]
	s_waitcnt lgkmcnt(8)
	v_max_f64 v[150:151], v[166:167], v[166:167]
	v_max_f64 v[134:135], v[134:135], v[134:135]
	;; [unrolled: 1-line block ×15, first 2 shown]
	v_min_f64 v[168:169], v[128:129], v[150:151]
	v_min_f64 v[202:203], v[130:131], v[150:151]
	;; [unrolled: 1-line block ×16, first 2 shown]
	s_waitcnt lgkmcnt(7)
	v_max_f64 v[170:171], v[170:171], v[170:171]
	v_max_f64 v[172:173], v[172:173], v[172:173]
	s_waitcnt lgkmcnt(6)
	v_max_f64 v[174:175], v[174:175], v[174:175]
	v_max_f64 v[176:177], v[176:177], v[176:177]
	;; [unrolled: 3-line block ×8, first 2 shown]
	v_min_f64 v[128:129], v[128:129], v[166:167]
	v_min_f64 v[130:131], v[130:131], v[166:167]
	;; [unrolled: 1-line block ×16, first 2 shown]
	s_add_i32 s2, s2, 8
	v_add_f64 v[124:125], v[168:169], v[124:125]
	v_add_f64 v[126:127], v[202:203], v[126:127]
	;; [unrolled: 1-line block ×15, first 2 shown]
	v_min_f64 v[168:169], v[170:171], v[150:151]
	v_min_f64 v[202:203], v[172:173], v[150:151]
	;; [unrolled: 1-line block ×16, first 2 shown]
	v_add_f64 v[62:63], v[128:129], v[62:63]
	v_add_f64 v[60:61], v[130:131], v[60:61]
	;; [unrolled: 1-line block ×16, first 2 shown]
	v_min_f64 v[128:129], v[170:171], v[166:167]
	v_min_f64 v[130:131], v[172:173], v[166:167]
	;; [unrolled: 1-line block ×16, first 2 shown]
	s_cmp_eq_u32 s2, 32
	v_add_f64 v[96:97], v[230:231], v[96:97]
	v_add_f64 v[94:95], v[168:169], v[94:95]
	;; [unrolled: 1-line block ×33, first 2 shown]
	s_cbranch_scc0 .LBB134_52
; %bb.53:
	s_load_dwordx2 s[2:3], s[0:1], 0x78
	s_load_dword s78, s[0:1], 0x58
	s_load_dword s33, s[0:1], 0x70
	v_add_u32_e32 v136, s25, v145
	v_add_u32_e32 v128, s24, v144
	s_waitcnt lgkmcnt(0)
	s_lshl_b64 s[0:1], s[2:3], 3
	s_add_u32 s74, s14, s0
	s_addc_u32 s75, s15, s1
	v_mad_i64_i32 v[130:131], s[0:1], v136, s78, 0
	v_cmp_gt_i32_e64 s[24:25], s73, v136
	v_lshl_add_u64 v[132:133], v[130:131], 3, s[76:77]
	v_mad_i64_i32 v[130:131], s[0:1], v136, s33, 0
	v_cmp_gt_i32_e64 s[2:3], s72, v128
	v_cndmask_b32_e64 v134, 0, 1, s[10:11]
	v_lshl_add_u64 v[130:131], v[130:131], 3, s[74:75]
	s_and_b64 s[6:7], s[24:25], s[2:3]
	v_ashrrev_i32_e32 v129, 31, v128
	v_cmp_ne_u32_e64 s[0:1], 1, v134
	s_and_saveexec_b64 s[4:5], s[6:7]
	s_cbranch_execz .LBB134_58
; %bb.54:
	s_and_b64 vcc, exec, s[0:1]
	s_cbranch_vccnz .LBB134_56
; %bb.55:
	v_lshl_add_u64 v[134:135], v[128:129], 3, v[132:133]
	flat_load_dwordx2 v[134:135], v[134:135]
	s_waitcnt vmcnt(0) lgkmcnt(0)
	v_mul_f64 v[134:135], v[134:135], s[70:71]
	s_branch .LBB134_57
.LBB134_56:
	v_mov_b64_e32 v[134:135], 0
.LBB134_57:
	v_add_f64 v[124:125], v[124:125], v[134:135]
	v_lshl_add_u64 v[134:135], v[128:129], 3, v[130:131]
	global_store_dwordx2 v[134:135], v[124:125], off
.LBB134_58:
	s_or_b64 exec, exec, s[4:5]
	v_add_u32_e32 v124, 4, v128
	v_cmp_gt_i32_e64 s[4:5], s72, v124
	s_and_b64 s[8:9], s[24:25], s[4:5]
	v_ashrrev_i32_e32 v125, 31, v124
	s_and_saveexec_b64 s[6:7], s[8:9]
	s_cbranch_execz .LBB134_63
; %bb.59:
	s_and_b64 vcc, exec, s[0:1]
	s_cbranch_vccnz .LBB134_61
; %bb.60:
	v_lshl_add_u64 v[134:135], v[124:125], 3, v[132:133]
	flat_load_dwordx2 v[134:135], v[134:135]
	s_waitcnt vmcnt(0) lgkmcnt(0)
	v_mul_f64 v[134:135], v[134:135], s[70:71]
	s_branch .LBB134_62
.LBB134_61:
	v_mov_b64_e32 v[134:135], 0
.LBB134_62:
	v_add_f64 v[126:127], v[126:127], v[134:135]
	v_lshl_add_u64 v[134:135], v[124:125], 3, v[130:131]
	global_store_dwordx2 v[134:135], v[126:127], off
.LBB134_63:
	s_or_b64 exec, exec, s[6:7]
	v_add_u32_e32 v126, 8, v128
	v_cmp_gt_i32_e64 s[6:7], s72, v126
	s_and_b64 s[10:11], s[24:25], s[6:7]
	v_ashrrev_i32_e32 v127, 31, v126
	;; [unrolled: 23-line block ×31, first 2 shown]
	s_and_saveexec_b64 s[24:25], s[80:81]
	s_cbranch_execz .LBB134_213
; %bb.209:
	s_and_b64 vcc, exec, s[0:1]
	s_cbranch_vccnz .LBB134_211
; %bb.210:
	v_lshl_add_u64 v[132:133], v[66:67], 3, v[132:133]
	flat_load_dwordx2 v[132:133], v[132:133]
	s_waitcnt vmcnt(0) lgkmcnt(0)
	v_mul_f64 v[132:133], v[132:133], s[70:71]
	s_branch .LBB134_212
.LBB134_211:
	v_mov_b64_e32 v[132:133], 0
.LBB134_212:
	v_add_f64 v[64:65], v[64:65], v[132:133]
	v_lshl_add_u64 v[130:131], v[66:67], 3, v[130:131]
	global_store_dwordx2 v[130:131], v[64:65], off
.LBB134_213:
	s_or_b64 exec, exec, s[24:25]
	v_add_u32_e32 v132, 64, v136
	v_cmp_gt_i32_e64 s[24:25], s73, v132
	v_mad_i64_i32 v[64:65], s[72:73], v132, s78, 0
	v_lshl_add_u64 v[130:131], v[64:65], 3, s[76:77]
	v_mad_i64_i32 v[64:65], s[72:73], v132, s33, 0
	v_lshl_add_u64 v[64:65], v[64:65], 3, s[74:75]
	s_and_b64 s[2:3], s[24:25], s[2:3]
	s_and_saveexec_b64 s[72:73], s[2:3]
	s_xor_b64 s[2:3], exec, s[72:73]
	s_cbranch_execnz .LBB134_246
; %bb.214:
	s_or_b64 exec, exec, s[2:3]
	s_and_b64 s[4:5], s[24:25], s[4:5]
	s_and_saveexec_b64 s[2:3], s[4:5]
	s_cbranch_execnz .LBB134_250
.LBB134_215:
	s_or_b64 exec, exec, s[2:3]
	s_and_b64 s[4:5], s[24:25], s[6:7]
	s_and_saveexec_b64 s[2:3], s[4:5]
	s_cbranch_execnz .LBB134_254
.LBB134_216:
	s_or_b64 exec, exec, s[2:3]
	s_and_b64 s[4:5], s[24:25], s[8:9]
	s_and_saveexec_b64 s[2:3], s[4:5]
	s_cbranch_execnz .LBB134_258
.LBB134_217:
	s_or_b64 exec, exec, s[2:3]
	s_and_b64 s[4:5], s[24:25], s[10:11]
	s_and_saveexec_b64 s[2:3], s[4:5]
	s_cbranch_execnz .LBB134_262
.LBB134_218:
	s_or_b64 exec, exec, s[2:3]
	s_and_b64 s[4:5], s[24:25], s[12:13]
	s_and_saveexec_b64 s[2:3], s[4:5]
	s_cbranch_execnz .LBB134_266
.LBB134_219:
	s_or_b64 exec, exec, s[2:3]
	s_and_b64 s[4:5], s[24:25], s[14:15]
	s_and_saveexec_b64 s[2:3], s[4:5]
	s_cbranch_execnz .LBB134_270
.LBB134_220:
	s_or_b64 exec, exec, s[2:3]
	s_and_b64 s[4:5], s[24:25], s[16:17]
	s_and_saveexec_b64 s[2:3], s[4:5]
	s_cbranch_execnz .LBB134_274
.LBB134_221:
	s_or_b64 exec, exec, s[2:3]
	s_and_b64 s[4:5], s[24:25], s[18:19]
	s_and_saveexec_b64 s[2:3], s[4:5]
	s_cbranch_execnz .LBB134_278
.LBB134_222:
	s_or_b64 exec, exec, s[2:3]
	s_and_b64 s[4:5], s[24:25], s[20:21]
	s_and_saveexec_b64 s[2:3], s[4:5]
	s_cbranch_execnz .LBB134_282
.LBB134_223:
	s_or_b64 exec, exec, s[2:3]
	s_and_b64 s[4:5], s[24:25], s[22:23]
	s_and_saveexec_b64 s[2:3], s[4:5]
	s_cbranch_execnz .LBB134_286
.LBB134_224:
	s_or_b64 exec, exec, s[2:3]
	s_and_b64 s[4:5], s[24:25], s[26:27]
	s_and_saveexec_b64 s[2:3], s[4:5]
	s_cbranch_execnz .LBB134_290
.LBB134_225:
	s_or_b64 exec, exec, s[2:3]
	s_and_b64 s[4:5], s[24:25], s[28:29]
	s_and_saveexec_b64 s[2:3], s[4:5]
	s_cbranch_execnz .LBB134_294
.LBB134_226:
	s_or_b64 exec, exec, s[2:3]
	s_and_b64 s[4:5], s[24:25], s[30:31]
	s_and_saveexec_b64 s[2:3], s[4:5]
	s_cbranch_execnz .LBB134_298
.LBB134_227:
	s_or_b64 exec, exec, s[2:3]
	s_and_b64 s[4:5], s[24:25], s[34:35]
	s_and_saveexec_b64 s[2:3], s[4:5]
	s_cbranch_execnz .LBB134_302
.LBB134_228:
	s_or_b64 exec, exec, s[2:3]
	s_and_b64 s[4:5], s[24:25], s[36:37]
	s_and_saveexec_b64 s[2:3], s[4:5]
	s_cbranch_execnz .LBB134_306
.LBB134_229:
	s_or_b64 exec, exec, s[2:3]
	s_and_b64 s[4:5], s[24:25], s[38:39]
	s_and_saveexec_b64 s[2:3], s[4:5]
	s_cbranch_execnz .LBB134_310
.LBB134_230:
	s_or_b64 exec, exec, s[2:3]
	s_and_b64 s[4:5], s[24:25], s[40:41]
	s_and_saveexec_b64 s[2:3], s[4:5]
	s_cbranch_execnz .LBB134_314
.LBB134_231:
	s_or_b64 exec, exec, s[2:3]
	s_and_b64 s[4:5], s[24:25], s[42:43]
	s_and_saveexec_b64 s[2:3], s[4:5]
	s_cbranch_execnz .LBB134_318
.LBB134_232:
	s_or_b64 exec, exec, s[2:3]
	s_and_b64 s[4:5], s[24:25], s[44:45]
	s_and_saveexec_b64 s[2:3], s[4:5]
	s_cbranch_execnz .LBB134_322
.LBB134_233:
	s_or_b64 exec, exec, s[2:3]
	s_and_b64 s[4:5], s[24:25], s[46:47]
	s_and_saveexec_b64 s[2:3], s[4:5]
	s_cbranch_execnz .LBB134_326
.LBB134_234:
	s_or_b64 exec, exec, s[2:3]
	s_and_b64 s[4:5], s[24:25], s[48:49]
	s_and_saveexec_b64 s[2:3], s[4:5]
	s_cbranch_execnz .LBB134_330
.LBB134_235:
	s_or_b64 exec, exec, s[2:3]
	s_and_b64 s[4:5], s[24:25], s[50:51]
	s_and_saveexec_b64 s[2:3], s[4:5]
	s_cbranch_execnz .LBB134_334
.LBB134_236:
	s_or_b64 exec, exec, s[2:3]
	s_and_b64 s[4:5], s[24:25], s[52:53]
	s_and_saveexec_b64 s[2:3], s[4:5]
	s_cbranch_execnz .LBB134_338
.LBB134_237:
	s_or_b64 exec, exec, s[2:3]
	s_and_b64 s[4:5], s[24:25], s[54:55]
	s_and_saveexec_b64 s[2:3], s[4:5]
	s_cbranch_execnz .LBB134_342
.LBB134_238:
	s_or_b64 exec, exec, s[2:3]
	s_and_b64 s[4:5], s[24:25], s[56:57]
	s_and_saveexec_b64 s[2:3], s[4:5]
	s_cbranch_execnz .LBB134_346
.LBB134_239:
	s_or_b64 exec, exec, s[2:3]
	s_and_b64 s[4:5], s[24:25], s[58:59]
	s_and_saveexec_b64 s[2:3], s[4:5]
	s_cbranch_execnz .LBB134_350
.LBB134_240:
	s_or_b64 exec, exec, s[2:3]
	s_and_b64 s[4:5], s[24:25], s[60:61]
	s_and_saveexec_b64 s[2:3], s[4:5]
	s_cbranch_execnz .LBB134_354
.LBB134_241:
	s_or_b64 exec, exec, s[2:3]
	s_and_b64 s[4:5], s[24:25], s[62:63]
	s_and_saveexec_b64 s[2:3], s[4:5]
	s_cbranch_execnz .LBB134_358
.LBB134_242:
	s_or_b64 exec, exec, s[2:3]
	s_and_b64 s[4:5], s[24:25], s[64:65]
	s_and_saveexec_b64 s[2:3], s[4:5]
	s_cbranch_execnz .LBB134_362
.LBB134_243:
	s_or_b64 exec, exec, s[2:3]
	s_and_b64 s[4:5], s[24:25], s[66:67]
	s_and_saveexec_b64 s[2:3], s[4:5]
	s_cbranch_execnz .LBB134_366
.LBB134_244:
	s_or_b64 exec, exec, s[2:3]
	s_and_b64 s[2:3], s[24:25], s[68:69]
	s_and_saveexec_b64 s[4:5], s[2:3]
	s_cbranch_execnz .LBB134_370
.LBB134_245:
	s_endpgm
.LBB134_246:
	s_and_b64 vcc, exec, s[0:1]
	s_cbranch_vccnz .LBB134_248
; %bb.247:
	v_lshl_add_u64 v[132:133], v[128:129], 3, v[130:131]
	flat_load_dwordx2 v[132:133], v[132:133]
	s_waitcnt vmcnt(0) lgkmcnt(0)
	v_mul_f64 v[132:133], v[132:133], s[70:71]
	s_branch .LBB134_249
.LBB134_248:
	v_mov_b64_e32 v[132:133], 0
.LBB134_249:
	v_add_f64 v[62:63], v[62:63], v[132:133]
	v_lshl_add_u64 v[128:129], v[128:129], 3, v[64:65]
	global_store_dwordx2 v[128:129], v[62:63], off
	s_or_b64 exec, exec, s[2:3]
	s_and_b64 s[4:5], s[24:25], s[4:5]
	s_and_saveexec_b64 s[2:3], s[4:5]
	s_cbranch_execz .LBB134_215
.LBB134_250:
	s_and_b64 vcc, exec, s[0:1]
	s_cbranch_vccnz .LBB134_252
; %bb.251:
	v_lshl_add_u64 v[62:63], v[124:125], 3, v[130:131]
	flat_load_dwordx2 v[62:63], v[62:63]
	s_waitcnt vmcnt(0) lgkmcnt(0)
	v_mul_f64 v[62:63], v[62:63], s[70:71]
	s_branch .LBB134_253
.LBB134_252:
	v_mov_b64_e32 v[62:63], 0
.LBB134_253:
	v_add_f64 v[60:61], v[60:61], v[62:63]
	v_lshl_add_u64 v[62:63], v[124:125], 3, v[64:65]
	global_store_dwordx2 v[62:63], v[60:61], off
	s_or_b64 exec, exec, s[2:3]
	s_and_b64 s[4:5], s[24:25], s[6:7]
	s_and_saveexec_b64 s[2:3], s[4:5]
	s_cbranch_execz .LBB134_216
.LBB134_254:
	s_and_b64 vcc, exec, s[0:1]
	s_cbranch_vccnz .LBB134_256
; %bb.255:
	v_lshl_add_u64 v[60:61], v[126:127], 3, v[130:131]
	flat_load_dwordx2 v[60:61], v[60:61]
	s_waitcnt vmcnt(0) lgkmcnt(0)
	v_mul_f64 v[60:61], v[60:61], s[70:71]
	s_branch .LBB134_257
.LBB134_256:
	v_mov_b64_e32 v[60:61], 0
.LBB134_257:
	v_add_f64 v[58:59], v[58:59], v[60:61]
	v_lshl_add_u64 v[60:61], v[126:127], 3, v[64:65]
	global_store_dwordx2 v[60:61], v[58:59], off
	s_or_b64 exec, exec, s[2:3]
	s_and_b64 s[4:5], s[24:25], s[8:9]
	s_and_saveexec_b64 s[2:3], s[4:5]
	s_cbranch_execz .LBB134_217
.LBB134_258:
	s_and_b64 vcc, exec, s[0:1]
	s_cbranch_vccnz .LBB134_260
; %bb.259:
	v_lshl_add_u64 v[58:59], v[122:123], 3, v[130:131]
	flat_load_dwordx2 v[58:59], v[58:59]
	s_waitcnt vmcnt(0) lgkmcnt(0)
	v_mul_f64 v[58:59], v[58:59], s[70:71]
	s_branch .LBB134_261
.LBB134_260:
	v_mov_b64_e32 v[58:59], 0
.LBB134_261:
	v_add_f64 v[56:57], v[56:57], v[58:59]
	v_lshl_add_u64 v[58:59], v[122:123], 3, v[64:65]
	global_store_dwordx2 v[58:59], v[56:57], off
	s_or_b64 exec, exec, s[2:3]
	s_and_b64 s[4:5], s[24:25], s[10:11]
	s_and_saveexec_b64 s[2:3], s[4:5]
	s_cbranch_execz .LBB134_218
.LBB134_262:
	s_and_b64 vcc, exec, s[0:1]
	s_cbranch_vccnz .LBB134_264
; %bb.263:
	v_lshl_add_u64 v[56:57], v[120:121], 3, v[130:131]
	flat_load_dwordx2 v[56:57], v[56:57]
	s_waitcnt vmcnt(0) lgkmcnt(0)
	v_mul_f64 v[56:57], v[56:57], s[70:71]
	s_branch .LBB134_265
.LBB134_264:
	v_mov_b64_e32 v[56:57], 0
.LBB134_265:
	v_add_f64 v[54:55], v[54:55], v[56:57]
	v_lshl_add_u64 v[56:57], v[120:121], 3, v[64:65]
	global_store_dwordx2 v[56:57], v[54:55], off
	s_or_b64 exec, exec, s[2:3]
	s_and_b64 s[4:5], s[24:25], s[12:13]
	s_and_saveexec_b64 s[2:3], s[4:5]
	s_cbranch_execz .LBB134_219
.LBB134_266:
	s_and_b64 vcc, exec, s[0:1]
	s_cbranch_vccnz .LBB134_268
; %bb.267:
	v_lshl_add_u64 v[54:55], v[118:119], 3, v[130:131]
	flat_load_dwordx2 v[54:55], v[54:55]
	s_waitcnt vmcnt(0) lgkmcnt(0)
	v_mul_f64 v[54:55], v[54:55], s[70:71]
	s_branch .LBB134_269
.LBB134_268:
	v_mov_b64_e32 v[54:55], 0
.LBB134_269:
	v_add_f64 v[52:53], v[52:53], v[54:55]
	v_lshl_add_u64 v[54:55], v[118:119], 3, v[64:65]
	global_store_dwordx2 v[54:55], v[52:53], off
	s_or_b64 exec, exec, s[2:3]
	s_and_b64 s[4:5], s[24:25], s[14:15]
	s_and_saveexec_b64 s[2:3], s[4:5]
	s_cbranch_execz .LBB134_220
.LBB134_270:
	s_and_b64 vcc, exec, s[0:1]
	s_cbranch_vccnz .LBB134_272
; %bb.271:
	v_lshl_add_u64 v[52:53], v[116:117], 3, v[130:131]
	flat_load_dwordx2 v[52:53], v[52:53]
	s_waitcnt vmcnt(0) lgkmcnt(0)
	v_mul_f64 v[52:53], v[52:53], s[70:71]
	s_branch .LBB134_273
.LBB134_272:
	v_mov_b64_e32 v[52:53], 0
.LBB134_273:
	v_add_f64 v[50:51], v[50:51], v[52:53]
	v_lshl_add_u64 v[52:53], v[116:117], 3, v[64:65]
	global_store_dwordx2 v[52:53], v[50:51], off
	s_or_b64 exec, exec, s[2:3]
	s_and_b64 s[4:5], s[24:25], s[16:17]
	s_and_saveexec_b64 s[2:3], s[4:5]
	s_cbranch_execz .LBB134_221
.LBB134_274:
	s_and_b64 vcc, exec, s[0:1]
	s_cbranch_vccnz .LBB134_276
; %bb.275:
	v_lshl_add_u64 v[50:51], v[114:115], 3, v[130:131]
	flat_load_dwordx2 v[50:51], v[50:51]
	s_waitcnt vmcnt(0) lgkmcnt(0)
	v_mul_f64 v[50:51], v[50:51], s[70:71]
	s_branch .LBB134_277
.LBB134_276:
	v_mov_b64_e32 v[50:51], 0
.LBB134_277:
	v_add_f64 v[48:49], v[48:49], v[50:51]
	v_lshl_add_u64 v[50:51], v[114:115], 3, v[64:65]
	global_store_dwordx2 v[50:51], v[48:49], off
	s_or_b64 exec, exec, s[2:3]
	s_and_b64 s[4:5], s[24:25], s[18:19]
	s_and_saveexec_b64 s[2:3], s[4:5]
	s_cbranch_execz .LBB134_222
.LBB134_278:
	s_and_b64 vcc, exec, s[0:1]
	s_cbranch_vccnz .LBB134_280
; %bb.279:
	v_lshl_add_u64 v[48:49], v[112:113], 3, v[130:131]
	flat_load_dwordx2 v[48:49], v[48:49]
	s_waitcnt vmcnt(0) lgkmcnt(0)
	v_mul_f64 v[48:49], v[48:49], s[70:71]
	s_branch .LBB134_281
.LBB134_280:
	v_mov_b64_e32 v[48:49], 0
.LBB134_281:
	v_add_f64 v[46:47], v[46:47], v[48:49]
	v_lshl_add_u64 v[48:49], v[112:113], 3, v[64:65]
	global_store_dwordx2 v[48:49], v[46:47], off
	s_or_b64 exec, exec, s[2:3]
	s_and_b64 s[4:5], s[24:25], s[20:21]
	s_and_saveexec_b64 s[2:3], s[4:5]
	s_cbranch_execz .LBB134_223
.LBB134_282:
	s_and_b64 vcc, exec, s[0:1]
	s_cbranch_vccnz .LBB134_284
; %bb.283:
	v_lshl_add_u64 v[46:47], v[110:111], 3, v[130:131]
	flat_load_dwordx2 v[46:47], v[46:47]
	s_waitcnt vmcnt(0) lgkmcnt(0)
	v_mul_f64 v[46:47], v[46:47], s[70:71]
	s_branch .LBB134_285
.LBB134_284:
	v_mov_b64_e32 v[46:47], 0
.LBB134_285:
	v_add_f64 v[44:45], v[44:45], v[46:47]
	v_lshl_add_u64 v[46:47], v[110:111], 3, v[64:65]
	global_store_dwordx2 v[46:47], v[44:45], off
	s_or_b64 exec, exec, s[2:3]
	s_and_b64 s[4:5], s[24:25], s[22:23]
	s_and_saveexec_b64 s[2:3], s[4:5]
	s_cbranch_execz .LBB134_224
.LBB134_286:
	s_and_b64 vcc, exec, s[0:1]
	s_cbranch_vccnz .LBB134_288
; %bb.287:
	v_lshl_add_u64 v[44:45], v[108:109], 3, v[130:131]
	flat_load_dwordx2 v[44:45], v[44:45]
	s_waitcnt vmcnt(0) lgkmcnt(0)
	v_mul_f64 v[44:45], v[44:45], s[70:71]
	s_branch .LBB134_289
.LBB134_288:
	v_mov_b64_e32 v[44:45], 0
.LBB134_289:
	v_add_f64 v[42:43], v[42:43], v[44:45]
	v_lshl_add_u64 v[44:45], v[108:109], 3, v[64:65]
	global_store_dwordx2 v[44:45], v[42:43], off
	s_or_b64 exec, exec, s[2:3]
	s_and_b64 s[4:5], s[24:25], s[26:27]
	s_and_saveexec_b64 s[2:3], s[4:5]
	s_cbranch_execz .LBB134_225
.LBB134_290:
	s_and_b64 vcc, exec, s[0:1]
	s_cbranch_vccnz .LBB134_292
; %bb.291:
	v_lshl_add_u64 v[42:43], v[106:107], 3, v[130:131]
	flat_load_dwordx2 v[42:43], v[42:43]
	s_waitcnt vmcnt(0) lgkmcnt(0)
	v_mul_f64 v[42:43], v[42:43], s[70:71]
	s_branch .LBB134_293
.LBB134_292:
	v_mov_b64_e32 v[42:43], 0
.LBB134_293:
	v_add_f64 v[40:41], v[40:41], v[42:43]
	v_lshl_add_u64 v[42:43], v[106:107], 3, v[64:65]
	global_store_dwordx2 v[42:43], v[40:41], off
	s_or_b64 exec, exec, s[2:3]
	s_and_b64 s[4:5], s[24:25], s[28:29]
	s_and_saveexec_b64 s[2:3], s[4:5]
	s_cbranch_execz .LBB134_226
.LBB134_294:
	s_and_b64 vcc, exec, s[0:1]
	s_cbranch_vccnz .LBB134_296
; %bb.295:
	v_lshl_add_u64 v[40:41], v[104:105], 3, v[130:131]
	flat_load_dwordx2 v[40:41], v[40:41]
	s_waitcnt vmcnt(0) lgkmcnt(0)
	v_mul_f64 v[40:41], v[40:41], s[70:71]
	s_branch .LBB134_297
.LBB134_296:
	v_mov_b64_e32 v[40:41], 0
.LBB134_297:
	v_add_f64 v[38:39], v[38:39], v[40:41]
	v_lshl_add_u64 v[40:41], v[104:105], 3, v[64:65]
	global_store_dwordx2 v[40:41], v[38:39], off
	s_or_b64 exec, exec, s[2:3]
	s_and_b64 s[4:5], s[24:25], s[30:31]
	s_and_saveexec_b64 s[2:3], s[4:5]
	s_cbranch_execz .LBB134_227
.LBB134_298:
	s_and_b64 vcc, exec, s[0:1]
	s_cbranch_vccnz .LBB134_300
; %bb.299:
	v_lshl_add_u64 v[38:39], v[102:103], 3, v[130:131]
	flat_load_dwordx2 v[38:39], v[38:39]
	s_waitcnt vmcnt(0) lgkmcnt(0)
	v_mul_f64 v[38:39], v[38:39], s[70:71]
	s_branch .LBB134_301
.LBB134_300:
	v_mov_b64_e32 v[38:39], 0
.LBB134_301:
	v_add_f64 v[36:37], v[36:37], v[38:39]
	v_lshl_add_u64 v[38:39], v[102:103], 3, v[64:65]
	global_store_dwordx2 v[38:39], v[36:37], off
	s_or_b64 exec, exec, s[2:3]
	s_and_b64 s[4:5], s[24:25], s[34:35]
	s_and_saveexec_b64 s[2:3], s[4:5]
	s_cbranch_execz .LBB134_228
.LBB134_302:
	s_and_b64 vcc, exec, s[0:1]
	s_cbranch_vccnz .LBB134_304
; %bb.303:
	v_lshl_add_u64 v[36:37], v[100:101], 3, v[130:131]
	flat_load_dwordx2 v[36:37], v[36:37]
	s_waitcnt vmcnt(0) lgkmcnt(0)
	v_mul_f64 v[36:37], v[36:37], s[70:71]
	s_branch .LBB134_305
.LBB134_304:
	v_mov_b64_e32 v[36:37], 0
.LBB134_305:
	v_add_f64 v[34:35], v[34:35], v[36:37]
	v_lshl_add_u64 v[36:37], v[100:101], 3, v[64:65]
	global_store_dwordx2 v[36:37], v[34:35], off
	s_or_b64 exec, exec, s[2:3]
	s_and_b64 s[4:5], s[24:25], s[36:37]
	s_and_saveexec_b64 s[2:3], s[4:5]
	s_cbranch_execz .LBB134_229
.LBB134_306:
	s_and_b64 vcc, exec, s[0:1]
	s_cbranch_vccnz .LBB134_308
; %bb.307:
	v_lshl_add_u64 v[34:35], v[98:99], 3, v[130:131]
	flat_load_dwordx2 v[34:35], v[34:35]
	s_waitcnt vmcnt(0) lgkmcnt(0)
	v_mul_f64 v[34:35], v[34:35], s[70:71]
	s_branch .LBB134_309
.LBB134_308:
	v_mov_b64_e32 v[34:35], 0
.LBB134_309:
	v_add_f64 v[32:33], v[32:33], v[34:35]
	v_lshl_add_u64 v[34:35], v[98:99], 3, v[64:65]
	global_store_dwordx2 v[34:35], v[32:33], off
	s_or_b64 exec, exec, s[2:3]
	s_and_b64 s[4:5], s[24:25], s[38:39]
	s_and_saveexec_b64 s[2:3], s[4:5]
	s_cbranch_execz .LBB134_230
.LBB134_310:
	s_and_b64 vcc, exec, s[0:1]
	s_cbranch_vccnz .LBB134_312
; %bb.311:
	v_lshl_add_u64 v[32:33], v[96:97], 3, v[130:131]
	flat_load_dwordx2 v[32:33], v[32:33]
	s_waitcnt vmcnt(0) lgkmcnt(0)
	v_mul_f64 v[32:33], v[32:33], s[70:71]
	s_branch .LBB134_313
.LBB134_312:
	v_mov_b64_e32 v[32:33], 0
.LBB134_313:
	v_add_f64 v[30:31], v[30:31], v[32:33]
	v_lshl_add_u64 v[32:33], v[96:97], 3, v[64:65]
	global_store_dwordx2 v[32:33], v[30:31], off
	s_or_b64 exec, exec, s[2:3]
	s_and_b64 s[4:5], s[24:25], s[40:41]
	s_and_saveexec_b64 s[2:3], s[4:5]
	s_cbranch_execz .LBB134_231
.LBB134_314:
	s_and_b64 vcc, exec, s[0:1]
	s_cbranch_vccnz .LBB134_316
; %bb.315:
	v_lshl_add_u64 v[30:31], v[94:95], 3, v[130:131]
	flat_load_dwordx2 v[30:31], v[30:31]
	s_waitcnt vmcnt(0) lgkmcnt(0)
	v_mul_f64 v[30:31], v[30:31], s[70:71]
	s_branch .LBB134_317
.LBB134_316:
	v_mov_b64_e32 v[30:31], 0
.LBB134_317:
	v_add_f64 v[28:29], v[28:29], v[30:31]
	v_lshl_add_u64 v[30:31], v[94:95], 3, v[64:65]
	global_store_dwordx2 v[30:31], v[28:29], off
	s_or_b64 exec, exec, s[2:3]
	s_and_b64 s[4:5], s[24:25], s[42:43]
	s_and_saveexec_b64 s[2:3], s[4:5]
	s_cbranch_execz .LBB134_232
.LBB134_318:
	s_and_b64 vcc, exec, s[0:1]
	s_cbranch_vccnz .LBB134_320
; %bb.319:
	v_lshl_add_u64 v[28:29], v[92:93], 3, v[130:131]
	flat_load_dwordx2 v[28:29], v[28:29]
	s_waitcnt vmcnt(0) lgkmcnt(0)
	v_mul_f64 v[28:29], v[28:29], s[70:71]
	s_branch .LBB134_321
.LBB134_320:
	v_mov_b64_e32 v[28:29], 0
.LBB134_321:
	v_add_f64 v[26:27], v[26:27], v[28:29]
	v_lshl_add_u64 v[28:29], v[92:93], 3, v[64:65]
	global_store_dwordx2 v[28:29], v[26:27], off
	s_or_b64 exec, exec, s[2:3]
	s_and_b64 s[4:5], s[24:25], s[44:45]
	s_and_saveexec_b64 s[2:3], s[4:5]
	s_cbranch_execz .LBB134_233
.LBB134_322:
	s_and_b64 vcc, exec, s[0:1]
	s_cbranch_vccnz .LBB134_324
; %bb.323:
	v_lshl_add_u64 v[26:27], v[90:91], 3, v[130:131]
	flat_load_dwordx2 v[26:27], v[26:27]
	s_waitcnt vmcnt(0) lgkmcnt(0)
	v_mul_f64 v[26:27], v[26:27], s[70:71]
	s_branch .LBB134_325
.LBB134_324:
	v_mov_b64_e32 v[26:27], 0
.LBB134_325:
	v_add_f64 v[24:25], v[24:25], v[26:27]
	v_lshl_add_u64 v[26:27], v[90:91], 3, v[64:65]
	global_store_dwordx2 v[26:27], v[24:25], off
	s_or_b64 exec, exec, s[2:3]
	s_and_b64 s[4:5], s[24:25], s[46:47]
	s_and_saveexec_b64 s[2:3], s[4:5]
	s_cbranch_execz .LBB134_234
.LBB134_326:
	s_and_b64 vcc, exec, s[0:1]
	s_cbranch_vccnz .LBB134_328
; %bb.327:
	v_lshl_add_u64 v[24:25], v[88:89], 3, v[130:131]
	flat_load_dwordx2 v[24:25], v[24:25]
	s_waitcnt vmcnt(0) lgkmcnt(0)
	v_mul_f64 v[24:25], v[24:25], s[70:71]
	s_branch .LBB134_329
.LBB134_328:
	v_mov_b64_e32 v[24:25], 0
.LBB134_329:
	v_add_f64 v[22:23], v[22:23], v[24:25]
	v_lshl_add_u64 v[24:25], v[88:89], 3, v[64:65]
	global_store_dwordx2 v[24:25], v[22:23], off
	s_or_b64 exec, exec, s[2:3]
	s_and_b64 s[4:5], s[24:25], s[48:49]
	s_and_saveexec_b64 s[2:3], s[4:5]
	s_cbranch_execz .LBB134_235
.LBB134_330:
	s_and_b64 vcc, exec, s[0:1]
	s_cbranch_vccnz .LBB134_332
; %bb.331:
	v_lshl_add_u64 v[22:23], v[86:87], 3, v[130:131]
	flat_load_dwordx2 v[22:23], v[22:23]
	s_waitcnt vmcnt(0) lgkmcnt(0)
	v_mul_f64 v[22:23], v[22:23], s[70:71]
	s_branch .LBB134_333
.LBB134_332:
	v_mov_b64_e32 v[22:23], 0
.LBB134_333:
	v_add_f64 v[20:21], v[20:21], v[22:23]
	v_lshl_add_u64 v[22:23], v[86:87], 3, v[64:65]
	global_store_dwordx2 v[22:23], v[20:21], off
	s_or_b64 exec, exec, s[2:3]
	s_and_b64 s[4:5], s[24:25], s[50:51]
	s_and_saveexec_b64 s[2:3], s[4:5]
	s_cbranch_execz .LBB134_236
.LBB134_334:
	s_and_b64 vcc, exec, s[0:1]
	s_cbranch_vccnz .LBB134_336
; %bb.335:
	v_lshl_add_u64 v[20:21], v[84:85], 3, v[130:131]
	flat_load_dwordx2 v[20:21], v[20:21]
	s_waitcnt vmcnt(0) lgkmcnt(0)
	v_mul_f64 v[20:21], v[20:21], s[70:71]
	s_branch .LBB134_337
.LBB134_336:
	v_mov_b64_e32 v[20:21], 0
.LBB134_337:
	v_add_f64 v[18:19], v[18:19], v[20:21]
	v_lshl_add_u64 v[20:21], v[84:85], 3, v[64:65]
	global_store_dwordx2 v[20:21], v[18:19], off
	s_or_b64 exec, exec, s[2:3]
	s_and_b64 s[4:5], s[24:25], s[52:53]
	s_and_saveexec_b64 s[2:3], s[4:5]
	s_cbranch_execz .LBB134_237
.LBB134_338:
	s_and_b64 vcc, exec, s[0:1]
	s_cbranch_vccnz .LBB134_340
; %bb.339:
	v_lshl_add_u64 v[18:19], v[82:83], 3, v[130:131]
	flat_load_dwordx2 v[18:19], v[18:19]
	s_waitcnt vmcnt(0) lgkmcnt(0)
	v_mul_f64 v[18:19], v[18:19], s[70:71]
	s_branch .LBB134_341
.LBB134_340:
	v_mov_b64_e32 v[18:19], 0
.LBB134_341:
	v_add_f64 v[16:17], v[16:17], v[18:19]
	v_lshl_add_u64 v[18:19], v[82:83], 3, v[64:65]
	global_store_dwordx2 v[18:19], v[16:17], off
	s_or_b64 exec, exec, s[2:3]
	s_and_b64 s[4:5], s[24:25], s[54:55]
	s_and_saveexec_b64 s[2:3], s[4:5]
	s_cbranch_execz .LBB134_238
.LBB134_342:
	s_and_b64 vcc, exec, s[0:1]
	s_cbranch_vccnz .LBB134_344
; %bb.343:
	v_lshl_add_u64 v[16:17], v[80:81], 3, v[130:131]
	flat_load_dwordx2 v[16:17], v[16:17]
	s_waitcnt vmcnt(0) lgkmcnt(0)
	v_mul_f64 v[16:17], v[16:17], s[70:71]
	s_branch .LBB134_345
.LBB134_344:
	v_mov_b64_e32 v[16:17], 0
.LBB134_345:
	v_add_f64 v[14:15], v[14:15], v[16:17]
	v_lshl_add_u64 v[16:17], v[80:81], 3, v[64:65]
	global_store_dwordx2 v[16:17], v[14:15], off
	s_or_b64 exec, exec, s[2:3]
	s_and_b64 s[4:5], s[24:25], s[56:57]
	s_and_saveexec_b64 s[2:3], s[4:5]
	s_cbranch_execz .LBB134_239
.LBB134_346:
	s_and_b64 vcc, exec, s[0:1]
	s_cbranch_vccnz .LBB134_348
; %bb.347:
	v_lshl_add_u64 v[14:15], v[78:79], 3, v[130:131]
	flat_load_dwordx2 v[14:15], v[14:15]
	s_waitcnt vmcnt(0) lgkmcnt(0)
	v_mul_f64 v[14:15], v[14:15], s[70:71]
	s_branch .LBB134_349
.LBB134_348:
	v_mov_b64_e32 v[14:15], 0
.LBB134_349:
	v_add_f64 v[12:13], v[12:13], v[14:15]
	v_lshl_add_u64 v[14:15], v[78:79], 3, v[64:65]
	global_store_dwordx2 v[14:15], v[12:13], off
	s_or_b64 exec, exec, s[2:3]
	s_and_b64 s[4:5], s[24:25], s[58:59]
	s_and_saveexec_b64 s[2:3], s[4:5]
	s_cbranch_execz .LBB134_240
.LBB134_350:
	s_and_b64 vcc, exec, s[0:1]
	s_cbranch_vccnz .LBB134_352
; %bb.351:
	v_lshl_add_u64 v[12:13], v[76:77], 3, v[130:131]
	flat_load_dwordx2 v[12:13], v[12:13]
	s_waitcnt vmcnt(0) lgkmcnt(0)
	v_mul_f64 v[12:13], v[12:13], s[70:71]
	s_branch .LBB134_353
.LBB134_352:
	v_mov_b64_e32 v[12:13], 0
.LBB134_353:
	v_add_f64 v[10:11], v[10:11], v[12:13]
	v_lshl_add_u64 v[12:13], v[76:77], 3, v[64:65]
	global_store_dwordx2 v[12:13], v[10:11], off
	s_or_b64 exec, exec, s[2:3]
	s_and_b64 s[4:5], s[24:25], s[60:61]
	s_and_saveexec_b64 s[2:3], s[4:5]
	s_cbranch_execz .LBB134_241
.LBB134_354:
	s_and_b64 vcc, exec, s[0:1]
	s_cbranch_vccnz .LBB134_356
; %bb.355:
	v_lshl_add_u64 v[10:11], v[74:75], 3, v[130:131]
	flat_load_dwordx2 v[10:11], v[10:11]
	s_waitcnt vmcnt(0) lgkmcnt(0)
	v_mul_f64 v[10:11], v[10:11], s[70:71]
	s_branch .LBB134_357
.LBB134_356:
	v_mov_b64_e32 v[10:11], 0
.LBB134_357:
	v_add_f64 v[8:9], v[8:9], v[10:11]
	v_lshl_add_u64 v[10:11], v[74:75], 3, v[64:65]
	global_store_dwordx2 v[10:11], v[8:9], off
	s_or_b64 exec, exec, s[2:3]
	s_and_b64 s[4:5], s[24:25], s[62:63]
	s_and_saveexec_b64 s[2:3], s[4:5]
	s_cbranch_execz .LBB134_242
.LBB134_358:
	s_and_b64 vcc, exec, s[0:1]
	s_cbranch_vccnz .LBB134_360
; %bb.359:
	v_lshl_add_u64 v[8:9], v[72:73], 3, v[130:131]
	flat_load_dwordx2 v[8:9], v[8:9]
	s_waitcnt vmcnt(0) lgkmcnt(0)
	v_mul_f64 v[8:9], v[8:9], s[70:71]
	s_branch .LBB134_361
.LBB134_360:
	v_mov_b64_e32 v[8:9], 0
.LBB134_361:
	v_add_f64 v[6:7], v[6:7], v[8:9]
	v_lshl_add_u64 v[8:9], v[72:73], 3, v[64:65]
	global_store_dwordx2 v[8:9], v[6:7], off
	s_or_b64 exec, exec, s[2:3]
	s_and_b64 s[4:5], s[24:25], s[64:65]
	s_and_saveexec_b64 s[2:3], s[4:5]
	s_cbranch_execz .LBB134_243
.LBB134_362:
	s_and_b64 vcc, exec, s[0:1]
	s_cbranch_vccnz .LBB134_364
; %bb.363:
	v_lshl_add_u64 v[6:7], v[70:71], 3, v[130:131]
	flat_load_dwordx2 v[6:7], v[6:7]
	s_waitcnt vmcnt(0) lgkmcnt(0)
	v_mul_f64 v[6:7], v[6:7], s[70:71]
	s_branch .LBB134_365
.LBB134_364:
	v_mov_b64_e32 v[6:7], 0
.LBB134_365:
	v_add_f64 v[4:5], v[4:5], v[6:7]
	v_lshl_add_u64 v[6:7], v[70:71], 3, v[64:65]
	global_store_dwordx2 v[6:7], v[4:5], off
	s_or_b64 exec, exec, s[2:3]
	s_and_b64 s[4:5], s[24:25], s[66:67]
	s_and_saveexec_b64 s[2:3], s[4:5]
	s_cbranch_execz .LBB134_244
.LBB134_366:
	s_and_b64 vcc, exec, s[0:1]
	s_cbranch_vccnz .LBB134_368
; %bb.367:
	v_lshl_add_u64 v[4:5], v[68:69], 3, v[130:131]
	flat_load_dwordx2 v[4:5], v[4:5]
	s_waitcnt vmcnt(0) lgkmcnt(0)
	v_mul_f64 v[4:5], v[4:5], s[70:71]
	s_branch .LBB134_369
.LBB134_368:
	v_mov_b64_e32 v[4:5], 0
.LBB134_369:
	v_add_f64 v[2:3], v[2:3], v[4:5]
	v_lshl_add_u64 v[4:5], v[68:69], 3, v[64:65]
	global_store_dwordx2 v[4:5], v[2:3], off
	s_or_b64 exec, exec, s[2:3]
	s_and_b64 s[2:3], s[24:25], s[68:69]
	s_and_saveexec_b64 s[4:5], s[2:3]
	s_cbranch_execz .LBB134_245
.LBB134_370:
	s_and_b64 vcc, exec, s[0:1]
	s_cbranch_vccnz .LBB134_372
; %bb.371:
	v_lshl_add_u64 v[2:3], v[66:67], 3, v[130:131]
	flat_load_dwordx2 v[2:3], v[2:3]
	s_waitcnt vmcnt(0) lgkmcnt(0)
	v_mul_f64 v[2:3], v[2:3], s[70:71]
	v_add_f64 v[0:1], v[0:1], v[2:3]
	v_lshl_add_u64 v[2:3], v[66:67], 3, v[64:65]
	global_store_dwordx2 v[2:3], v[0:1], off
	s_endpgm
.LBB134_372:
	v_mov_b64_e32 v[2:3], 0
	v_add_f64 v[0:1], v[0:1], v[2:3]
	v_lshl_add_u64 v[2:3], v[66:67], 3, v[64:65]
	global_store_dwordx2 v[2:3], v[0:1], off
	s_endpgm
	.section	.rodata,"a",@progbits
	.p2align	6, 0x0
	.amdhsa_kernel _ZN12_GLOBAL__N_120geam_min_plus_kernelIdddLi4ELi64ELi128ELi128ELi4ELi64ELi4ELi4ELi64ELc78ELc78ELb0ELb1ELb0EdKPKdKPdEEviiiT16_PT17_ilS8_ilS6_S8_ilPT18_ili26rocblas_geam_ex_operation_
		.amdhsa_group_segment_fixed_size 16384
		.amdhsa_private_segment_fixed_size 0
		.amdhsa_kernarg_size 136
		.amdhsa_user_sgpr_count 2
		.amdhsa_user_sgpr_dispatch_ptr 0
		.amdhsa_user_sgpr_queue_ptr 0
		.amdhsa_user_sgpr_kernarg_segment_ptr 1
		.amdhsa_user_sgpr_dispatch_id 0
		.amdhsa_user_sgpr_kernarg_preload_length 0
		.amdhsa_user_sgpr_kernarg_preload_offset 0
		.amdhsa_user_sgpr_private_segment_size 0
		.amdhsa_uses_dynamic_stack 0
		.amdhsa_enable_private_segment 0
		.amdhsa_system_sgpr_workgroup_id_x 1
		.amdhsa_system_sgpr_workgroup_id_y 0
		.amdhsa_system_sgpr_workgroup_id_z 1
		.amdhsa_system_sgpr_workgroup_info 0
		.amdhsa_system_vgpr_workitem_id 1
		.amdhsa_next_free_vgpr 254
		.amdhsa_next_free_sgpr 82
		.amdhsa_accum_offset 256
		.amdhsa_reserve_vcc 1
		.amdhsa_float_round_mode_32 0
		.amdhsa_float_round_mode_16_64 0
		.amdhsa_float_denorm_mode_32 3
		.amdhsa_float_denorm_mode_16_64 3
		.amdhsa_dx10_clamp 1
		.amdhsa_ieee_mode 1
		.amdhsa_fp16_overflow 0
		.amdhsa_tg_split 0
		.amdhsa_exception_fp_ieee_invalid_op 0
		.amdhsa_exception_fp_denorm_src 0
		.amdhsa_exception_fp_ieee_div_zero 0
		.amdhsa_exception_fp_ieee_overflow 0
		.amdhsa_exception_fp_ieee_underflow 0
		.amdhsa_exception_fp_ieee_inexact 0
		.amdhsa_exception_int_div_zero 0
	.end_amdhsa_kernel
	.section	.text._ZN12_GLOBAL__N_120geam_min_plus_kernelIdddLi4ELi64ELi128ELi128ELi4ELi64ELi4ELi4ELi64ELc78ELc78ELb0ELb1ELb0EdKPKdKPdEEviiiT16_PT17_ilS8_ilS6_S8_ilPT18_ili26rocblas_geam_ex_operation_,"axG",@progbits,_ZN12_GLOBAL__N_120geam_min_plus_kernelIdddLi4ELi64ELi128ELi128ELi4ELi64ELi4ELi4ELi64ELc78ELc78ELb0ELb1ELb0EdKPKdKPdEEviiiT16_PT17_ilS8_ilS6_S8_ilPT18_ili26rocblas_geam_ex_operation_,comdat
.Lfunc_end134:
	.size	_ZN12_GLOBAL__N_120geam_min_plus_kernelIdddLi4ELi64ELi128ELi128ELi4ELi64ELi4ELi4ELi64ELc78ELc78ELb0ELb1ELb0EdKPKdKPdEEviiiT16_PT17_ilS8_ilS6_S8_ilPT18_ili26rocblas_geam_ex_operation_, .Lfunc_end134-_ZN12_GLOBAL__N_120geam_min_plus_kernelIdddLi4ELi64ELi128ELi128ELi4ELi64ELi4ELi4ELi64ELc78ELc78ELb0ELb1ELb0EdKPKdKPdEEviiiT16_PT17_ilS8_ilS6_S8_ilPT18_ili26rocblas_geam_ex_operation_
                                        ; -- End function
	.section	.AMDGPU.csdata,"",@progbits
; Kernel info:
; codeLenInByte = 14792
; NumSgprs: 88
; NumVgprs: 254
; NumAgprs: 0
; TotalNumVgprs: 254
; ScratchSize: 0
; MemoryBound: 0
; FloatMode: 240
; IeeeMode: 1
; LDSByteSize: 16384 bytes/workgroup (compile time only)
; SGPRBlocks: 10
; VGPRBlocks: 31
; NumSGPRsForWavesPerEU: 88
; NumVGPRsForWavesPerEU: 254
; AccumOffset: 256
; Occupancy: 2
; WaveLimiterHint : 1
; COMPUTE_PGM_RSRC2:SCRATCH_EN: 0
; COMPUTE_PGM_RSRC2:USER_SGPR: 2
; COMPUTE_PGM_RSRC2:TRAP_HANDLER: 0
; COMPUTE_PGM_RSRC2:TGID_X_EN: 1
; COMPUTE_PGM_RSRC2:TGID_Y_EN: 0
; COMPUTE_PGM_RSRC2:TGID_Z_EN: 1
; COMPUTE_PGM_RSRC2:TIDIG_COMP_CNT: 1
; COMPUTE_PGM_RSRC3_GFX90A:ACCUM_OFFSET: 63
; COMPUTE_PGM_RSRC3_GFX90A:TG_SPLIT: 0
	.section	.text._ZN12_GLOBAL__N_120geam_min_plus_kernelIdddLi4ELi64ELi128ELi128ELi4ELi4ELi64ELi4ELi64ELc84ELc78ELb0ELb0ELb0EPKdKS2_KPdEEviiiT16_PT17_ilS8_ilS6_S8_ilPT18_ili26rocblas_geam_ex_operation_,"axG",@progbits,_ZN12_GLOBAL__N_120geam_min_plus_kernelIdddLi4ELi64ELi128ELi128ELi4ELi4ELi64ELi4ELi64ELc84ELc78ELb0ELb0ELb0EPKdKS2_KPdEEviiiT16_PT17_ilS8_ilS6_S8_ilPT18_ili26rocblas_geam_ex_operation_,comdat
	.globl	_ZN12_GLOBAL__N_120geam_min_plus_kernelIdddLi4ELi64ELi128ELi128ELi4ELi4ELi64ELi4ELi64ELc84ELc78ELb0ELb0ELb0EPKdKS2_KPdEEviiiT16_PT17_ilS8_ilS6_S8_ilPT18_ili26rocblas_geam_ex_operation_ ; -- Begin function _ZN12_GLOBAL__N_120geam_min_plus_kernelIdddLi4ELi64ELi128ELi128ELi4ELi4ELi64ELi4ELi64ELc84ELc78ELb0ELb0ELb0EPKdKS2_KPdEEviiiT16_PT17_ilS8_ilS6_S8_ilPT18_ili26rocblas_geam_ex_operation_
	.p2align	8
	.type	_ZN12_GLOBAL__N_120geam_min_plus_kernelIdddLi4ELi64ELi128ELi128ELi4ELi4ELi64ELi4ELi64ELc84ELc78ELb0ELb0ELb0EPKdKS2_KPdEEviiiT16_PT17_ilS8_ilS6_S8_ilPT18_ili26rocblas_geam_ex_operation_,@function
_ZN12_GLOBAL__N_120geam_min_plus_kernelIdddLi4ELi64ELi128ELi128ELi4ELi4ELi64ELi4ELi64ELc84ELc78ELb0ELb0ELb0EPKdKS2_KPdEEviiiT16_PT17_ilS8_ilS6_S8_ilPT18_ili26rocblas_geam_ex_operation_: ; @_ZN12_GLOBAL__N_120geam_min_plus_kernelIdddLi4ELi64ELi128ELi128ELi4ELi4ELi64ELi4ELi64ELc84ELc78ELb0ELb0ELb0EPKdKS2_KPdEEviiiT16_PT17_ilS8_ilS6_S8_ilPT18_ili26rocblas_geam_ex_operation_
; %bb.0:
	s_load_dwordx4 s[12:15], s[0:1], 0x10
	s_load_dwordx4 s[4:7], s[0:1], 0x28
	s_mov_b32 s8, s3
	s_mov_b32 s9, 0
	s_lshl_b64 s[22:23], s[8:9], 3
	s_waitcnt lgkmcnt(0)
	s_add_u32 s12, s12, s22
	s_load_dwordx4 s[8:11], s[0:1], 0x40
	s_addc_u32 s13, s13, s23
	s_load_dwordx2 s[16:17], s[12:13], 0x0
	s_load_dwordx2 s[24:25], s[0:1], 0x50
	s_mov_b64 s[18:19], 0
	s_mov_b64 s[20:21], 0
	s_waitcnt lgkmcnt(0)
	s_add_u32 s10, s10, s22
	v_cmp_eq_f64_e64 s[12:13], s[16:17], 0
	s_addc_u32 s11, s11, s23
	v_cmp_neq_f64_e64 s[26:27], s[16:17], 0
	s_and_b64 vcc, exec, s[12:13]
	s_cbranch_vccnz .LBB135_2
; %bb.1:
	s_add_u32 s12, s14, s22
	s_addc_u32 s13, s15, s23
	s_load_dwordx2 s[12:13], s[12:13], 0x0
	s_lshl_b64 s[4:5], s[4:5], 3
	s_waitcnt lgkmcnt(0)
	s_add_u32 s20, s12, s4
	s_addc_u32 s21, s13, s5
.LBB135_2:
	s_load_dwordx2 s[12:13], s[10:11], 0x0
	v_cndmask_b32_e64 v1, 0, 1, s[26:27]
	v_cmp_ne_u32_e64 s[4:5], 1, v1
	s_andn2_b64 vcc, exec, s[26:27]
	s_cbranch_vccnz .LBB135_4
; %bb.3:
	s_add_u32 s6, s6, s22
	s_addc_u32 s7, s7, s23
	s_load_dwordx2 s[6:7], s[6:7], 0x0
	s_lshl_b64 s[8:9], s[8:9], 3
	s_waitcnt lgkmcnt(0)
	s_add_u32 s18, s6, s8
	s_addc_u32 s19, s7, s9
.LBB135_4:
	s_load_dwordx4 s[8:11], s[0:1], 0x60
	s_waitcnt lgkmcnt(0)
	v_cmp_eq_f64_e64 s[6:7], s[12:13], 0
	s_and_b64 s[6:7], exec, s[6:7]
	s_mov_b64 s[14:15], 0
	s_mov_b64 vcc, s[6:7]
	s_cbranch_vccnz .LBB135_6
; %bb.5:
	s_add_u32 s14, s24, s22
	s_addc_u32 s15, s25, s23
	s_load_dwordx2 s[14:15], s[14:15], 0x0
	s_lshl_b64 s[8:9], s[8:9], 3
	s_waitcnt lgkmcnt(0)
	s_add_u32 s14, s14, s8
	s_addc_u32 s15, s15, s9
.LBB135_6:
	s_load_dword s3, s[0:1], 0x0
	s_load_dword s24, s[0:1], 0x20
	s_add_u32 s8, s10, s22
	s_addc_u32 s9, s11, s23
	v_and_b32_e32 v146, 0x3ff, v0
	s_waitcnt lgkmcnt(0)
	s_add_i32 s3, s3, -1
	s_ashr_i32 s10, s3, 31
	s_lshr_b32 s10, s10, 25
	s_add_i32 s3, s3, s10
	s_ashr_i32 s3, s3, 7
	s_add_i32 s10, s3, 1
	v_cvt_f32_u32_e32 v1, s10
	s_not_b32 s3, s3
	s_load_dwordx2 s[8:9], s[8:9], 0x0
	v_bfe_u32 v147, v0, 10, 10
	v_rcp_iflag_f32_e32 v1, v1
	v_lshrrev_b32_e32 v0, 2, v146
	v_add_u32_e32 v10, v0, v147
	v_and_b32_e32 v148, 3, v146
	v_mul_f32_e32 v1, 0x4f7ffffe, v1
	v_cvt_u32_f32_e32 v1, v1
	v_lshlrev_b32_e32 v0, 3, v148
	v_readfirstlane_b32 s11, v1
	s_mul_i32 s3, s3, s11
	s_mul_hi_u32 s3, s11, s3
	s_add_i32 s11, s11, s3
	s_mul_hi_u32 s3, s2, s11
	s_mul_i32 s11, s3, s10
	s_sub_i32 s11, s2, s11
	s_add_i32 s22, s3, 1
	s_sub_i32 s23, s11, s10
	s_cmp_ge_u32 s11, s10
	s_cselect_b32 s3, s22, s3
	s_cselect_b32 s11, s23, s11
	s_add_i32 s22, s3, 1
	s_cmp_ge_u32 s11, s10
	s_cselect_b32 s3, s22, s3
	s_mul_i32 s10, s3, s10
	s_sub_i32 s2, s2, s10
	s_lshl_b32 s10, s2, 7
	v_add_u32_e32 v137, s10, v10
	s_and_b64 vcc, exec, s[4:5]
	v_add_u32_e32 v136, 64, v137
	s_cbranch_vccnz .LBB135_8
; %bb.7:
	v_mov_b32_e32 v1, 0
	v_lshl_add_u64 v[2:3], s[20:21], 0, v[0:1]
	v_mad_i64_i32 v[4:5], s[22:23], v137, s24, 0
	v_lshl_add_u64 v[4:5], v[4:5], 3, v[2:3]
	v_mad_i64_i32 v[6:7], s[22:23], v136, s24, 0
	v_lshl_add_u64 v[2:3], v[6:7], 3, v[2:3]
	flat_load_dwordx2 v[6:7], v[4:5]
	flat_load_dwordx2 v[8:9], v[2:3]
	s_waitcnt vmcnt(0) lgkmcnt(0)
	v_mul_f64 v[2:3], s[16:17], v[6:7]
	v_mul_f64 v[4:5], s[16:17], v[8:9]
	s_branch .LBB135_9
.LBB135_8:
	v_mov_b64_e32 v[2:3], 0
	v_mov_b64_e32 v[4:5], 0
.LBB135_9:
	s_load_dword s22, s[0:1], 0x38
	s_lshl_b32 s11, s3, 7
	v_add_u32_e32 v139, s11, v10
	s_and_b64 vcc, exec, s[4:5]
	v_add_u32_e32 v138, 64, v139
	s_cbranch_vccnz .LBB135_13
; %bb.10:
	v_mov_b32_e32 v1, 0
	v_lshl_add_u64 v[6:7], s[18:19], 0, v[0:1]
	s_waitcnt lgkmcnt(0)
	v_mad_i64_i32 v[8:9], s[2:3], v139, s22, 0
	v_lshl_add_u64 v[8:9], v[8:9], 3, v[6:7]
	v_mad_i64_i32 v[12:13], s[2:3], v138, s22, 0
	v_lshl_add_u64 v[6:7], v[12:13], 3, v[6:7]
	flat_load_dwordx2 v[12:13], v[8:9]
	flat_load_dwordx2 v[14:15], v[6:7]
	s_waitcnt vmcnt(0) lgkmcnt(0)
	v_mul_f64 v[6:7], s[16:17], v[12:13]
	v_mul_f64 v[8:9], s[16:17], v[14:15]
	s_and_b64 vcc, exec, s[4:5]
	s_cbranch_vccnz .LBB135_14
.LBB135_11:
	v_mov_b32_e32 v1, 0
	v_lshl_add_u64 v[12:13], s[20:21], 0, v[0:1]
	v_mad_i64_i32 v[14:15], s[2:3], v137, s24, 0
	v_lshl_add_u64 v[14:15], v[14:15], 3, v[12:13]
	v_mad_i64_i32 v[16:17], s[2:3], v136, s24, 0
	v_lshl_add_u64 v[12:13], v[16:17], 3, v[12:13]
	flat_load_dwordx2 v[16:17], v[14:15] offset:32
	flat_load_dwordx2 v[18:19], v[12:13] offset:32
	s_waitcnt vmcnt(0) lgkmcnt(0)
	v_mul_f64 v[128:129], s[16:17], v[16:17]
	v_mul_f64 v[130:131], s[16:17], v[18:19]
	s_and_b64 vcc, exec, s[4:5]
	s_cbranch_vccnz .LBB135_15
.LBB135_12:
	v_mov_b32_e32 v1, 0
	v_lshl_add_u64 v[12:13], s[18:19], 0, v[0:1]
	s_waitcnt lgkmcnt(0)
	v_mad_i64_i32 v[14:15], s[2:3], v139, s22, 0
	v_lshl_add_u64 v[14:15], v[14:15], 3, v[12:13]
	v_mad_i64_i32 v[16:17], s[2:3], v138, s22, 0
	v_lshl_add_u64 v[12:13], v[16:17], 3, v[12:13]
	flat_load_dwordx2 v[16:17], v[14:15] offset:32
	flat_load_dwordx2 v[18:19], v[12:13] offset:32
	s_waitcnt vmcnt(0) lgkmcnt(0)
	v_mul_f64 v[132:133], s[16:17], v[16:17]
	v_mul_f64 v[134:135], s[16:17], v[18:19]
	s_branch .LBB135_16
.LBB135_13:
	v_mov_b64_e32 v[6:7], 0
	v_mov_b64_e32 v[8:9], 0
	s_and_b64 vcc, exec, s[4:5]
	s_cbranch_vccz .LBB135_11
.LBB135_14:
	v_mov_b64_e32 v[128:129], 0
	v_mov_b64_e32 v[130:131], 0
	s_and_b64 vcc, exec, s[4:5]
	s_cbranch_vccz .LBB135_12
.LBB135_15:
	v_mov_b64_e32 v[132:133], 0
	v_mov_b64_e32 v[134:135], 0
.LBB135_16:
	v_lshl_or_b32 v149, v10, 5, v0
	v_lshlrev_b32_e32 v140, 5, v147
	ds_write2st64_b64 v149, v[2:3], v[4:5] offset1:4
	v_add_u32_e32 v150, 0x2000, v149
	ds_write2st64_b64 v149, v[6:7], v[8:9] offset0:16 offset1:20
	v_lshlrev_b32_e32 v151, 5, v146
	v_add_u32_e32 v152, 0x2000, v140
	s_mov_b32 s2, 0
	v_mov_b64_e32 v[126:127], 0
	v_mov_b64_e32 v[124:125], 0
	;; [unrolled: 1-line block ×64, first 2 shown]
	s_waitcnt lgkmcnt(0)
	s_barrier
.LBB135_17:                             ; =>This Inner Loop Header: Depth=1
	v_add_u32_e32 v141, s2, v151
	v_add_u32_e32 v153, s2, v152
	ds_read2_b64 v[142:145], v141 offset1:16
	ds_read2_b64 v[154:157], v141 offset0:32 offset1:48
	ds_read2_b64 v[158:161], v141 offset0:64 offset1:80
	;; [unrolled: 1-line block ×7, first 2 shown]
	ds_read2st64_b64 v[182:185], v153 offset1:4
	v_add_u32_e32 v141, 0x800, v141
	ds_read2_b64 v[186:189], v141 offset1:16
	ds_read2_b64 v[190:193], v141 offset0:32 offset1:48
	ds_read2_b64 v[194:197], v141 offset0:64 offset1:80
	;; [unrolled: 1-line block ×7, first 2 shown]
	s_waitcnt lgkmcnt(14)
	v_max_f64 v[142:143], v[142:143], v[142:143]
	v_max_f64 v[144:145], v[144:145], v[144:145]
	;; [unrolled: 1-line block ×6, first 2 shown]
	s_waitcnt lgkmcnt(13)
	v_max_f64 v[162:163], v[162:163], v[162:163]
	v_max_f64 v[164:165], v[164:165], v[164:165]
	s_waitcnt lgkmcnt(12)
	v_max_f64 v[166:167], v[166:167], v[166:167]
	v_max_f64 v[168:169], v[168:169], v[168:169]
	;; [unrolled: 3-line block ×14, first 2 shown]
	v_min_f64 v[218:219], v[142:143], v[182:183]
	v_min_f64 v[220:221], v[144:145], v[182:183]
	;; [unrolled: 1-line block ×32, first 2 shown]
	s_add_i32 s2, s2, 8
	v_add_f64 v[62:63], v[142:143], v[62:63]
	v_add_f64 v[60:61], v[144:145], v[60:61]
	;; [unrolled: 1-line block ×16, first 2 shown]
	v_min_f64 v[142:143], v[186:187], v[182:183]
	v_min_f64 v[144:145], v[188:189], v[182:183]
	;; [unrolled: 1-line block ×32, first 2 shown]
	s_cmp_eq_u32 s2, 32
	v_add_f64 v[126:127], v[218:219], v[126:127]
	v_add_f64 v[124:125], v[220:221], v[124:125]
	;; [unrolled: 1-line block ×48, first 2 shown]
	s_cbranch_scc0 .LBB135_17
; %bb.18:
	s_load_dword s23, s[0:1], 0x8
	ds_write2st64_b64 v149, v[128:129], v[130:131] offset0:8 offset1:12
	ds_write2st64_b64 v149, v[132:133], v[134:135] offset0:24 offset1:28
	s_waitcnt lgkmcnt(0)
	s_barrier
	s_cmp_gt_i32 s23, 8
	s_cbranch_scc1 .LBB135_20
; %bb.19:
	v_add_u32_e32 v153, 0x1000, v151
	v_add_u32_e32 v154, 0x3000, v140
	s_cbranch_execz .LBB135_21
	s_branch .LBB135_37
.LBB135_20:
                                        ; implicit-def: $vgpr153
                                        ; implicit-def: $vgpr154
.LBB135_21:
	s_add_i32 s2, s23, -8
	v_mad_i64_i32 v[128:129], s[26:27], v137, s24, 0
	v_mad_i64_i32 v[130:131], s[24:25], v136, s24, 0
	;; [unrolled: 1-line block ×4, first 2 shown]
	v_add_u32_e32 v155, 0x1000, v149
	v_add_u32_e32 v156, 0x3000, v149
	;; [unrolled: 1-line block ×4, first 2 shown]
	s_mov_b32 s3, 8
	s_mov_b32 s22, 0
	v_mov_b32_e32 v137, 0
.LBB135_22:                             ; =>This Loop Header: Depth=1
                                        ;     Child Loop BB135_28 Depth 2
                                        ;     Child Loop BB135_35 Depth 2
	s_and_b64 vcc, exec, s[4:5]
	v_or_b32_e32 v136, s3, v148
	s_cbranch_vccnz .LBB135_25
; %bb.23:                               ;   in Loop: Header=BB135_22 Depth=1
	v_lshl_add_u64 v[138:139], v[136:137], 3, s[20:21]
	v_lshl_add_u64 v[140:141], v[128:129], 3, v[138:139]
	;; [unrolled: 1-line block ×3, first 2 shown]
	flat_load_dwordx2 v[140:141], v[140:141]
	s_nop 0
	flat_load_dwordx2 v[142:143], v[138:139]
	s_waitcnt vmcnt(0) lgkmcnt(0)
	v_mul_f64 v[138:139], s[16:17], v[140:141]
	v_mul_f64 v[140:141], s[16:17], v[142:143]
	s_and_b64 vcc, exec, s[4:5]
	s_cbranch_vccnz .LBB135_26
.LBB135_24:                             ;   in Loop: Header=BB135_22 Depth=1
	v_lshl_add_u64 v[142:143], v[136:137], 3, s[18:19]
	v_lshl_add_u64 v[144:145], v[132:133], 3, v[142:143]
	;; [unrolled: 1-line block ×3, first 2 shown]
	flat_load_dwordx2 v[144:145], v[144:145]
	s_nop 0
	flat_load_dwordx2 v[158:159], v[142:143]
	s_waitcnt vmcnt(0) lgkmcnt(0)
	v_mul_f64 v[142:143], s[16:17], v[144:145]
	v_mul_f64 v[144:145], s[16:17], v[158:159]
	s_branch .LBB135_27
.LBB135_25:                             ;   in Loop: Header=BB135_22 Depth=1
	v_mov_b64_e32 v[138:139], 0
	v_mov_b64_e32 v[140:141], 0
	s_and_b64 vcc, exec, s[4:5]
	s_cbranch_vccz .LBB135_24
.LBB135_26:                             ;   in Loop: Header=BB135_22 Depth=1
	v_mov_b64_e32 v[142:143], 0
	v_mov_b64_e32 v[144:145], 0
.LBB135_27:                             ;   in Loop: Header=BB135_22 Depth=1
	s_mov_b32 s23, 0
.LBB135_28:                             ;   Parent Loop BB135_22 Depth=1
                                        ; =>  This Inner Loop Header: Depth=2
	v_add_u32_e32 v157, s23, v153
	ds_read2_b64 v[158:161], v157 offset1:16
	ds_read2_b64 v[162:165], v157 offset0:32 offset1:48
	ds_read2_b64 v[166:169], v157 offset0:64 offset1:80
	;; [unrolled: 1-line block ×7, first 2 shown]
	v_add_u32_e32 v157, 0x800, v157
	ds_read2_b64 v[190:193], v157 offset1:16
	ds_read2_b64 v[194:197], v157 offset0:32 offset1:48
	ds_read2_b64 v[198:201], v157 offset0:64 offset1:80
	;; [unrolled: 1-line block ×7, first 2 shown]
	v_add_u32_e32 v157, s23, v154
	ds_read2st64_b64 v[222:225], v157 offset1:4
	s_waitcnt lgkmcnt(14)
	v_max_f64 v[158:159], v[158:159], v[158:159]
	v_max_f64 v[160:161], v[160:161], v[160:161]
	;; [unrolled: 1-line block ×4, first 2 shown]
	s_waitcnt lgkmcnt(0)
	v_max_f64 v[222:223], v[222:223], v[222:223]
	v_min_f64 v[226:227], v[158:159], v[222:223]
	v_add_f64 v[126:127], v[226:227], v[126:127]
	v_min_f64 v[226:227], v[160:161], v[222:223]
	v_add_f64 v[124:125], v[226:227], v[124:125]
	;; [unrolled: 2-line block ×3, first 2 shown]
	v_min_f64 v[226:227], v[164:165], v[222:223]
	v_max_f64 v[166:167], v[166:167], v[166:167]
	v_add_f64 v[120:121], v[226:227], v[120:121]
	v_min_f64 v[226:227], v[166:167], v[222:223]
	v_max_f64 v[168:169], v[168:169], v[168:169]
	v_add_f64 v[118:119], v[226:227], v[118:119]
	;; [unrolled: 3-line block ×26, first 2 shown]
	v_min_f64 v[226:227], v[216:217], v[222:223]
	v_max_f64 v[218:219], v[218:219], v[218:219]
	v_max_f64 v[220:221], v[220:221], v[220:221]
	v_add_f64 v[68:69], v[226:227], v[68:69]
	v_min_f64 v[226:227], v[218:219], v[222:223]
	v_min_f64 v[222:223], v[220:221], v[222:223]
	v_add_f64 v[64:65], v[222:223], v[64:65]
	v_max_f64 v[222:223], v[224:225], v[224:225]
	v_min_f64 v[158:159], v[158:159], v[222:223]
	v_add_f64 v[62:63], v[158:159], v[62:63]
	v_min_f64 v[158:159], v[160:161], v[222:223]
	v_add_f64 v[60:61], v[158:159], v[60:61]
	;; [unrolled: 2-line block ×31, first 2 shown]
	v_min_f64 v[158:159], v[220:221], v[222:223]
	s_add_i32 s23, s23, 8
	v_add_f64 v[66:67], v[226:227], v[66:67]
	v_add_f64 v[0:1], v[158:159], v[0:1]
	s_cmp_eq_u32 s23, 32
	s_cbranch_scc0 .LBB135_28
; %bb.29:                               ;   in Loop: Header=BB135_22 Depth=1
	s_and_b64 vcc, exec, s[4:5]
	ds_write2st64_b64 v149, v[138:139], v[140:141] offset1:4
	ds_write2st64_b64 v150, v[142:143], v[144:145] offset1:4
	s_waitcnt lgkmcnt(0)
	s_barrier
	s_cbranch_vccnz .LBB135_32
; %bb.30:                               ;   in Loop: Header=BB135_22 Depth=1
	v_lshl_add_u64 v[138:139], v[136:137], 3, s[20:21]
	v_lshl_add_u64 v[140:141], v[128:129], 3, v[138:139]
	;; [unrolled: 1-line block ×3, first 2 shown]
	flat_load_dwordx2 v[140:141], v[140:141] offset:32
	s_nop 0
	flat_load_dwordx2 v[142:143], v[138:139] offset:32
	s_waitcnt vmcnt(0) lgkmcnt(0)
	v_mul_f64 v[138:139], s[16:17], v[140:141]
	v_mul_f64 v[140:141], s[16:17], v[142:143]
	s_and_b64 vcc, exec, s[4:5]
	s_cbranch_vccnz .LBB135_33
.LBB135_31:                             ;   in Loop: Header=BB135_22 Depth=1
	v_lshl_add_u64 v[142:143], v[136:137], 3, s[18:19]
	v_lshl_add_u64 v[144:145], v[132:133], 3, v[142:143]
	;; [unrolled: 1-line block ×3, first 2 shown]
	flat_load_dwordx2 v[144:145], v[144:145] offset:32
	s_nop 0
	flat_load_dwordx2 v[158:159], v[142:143] offset:32
	s_waitcnt vmcnt(0) lgkmcnt(0)
	v_mul_f64 v[142:143], s[16:17], v[144:145]
	v_mul_f64 v[144:145], s[16:17], v[158:159]
	s_branch .LBB135_34
.LBB135_32:                             ;   in Loop: Header=BB135_22 Depth=1
	v_mov_b64_e32 v[138:139], 0
	v_mov_b64_e32 v[140:141], 0
	s_and_b64 vcc, exec, s[4:5]
	s_cbranch_vccz .LBB135_31
.LBB135_33:                             ;   in Loop: Header=BB135_22 Depth=1
	v_mov_b64_e32 v[142:143], 0
	v_mov_b64_e32 v[144:145], 0
.LBB135_34:                             ;   in Loop: Header=BB135_22 Depth=1
	s_mov_b32 s23, 0
.LBB135_35:                             ;   Parent Loop BB135_22 Depth=1
                                        ; =>  This Inner Loop Header: Depth=2
	v_add_u32_e32 v136, s23, v151
	ds_read2_b64 v[158:161], v136 offset1:16
	ds_read2_b64 v[162:165], v136 offset0:32 offset1:48
	ds_read2_b64 v[166:169], v136 offset0:64 offset1:80
	;; [unrolled: 1-line block ×7, first 2 shown]
	v_add_u32_e32 v136, 0x800, v136
	ds_read2_b64 v[190:193], v136 offset1:16
	ds_read2_b64 v[194:197], v136 offset0:32 offset1:48
	ds_read2_b64 v[198:201], v136 offset0:64 offset1:80
	;; [unrolled: 1-line block ×7, first 2 shown]
	v_add_u32_e32 v136, s23, v152
	ds_read2st64_b64 v[222:225], v136 offset1:4
	s_waitcnt lgkmcnt(14)
	v_max_f64 v[158:159], v[158:159], v[158:159]
	v_max_f64 v[160:161], v[160:161], v[160:161]
	;; [unrolled: 1-line block ×4, first 2 shown]
	s_waitcnt lgkmcnt(0)
	v_max_f64 v[222:223], v[222:223], v[222:223]
	v_min_f64 v[226:227], v[158:159], v[222:223]
	v_add_f64 v[126:127], v[226:227], v[126:127]
	v_min_f64 v[226:227], v[160:161], v[222:223]
	v_add_f64 v[124:125], v[226:227], v[124:125]
	;; [unrolled: 2-line block ×3, first 2 shown]
	v_min_f64 v[226:227], v[164:165], v[222:223]
	v_max_f64 v[166:167], v[166:167], v[166:167]
	v_add_f64 v[120:121], v[226:227], v[120:121]
	v_min_f64 v[226:227], v[166:167], v[222:223]
	v_max_f64 v[168:169], v[168:169], v[168:169]
	v_add_f64 v[118:119], v[226:227], v[118:119]
	;; [unrolled: 3-line block ×26, first 2 shown]
	v_min_f64 v[226:227], v[216:217], v[222:223]
	v_max_f64 v[218:219], v[218:219], v[218:219]
	v_max_f64 v[220:221], v[220:221], v[220:221]
	v_add_f64 v[68:69], v[226:227], v[68:69]
	v_min_f64 v[226:227], v[218:219], v[222:223]
	v_min_f64 v[222:223], v[220:221], v[222:223]
	v_add_f64 v[64:65], v[222:223], v[64:65]
	v_max_f64 v[222:223], v[224:225], v[224:225]
	v_min_f64 v[158:159], v[158:159], v[222:223]
	v_add_f64 v[62:63], v[158:159], v[62:63]
	v_min_f64 v[158:159], v[160:161], v[222:223]
	v_add_f64 v[60:61], v[158:159], v[60:61]
	;; [unrolled: 2-line block ×31, first 2 shown]
	v_min_f64 v[158:159], v[220:221], v[222:223]
	s_add_i32 s23, s23, 8
	v_add_f64 v[66:67], v[226:227], v[66:67]
	v_add_f64 v[0:1], v[158:159], v[0:1]
	s_cmp_eq_u32 s23, 32
	s_cbranch_scc0 .LBB135_35
; %bb.36:                               ;   in Loop: Header=BB135_22 Depth=1
	s_add_i32 s3, s3, 8
	s_add_i32 s22, s22, 8
	s_cmp_ge_i32 s22, s2
	ds_write2st64_b64 v155, v[138:139], v[140:141] offset1:4
	ds_write2st64_b64 v156, v[142:143], v[144:145] offset1:4
	s_waitcnt lgkmcnt(0)
	s_barrier
	s_cbranch_scc0 .LBB135_22
.LBB135_37:
	s_mov_b32 s2, 0
.LBB135_38:                             ; =>This Inner Loop Header: Depth=1
	v_add_u32_e32 v144, s2, v153
	v_add_u32_e32 v145, s2, v154
	ds_read2_b64 v[128:131], v144 offset1:16
	ds_read2_b64 v[132:135], v144 offset0:32 offset1:48
	ds_read2_b64 v[136:139], v144 offset0:64 offset1:80
	;; [unrolled: 1-line block ×7, first 2 shown]
	v_add_u32_e32 v144, 0x800, v144
	ds_read2st64_b64 v[168:171], v145 offset1:4
	ds_read2_b64 v[172:175], v144 offset1:16
	ds_read2_b64 v[176:179], v144 offset0:32 offset1:48
	ds_read2_b64 v[180:183], v144 offset0:64 offset1:80
	;; [unrolled: 1-line block ×7, first 2 shown]
	s_waitcnt lgkmcnt(14)
	v_max_f64 v[128:129], v[128:129], v[128:129]
	v_max_f64 v[130:131], v[130:131], v[130:131]
	;; [unrolled: 1-line block ×3, first 2 shown]
	s_waitcnt lgkmcnt(8)
	v_max_f64 v[144:145], v[168:169], v[168:169]
	v_max_f64 v[134:135], v[134:135], v[134:135]
	;; [unrolled: 1-line block ×15, first 2 shown]
	v_min_f64 v[170:171], v[128:129], v[144:145]
	v_min_f64 v[204:205], v[130:131], v[144:145]
	;; [unrolled: 1-line block ×16, first 2 shown]
	s_waitcnt lgkmcnt(7)
	v_max_f64 v[172:173], v[172:173], v[172:173]
	v_max_f64 v[174:175], v[174:175], v[174:175]
	s_waitcnt lgkmcnt(6)
	v_max_f64 v[176:177], v[176:177], v[176:177]
	v_max_f64 v[178:179], v[178:179], v[178:179]
	;; [unrolled: 3-line block ×8, first 2 shown]
	v_min_f64 v[128:129], v[128:129], v[168:169]
	v_min_f64 v[130:131], v[130:131], v[168:169]
	;; [unrolled: 1-line block ×16, first 2 shown]
	s_add_i32 s2, s2, 8
	v_add_f64 v[126:127], v[170:171], v[126:127]
	v_add_f64 v[124:125], v[204:205], v[124:125]
	;; [unrolled: 1-line block ×15, first 2 shown]
	v_min_f64 v[170:171], v[172:173], v[144:145]
	v_min_f64 v[204:205], v[174:175], v[144:145]
	v_min_f64 v[206:207], v[176:177], v[144:145]
	v_min_f64 v[208:209], v[178:179], v[144:145]
	v_min_f64 v[210:211], v[180:181], v[144:145]
	v_min_f64 v[212:213], v[182:183], v[144:145]
	v_min_f64 v[214:215], v[184:185], v[144:145]
	v_min_f64 v[216:217], v[186:187], v[144:145]
	v_min_f64 v[218:219], v[188:189], v[144:145]
	v_min_f64 v[220:221], v[190:191], v[144:145]
	v_min_f64 v[222:223], v[192:193], v[144:145]
	v_min_f64 v[224:225], v[194:195], v[144:145]
	v_min_f64 v[226:227], v[196:197], v[144:145]
	v_min_f64 v[228:229], v[198:199], v[144:145]
	v_min_f64 v[230:231], v[200:201], v[144:145]
	v_min_f64 v[144:145], v[202:203], v[144:145]
	v_add_f64 v[62:63], v[128:129], v[62:63]
	v_add_f64 v[60:61], v[130:131], v[60:61]
	;; [unrolled: 1-line block ×16, first 2 shown]
	v_min_f64 v[128:129], v[172:173], v[168:169]
	v_min_f64 v[130:131], v[174:175], v[168:169]
	;; [unrolled: 1-line block ×16, first 2 shown]
	s_cmp_eq_u32 s2, 32
	v_add_f64 v[96:97], v[232:233], v[96:97]
	v_add_f64 v[94:95], v[170:171], v[94:95]
	;; [unrolled: 1-line block ×33, first 2 shown]
	s_cbranch_scc0 .LBB135_38
; %bb.39:
	s_load_dwordx2 s[2:3], s[0:1], 0x78
	s_load_dword s4, s[0:1], 0x58
	s_load_dword s5, s[0:1], 0x70
	v_add_u32_e32 v130, s10, v146
	v_add_u32_e32 v170, s11, v147
	s_waitcnt lgkmcnt(0)
	s_lshl_b64 s[0:1], s[2:3], 3
	s_add_u32 s0, s8, s0
	s_addc_u32 s1, s9, s1
	v_add_u32_e32 v128, 4, v130
	v_mad_i64_i32 v[132:133], s[2:3], v170, s5, 0
	v_ashrrev_i32_e32 v131, 31, v130
	v_ashrrev_i32_e32 v129, 31, v128
	v_lshl_add_u64 v[138:139], v[132:133], 3, s[0:1]
	v_mad_i64_i32 v[132:133], s[2:3], v170, s4, 0
	s_mov_b64 vcc, s[6:7]
	s_cbranch_vccz .LBB135_42
; %bb.40:
	v_add_f64 v[134:135], v[126:127], 0
	v_lshl_add_u64 v[136:137], v[130:131], 3, v[138:139]
	s_mov_b64 s[2:3], 0
	global_store_dwordx2 v[136:137], v[134:135], off
	v_lshl_add_u64 v[146:147], v[132:133], 3, s[14:15]
	v_lshlrev_b64 v[134:135], 3, v[130:131]
	s_cbranch_execz .LBB135_43
; %bb.41:
	v_mov_b64_e32 v[136:137], s[2:3]
	s_branch .LBB135_44
.LBB135_42:
	s_mov_b64 s[2:3], -1
	v_lshl_add_u64 v[146:147], v[132:133], 3, s[14:15]
	v_lshlrev_b64 v[134:135], 3, v[130:131]
.LBB135_43:
	v_lshl_add_u64 v[132:133], v[146:147], 0, v[134:135]
	flat_load_dwordx2 v[132:133], v[132:133]
	v_lshl_add_u64 v[136:137], v[138:139], 0, v[134:135]
	s_waitcnt vmcnt(0) lgkmcnt(0)
	v_fmac_f64_e32 v[126:127], s[12:13], v[132:133]
	global_store_dwordx2 v[136:137], v[126:127], off
	v_lshl_add_u64 v[126:127], v[128:129], 3, v[146:147]
	flat_load_dwordx2 v[126:127], v[126:127]
	s_waitcnt vmcnt(0) lgkmcnt(0)
	v_mul_f64 v[136:137], s[12:13], v[126:127]
.LBB135_44:
	v_add_u32_e32 v132, 8, v130
	v_add_u32_e32 v126, 12, v130
	v_ashrrev_i32_e32 v133, 31, v132
	v_ashrrev_i32_e32 v127, 31, v126
	v_add_f64 v[124:125], v[124:125], v[136:137]
	v_lshl_add_u64 v[136:137], v[128:129], 3, v[138:139]
	s_mov_b64 vcc, s[6:7]
	global_store_dwordx2 v[136:137], v[124:125], off
	s_cbranch_vccz .LBB135_47
; %bb.45:
	v_add_f64 v[124:125], v[122:123], 0
	v_lshl_add_u64 v[136:137], v[132:133], 3, v[138:139]
	s_mov_b64 s[2:3], 0
	global_store_dwordx2 v[136:137], v[124:125], off
	v_lshlrev_b64 v[136:137], 3, v[132:133]
	s_cbranch_execz .LBB135_48
; %bb.46:
	v_mov_b64_e32 v[140:141], s[2:3]
	s_branch .LBB135_49
.LBB135_47:
	s_mov_b64 s[2:3], -1
	v_lshlrev_b64 v[136:137], 3, v[132:133]
.LBB135_48:
	v_lshl_add_u64 v[124:125], v[146:147], 0, v[136:137]
	flat_load_dwordx2 v[124:125], v[124:125]
	v_lshl_add_u64 v[140:141], v[138:139], 0, v[136:137]
	s_waitcnt vmcnt(0) lgkmcnt(0)
	v_fmac_f64_e32 v[122:123], s[12:13], v[124:125]
	global_store_dwordx2 v[140:141], v[122:123], off
	v_lshl_add_u64 v[122:123], v[126:127], 3, v[146:147]
	flat_load_dwordx2 v[122:123], v[122:123]
	s_waitcnt vmcnt(0) lgkmcnt(0)
	v_mul_f64 v[140:141], s[12:13], v[122:123]
.LBB135_49:
	v_add_u32_e32 v124, 16, v130
	v_add_u32_e32 v122, 20, v130
	v_ashrrev_i32_e32 v125, 31, v124
	v_ashrrev_i32_e32 v123, 31, v122
	v_add_f64 v[120:121], v[120:121], v[140:141]
	v_lshl_add_u64 v[140:141], v[126:127], 3, v[138:139]
	s_mov_b64 vcc, s[6:7]
	global_store_dwordx2 v[140:141], v[120:121], off
	s_cbranch_vccz .LBB135_52
; %bb.50:
	v_add_f64 v[120:121], v[118:119], 0
	v_lshl_add_u64 v[140:141], v[124:125], 3, v[138:139]
	s_mov_b64 s[2:3], 0
	global_store_dwordx2 v[140:141], v[120:121], off
	v_lshlrev_b64 v[140:141], 3, v[124:125]
	s_cbranch_execz .LBB135_53
; %bb.51:
	v_mov_b64_e32 v[142:143], s[2:3]
	s_branch .LBB135_54
.LBB135_52:
	s_mov_b64 s[2:3], -1
	v_lshlrev_b64 v[140:141], 3, v[124:125]
.LBB135_53:
	v_lshl_add_u64 v[120:121], v[146:147], 0, v[140:141]
	flat_load_dwordx2 v[120:121], v[120:121]
	v_lshl_add_u64 v[142:143], v[138:139], 0, v[140:141]
	s_waitcnt vmcnt(0) lgkmcnt(0)
	v_fmac_f64_e32 v[118:119], s[12:13], v[120:121]
	global_store_dwordx2 v[142:143], v[118:119], off
	v_lshl_add_u64 v[118:119], v[122:123], 3, v[146:147]
	flat_load_dwordx2 v[118:119], v[118:119]
	s_waitcnt vmcnt(0) lgkmcnt(0)
	v_mul_f64 v[142:143], s[12:13], v[118:119]
.LBB135_54:
	;; [unrolled: 34-line block ×15, first 2 shown]
	v_add_f64 v[64:65], v[64:65], v[66:67]
	v_lshl_add_u64 v[66:67], v[70:71], 3, v[138:139]
	global_store_dwordx2 v[66:67], v[64:65], off
	v_add_u32_e32 v66, 64, v170
	v_mad_i64_i32 v[64:65], s[2:3], v66, s5, 0
	v_lshl_add_u64 v[64:65], v[64:65], 3, s[0:1]
	v_mad_i64_i32 v[66:67], s[0:1], v66, s4, 0
	s_mov_b64 vcc, s[6:7]
	s_cbranch_vccz .LBB135_122
; %bb.120:
	v_add_f64 v[138:139], v[62:63], 0
	v_lshl_add_u64 v[130:131], v[130:131], 3, v[64:65]
	s_mov_b64 s[0:1], 0
	global_store_dwordx2 v[130:131], v[138:139], off
	v_lshl_add_u64 v[66:67], v[66:67], 3, s[14:15]
	s_cbranch_execz .LBB135_123
; %bb.121:
	v_mov_b64_e32 v[62:63], s[0:1]
	s_branch .LBB135_124
.LBB135_122:
	s_mov_b64 s[0:1], -1
	v_lshl_add_u64 v[66:67], v[66:67], 3, s[14:15]
.LBB135_123:
	v_lshl_add_u64 v[130:131], v[66:67], 0, v[134:135]
	flat_load_dwordx2 v[130:131], v[130:131]
	v_lshl_add_u64 v[134:135], v[64:65], 0, v[134:135]
	s_waitcnt vmcnt(0) lgkmcnt(0)
	v_fmac_f64_e32 v[62:63], s[12:13], v[130:131]
	global_store_dwordx2 v[134:135], v[62:63], off
	v_lshl_add_u64 v[62:63], v[128:129], 3, v[66:67]
	flat_load_dwordx2 v[62:63], v[62:63]
	s_waitcnt vmcnt(0) lgkmcnt(0)
	v_mul_f64 v[62:63], s[12:13], v[62:63]
.LBB135_124:
	v_add_f64 v[60:61], v[60:61], v[62:63]
	v_lshl_add_u64 v[62:63], v[128:129], 3, v[64:65]
	s_mov_b64 vcc, s[6:7]
	global_store_dwordx2 v[62:63], v[60:61], off
	s_cbranch_vccz .LBB135_127
; %bb.125:
	v_add_f64 v[60:61], v[58:59], 0
	v_lshl_add_u64 v[62:63], v[132:133], 3, v[64:65]
	s_mov_b64 s[0:1], 0
	global_store_dwordx2 v[62:63], v[60:61], off
	s_cbranch_execz .LBB135_128
; %bb.126:
	v_mov_b64_e32 v[58:59], s[0:1]
	s_branch .LBB135_129
.LBB135_127:
	s_mov_b64 s[0:1], -1
.LBB135_128:
	v_lshl_add_u64 v[60:61], v[66:67], 0, v[136:137]
	flat_load_dwordx2 v[60:61], v[60:61]
	v_lshl_add_u64 v[62:63], v[64:65], 0, v[136:137]
	s_waitcnt vmcnt(0) lgkmcnt(0)
	v_fmac_f64_e32 v[58:59], s[12:13], v[60:61]
	global_store_dwordx2 v[62:63], v[58:59], off
	v_lshl_add_u64 v[58:59], v[126:127], 3, v[66:67]
	flat_load_dwordx2 v[58:59], v[58:59]
	s_waitcnt vmcnt(0) lgkmcnt(0)
	v_mul_f64 v[58:59], s[12:13], v[58:59]
.LBB135_129:
	v_add_f64 v[56:57], v[56:57], v[58:59]
	v_lshl_add_u64 v[58:59], v[126:127], 3, v[64:65]
	s_mov_b64 vcc, s[6:7]
	global_store_dwordx2 v[58:59], v[56:57], off
	s_cbranch_vccz .LBB135_132
; %bb.130:
	v_add_f64 v[56:57], v[54:55], 0
	v_lshl_add_u64 v[58:59], v[124:125], 3, v[64:65]
	s_mov_b64 s[0:1], 0
	global_store_dwordx2 v[58:59], v[56:57], off
	s_cbranch_execz .LBB135_133
; %bb.131:
	v_mov_b64_e32 v[54:55], s[0:1]
	s_branch .LBB135_134
.LBB135_132:
	s_mov_b64 s[0:1], -1
.LBB135_133:
	v_lshl_add_u64 v[56:57], v[66:67], 0, v[140:141]
	flat_load_dwordx2 v[56:57], v[56:57]
	v_lshl_add_u64 v[58:59], v[64:65], 0, v[140:141]
	s_waitcnt vmcnt(0) lgkmcnt(0)
	v_fmac_f64_e32 v[54:55], s[12:13], v[56:57]
	global_store_dwordx2 v[58:59], v[54:55], off
	v_lshl_add_u64 v[54:55], v[122:123], 3, v[66:67]
	flat_load_dwordx2 v[54:55], v[54:55]
	s_waitcnt vmcnt(0) lgkmcnt(0)
	v_mul_f64 v[54:55], s[12:13], v[54:55]
.LBB135_134:
	;; [unrolled: 28-line block ×14, first 2 shown]
	v_add_f64 v[4:5], v[4:5], v[6:7]
	v_lshl_add_u64 v[6:7], v[74:75], 3, v[64:65]
	s_mov_b64 vcc, s[6:7]
	global_store_dwordx2 v[6:7], v[4:5], off
	s_cbranch_vccz .LBB135_197
; %bb.195:
	v_add_f64 v[4:5], v[2:3], 0
	v_lshl_add_u64 v[6:7], v[72:73], 3, v[64:65]
	s_mov_b64 s[0:1], 0
	global_store_dwordx2 v[6:7], v[4:5], off
	s_cbranch_execz .LBB135_198
; %bb.196:
	v_mov_b64_e32 v[2:3], s[0:1]
	v_add_f64 v[0:1], v[0:1], v[2:3]
	v_lshl_add_u64 v[2:3], v[70:71], 3, v[64:65]
	global_store_dwordx2 v[2:3], v[0:1], off
	s_endpgm
.LBB135_197:
	s_mov_b64 s[0:1], -1
.LBB135_198:
	v_lshl_add_u64 v[4:5], v[66:67], 0, v[68:69]
	flat_load_dwordx2 v[4:5], v[4:5]
	v_lshl_add_u64 v[6:7], v[64:65], 0, v[68:69]
	s_waitcnt vmcnt(0) lgkmcnt(0)
	v_fmac_f64_e32 v[2:3], s[12:13], v[4:5]
	global_store_dwordx2 v[6:7], v[2:3], off
	v_lshl_add_u64 v[2:3], v[70:71], 3, v[66:67]
	flat_load_dwordx2 v[2:3], v[2:3]
	s_waitcnt vmcnt(0) lgkmcnt(0)
	v_mul_f64 v[2:3], s[12:13], v[2:3]
	v_add_f64 v[0:1], v[0:1], v[2:3]
	v_lshl_add_u64 v[2:3], v[70:71], 3, v[64:65]
	global_store_dwordx2 v[2:3], v[0:1], off
	s_endpgm
	.section	.rodata,"a",@progbits
	.p2align	6, 0x0
	.amdhsa_kernel _ZN12_GLOBAL__N_120geam_min_plus_kernelIdddLi4ELi64ELi128ELi128ELi4ELi4ELi64ELi4ELi64ELc84ELc78ELb0ELb0ELb0EPKdKS2_KPdEEviiiT16_PT17_ilS8_ilS6_S8_ilPT18_ili26rocblas_geam_ex_operation_
		.amdhsa_group_segment_fixed_size 16384
		.amdhsa_private_segment_fixed_size 0
		.amdhsa_kernarg_size 136
		.amdhsa_user_sgpr_count 2
		.amdhsa_user_sgpr_dispatch_ptr 0
		.amdhsa_user_sgpr_queue_ptr 0
		.amdhsa_user_sgpr_kernarg_segment_ptr 1
		.amdhsa_user_sgpr_dispatch_id 0
		.amdhsa_user_sgpr_kernarg_preload_length 0
		.amdhsa_user_sgpr_kernarg_preload_offset 0
		.amdhsa_user_sgpr_private_segment_size 0
		.amdhsa_uses_dynamic_stack 0
		.amdhsa_enable_private_segment 0
		.amdhsa_system_sgpr_workgroup_id_x 1
		.amdhsa_system_sgpr_workgroup_id_y 0
		.amdhsa_system_sgpr_workgroup_id_z 1
		.amdhsa_system_sgpr_workgroup_info 0
		.amdhsa_system_vgpr_workitem_id 1
		.amdhsa_next_free_vgpr 250
		.amdhsa_next_free_sgpr 28
		.amdhsa_accum_offset 252
		.amdhsa_reserve_vcc 1
		.amdhsa_float_round_mode_32 0
		.amdhsa_float_round_mode_16_64 0
		.amdhsa_float_denorm_mode_32 3
		.amdhsa_float_denorm_mode_16_64 3
		.amdhsa_dx10_clamp 1
		.amdhsa_ieee_mode 1
		.amdhsa_fp16_overflow 0
		.amdhsa_tg_split 0
		.amdhsa_exception_fp_ieee_invalid_op 0
		.amdhsa_exception_fp_denorm_src 0
		.amdhsa_exception_fp_ieee_div_zero 0
		.amdhsa_exception_fp_ieee_overflow 0
		.amdhsa_exception_fp_ieee_underflow 0
		.amdhsa_exception_fp_ieee_inexact 0
		.amdhsa_exception_int_div_zero 0
	.end_amdhsa_kernel
	.section	.text._ZN12_GLOBAL__N_120geam_min_plus_kernelIdddLi4ELi64ELi128ELi128ELi4ELi4ELi64ELi4ELi64ELc84ELc78ELb0ELb0ELb0EPKdKS2_KPdEEviiiT16_PT17_ilS8_ilS6_S8_ilPT18_ili26rocblas_geam_ex_operation_,"axG",@progbits,_ZN12_GLOBAL__N_120geam_min_plus_kernelIdddLi4ELi64ELi128ELi128ELi4ELi4ELi64ELi4ELi64ELc84ELc78ELb0ELb0ELb0EPKdKS2_KPdEEviiiT16_PT17_ilS8_ilS6_S8_ilPT18_ili26rocblas_geam_ex_operation_,comdat
.Lfunc_end135:
	.size	_ZN12_GLOBAL__N_120geam_min_plus_kernelIdddLi4ELi64ELi128ELi128ELi4ELi4ELi64ELi4ELi64ELc84ELc78ELb0ELb0ELb0EPKdKS2_KPdEEviiiT16_PT17_ilS8_ilS6_S8_ilPT18_ili26rocblas_geam_ex_operation_, .Lfunc_end135-_ZN12_GLOBAL__N_120geam_min_plus_kernelIdddLi4ELi64ELi128ELi128ELi4ELi4ELi64ELi4ELi64ELc84ELc78ELb0ELb0ELb0EPKdKS2_KPdEEviiiT16_PT17_ilS8_ilS6_S8_ilPT18_ili26rocblas_geam_ex_operation_
                                        ; -- End function
	.section	.AMDGPU.csdata,"",@progbits
; Kernel info:
; codeLenInByte = 13080
; NumSgprs: 34
; NumVgprs: 250
; NumAgprs: 0
; TotalNumVgprs: 250
; ScratchSize: 0
; MemoryBound: 0
; FloatMode: 240
; IeeeMode: 1
; LDSByteSize: 16384 bytes/workgroup (compile time only)
; SGPRBlocks: 4
; VGPRBlocks: 31
; NumSGPRsForWavesPerEU: 34
; NumVGPRsForWavesPerEU: 250
; AccumOffset: 252
; Occupancy: 2
; WaveLimiterHint : 1
; COMPUTE_PGM_RSRC2:SCRATCH_EN: 0
; COMPUTE_PGM_RSRC2:USER_SGPR: 2
; COMPUTE_PGM_RSRC2:TRAP_HANDLER: 0
; COMPUTE_PGM_RSRC2:TGID_X_EN: 1
; COMPUTE_PGM_RSRC2:TGID_Y_EN: 0
; COMPUTE_PGM_RSRC2:TGID_Z_EN: 1
; COMPUTE_PGM_RSRC2:TIDIG_COMP_CNT: 1
; COMPUTE_PGM_RSRC3_GFX90A:ACCUM_OFFSET: 62
; COMPUTE_PGM_RSRC3_GFX90A:TG_SPLIT: 0
	.section	.text._ZN12_GLOBAL__N_120geam_min_plus_kernelIdddLi4ELi64ELi128ELi128ELi4ELi4ELi64ELi4ELi64ELc84ELc78ELb1ELb0ELb0EdKPKdKPdEEviiiT16_PT17_ilS8_ilS6_S8_ilPT18_ili26rocblas_geam_ex_operation_,"axG",@progbits,_ZN12_GLOBAL__N_120geam_min_plus_kernelIdddLi4ELi64ELi128ELi128ELi4ELi4ELi64ELi4ELi64ELc84ELc78ELb1ELb0ELb0EdKPKdKPdEEviiiT16_PT17_ilS8_ilS6_S8_ilPT18_ili26rocblas_geam_ex_operation_,comdat
	.globl	_ZN12_GLOBAL__N_120geam_min_plus_kernelIdddLi4ELi64ELi128ELi128ELi4ELi4ELi64ELi4ELi64ELc84ELc78ELb1ELb0ELb0EdKPKdKPdEEviiiT16_PT17_ilS8_ilS6_S8_ilPT18_ili26rocblas_geam_ex_operation_ ; -- Begin function _ZN12_GLOBAL__N_120geam_min_plus_kernelIdddLi4ELi64ELi128ELi128ELi4ELi4ELi64ELi4ELi64ELc84ELc78ELb1ELb0ELb0EdKPKdKPdEEviiiT16_PT17_ilS8_ilS6_S8_ilPT18_ili26rocblas_geam_ex_operation_
	.p2align	8
	.type	_ZN12_GLOBAL__N_120geam_min_plus_kernelIdddLi4ELi64ELi128ELi128ELi4ELi4ELi64ELi4ELi64ELc84ELc78ELb1ELb0ELb0EdKPKdKPdEEviiiT16_PT17_ilS8_ilS6_S8_ilPT18_ili26rocblas_geam_ex_operation_,@function
_ZN12_GLOBAL__N_120geam_min_plus_kernelIdddLi4ELi64ELi128ELi128ELi4ELi4ELi64ELi4ELi64ELc84ELc78ELb1ELb0ELb0EdKPKdKPdEEviiiT16_PT17_ilS8_ilS6_S8_ilPT18_ili26rocblas_geam_ex_operation_: ; @_ZN12_GLOBAL__N_120geam_min_plus_kernelIdddLi4ELi64ELi128ELi128ELi4ELi4ELi64ELi4ELi64ELc84ELc78ELb1ELb0ELb0EdKPKdKPdEEviiiT16_PT17_ilS8_ilS6_S8_ilPT18_ili26rocblas_geam_ex_operation_
; %bb.0:
	s_load_dwordx4 s[4:7], s[0:1], 0x10
	s_load_dwordx4 s[8:11], s[0:1], 0x28
	s_mov_b32 s18, s3
	s_mov_b64 s[14:15], 0
	s_waitcnt lgkmcnt(0)
	v_cmp_eq_f64_e64 s[12:13], s[4:5], 0
	s_and_b64 vcc, exec, s[12:13]
	s_cbranch_vccnz .LBB136_2
; %bb.1:
	s_mov_b32 s19, 0
	s_lshl_b64 s[4:5], s[18:19], 3
	s_add_u32 s4, s6, s4
	s_addc_u32 s5, s7, s5
	s_load_dwordx2 s[4:5], s[4:5], 0x0
	s_lshl_b64 s[6:7], s[8:9], 3
	s_waitcnt lgkmcnt(0)
	s_add_u32 s14, s4, s6
	s_addc_u32 s15, s5, s7
.LBB136_2:
	s_load_dwordx4 s[4:7], s[0:1], 0x40
	s_load_dwordx2 s[20:21], s[0:1], 0x50
	s_andn2_b64 vcc, exec, s[12:13]
	s_cbranch_vccnz .LBB136_4
; %bb.3:
	s_mov_b32 s19, 0
	s_mov_b64 s[16:17], 0
	s_cbranch_execz .LBB136_5
	s_branch .LBB136_6
.LBB136_4:
                                        ; implicit-def: $sgpr16_sgpr17
.LBB136_5:
	s_mov_b32 s19, 0
	s_lshl_b64 s[8:9], s[18:19], 3
	s_add_u32 s8, s10, s8
	s_addc_u32 s9, s11, s9
	s_load_dwordx2 s[8:9], s[8:9], 0x0
	s_waitcnt lgkmcnt(0)
	s_lshl_b64 s[4:5], s[4:5], 3
	s_add_u32 s16, s8, s4
	s_addc_u32 s17, s9, s5
.LBB136_6:
	s_load_dwordx4 s[8:11], s[0:1], 0x60
	s_waitcnt lgkmcnt(0)
	v_cmp_eq_f64_e64 s[4:5], s[6:7], 0
	s_and_b64 s[4:5], exec, s[4:5]
	s_mov_b64 s[12:13], 0
	s_mov_b64 vcc, s[4:5]
	s_cbranch_vccnz .LBB136_8
; %bb.7:
	s_lshl_b64 s[12:13], s[18:19], 3
	s_add_u32 s12, s20, s12
	s_addc_u32 s13, s21, s13
	s_load_dwordx2 s[12:13], s[12:13], 0x0
	s_lshl_b64 s[8:9], s[8:9], 3
	s_waitcnt lgkmcnt(0)
	s_add_u32 s12, s12, s8
	s_addc_u32 s13, s13, s9
.LBB136_8:
	s_load_dword s3, s[0:1], 0x0
	s_load_dword s20, s[0:1], 0x20
	;; [unrolled: 1-line block ×3, first 2 shown]
	s_lshl_b64 s[8:9], s[18:19], 3
	s_add_u32 s8, s10, s8
	s_addc_u32 s9, s11, s9
	s_waitcnt lgkmcnt(0)
	s_add_i32 s3, s3, -1
	s_ashr_i32 s10, s3, 31
	s_lshr_b32 s10, s10, 25
	s_add_i32 s3, s3, s10
	s_ashr_i32 s3, s3, 7
	s_add_i32 s10, s3, 1
	v_cvt_f32_u32_e32 v1, s10
	v_and_b32_e32 v154, 0x3ff, v0
	v_bfe_u32 v155, v0, 10, 10
	s_not_b32 s3, s3
	v_rcp_iflag_f32_e32 v1, v1
	v_and_b32_e32 v156, 3, v154
	v_lshlrev_b32_e32 v144, 5, v155
	v_mov_b64_e32 v[126:127], 0
	v_mul_f32_e32 v0, 0x4f7ffffe, v1
	v_cvt_u32_f32_e32 v0, v0
	v_lshrrev_b32_e32 v1, 2, v154
	v_add_u32_e32 v18, v1, v155
	v_mov_b32_e32 v1, 0
	v_readfirstlane_b32 s11, v0
	s_mul_i32 s3, s3, s11
	s_mul_hi_u32 s3, s11, s3
	s_add_i32 s11, s11, s3
	s_mul_hi_u32 s3, s2, s11
	s_mul_i32 s11, s3, s10
	s_sub_i32 s11, s2, s11
	s_add_i32 s18, s3, 1
	s_sub_i32 s19, s11, s10
	s_cmp_ge_u32 s11, s10
	s_cselect_b32 s3, s18, s3
	s_cselect_b32 s11, s19, s11
	s_add_i32 s18, s3, 1
	s_cmp_ge_u32 s11, s10
	s_cselect_b32 s3, s18, s3
	s_mul_i32 s10, s3, s10
	s_sub_i32 s2, s2, s10
	s_lshl_b32 s10, s2, 7
	s_lshl_b32 s11, s3, 7
	v_add_u32_e32 v8, s10, v18
	v_lshlrev_b32_e32 v0, 3, v156
	v_mad_i64_i32 v[128:129], s[2:3], v8, s20, 0
	v_add_u32_e32 v8, 64, v8
	v_add_u32_e32 v14, s11, v18
	v_mad_i64_i32 v[130:131], s[2:3], v8, s20, 0
	v_lshl_add_u64 v[8:9], s[16:17], 0, v[0:1]
	v_mad_i64_i32 v[132:133], s[2:3], v14, s21, 0
	v_lshl_add_u64 v[2:3], s[14:15], 0, v[0:1]
	v_lshl_add_u64 v[10:11], v[132:133], 3, v[8:9]
	;; [unrolled: 1-line block ×3, first 2 shown]
	flat_load_dwordx2 v[12:13], v[10:11]
	flat_load_dwordx2 v[6:7], v[4:5]
	v_add_u32_e32 v1, 64, v14
	v_mad_i64_i32 v[134:135], s[2:3], v1, s21, 0
	v_lshl_add_u64 v[8:9], v[134:135], 3, v[8:9]
	v_lshl_add_u64 v[2:3], v[130:131], 3, v[2:3]
	flat_load_dwordx2 v[14:15], v[8:9]
	flat_load_dwordx2 v[16:17], v[2:3]
	flat_load_dwordx2 v[136:137], v[8:9] offset:32
	flat_load_dwordx2 v[138:139], v[10:11] offset:32
	;; [unrolled: 1-line block ×4, first 2 shown]
	s_load_dwordx2 s[2:3], s[8:9], 0x0
	v_lshl_or_b32 v159, v18, 5, v0
	s_mov_b32 s18, 0
	v_mov_b64_e32 v[124:125], 0
	v_mov_b64_e32 v[122:123], 0
	;; [unrolled: 1-line block ×43, first 2 shown]
	v_lshlrev_b32_e32 v157, 5, v154
	v_add_u32_e32 v158, 0x2000, v144
	v_add_u32_e32 v160, 0x2000, v159
	v_mov_b64_e32 v[38:39], 0
	v_mov_b64_e32 v[36:37], 0
	;; [unrolled: 1-line block ×9, first 2 shown]
	s_waitcnt vmcnt(0) lgkmcnt(0)
	ds_write2st64_b64 v159, v[12:13], v[14:15] offset0:16 offset1:20
	ds_write2st64_b64 v159, v[6:7], v[16:17] offset1:4
	v_mov_b64_e32 v[20:21], 0
	v_mov_b64_e32 v[18:19], 0
	;; [unrolled: 1-line block ×11, first 2 shown]
	s_waitcnt lgkmcnt(0)
	s_barrier
.LBB136_9:                              ; =>This Inner Loop Header: Depth=1
	v_add_u32_e32 v145, s18, v157
	v_add_u32_e32 v161, s18, v158
	ds_read2_b64 v[146:149], v145 offset1:16
	ds_read2_b64 v[150:153], v145 offset0:32 offset1:48
	ds_read2_b64 v[162:165], v145 offset0:64 offset1:80
	;; [unrolled: 1-line block ×7, first 2 shown]
	ds_read2st64_b64 v[186:189], v161 offset1:4
	v_add_u32_e32 v145, 0x800, v145
	ds_read2_b64 v[190:193], v145 offset1:16
	ds_read2_b64 v[194:197], v145 offset0:32 offset1:48
	ds_read2_b64 v[198:201], v145 offset0:64 offset1:80
	;; [unrolled: 1-line block ×7, first 2 shown]
	s_waitcnt lgkmcnt(14)
	v_max_f64 v[146:147], v[146:147], v[146:147]
	v_max_f64 v[148:149], v[148:149], v[148:149]
	;; [unrolled: 1-line block ×6, first 2 shown]
	s_waitcnt lgkmcnt(13)
	v_max_f64 v[166:167], v[166:167], v[166:167]
	v_max_f64 v[168:169], v[168:169], v[168:169]
	s_waitcnt lgkmcnt(12)
	v_max_f64 v[170:171], v[170:171], v[170:171]
	v_max_f64 v[172:173], v[172:173], v[172:173]
	;; [unrolled: 3-line block ×14, first 2 shown]
	v_min_f64 v[222:223], v[146:147], v[186:187]
	v_min_f64 v[224:225], v[148:149], v[186:187]
	;; [unrolled: 1-line block ×32, first 2 shown]
	s_add_i32 s18, s18, 8
	v_add_f64 v[62:63], v[146:147], v[62:63]
	v_add_f64 v[60:61], v[148:149], v[60:61]
	;; [unrolled: 1-line block ×16, first 2 shown]
	v_min_f64 v[146:147], v[190:191], v[186:187]
	v_min_f64 v[148:149], v[192:193], v[186:187]
	v_min_f64 v[150:151], v[194:195], v[186:187]
	v_min_f64 v[152:153], v[196:197], v[186:187]
	v_min_f64 v[162:163], v[198:199], v[186:187]
	v_min_f64 v[164:165], v[200:201], v[186:187]
	v_min_f64 v[166:167], v[202:203], v[186:187]
	v_min_f64 v[168:169], v[204:205], v[186:187]
	v_min_f64 v[170:171], v[206:207], v[186:187]
	v_min_f64 v[172:173], v[208:209], v[186:187]
	v_min_f64 v[174:175], v[210:211], v[186:187]
	v_min_f64 v[176:177], v[212:213], v[186:187]
	v_min_f64 v[178:179], v[214:215], v[186:187]
	v_min_f64 v[180:181], v[216:217], v[186:187]
	v_min_f64 v[182:183], v[218:219], v[186:187]
	v_min_f64 v[184:185], v[220:221], v[186:187]
	v_min_f64 v[186:187], v[190:191], v[188:189]
	v_min_f64 v[190:191], v[192:193], v[188:189]
	v_min_f64 v[192:193], v[194:195], v[188:189]
	v_min_f64 v[194:195], v[196:197], v[188:189]
	v_min_f64 v[196:197], v[198:199], v[188:189]
	v_min_f64 v[198:199], v[200:201], v[188:189]
	v_min_f64 v[200:201], v[202:203], v[188:189]
	v_min_f64 v[202:203], v[204:205], v[188:189]
	v_min_f64 v[204:205], v[206:207], v[188:189]
	v_min_f64 v[206:207], v[208:209], v[188:189]
	v_min_f64 v[208:209], v[210:211], v[188:189]
	v_min_f64 v[210:211], v[212:213], v[188:189]
	v_min_f64 v[212:213], v[214:215], v[188:189]
	v_min_f64 v[214:215], v[216:217], v[188:189]
	v_min_f64 v[216:217], v[218:219], v[188:189]
	v_min_f64 v[188:189], v[220:221], v[188:189]
	s_cmp_eq_u32 s18, 32
	v_add_f64 v[126:127], v[222:223], v[126:127]
	v_add_f64 v[124:125], v[224:225], v[124:125]
	;; [unrolled: 1-line block ×48, first 2 shown]
	s_cbranch_scc0 .LBB136_9
; %bb.10:
	s_load_dword s18, s[0:1], 0x8
	ds_write2st64_b64 v159, v[142:143], v[140:141] offset0:8 offset1:12
	ds_write2st64_b64 v159, v[138:139], v[136:137] offset0:24 offset1:28
	s_waitcnt lgkmcnt(0)
	s_barrier
	s_cmp_gt_i32 s18, 8
	s_cbranch_scc1 .LBB136_12
; %bb.11:
	v_add_u32_e32 v161, 0x1000, v157
	v_add_u32_e32 v162, 0x3000, v144
	s_cbranch_execz .LBB136_13
	s_branch .LBB136_19
.LBB136_12:
                                        ; implicit-def: $vgpr161
                                        ; implicit-def: $vgpr162
.LBB136_13:
	v_add_u32_e32 v163, 0x1000, v159
	v_add_u32_e32 v164, 0x3000, v159
	s_add_i32 s8, s18, -8
	v_add_u32_e32 v161, 0x1000, v157
	v_add_u32_e32 v162, 0x3000, v144
	s_mov_b32 s9, 8
	s_mov_b32 s18, 0
	v_mov_b32_e32 v137, 0
.LBB136_14:                             ; =>This Loop Header: Depth=1
                                        ;     Child Loop BB136_15 Depth 2
                                        ;     Child Loop BB136_17 Depth 2
	v_or_b32_e32 v136, s9, v156
	v_lshlrev_b64 v[142:143], 3, v[136:137]
	v_lshl_add_u64 v[140:141], s[14:15], 0, v[142:143]
	v_lshl_add_u64 v[144:145], s[16:17], 0, v[142:143]
	;; [unrolled: 1-line block ×5, first 2 shown]
	flat_load_dwordx2 v[146:147], v[138:139]
	flat_load_dwordx2 v[148:149], v[140:141]
	v_lshl_add_u64 v[144:145], v[134:135], 3, v[144:145]
	flat_load_dwordx2 v[150:151], v[142:143]
	flat_load_dwordx2 v[152:153], v[144:145]
	s_mov_b32 s19, 0
.LBB136_15:                             ;   Parent Loop BB136_14 Depth=1
                                        ; =>  This Inner Loop Header: Depth=2
	v_add_u32_e32 v136, s19, v161
	ds_read2_b64 v[166:169], v136 offset1:16
	ds_read2_b64 v[170:173], v136 offset0:32 offset1:48
	ds_read2_b64 v[174:177], v136 offset0:64 offset1:80
	;; [unrolled: 1-line block ×7, first 2 shown]
	v_add_u32_e32 v136, 0x800, v136
	ds_read2_b64 v[198:201], v136 offset1:16
	ds_read2_b64 v[202:205], v136 offset0:32 offset1:48
	ds_read2_b64 v[206:209], v136 offset0:64 offset1:80
	;; [unrolled: 1-line block ×7, first 2 shown]
	v_add_u32_e32 v136, s19, v162
	ds_read2st64_b64 v[230:233], v136 offset1:4
	s_waitcnt lgkmcnt(0)
	v_max_f64 v[166:167], v[166:167], v[166:167]
	v_max_f64 v[168:169], v[168:169], v[168:169]
	;; [unrolled: 1-line block ×5, first 2 shown]
	v_min_f64 v[234:235], v[166:167], v[230:231]
	v_add_f64 v[126:127], v[234:235], v[126:127]
	v_min_f64 v[234:235], v[168:169], v[230:231]
	v_add_f64 v[124:125], v[234:235], v[124:125]
	;; [unrolled: 2-line block ×3, first 2 shown]
	v_min_f64 v[234:235], v[172:173], v[230:231]
	v_max_f64 v[174:175], v[174:175], v[174:175]
	v_add_f64 v[120:121], v[234:235], v[120:121]
	v_min_f64 v[234:235], v[174:175], v[230:231]
	v_max_f64 v[176:177], v[176:177], v[176:177]
	v_add_f64 v[118:119], v[234:235], v[118:119]
	;; [unrolled: 3-line block ×26, first 2 shown]
	v_min_f64 v[234:235], v[224:225], v[230:231]
	v_max_f64 v[226:227], v[226:227], v[226:227]
	v_max_f64 v[228:229], v[228:229], v[228:229]
	v_add_f64 v[68:69], v[234:235], v[68:69]
	v_min_f64 v[234:235], v[226:227], v[230:231]
	v_min_f64 v[230:231], v[228:229], v[230:231]
	v_add_f64 v[64:65], v[230:231], v[64:65]
	v_max_f64 v[230:231], v[232:233], v[232:233]
	v_min_f64 v[166:167], v[166:167], v[230:231]
	v_add_f64 v[62:63], v[166:167], v[62:63]
	v_min_f64 v[166:167], v[168:169], v[230:231]
	v_add_f64 v[60:61], v[166:167], v[60:61]
	;; [unrolled: 2-line block ×31, first 2 shown]
	v_min_f64 v[166:167], v[228:229], v[230:231]
	s_add_i32 s19, s19, 8
	v_add_f64 v[66:67], v[234:235], v[66:67]
	v_add_f64 v[0:1], v[166:167], v[0:1]
	s_cmp_eq_u32 s19, 32
	s_cbranch_scc0 .LBB136_15
; %bb.16:                               ;   in Loop: Header=BB136_14 Depth=1
	s_waitcnt vmcnt(0)
	ds_write2st64_b64 v159, v[146:147], v[148:149] offset1:4
	ds_write2st64_b64 v160, v[150:151], v[152:153] offset1:4
	s_waitcnt lgkmcnt(0)
	s_barrier
	flat_load_dwordx2 v[138:139], v[138:139] offset:32
	s_nop 0
	flat_load_dwordx2 v[140:141], v[140:141] offset:32
	s_nop 0
	;; [unrolled: 2-line block ×3, first 2 shown]
	flat_load_dwordx2 v[144:145], v[144:145] offset:32
	s_mov_b32 s19, 0
.LBB136_17:                             ;   Parent Loop BB136_14 Depth=1
                                        ; =>  This Inner Loop Header: Depth=2
	v_add_u32_e32 v136, s19, v157
	ds_read2_b64 v[146:149], v136 offset1:16
	ds_read2_b64 v[150:153], v136 offset0:32 offset1:48
	ds_read2_b64 v[166:169], v136 offset0:64 offset1:80
	;; [unrolled: 1-line block ×7, first 2 shown]
	v_add_u32_e32 v136, 0x800, v136
	ds_read2_b64 v[190:193], v136 offset1:16
	ds_read2_b64 v[194:197], v136 offset0:32 offset1:48
	ds_read2_b64 v[198:201], v136 offset0:64 offset1:80
	;; [unrolled: 1-line block ×7, first 2 shown]
	v_add_u32_e32 v136, s19, v158
	ds_read2st64_b64 v[222:225], v136 offset1:4
	s_waitcnt lgkmcnt(0)
	v_max_f64 v[146:147], v[146:147], v[146:147]
	v_max_f64 v[148:149], v[148:149], v[148:149]
	;; [unrolled: 1-line block ×5, first 2 shown]
	v_min_f64 v[226:227], v[146:147], v[222:223]
	v_add_f64 v[126:127], v[226:227], v[126:127]
	v_min_f64 v[226:227], v[148:149], v[222:223]
	v_add_f64 v[124:125], v[226:227], v[124:125]
	;; [unrolled: 2-line block ×3, first 2 shown]
	v_min_f64 v[226:227], v[152:153], v[222:223]
	v_max_f64 v[166:167], v[166:167], v[166:167]
	v_add_f64 v[120:121], v[226:227], v[120:121]
	v_min_f64 v[226:227], v[166:167], v[222:223]
	v_max_f64 v[168:169], v[168:169], v[168:169]
	v_add_f64 v[118:119], v[226:227], v[118:119]
	;; [unrolled: 3-line block ×26, first 2 shown]
	v_min_f64 v[226:227], v[216:217], v[222:223]
	v_max_f64 v[218:219], v[218:219], v[218:219]
	v_max_f64 v[220:221], v[220:221], v[220:221]
	v_add_f64 v[68:69], v[226:227], v[68:69]
	v_min_f64 v[226:227], v[218:219], v[222:223]
	v_min_f64 v[222:223], v[220:221], v[222:223]
	v_add_f64 v[64:65], v[222:223], v[64:65]
	v_max_f64 v[222:223], v[224:225], v[224:225]
	v_min_f64 v[146:147], v[146:147], v[222:223]
	v_add_f64 v[62:63], v[146:147], v[62:63]
	v_min_f64 v[146:147], v[148:149], v[222:223]
	v_add_f64 v[60:61], v[146:147], v[60:61]
	;; [unrolled: 2-line block ×31, first 2 shown]
	v_min_f64 v[146:147], v[220:221], v[222:223]
	s_add_i32 s19, s19, 8
	v_add_f64 v[66:67], v[226:227], v[66:67]
	v_add_f64 v[0:1], v[146:147], v[0:1]
	s_cmp_eq_u32 s19, 32
	s_cbranch_scc0 .LBB136_17
; %bb.18:                               ;   in Loop: Header=BB136_14 Depth=1
	s_add_i32 s9, s9, 8
	s_add_i32 s18, s18, 8
	s_cmp_ge_i32 s18, s8
	s_waitcnt vmcnt(0)
	ds_write2st64_b64 v163, v[138:139], v[140:141] offset1:4
	ds_write2st64_b64 v164, v[142:143], v[144:145] offset1:4
	s_waitcnt lgkmcnt(0)
	s_barrier
	s_cbranch_scc0 .LBB136_14
.LBB136_19:
	s_mov_b32 s8, 0
.LBB136_20:                             ; =>This Inner Loop Header: Depth=1
	v_add_u32_e32 v152, s8, v161
	v_add_u32_e32 v153, s8, v162
	ds_read2_b64 v[128:131], v152 offset1:16
	ds_read2_b64 v[132:135], v152 offset0:32 offset1:48
	ds_read2_b64 v[136:139], v152 offset0:64 offset1:80
	;; [unrolled: 1-line block ×7, first 2 shown]
	v_add_u32_e32 v152, 0x800, v152
	ds_read2st64_b64 v[168:171], v153 offset1:4
	ds_read2_b64 v[172:175], v152 offset1:16
	ds_read2_b64 v[176:179], v152 offset0:32 offset1:48
	ds_read2_b64 v[180:183], v152 offset0:64 offset1:80
	ds_read2_b64 v[184:187], v152 offset0:96 offset1:112
	ds_read2_b64 v[188:191], v152 offset0:128 offset1:144
	ds_read2_b64 v[192:195], v152 offset0:160 offset1:176
	ds_read2_b64 v[196:199], v152 offset0:192 offset1:208
	ds_read2_b64 v[200:203], v152 offset0:224 offset1:240
	s_waitcnt lgkmcnt(14)
	v_max_f64 v[128:129], v[128:129], v[128:129]
	v_max_f64 v[130:131], v[130:131], v[130:131]
	;; [unrolled: 1-line block ×3, first 2 shown]
	s_waitcnt lgkmcnt(8)
	v_max_f64 v[152:153], v[168:169], v[168:169]
	v_max_f64 v[134:135], v[134:135], v[134:135]
	;; [unrolled: 1-line block ×15, first 2 shown]
	v_min_f64 v[170:171], v[128:129], v[152:153]
	v_min_f64 v[204:205], v[130:131], v[152:153]
	;; [unrolled: 1-line block ×16, first 2 shown]
	s_waitcnt lgkmcnt(7)
	v_max_f64 v[172:173], v[172:173], v[172:173]
	v_max_f64 v[174:175], v[174:175], v[174:175]
	s_waitcnt lgkmcnt(6)
	v_max_f64 v[176:177], v[176:177], v[176:177]
	v_max_f64 v[178:179], v[178:179], v[178:179]
	;; [unrolled: 3-line block ×8, first 2 shown]
	v_min_f64 v[128:129], v[128:129], v[168:169]
	v_min_f64 v[130:131], v[130:131], v[168:169]
	;; [unrolled: 1-line block ×16, first 2 shown]
	s_add_i32 s8, s8, 8
	v_add_f64 v[126:127], v[170:171], v[126:127]
	v_add_f64 v[124:125], v[204:205], v[124:125]
	;; [unrolled: 1-line block ×15, first 2 shown]
	v_min_f64 v[170:171], v[172:173], v[152:153]
	v_min_f64 v[204:205], v[174:175], v[152:153]
	;; [unrolled: 1-line block ×16, first 2 shown]
	v_add_f64 v[62:63], v[128:129], v[62:63]
	v_add_f64 v[60:61], v[130:131], v[60:61]
	;; [unrolled: 1-line block ×16, first 2 shown]
	v_min_f64 v[128:129], v[172:173], v[168:169]
	v_min_f64 v[130:131], v[174:175], v[168:169]
	;; [unrolled: 1-line block ×16, first 2 shown]
	s_cmp_eq_u32 s8, 32
	v_add_f64 v[96:97], v[232:233], v[96:97]
	v_add_f64 v[94:95], v[170:171], v[94:95]
	;; [unrolled: 1-line block ×33, first 2 shown]
	s_cbranch_scc0 .LBB136_20
; %bb.21:
	s_load_dwordx2 s[14:15], s[0:1], 0x78
	s_load_dword s8, s[0:1], 0x58
	s_load_dword s9, s[0:1], 0x70
	v_add_u32_e32 v130, s10, v154
	v_add_u32_e32 v170, s11, v155
	s_waitcnt lgkmcnt(0)
	s_lshl_b64 s[0:1], s[14:15], 3
	s_add_u32 s0, s2, s0
	s_addc_u32 s1, s3, s1
	v_add_u32_e32 v128, 4, v130
	v_mad_i64_i32 v[132:133], s[2:3], v170, s9, 0
	v_ashrrev_i32_e32 v131, 31, v130
	v_ashrrev_i32_e32 v129, 31, v128
	v_lshl_add_u64 v[138:139], v[132:133], 3, s[0:1]
	v_mad_i64_i32 v[132:133], s[2:3], v170, s8, 0
	s_mov_b64 vcc, s[4:5]
	s_cbranch_vccz .LBB136_24
; %bb.22:
	v_add_f64 v[134:135], v[126:127], 0
	v_lshl_add_u64 v[136:137], v[130:131], 3, v[138:139]
	s_mov_b64 s[2:3], 0
	global_store_dwordx2 v[136:137], v[134:135], off
	v_lshl_add_u64 v[146:147], v[132:133], 3, s[12:13]
	v_lshlrev_b64 v[134:135], 3, v[130:131]
	s_cbranch_execz .LBB136_25
; %bb.23:
	v_mov_b64_e32 v[136:137], s[2:3]
	s_branch .LBB136_26
.LBB136_24:
	s_mov_b64 s[2:3], -1
	v_lshl_add_u64 v[146:147], v[132:133], 3, s[12:13]
	v_lshlrev_b64 v[134:135], 3, v[130:131]
.LBB136_25:
	v_lshl_add_u64 v[132:133], v[146:147], 0, v[134:135]
	flat_load_dwordx2 v[132:133], v[132:133]
	v_lshl_add_u64 v[136:137], v[138:139], 0, v[134:135]
	s_waitcnt vmcnt(0) lgkmcnt(0)
	v_fmac_f64_e32 v[126:127], s[6:7], v[132:133]
	global_store_dwordx2 v[136:137], v[126:127], off
	v_lshl_add_u64 v[126:127], v[128:129], 3, v[146:147]
	flat_load_dwordx2 v[126:127], v[126:127]
	s_waitcnt vmcnt(0) lgkmcnt(0)
	v_mul_f64 v[136:137], v[126:127], s[6:7]
.LBB136_26:
	v_add_u32_e32 v132, 8, v130
	v_add_u32_e32 v126, 12, v130
	v_ashrrev_i32_e32 v133, 31, v132
	v_ashrrev_i32_e32 v127, 31, v126
	v_add_f64 v[124:125], v[124:125], v[136:137]
	v_lshl_add_u64 v[136:137], v[128:129], 3, v[138:139]
	s_mov_b64 vcc, s[4:5]
	global_store_dwordx2 v[136:137], v[124:125], off
	s_cbranch_vccz .LBB136_29
; %bb.27:
	v_add_f64 v[124:125], v[122:123], 0
	v_lshl_add_u64 v[136:137], v[132:133], 3, v[138:139]
	s_mov_b64 s[2:3], 0
	global_store_dwordx2 v[136:137], v[124:125], off
	v_lshlrev_b64 v[136:137], 3, v[132:133]
	s_cbranch_execz .LBB136_30
; %bb.28:
	v_mov_b64_e32 v[140:141], s[2:3]
	s_branch .LBB136_31
.LBB136_29:
	s_mov_b64 s[2:3], -1
	v_lshlrev_b64 v[136:137], 3, v[132:133]
.LBB136_30:
	v_lshl_add_u64 v[124:125], v[146:147], 0, v[136:137]
	flat_load_dwordx2 v[124:125], v[124:125]
	v_lshl_add_u64 v[140:141], v[138:139], 0, v[136:137]
	s_waitcnt vmcnt(0) lgkmcnt(0)
	v_fmac_f64_e32 v[122:123], s[6:7], v[124:125]
	global_store_dwordx2 v[140:141], v[122:123], off
	v_lshl_add_u64 v[122:123], v[126:127], 3, v[146:147]
	flat_load_dwordx2 v[122:123], v[122:123]
	s_waitcnt vmcnt(0) lgkmcnt(0)
	v_mul_f64 v[140:141], v[122:123], s[6:7]
.LBB136_31:
	v_add_u32_e32 v124, 16, v130
	v_add_u32_e32 v122, 20, v130
	v_ashrrev_i32_e32 v125, 31, v124
	v_ashrrev_i32_e32 v123, 31, v122
	v_add_f64 v[120:121], v[120:121], v[140:141]
	v_lshl_add_u64 v[140:141], v[126:127], 3, v[138:139]
	s_mov_b64 vcc, s[4:5]
	global_store_dwordx2 v[140:141], v[120:121], off
	s_cbranch_vccz .LBB136_34
; %bb.32:
	v_add_f64 v[120:121], v[118:119], 0
	v_lshl_add_u64 v[140:141], v[124:125], 3, v[138:139]
	s_mov_b64 s[2:3], 0
	global_store_dwordx2 v[140:141], v[120:121], off
	v_lshlrev_b64 v[140:141], 3, v[124:125]
	s_cbranch_execz .LBB136_35
; %bb.33:
	v_mov_b64_e32 v[142:143], s[2:3]
	s_branch .LBB136_36
.LBB136_34:
	s_mov_b64 s[2:3], -1
	v_lshlrev_b64 v[140:141], 3, v[124:125]
.LBB136_35:
	v_lshl_add_u64 v[120:121], v[146:147], 0, v[140:141]
	flat_load_dwordx2 v[120:121], v[120:121]
	v_lshl_add_u64 v[142:143], v[138:139], 0, v[140:141]
	s_waitcnt vmcnt(0) lgkmcnt(0)
	v_fmac_f64_e32 v[118:119], s[6:7], v[120:121]
	global_store_dwordx2 v[142:143], v[118:119], off
	v_lshl_add_u64 v[118:119], v[122:123], 3, v[146:147]
	flat_load_dwordx2 v[118:119], v[118:119]
	s_waitcnt vmcnt(0) lgkmcnt(0)
	v_mul_f64 v[142:143], v[118:119], s[6:7]
.LBB136_36:
	;; [unrolled: 34-line block ×15, first 2 shown]
	v_add_f64 v[64:65], v[64:65], v[66:67]
	v_lshl_add_u64 v[66:67], v[70:71], 3, v[138:139]
	global_store_dwordx2 v[66:67], v[64:65], off
	v_add_u32_e32 v66, 64, v170
	v_mad_i64_i32 v[64:65], s[2:3], v66, s9, 0
	v_lshl_add_u64 v[64:65], v[64:65], 3, s[0:1]
	v_mad_i64_i32 v[66:67], s[0:1], v66, s8, 0
	s_mov_b64 vcc, s[4:5]
	s_cbranch_vccz .LBB136_104
; %bb.102:
	v_add_f64 v[138:139], v[62:63], 0
	v_lshl_add_u64 v[130:131], v[130:131], 3, v[64:65]
	s_mov_b64 s[0:1], 0
	global_store_dwordx2 v[130:131], v[138:139], off
	v_lshl_add_u64 v[66:67], v[66:67], 3, s[12:13]
	s_cbranch_execz .LBB136_105
; %bb.103:
	v_mov_b64_e32 v[62:63], s[0:1]
	s_branch .LBB136_106
.LBB136_104:
	s_mov_b64 s[0:1], -1
	v_lshl_add_u64 v[66:67], v[66:67], 3, s[12:13]
.LBB136_105:
	v_lshl_add_u64 v[130:131], v[66:67], 0, v[134:135]
	flat_load_dwordx2 v[130:131], v[130:131]
	v_lshl_add_u64 v[134:135], v[64:65], 0, v[134:135]
	s_waitcnt vmcnt(0) lgkmcnt(0)
	v_fmac_f64_e32 v[62:63], s[6:7], v[130:131]
	global_store_dwordx2 v[134:135], v[62:63], off
	v_lshl_add_u64 v[62:63], v[128:129], 3, v[66:67]
	flat_load_dwordx2 v[62:63], v[62:63]
	s_waitcnt vmcnt(0) lgkmcnt(0)
	v_mul_f64 v[62:63], v[62:63], s[6:7]
.LBB136_106:
	v_add_f64 v[60:61], v[60:61], v[62:63]
	v_lshl_add_u64 v[62:63], v[128:129], 3, v[64:65]
	s_mov_b64 vcc, s[4:5]
	global_store_dwordx2 v[62:63], v[60:61], off
	s_cbranch_vccz .LBB136_109
; %bb.107:
	v_add_f64 v[60:61], v[58:59], 0
	v_lshl_add_u64 v[62:63], v[132:133], 3, v[64:65]
	s_mov_b64 s[0:1], 0
	global_store_dwordx2 v[62:63], v[60:61], off
	s_cbranch_execz .LBB136_110
; %bb.108:
	v_mov_b64_e32 v[58:59], s[0:1]
	s_branch .LBB136_111
.LBB136_109:
	s_mov_b64 s[0:1], -1
.LBB136_110:
	v_lshl_add_u64 v[60:61], v[66:67], 0, v[136:137]
	flat_load_dwordx2 v[60:61], v[60:61]
	v_lshl_add_u64 v[62:63], v[64:65], 0, v[136:137]
	s_waitcnt vmcnt(0) lgkmcnt(0)
	v_fmac_f64_e32 v[58:59], s[6:7], v[60:61]
	global_store_dwordx2 v[62:63], v[58:59], off
	v_lshl_add_u64 v[58:59], v[126:127], 3, v[66:67]
	flat_load_dwordx2 v[58:59], v[58:59]
	s_waitcnt vmcnt(0) lgkmcnt(0)
	v_mul_f64 v[58:59], v[58:59], s[6:7]
.LBB136_111:
	v_add_f64 v[56:57], v[56:57], v[58:59]
	v_lshl_add_u64 v[58:59], v[126:127], 3, v[64:65]
	s_mov_b64 vcc, s[4:5]
	global_store_dwordx2 v[58:59], v[56:57], off
	s_cbranch_vccz .LBB136_114
; %bb.112:
	v_add_f64 v[56:57], v[54:55], 0
	v_lshl_add_u64 v[58:59], v[124:125], 3, v[64:65]
	s_mov_b64 s[0:1], 0
	global_store_dwordx2 v[58:59], v[56:57], off
	s_cbranch_execz .LBB136_115
; %bb.113:
	v_mov_b64_e32 v[54:55], s[0:1]
	s_branch .LBB136_116
.LBB136_114:
	s_mov_b64 s[0:1], -1
.LBB136_115:
	v_lshl_add_u64 v[56:57], v[66:67], 0, v[140:141]
	flat_load_dwordx2 v[56:57], v[56:57]
	v_lshl_add_u64 v[58:59], v[64:65], 0, v[140:141]
	s_waitcnt vmcnt(0) lgkmcnt(0)
	v_fmac_f64_e32 v[54:55], s[6:7], v[56:57]
	global_store_dwordx2 v[58:59], v[54:55], off
	v_lshl_add_u64 v[54:55], v[122:123], 3, v[66:67]
	flat_load_dwordx2 v[54:55], v[54:55]
	s_waitcnt vmcnt(0) lgkmcnt(0)
	v_mul_f64 v[54:55], v[54:55], s[6:7]
.LBB136_116:
	;; [unrolled: 28-line block ×14, first 2 shown]
	v_add_f64 v[4:5], v[4:5], v[6:7]
	v_lshl_add_u64 v[6:7], v[74:75], 3, v[64:65]
	s_mov_b64 vcc, s[4:5]
	global_store_dwordx2 v[6:7], v[4:5], off
	s_cbranch_vccz .LBB136_179
; %bb.177:
	v_add_f64 v[4:5], v[2:3], 0
	v_lshl_add_u64 v[6:7], v[72:73], 3, v[64:65]
	s_mov_b64 s[0:1], 0
	global_store_dwordx2 v[6:7], v[4:5], off
	s_cbranch_execz .LBB136_180
; %bb.178:
	v_mov_b64_e32 v[2:3], s[0:1]
	v_add_f64 v[0:1], v[0:1], v[2:3]
	v_lshl_add_u64 v[2:3], v[70:71], 3, v[64:65]
	global_store_dwordx2 v[2:3], v[0:1], off
	s_endpgm
.LBB136_179:
	s_mov_b64 s[0:1], -1
.LBB136_180:
	v_lshl_add_u64 v[4:5], v[66:67], 0, v[68:69]
	flat_load_dwordx2 v[4:5], v[4:5]
	v_lshl_add_u64 v[6:7], v[64:65], 0, v[68:69]
	s_waitcnt vmcnt(0) lgkmcnt(0)
	v_fmac_f64_e32 v[2:3], s[6:7], v[4:5]
	global_store_dwordx2 v[6:7], v[2:3], off
	v_lshl_add_u64 v[2:3], v[70:71], 3, v[66:67]
	flat_load_dwordx2 v[2:3], v[2:3]
	s_waitcnt vmcnt(0) lgkmcnt(0)
	v_mul_f64 v[2:3], v[2:3], s[6:7]
	v_add_f64 v[0:1], v[0:1], v[2:3]
	v_lshl_add_u64 v[2:3], v[70:71], 3, v[64:65]
	global_store_dwordx2 v[2:3], v[0:1], off
	s_endpgm
	.section	.rodata,"a",@progbits
	.p2align	6, 0x0
	.amdhsa_kernel _ZN12_GLOBAL__N_120geam_min_plus_kernelIdddLi4ELi64ELi128ELi128ELi4ELi4ELi64ELi4ELi64ELc84ELc78ELb1ELb0ELb0EdKPKdKPdEEviiiT16_PT17_ilS8_ilS6_S8_ilPT18_ili26rocblas_geam_ex_operation_
		.amdhsa_group_segment_fixed_size 16384
		.amdhsa_private_segment_fixed_size 0
		.amdhsa_kernarg_size 136
		.amdhsa_user_sgpr_count 2
		.amdhsa_user_sgpr_dispatch_ptr 0
		.amdhsa_user_sgpr_queue_ptr 0
		.amdhsa_user_sgpr_kernarg_segment_ptr 1
		.amdhsa_user_sgpr_dispatch_id 0
		.amdhsa_user_sgpr_kernarg_preload_length 0
		.amdhsa_user_sgpr_kernarg_preload_offset 0
		.amdhsa_user_sgpr_private_segment_size 0
		.amdhsa_uses_dynamic_stack 0
		.amdhsa_enable_private_segment 0
		.amdhsa_system_sgpr_workgroup_id_x 1
		.amdhsa_system_sgpr_workgroup_id_y 0
		.amdhsa_system_sgpr_workgroup_id_z 1
		.amdhsa_system_sgpr_workgroup_info 0
		.amdhsa_system_vgpr_workitem_id 1
		.amdhsa_next_free_vgpr 254
		.amdhsa_next_free_sgpr 22
		.amdhsa_accum_offset 256
		.amdhsa_reserve_vcc 1
		.amdhsa_float_round_mode_32 0
		.amdhsa_float_round_mode_16_64 0
		.amdhsa_float_denorm_mode_32 3
		.amdhsa_float_denorm_mode_16_64 3
		.amdhsa_dx10_clamp 1
		.amdhsa_ieee_mode 1
		.amdhsa_fp16_overflow 0
		.amdhsa_tg_split 0
		.amdhsa_exception_fp_ieee_invalid_op 0
		.amdhsa_exception_fp_denorm_src 0
		.amdhsa_exception_fp_ieee_div_zero 0
		.amdhsa_exception_fp_ieee_overflow 0
		.amdhsa_exception_fp_ieee_underflow 0
		.amdhsa_exception_fp_ieee_inexact 0
		.amdhsa_exception_int_div_zero 0
	.end_amdhsa_kernel
	.section	.text._ZN12_GLOBAL__N_120geam_min_plus_kernelIdddLi4ELi64ELi128ELi128ELi4ELi4ELi64ELi4ELi64ELc84ELc78ELb1ELb0ELb0EdKPKdKPdEEviiiT16_PT17_ilS8_ilS6_S8_ilPT18_ili26rocblas_geam_ex_operation_,"axG",@progbits,_ZN12_GLOBAL__N_120geam_min_plus_kernelIdddLi4ELi64ELi128ELi128ELi4ELi4ELi64ELi4ELi64ELc84ELc78ELb1ELb0ELb0EdKPKdKPdEEviiiT16_PT17_ilS8_ilS6_S8_ilPT18_ili26rocblas_geam_ex_operation_,comdat
.Lfunc_end136:
	.size	_ZN12_GLOBAL__N_120geam_min_plus_kernelIdddLi4ELi64ELi128ELi128ELi4ELi4ELi64ELi4ELi64ELc84ELc78ELb1ELb0ELb0EdKPKdKPdEEviiiT16_PT17_ilS8_ilS6_S8_ilPT18_ili26rocblas_geam_ex_operation_, .Lfunc_end136-_ZN12_GLOBAL__N_120geam_min_plus_kernelIdddLi4ELi64ELi128ELi128ELi4ELi4ELi64ELi4ELi64ELc84ELc78ELb1ELb0ELb0EdKPKdKPdEEviiiT16_PT17_ilS8_ilS6_S8_ilPT18_ili26rocblas_geam_ex_operation_
                                        ; -- End function
	.section	.AMDGPU.csdata,"",@progbits
; Kernel info:
; codeLenInByte = 12540
; NumSgprs: 28
; NumVgprs: 254
; NumAgprs: 0
; TotalNumVgprs: 254
; ScratchSize: 0
; MemoryBound: 0
; FloatMode: 240
; IeeeMode: 1
; LDSByteSize: 16384 bytes/workgroup (compile time only)
; SGPRBlocks: 3
; VGPRBlocks: 31
; NumSGPRsForWavesPerEU: 28
; NumVGPRsForWavesPerEU: 254
; AccumOffset: 256
; Occupancy: 2
; WaveLimiterHint : 1
; COMPUTE_PGM_RSRC2:SCRATCH_EN: 0
; COMPUTE_PGM_RSRC2:USER_SGPR: 2
; COMPUTE_PGM_RSRC2:TRAP_HANDLER: 0
; COMPUTE_PGM_RSRC2:TGID_X_EN: 1
; COMPUTE_PGM_RSRC2:TGID_Y_EN: 0
; COMPUTE_PGM_RSRC2:TGID_Z_EN: 1
; COMPUTE_PGM_RSRC2:TIDIG_COMP_CNT: 1
; COMPUTE_PGM_RSRC3_GFX90A:ACCUM_OFFSET: 63
; COMPUTE_PGM_RSRC3_GFX90A:TG_SPLIT: 0
	.section	.text._ZN12_GLOBAL__N_120geam_min_plus_kernelIdddLi4ELi64ELi128ELi128ELi4ELi4ELi64ELi4ELi64ELc84ELc78ELb0ELb0ELb0EdKPKdKPdEEviiiT16_PT17_ilS8_ilS6_S8_ilPT18_ili26rocblas_geam_ex_operation_,"axG",@progbits,_ZN12_GLOBAL__N_120geam_min_plus_kernelIdddLi4ELi64ELi128ELi128ELi4ELi4ELi64ELi4ELi64ELc84ELc78ELb0ELb0ELb0EdKPKdKPdEEviiiT16_PT17_ilS8_ilS6_S8_ilPT18_ili26rocblas_geam_ex_operation_,comdat
	.globl	_ZN12_GLOBAL__N_120geam_min_plus_kernelIdddLi4ELi64ELi128ELi128ELi4ELi4ELi64ELi4ELi64ELc84ELc78ELb0ELb0ELb0EdKPKdKPdEEviiiT16_PT17_ilS8_ilS6_S8_ilPT18_ili26rocblas_geam_ex_operation_ ; -- Begin function _ZN12_GLOBAL__N_120geam_min_plus_kernelIdddLi4ELi64ELi128ELi128ELi4ELi4ELi64ELi4ELi64ELc84ELc78ELb0ELb0ELb0EdKPKdKPdEEviiiT16_PT17_ilS8_ilS6_S8_ilPT18_ili26rocblas_geam_ex_operation_
	.p2align	8
	.type	_ZN12_GLOBAL__N_120geam_min_plus_kernelIdddLi4ELi64ELi128ELi128ELi4ELi4ELi64ELi4ELi64ELc84ELc78ELb0ELb0ELb0EdKPKdKPdEEviiiT16_PT17_ilS8_ilS6_S8_ilPT18_ili26rocblas_geam_ex_operation_,@function
_ZN12_GLOBAL__N_120geam_min_plus_kernelIdddLi4ELi64ELi128ELi128ELi4ELi4ELi64ELi4ELi64ELc84ELc78ELb0ELb0ELb0EdKPKdKPdEEviiiT16_PT17_ilS8_ilS6_S8_ilPT18_ili26rocblas_geam_ex_operation_: ; @_ZN12_GLOBAL__N_120geam_min_plus_kernelIdddLi4ELi64ELi128ELi128ELi4ELi4ELi64ELi4ELi64ELc84ELc78ELb0ELb0ELb0EdKPKdKPdEEviiiT16_PT17_ilS8_ilS6_S8_ilPT18_ili26rocblas_geam_ex_operation_
; %bb.0:
	s_load_dwordx4 s[12:15], s[0:1], 0x10
	s_load_dwordx4 s[4:7], s[0:1], 0x28
	s_mov_b32 s24, s3
	s_mov_b64 s[20:21], 0
	s_waitcnt lgkmcnt(0)
	v_cmp_eq_f64_e64 s[16:17], s[12:13], 0
	s_and_b64 vcc, exec, s[16:17]
	s_cbranch_vccnz .LBB137_2
; %bb.1:
	s_mov_b32 s25, 0
	s_lshl_b64 s[8:9], s[24:25], 3
	s_add_u32 s8, s14, s8
	s_addc_u32 s9, s15, s9
	s_load_dwordx2 s[8:9], s[8:9], 0x0
	s_lshl_b64 s[4:5], s[4:5], 3
	s_waitcnt lgkmcnt(0)
	s_add_u32 s20, s8, s4
	s_addc_u32 s21, s9, s5
.LBB137_2:
	s_load_dwordx4 s[8:11], s[0:1], 0x40
	s_load_dwordx2 s[4:5], s[0:1], 0x50
	s_andn2_b64 vcc, exec, s[16:17]
	s_cbranch_vccnz .LBB137_4
; %bb.3:
	s_mov_b32 s25, 0
	s_mov_b64 s[22:23], 0
	s_cbranch_execz .LBB137_5
	s_branch .LBB137_6
.LBB137_4:
                                        ; implicit-def: $sgpr22_sgpr23
.LBB137_5:
	s_mov_b32 s25, 0
	s_lshl_b64 s[14:15], s[24:25], 3
	s_add_u32 s6, s6, s14
	s_addc_u32 s7, s7, s15
	s_load_dwordx2 s[6:7], s[6:7], 0x0
	s_waitcnt lgkmcnt(0)
	s_lshl_b64 s[8:9], s[8:9], 3
	s_add_u32 s22, s6, s8
	s_addc_u32 s23, s7, s9
.LBB137_6:
	s_load_dwordx4 s[16:19], s[0:1], 0x60
	s_waitcnt lgkmcnt(0)
	v_cmp_eq_f64_e64 s[6:7], s[10:11], 0
	s_and_b64 s[6:7], exec, s[6:7]
	v_cmp_neq_f64_e64 s[26:27], s[12:13], 0
	s_mov_b64 s[8:9], 0
	s_mov_b64 vcc, s[6:7]
	s_cbranch_vccnz .LBB137_8
; %bb.7:
	s_lshl_b64 s[8:9], s[24:25], 3
	s_add_u32 s4, s4, s8
	s_addc_u32 s5, s5, s9
	s_load_dwordx2 s[4:5], s[4:5], 0x0
	s_lshl_b64 s[8:9], s[16:17], 3
	s_waitcnt lgkmcnt(0)
	s_add_u32 s8, s4, s8
	s_addc_u32 s9, s5, s9
.LBB137_8:
	s_load_dword s3, s[0:1], 0x0
	s_load_dword s28, s[0:1], 0x20
	s_lshl_b64 s[4:5], s[24:25], 3
	s_add_u32 s4, s18, s4
	s_addc_u32 s5, s19, s5
	s_waitcnt lgkmcnt(0)
	s_add_i32 s3, s3, -1
	s_ashr_i32 s14, s3, 31
	s_lshr_b32 s14, s14, 25
	s_add_i32 s3, s3, s14
	s_ashr_i32 s3, s3, 7
	s_add_i32 s16, s3, 1
	v_cvt_f32_u32_e32 v1, s16
	s_load_dwordx2 s[14:15], s[4:5], 0x0
	s_not_b32 s3, s3
	v_and_b32_e32 v146, 0x3ff, v0
	v_rcp_iflag_f32_e32 v1, v1
	v_bfe_u32 v147, v0, 10, 10
	v_lshrrev_b32_e32 v0, 2, v146
	v_add_u32_e32 v10, v0, v147
	v_mul_f32_e32 v1, 0x4f7ffffe, v1
	v_cvt_u32_f32_e32 v1, v1
	v_and_b32_e32 v148, 3, v146
	v_cndmask_b32_e64 v0, 0, 1, s[26:27]
	v_readfirstlane_b32 s4, v1
	s_mul_i32 s3, s3, s4
	s_mul_hi_u32 s3, s4, s3
	s_add_i32 s4, s4, s3
	s_mul_hi_u32 s3, s2, s4
	s_mul_i32 s4, s3, s16
	s_sub_i32 s4, s2, s4
	s_add_i32 s5, s3, 1
	s_sub_i32 s17, s4, s16
	s_cmp_ge_u32 s4, s16
	s_cselect_b32 s3, s5, s3
	s_cselect_b32 s4, s17, s4
	s_add_i32 s5, s3, 1
	s_cmp_ge_u32 s4, s16
	s_cselect_b32 s3, s5, s3
	s_mul_i32 s4, s3, s16
	s_sub_i32 s2, s2, s4
	s_lshl_b32 s16, s2, 7
	v_add_u32_e32 v137, s16, v10
	v_cmp_ne_u32_e64 s[4:5], 1, v0
	s_andn2_b64 vcc, exec, s[26:27]
	v_lshlrev_b32_e32 v0, 3, v148
	v_add_u32_e32 v136, 64, v137
	s_cbranch_vccnz .LBB137_10
; %bb.9:
	v_mov_b32_e32 v1, 0
	v_lshl_add_u64 v[2:3], s[20:21], 0, v[0:1]
	v_mad_i64_i32 v[4:5], s[18:19], v137, s28, 0
	v_lshl_add_u64 v[4:5], v[4:5], 3, v[2:3]
	v_mad_i64_i32 v[6:7], s[18:19], v136, s28, 0
	v_lshl_add_u64 v[2:3], v[6:7], 3, v[2:3]
	flat_load_dwordx2 v[6:7], v[4:5]
	flat_load_dwordx2 v[8:9], v[2:3]
	s_waitcnt vmcnt(0) lgkmcnt(0)
	v_mul_f64 v[2:3], v[6:7], s[12:13]
	v_mul_f64 v[4:5], v[8:9], s[12:13]
	s_branch .LBB137_11
.LBB137_10:
	v_mov_b64_e32 v[2:3], 0
	v_mov_b64_e32 v[4:5], 0
.LBB137_11:
	s_load_dword s18, s[0:1], 0x38
	s_lshl_b32 s17, s3, 7
	v_add_u32_e32 v139, s17, v10
	s_and_b64 vcc, exec, s[4:5]
	v_add_u32_e32 v138, 64, v139
	s_cbranch_vccnz .LBB137_15
; %bb.12:
	v_mov_b32_e32 v1, 0
	v_lshl_add_u64 v[6:7], s[22:23], 0, v[0:1]
	s_waitcnt lgkmcnt(0)
	v_mad_i64_i32 v[8:9], s[2:3], v139, s18, 0
	v_lshl_add_u64 v[8:9], v[8:9], 3, v[6:7]
	v_mad_i64_i32 v[12:13], s[2:3], v138, s18, 0
	v_lshl_add_u64 v[6:7], v[12:13], 3, v[6:7]
	flat_load_dwordx2 v[12:13], v[8:9]
	flat_load_dwordx2 v[14:15], v[6:7]
	s_waitcnt vmcnt(0) lgkmcnt(0)
	v_mul_f64 v[6:7], v[12:13], s[12:13]
	v_mul_f64 v[8:9], v[14:15], s[12:13]
	s_and_b64 vcc, exec, s[4:5]
	s_cbranch_vccnz .LBB137_16
.LBB137_13:
	v_mov_b32_e32 v1, 0
	v_lshl_add_u64 v[12:13], s[20:21], 0, v[0:1]
	v_mad_i64_i32 v[14:15], s[2:3], v137, s28, 0
	v_lshl_add_u64 v[14:15], v[14:15], 3, v[12:13]
	v_mad_i64_i32 v[16:17], s[2:3], v136, s28, 0
	v_lshl_add_u64 v[12:13], v[16:17], 3, v[12:13]
	flat_load_dwordx2 v[16:17], v[14:15] offset:32
	flat_load_dwordx2 v[18:19], v[12:13] offset:32
	s_waitcnt vmcnt(0) lgkmcnt(0)
	v_mul_f64 v[128:129], v[16:17], s[12:13]
	v_mul_f64 v[130:131], v[18:19], s[12:13]
	s_and_b64 vcc, exec, s[4:5]
	s_cbranch_vccnz .LBB137_17
.LBB137_14:
	v_mov_b32_e32 v1, 0
	v_lshl_add_u64 v[12:13], s[22:23], 0, v[0:1]
	s_waitcnt lgkmcnt(0)
	v_mad_i64_i32 v[14:15], s[2:3], v139, s18, 0
	v_lshl_add_u64 v[14:15], v[14:15], 3, v[12:13]
	v_mad_i64_i32 v[16:17], s[2:3], v138, s18, 0
	v_lshl_add_u64 v[12:13], v[16:17], 3, v[12:13]
	flat_load_dwordx2 v[16:17], v[14:15] offset:32
	flat_load_dwordx2 v[18:19], v[12:13] offset:32
	s_waitcnt vmcnt(0) lgkmcnt(0)
	v_mul_f64 v[132:133], v[16:17], s[12:13]
	v_mul_f64 v[134:135], v[18:19], s[12:13]
	s_branch .LBB137_18
.LBB137_15:
	v_mov_b64_e32 v[6:7], 0
	v_mov_b64_e32 v[8:9], 0
	s_and_b64 vcc, exec, s[4:5]
	s_cbranch_vccz .LBB137_13
.LBB137_16:
	v_mov_b64_e32 v[128:129], 0
	v_mov_b64_e32 v[130:131], 0
	s_and_b64 vcc, exec, s[4:5]
	s_cbranch_vccz .LBB137_14
.LBB137_17:
	v_mov_b64_e32 v[132:133], 0
	v_mov_b64_e32 v[134:135], 0
.LBB137_18:
	v_lshl_or_b32 v149, v10, 5, v0
	v_lshlrev_b32_e32 v140, 5, v147
	ds_write2st64_b64 v149, v[2:3], v[4:5] offset1:4
	v_add_u32_e32 v150, 0x2000, v149
	ds_write2st64_b64 v149, v[6:7], v[8:9] offset0:16 offset1:20
	v_lshlrev_b32_e32 v151, 5, v146
	v_add_u32_e32 v152, 0x2000, v140
	s_mov_b32 s2, 0
	v_mov_b64_e32 v[126:127], 0
	v_mov_b64_e32 v[124:125], 0
	;; [unrolled: 1-line block ×64, first 2 shown]
	s_waitcnt lgkmcnt(0)
	s_barrier
.LBB137_19:                             ; =>This Inner Loop Header: Depth=1
	v_add_u32_e32 v141, s2, v151
	v_add_u32_e32 v153, s2, v152
	ds_read2_b64 v[142:145], v141 offset1:16
	ds_read2_b64 v[154:157], v141 offset0:32 offset1:48
	ds_read2_b64 v[158:161], v141 offset0:64 offset1:80
	;; [unrolled: 1-line block ×7, first 2 shown]
	ds_read2st64_b64 v[182:185], v153 offset1:4
	v_add_u32_e32 v141, 0x800, v141
	ds_read2_b64 v[186:189], v141 offset1:16
	ds_read2_b64 v[190:193], v141 offset0:32 offset1:48
	ds_read2_b64 v[194:197], v141 offset0:64 offset1:80
	ds_read2_b64 v[198:201], v141 offset0:96 offset1:112
	ds_read2_b64 v[202:205], v141 offset0:128 offset1:144
	ds_read2_b64 v[206:209], v141 offset0:160 offset1:176
	ds_read2_b64 v[210:213], v141 offset0:192 offset1:208
	ds_read2_b64 v[214:217], v141 offset0:224 offset1:240
	s_waitcnt lgkmcnt(14)
	v_max_f64 v[142:143], v[142:143], v[142:143]
	v_max_f64 v[144:145], v[144:145], v[144:145]
	;; [unrolled: 1-line block ×6, first 2 shown]
	s_waitcnt lgkmcnt(13)
	v_max_f64 v[162:163], v[162:163], v[162:163]
	v_max_f64 v[164:165], v[164:165], v[164:165]
	s_waitcnt lgkmcnt(12)
	v_max_f64 v[166:167], v[166:167], v[166:167]
	v_max_f64 v[168:169], v[168:169], v[168:169]
	;; [unrolled: 3-line block ×14, first 2 shown]
	v_min_f64 v[218:219], v[142:143], v[182:183]
	v_min_f64 v[220:221], v[144:145], v[182:183]
	;; [unrolled: 1-line block ×32, first 2 shown]
	s_add_i32 s2, s2, 8
	v_add_f64 v[62:63], v[142:143], v[62:63]
	v_add_f64 v[60:61], v[144:145], v[60:61]
	;; [unrolled: 1-line block ×16, first 2 shown]
	v_min_f64 v[142:143], v[186:187], v[182:183]
	v_min_f64 v[144:145], v[188:189], v[182:183]
	;; [unrolled: 1-line block ×32, first 2 shown]
	s_cmp_eq_u32 s2, 32
	v_add_f64 v[126:127], v[218:219], v[126:127]
	v_add_f64 v[124:125], v[220:221], v[124:125]
	;; [unrolled: 1-line block ×48, first 2 shown]
	s_cbranch_scc0 .LBB137_19
; %bb.20:
	s_load_dword s19, s[0:1], 0x8
	ds_write2st64_b64 v149, v[128:129], v[130:131] offset0:8 offset1:12
	ds_write2st64_b64 v149, v[132:133], v[134:135] offset0:24 offset1:28
	s_waitcnt lgkmcnt(0)
	s_barrier
	s_cmp_gt_i32 s19, 8
	s_cbranch_scc1 .LBB137_22
; %bb.21:
	v_add_u32_e32 v153, 0x1000, v151
	v_add_u32_e32 v154, 0x3000, v140
	s_cbranch_execz .LBB137_23
	s_branch .LBB137_39
.LBB137_22:
                                        ; implicit-def: $vgpr153
                                        ; implicit-def: $vgpr154
.LBB137_23:
	s_add_i32 s2, s19, -8
	v_mad_i64_i32 v[132:133], s[24:25], v139, s18, 0
	v_mad_i64_i32 v[134:135], s[18:19], v138, s18, 0
	v_add_u32_e32 v155, 0x1000, v149
	v_add_u32_e32 v156, 0x3000, v149
	v_mad_i64_i32 v[128:129], s[24:25], v137, s28, 0
	v_mad_i64_i32 v[130:131], s[24:25], v136, s28, 0
	v_add_u32_e32 v153, 0x1000, v151
	v_add_u32_e32 v154, 0x3000, v140
	s_mov_b32 s3, 8
	s_mov_b32 s18, 0
	v_mov_b32_e32 v137, 0
.LBB137_24:                             ; =>This Loop Header: Depth=1
                                        ;     Child Loop BB137_30 Depth 2
                                        ;     Child Loop BB137_37 Depth 2
	s_and_b64 vcc, exec, s[4:5]
	v_or_b32_e32 v136, s3, v148
	s_cbranch_vccnz .LBB137_27
; %bb.25:                               ;   in Loop: Header=BB137_24 Depth=1
	v_lshl_add_u64 v[138:139], v[136:137], 3, s[20:21]
	v_lshl_add_u64 v[140:141], v[128:129], 3, v[138:139]
	;; [unrolled: 1-line block ×3, first 2 shown]
	flat_load_dwordx2 v[140:141], v[140:141]
	s_nop 0
	flat_load_dwordx2 v[142:143], v[138:139]
	s_waitcnt vmcnt(0) lgkmcnt(0)
	v_mul_f64 v[138:139], v[140:141], s[12:13]
	v_mul_f64 v[140:141], v[142:143], s[12:13]
	s_and_b64 vcc, exec, s[4:5]
	s_cbranch_vccnz .LBB137_28
.LBB137_26:                             ;   in Loop: Header=BB137_24 Depth=1
	v_lshl_add_u64 v[142:143], v[136:137], 3, s[22:23]
	v_lshl_add_u64 v[144:145], v[132:133], 3, v[142:143]
	;; [unrolled: 1-line block ×3, first 2 shown]
	flat_load_dwordx2 v[144:145], v[144:145]
	s_nop 0
	flat_load_dwordx2 v[158:159], v[142:143]
	s_waitcnt vmcnt(0) lgkmcnt(0)
	v_mul_f64 v[142:143], v[144:145], s[12:13]
	v_mul_f64 v[144:145], v[158:159], s[12:13]
	s_branch .LBB137_29
.LBB137_27:                             ;   in Loop: Header=BB137_24 Depth=1
	v_mov_b64_e32 v[138:139], 0
	v_mov_b64_e32 v[140:141], 0
	s_and_b64 vcc, exec, s[4:5]
	s_cbranch_vccz .LBB137_26
.LBB137_28:                             ;   in Loop: Header=BB137_24 Depth=1
	v_mov_b64_e32 v[142:143], 0
	v_mov_b64_e32 v[144:145], 0
.LBB137_29:                             ;   in Loop: Header=BB137_24 Depth=1
	s_mov_b32 s19, 0
.LBB137_30:                             ;   Parent Loop BB137_24 Depth=1
                                        ; =>  This Inner Loop Header: Depth=2
	v_add_u32_e32 v157, s19, v153
	ds_read2_b64 v[158:161], v157 offset1:16
	ds_read2_b64 v[162:165], v157 offset0:32 offset1:48
	ds_read2_b64 v[166:169], v157 offset0:64 offset1:80
	;; [unrolled: 1-line block ×7, first 2 shown]
	v_add_u32_e32 v157, 0x800, v157
	ds_read2_b64 v[190:193], v157 offset1:16
	ds_read2_b64 v[194:197], v157 offset0:32 offset1:48
	ds_read2_b64 v[198:201], v157 offset0:64 offset1:80
	;; [unrolled: 1-line block ×7, first 2 shown]
	v_add_u32_e32 v157, s19, v154
	ds_read2st64_b64 v[222:225], v157 offset1:4
	s_waitcnt lgkmcnt(14)
	v_max_f64 v[158:159], v[158:159], v[158:159]
	v_max_f64 v[160:161], v[160:161], v[160:161]
	v_max_f64 v[162:163], v[162:163], v[162:163]
	v_max_f64 v[164:165], v[164:165], v[164:165]
	s_waitcnt lgkmcnt(0)
	v_max_f64 v[222:223], v[222:223], v[222:223]
	v_min_f64 v[226:227], v[158:159], v[222:223]
	v_add_f64 v[126:127], v[226:227], v[126:127]
	v_min_f64 v[226:227], v[160:161], v[222:223]
	v_add_f64 v[124:125], v[226:227], v[124:125]
	;; [unrolled: 2-line block ×3, first 2 shown]
	v_min_f64 v[226:227], v[164:165], v[222:223]
	v_max_f64 v[166:167], v[166:167], v[166:167]
	v_add_f64 v[120:121], v[226:227], v[120:121]
	v_min_f64 v[226:227], v[166:167], v[222:223]
	v_max_f64 v[168:169], v[168:169], v[168:169]
	v_add_f64 v[118:119], v[226:227], v[118:119]
	;; [unrolled: 3-line block ×26, first 2 shown]
	v_min_f64 v[226:227], v[216:217], v[222:223]
	v_max_f64 v[218:219], v[218:219], v[218:219]
	v_max_f64 v[220:221], v[220:221], v[220:221]
	v_add_f64 v[68:69], v[226:227], v[68:69]
	v_min_f64 v[226:227], v[218:219], v[222:223]
	v_min_f64 v[222:223], v[220:221], v[222:223]
	v_add_f64 v[64:65], v[222:223], v[64:65]
	v_max_f64 v[222:223], v[224:225], v[224:225]
	v_min_f64 v[158:159], v[158:159], v[222:223]
	v_add_f64 v[62:63], v[158:159], v[62:63]
	v_min_f64 v[158:159], v[160:161], v[222:223]
	v_add_f64 v[60:61], v[158:159], v[60:61]
	;; [unrolled: 2-line block ×31, first 2 shown]
	v_min_f64 v[158:159], v[220:221], v[222:223]
	s_add_i32 s19, s19, 8
	v_add_f64 v[66:67], v[226:227], v[66:67]
	v_add_f64 v[0:1], v[158:159], v[0:1]
	s_cmp_eq_u32 s19, 32
	s_cbranch_scc0 .LBB137_30
; %bb.31:                               ;   in Loop: Header=BB137_24 Depth=1
	s_and_b64 vcc, exec, s[4:5]
	ds_write2st64_b64 v149, v[138:139], v[140:141] offset1:4
	ds_write2st64_b64 v150, v[142:143], v[144:145] offset1:4
	s_waitcnt lgkmcnt(0)
	s_barrier
	s_cbranch_vccnz .LBB137_34
; %bb.32:                               ;   in Loop: Header=BB137_24 Depth=1
	v_lshl_add_u64 v[138:139], v[136:137], 3, s[20:21]
	v_lshl_add_u64 v[140:141], v[128:129], 3, v[138:139]
	;; [unrolled: 1-line block ×3, first 2 shown]
	flat_load_dwordx2 v[140:141], v[140:141] offset:32
	s_nop 0
	flat_load_dwordx2 v[142:143], v[138:139] offset:32
	s_waitcnt vmcnt(0) lgkmcnt(0)
	v_mul_f64 v[138:139], v[140:141], s[12:13]
	v_mul_f64 v[140:141], v[142:143], s[12:13]
	s_and_b64 vcc, exec, s[4:5]
	s_cbranch_vccnz .LBB137_35
.LBB137_33:                             ;   in Loop: Header=BB137_24 Depth=1
	v_lshl_add_u64 v[142:143], v[136:137], 3, s[22:23]
	v_lshl_add_u64 v[144:145], v[132:133], 3, v[142:143]
	;; [unrolled: 1-line block ×3, first 2 shown]
	flat_load_dwordx2 v[144:145], v[144:145] offset:32
	s_nop 0
	flat_load_dwordx2 v[158:159], v[142:143] offset:32
	s_waitcnt vmcnt(0) lgkmcnt(0)
	v_mul_f64 v[142:143], v[144:145], s[12:13]
	v_mul_f64 v[144:145], v[158:159], s[12:13]
	s_branch .LBB137_36
.LBB137_34:                             ;   in Loop: Header=BB137_24 Depth=1
	v_mov_b64_e32 v[138:139], 0
	v_mov_b64_e32 v[140:141], 0
	s_and_b64 vcc, exec, s[4:5]
	s_cbranch_vccz .LBB137_33
.LBB137_35:                             ;   in Loop: Header=BB137_24 Depth=1
	v_mov_b64_e32 v[142:143], 0
	v_mov_b64_e32 v[144:145], 0
.LBB137_36:                             ;   in Loop: Header=BB137_24 Depth=1
	s_mov_b32 s19, 0
.LBB137_37:                             ;   Parent Loop BB137_24 Depth=1
                                        ; =>  This Inner Loop Header: Depth=2
	v_add_u32_e32 v136, s19, v151
	ds_read2_b64 v[158:161], v136 offset1:16
	ds_read2_b64 v[162:165], v136 offset0:32 offset1:48
	ds_read2_b64 v[166:169], v136 offset0:64 offset1:80
	;; [unrolled: 1-line block ×7, first 2 shown]
	v_add_u32_e32 v136, 0x800, v136
	ds_read2_b64 v[190:193], v136 offset1:16
	ds_read2_b64 v[194:197], v136 offset0:32 offset1:48
	ds_read2_b64 v[198:201], v136 offset0:64 offset1:80
	ds_read2_b64 v[202:205], v136 offset0:96 offset1:112
	ds_read2_b64 v[206:209], v136 offset0:128 offset1:144
	ds_read2_b64 v[210:213], v136 offset0:160 offset1:176
	ds_read2_b64 v[214:217], v136 offset0:192 offset1:208
	ds_read2_b64 v[218:221], v136 offset0:224 offset1:240
	v_add_u32_e32 v136, s19, v152
	ds_read2st64_b64 v[222:225], v136 offset1:4
	s_waitcnt lgkmcnt(14)
	v_max_f64 v[158:159], v[158:159], v[158:159]
	v_max_f64 v[160:161], v[160:161], v[160:161]
	;; [unrolled: 1-line block ×4, first 2 shown]
	s_waitcnt lgkmcnt(0)
	v_max_f64 v[222:223], v[222:223], v[222:223]
	v_min_f64 v[226:227], v[158:159], v[222:223]
	v_add_f64 v[126:127], v[226:227], v[126:127]
	v_min_f64 v[226:227], v[160:161], v[222:223]
	v_add_f64 v[124:125], v[226:227], v[124:125]
	;; [unrolled: 2-line block ×3, first 2 shown]
	v_min_f64 v[226:227], v[164:165], v[222:223]
	v_max_f64 v[166:167], v[166:167], v[166:167]
	v_add_f64 v[120:121], v[226:227], v[120:121]
	v_min_f64 v[226:227], v[166:167], v[222:223]
	v_max_f64 v[168:169], v[168:169], v[168:169]
	v_add_f64 v[118:119], v[226:227], v[118:119]
	;; [unrolled: 3-line block ×26, first 2 shown]
	v_min_f64 v[226:227], v[216:217], v[222:223]
	v_max_f64 v[218:219], v[218:219], v[218:219]
	v_max_f64 v[220:221], v[220:221], v[220:221]
	v_add_f64 v[68:69], v[226:227], v[68:69]
	v_min_f64 v[226:227], v[218:219], v[222:223]
	v_min_f64 v[222:223], v[220:221], v[222:223]
	v_add_f64 v[64:65], v[222:223], v[64:65]
	v_max_f64 v[222:223], v[224:225], v[224:225]
	v_min_f64 v[158:159], v[158:159], v[222:223]
	v_add_f64 v[62:63], v[158:159], v[62:63]
	v_min_f64 v[158:159], v[160:161], v[222:223]
	v_add_f64 v[60:61], v[158:159], v[60:61]
	;; [unrolled: 2-line block ×31, first 2 shown]
	v_min_f64 v[158:159], v[220:221], v[222:223]
	s_add_i32 s19, s19, 8
	v_add_f64 v[66:67], v[226:227], v[66:67]
	v_add_f64 v[0:1], v[158:159], v[0:1]
	s_cmp_eq_u32 s19, 32
	s_cbranch_scc0 .LBB137_37
; %bb.38:                               ;   in Loop: Header=BB137_24 Depth=1
	s_add_i32 s3, s3, 8
	s_add_i32 s18, s18, 8
	s_cmp_ge_i32 s18, s2
	ds_write2st64_b64 v155, v[138:139], v[140:141] offset1:4
	ds_write2st64_b64 v156, v[142:143], v[144:145] offset1:4
	s_waitcnt lgkmcnt(0)
	s_barrier
	s_cbranch_scc0 .LBB137_24
.LBB137_39:
	s_mov_b32 s2, 0
.LBB137_40:                             ; =>This Inner Loop Header: Depth=1
	v_add_u32_e32 v144, s2, v153
	v_add_u32_e32 v145, s2, v154
	ds_read2_b64 v[128:131], v144 offset1:16
	ds_read2_b64 v[132:135], v144 offset0:32 offset1:48
	ds_read2_b64 v[136:139], v144 offset0:64 offset1:80
	;; [unrolled: 1-line block ×7, first 2 shown]
	v_add_u32_e32 v144, 0x800, v144
	ds_read2st64_b64 v[168:171], v145 offset1:4
	ds_read2_b64 v[172:175], v144 offset1:16
	ds_read2_b64 v[176:179], v144 offset0:32 offset1:48
	ds_read2_b64 v[180:183], v144 offset0:64 offset1:80
	ds_read2_b64 v[184:187], v144 offset0:96 offset1:112
	ds_read2_b64 v[188:191], v144 offset0:128 offset1:144
	ds_read2_b64 v[192:195], v144 offset0:160 offset1:176
	ds_read2_b64 v[196:199], v144 offset0:192 offset1:208
	ds_read2_b64 v[200:203], v144 offset0:224 offset1:240
	s_waitcnt lgkmcnt(14)
	v_max_f64 v[128:129], v[128:129], v[128:129]
	v_max_f64 v[130:131], v[130:131], v[130:131]
	;; [unrolled: 1-line block ×3, first 2 shown]
	s_waitcnt lgkmcnt(8)
	v_max_f64 v[144:145], v[168:169], v[168:169]
	v_max_f64 v[134:135], v[134:135], v[134:135]
	;; [unrolled: 1-line block ×15, first 2 shown]
	v_min_f64 v[170:171], v[128:129], v[144:145]
	v_min_f64 v[204:205], v[130:131], v[144:145]
	;; [unrolled: 1-line block ×16, first 2 shown]
	s_waitcnt lgkmcnt(7)
	v_max_f64 v[172:173], v[172:173], v[172:173]
	v_max_f64 v[174:175], v[174:175], v[174:175]
	s_waitcnt lgkmcnt(6)
	v_max_f64 v[176:177], v[176:177], v[176:177]
	v_max_f64 v[178:179], v[178:179], v[178:179]
	;; [unrolled: 3-line block ×8, first 2 shown]
	v_min_f64 v[128:129], v[128:129], v[168:169]
	v_min_f64 v[130:131], v[130:131], v[168:169]
	;; [unrolled: 1-line block ×16, first 2 shown]
	s_add_i32 s2, s2, 8
	v_add_f64 v[126:127], v[170:171], v[126:127]
	v_add_f64 v[124:125], v[204:205], v[124:125]
	;; [unrolled: 1-line block ×15, first 2 shown]
	v_min_f64 v[170:171], v[172:173], v[144:145]
	v_min_f64 v[204:205], v[174:175], v[144:145]
	v_min_f64 v[206:207], v[176:177], v[144:145]
	v_min_f64 v[208:209], v[178:179], v[144:145]
	v_min_f64 v[210:211], v[180:181], v[144:145]
	v_min_f64 v[212:213], v[182:183], v[144:145]
	v_min_f64 v[214:215], v[184:185], v[144:145]
	v_min_f64 v[216:217], v[186:187], v[144:145]
	v_min_f64 v[218:219], v[188:189], v[144:145]
	v_min_f64 v[220:221], v[190:191], v[144:145]
	v_min_f64 v[222:223], v[192:193], v[144:145]
	v_min_f64 v[224:225], v[194:195], v[144:145]
	v_min_f64 v[226:227], v[196:197], v[144:145]
	v_min_f64 v[228:229], v[198:199], v[144:145]
	v_min_f64 v[230:231], v[200:201], v[144:145]
	v_min_f64 v[144:145], v[202:203], v[144:145]
	v_add_f64 v[62:63], v[128:129], v[62:63]
	v_add_f64 v[60:61], v[130:131], v[60:61]
	;; [unrolled: 1-line block ×16, first 2 shown]
	v_min_f64 v[128:129], v[172:173], v[168:169]
	v_min_f64 v[130:131], v[174:175], v[168:169]
	;; [unrolled: 1-line block ×16, first 2 shown]
	s_cmp_eq_u32 s2, 32
	v_add_f64 v[96:97], v[232:233], v[96:97]
	v_add_f64 v[94:95], v[170:171], v[94:95]
	;; [unrolled: 1-line block ×33, first 2 shown]
	s_cbranch_scc0 .LBB137_40
; %bb.41:
	s_load_dwordx2 s[2:3], s[0:1], 0x78
	s_load_dword s4, s[0:1], 0x58
	s_load_dword s5, s[0:1], 0x70
	v_add_u32_e32 v130, s16, v146
	v_add_u32_e32 v170, s17, v147
	s_waitcnt lgkmcnt(0)
	s_lshl_b64 s[0:1], s[2:3], 3
	s_add_u32 s0, s14, s0
	s_addc_u32 s1, s15, s1
	v_add_u32_e32 v128, 4, v130
	v_mad_i64_i32 v[132:133], s[2:3], v170, s5, 0
	v_ashrrev_i32_e32 v131, 31, v130
	v_ashrrev_i32_e32 v129, 31, v128
	v_lshl_add_u64 v[138:139], v[132:133], 3, s[0:1]
	v_mad_i64_i32 v[132:133], s[2:3], v170, s4, 0
	s_mov_b64 vcc, s[6:7]
	s_cbranch_vccz .LBB137_44
; %bb.42:
	v_add_f64 v[134:135], v[126:127], 0
	v_lshl_add_u64 v[136:137], v[130:131], 3, v[138:139]
	s_mov_b64 s[2:3], 0
	global_store_dwordx2 v[136:137], v[134:135], off
	v_lshl_add_u64 v[146:147], v[132:133], 3, s[8:9]
	v_lshlrev_b64 v[134:135], 3, v[130:131]
	s_cbranch_execz .LBB137_45
; %bb.43:
	v_mov_b64_e32 v[136:137], s[2:3]
	s_branch .LBB137_46
.LBB137_44:
	s_mov_b64 s[2:3], -1
	v_lshl_add_u64 v[146:147], v[132:133], 3, s[8:9]
	v_lshlrev_b64 v[134:135], 3, v[130:131]
.LBB137_45:
	v_lshl_add_u64 v[132:133], v[146:147], 0, v[134:135]
	flat_load_dwordx2 v[132:133], v[132:133]
	v_lshl_add_u64 v[136:137], v[138:139], 0, v[134:135]
	s_waitcnt vmcnt(0) lgkmcnt(0)
	v_fmac_f64_e32 v[126:127], s[10:11], v[132:133]
	global_store_dwordx2 v[136:137], v[126:127], off
	v_lshl_add_u64 v[126:127], v[128:129], 3, v[146:147]
	flat_load_dwordx2 v[126:127], v[126:127]
	s_waitcnt vmcnt(0) lgkmcnt(0)
	v_mul_f64 v[136:137], v[126:127], s[10:11]
.LBB137_46:
	v_add_u32_e32 v132, 8, v130
	v_add_u32_e32 v126, 12, v130
	v_ashrrev_i32_e32 v133, 31, v132
	v_ashrrev_i32_e32 v127, 31, v126
	v_add_f64 v[124:125], v[124:125], v[136:137]
	v_lshl_add_u64 v[136:137], v[128:129], 3, v[138:139]
	s_mov_b64 vcc, s[6:7]
	global_store_dwordx2 v[136:137], v[124:125], off
	s_cbranch_vccz .LBB137_49
; %bb.47:
	v_add_f64 v[124:125], v[122:123], 0
	v_lshl_add_u64 v[136:137], v[132:133], 3, v[138:139]
	s_mov_b64 s[2:3], 0
	global_store_dwordx2 v[136:137], v[124:125], off
	v_lshlrev_b64 v[136:137], 3, v[132:133]
	s_cbranch_execz .LBB137_50
; %bb.48:
	v_mov_b64_e32 v[140:141], s[2:3]
	s_branch .LBB137_51
.LBB137_49:
	s_mov_b64 s[2:3], -1
	v_lshlrev_b64 v[136:137], 3, v[132:133]
.LBB137_50:
	v_lshl_add_u64 v[124:125], v[146:147], 0, v[136:137]
	flat_load_dwordx2 v[124:125], v[124:125]
	v_lshl_add_u64 v[140:141], v[138:139], 0, v[136:137]
	s_waitcnt vmcnt(0) lgkmcnt(0)
	v_fmac_f64_e32 v[122:123], s[10:11], v[124:125]
	global_store_dwordx2 v[140:141], v[122:123], off
	v_lshl_add_u64 v[122:123], v[126:127], 3, v[146:147]
	flat_load_dwordx2 v[122:123], v[122:123]
	s_waitcnt vmcnt(0) lgkmcnt(0)
	v_mul_f64 v[140:141], v[122:123], s[10:11]
.LBB137_51:
	v_add_u32_e32 v124, 16, v130
	v_add_u32_e32 v122, 20, v130
	v_ashrrev_i32_e32 v125, 31, v124
	v_ashrrev_i32_e32 v123, 31, v122
	v_add_f64 v[120:121], v[120:121], v[140:141]
	v_lshl_add_u64 v[140:141], v[126:127], 3, v[138:139]
	s_mov_b64 vcc, s[6:7]
	global_store_dwordx2 v[140:141], v[120:121], off
	s_cbranch_vccz .LBB137_54
; %bb.52:
	v_add_f64 v[120:121], v[118:119], 0
	v_lshl_add_u64 v[140:141], v[124:125], 3, v[138:139]
	s_mov_b64 s[2:3], 0
	global_store_dwordx2 v[140:141], v[120:121], off
	v_lshlrev_b64 v[140:141], 3, v[124:125]
	s_cbranch_execz .LBB137_55
; %bb.53:
	v_mov_b64_e32 v[142:143], s[2:3]
	s_branch .LBB137_56
.LBB137_54:
	s_mov_b64 s[2:3], -1
	v_lshlrev_b64 v[140:141], 3, v[124:125]
.LBB137_55:
	v_lshl_add_u64 v[120:121], v[146:147], 0, v[140:141]
	flat_load_dwordx2 v[120:121], v[120:121]
	v_lshl_add_u64 v[142:143], v[138:139], 0, v[140:141]
	s_waitcnt vmcnt(0) lgkmcnt(0)
	v_fmac_f64_e32 v[118:119], s[10:11], v[120:121]
	global_store_dwordx2 v[142:143], v[118:119], off
	v_lshl_add_u64 v[118:119], v[122:123], 3, v[146:147]
	flat_load_dwordx2 v[118:119], v[118:119]
	s_waitcnt vmcnt(0) lgkmcnt(0)
	v_mul_f64 v[142:143], v[118:119], s[10:11]
.LBB137_56:
	;; [unrolled: 34-line block ×15, first 2 shown]
	v_add_f64 v[64:65], v[64:65], v[66:67]
	v_lshl_add_u64 v[66:67], v[70:71], 3, v[138:139]
	global_store_dwordx2 v[66:67], v[64:65], off
	v_add_u32_e32 v66, 64, v170
	v_mad_i64_i32 v[64:65], s[2:3], v66, s5, 0
	v_lshl_add_u64 v[64:65], v[64:65], 3, s[0:1]
	v_mad_i64_i32 v[66:67], s[0:1], v66, s4, 0
	s_mov_b64 vcc, s[6:7]
	s_cbranch_vccz .LBB137_124
; %bb.122:
	v_add_f64 v[138:139], v[62:63], 0
	v_lshl_add_u64 v[130:131], v[130:131], 3, v[64:65]
	s_mov_b64 s[0:1], 0
	global_store_dwordx2 v[130:131], v[138:139], off
	v_lshl_add_u64 v[66:67], v[66:67], 3, s[8:9]
	s_cbranch_execz .LBB137_125
; %bb.123:
	v_mov_b64_e32 v[62:63], s[0:1]
	s_branch .LBB137_126
.LBB137_124:
	s_mov_b64 s[0:1], -1
	v_lshl_add_u64 v[66:67], v[66:67], 3, s[8:9]
.LBB137_125:
	v_lshl_add_u64 v[130:131], v[66:67], 0, v[134:135]
	flat_load_dwordx2 v[130:131], v[130:131]
	v_lshl_add_u64 v[134:135], v[64:65], 0, v[134:135]
	s_waitcnt vmcnt(0) lgkmcnt(0)
	v_fmac_f64_e32 v[62:63], s[10:11], v[130:131]
	global_store_dwordx2 v[134:135], v[62:63], off
	v_lshl_add_u64 v[62:63], v[128:129], 3, v[66:67]
	flat_load_dwordx2 v[62:63], v[62:63]
	s_waitcnt vmcnt(0) lgkmcnt(0)
	v_mul_f64 v[62:63], v[62:63], s[10:11]
.LBB137_126:
	v_add_f64 v[60:61], v[60:61], v[62:63]
	v_lshl_add_u64 v[62:63], v[128:129], 3, v[64:65]
	s_mov_b64 vcc, s[6:7]
	global_store_dwordx2 v[62:63], v[60:61], off
	s_cbranch_vccz .LBB137_129
; %bb.127:
	v_add_f64 v[60:61], v[58:59], 0
	v_lshl_add_u64 v[62:63], v[132:133], 3, v[64:65]
	s_mov_b64 s[0:1], 0
	global_store_dwordx2 v[62:63], v[60:61], off
	s_cbranch_execz .LBB137_130
; %bb.128:
	v_mov_b64_e32 v[58:59], s[0:1]
	s_branch .LBB137_131
.LBB137_129:
	s_mov_b64 s[0:1], -1
.LBB137_130:
	v_lshl_add_u64 v[60:61], v[66:67], 0, v[136:137]
	flat_load_dwordx2 v[60:61], v[60:61]
	v_lshl_add_u64 v[62:63], v[64:65], 0, v[136:137]
	s_waitcnt vmcnt(0) lgkmcnt(0)
	v_fmac_f64_e32 v[58:59], s[10:11], v[60:61]
	global_store_dwordx2 v[62:63], v[58:59], off
	v_lshl_add_u64 v[58:59], v[126:127], 3, v[66:67]
	flat_load_dwordx2 v[58:59], v[58:59]
	s_waitcnt vmcnt(0) lgkmcnt(0)
	v_mul_f64 v[58:59], v[58:59], s[10:11]
.LBB137_131:
	v_add_f64 v[56:57], v[56:57], v[58:59]
	v_lshl_add_u64 v[58:59], v[126:127], 3, v[64:65]
	s_mov_b64 vcc, s[6:7]
	global_store_dwordx2 v[58:59], v[56:57], off
	s_cbranch_vccz .LBB137_134
; %bb.132:
	v_add_f64 v[56:57], v[54:55], 0
	v_lshl_add_u64 v[58:59], v[124:125], 3, v[64:65]
	s_mov_b64 s[0:1], 0
	global_store_dwordx2 v[58:59], v[56:57], off
	s_cbranch_execz .LBB137_135
; %bb.133:
	v_mov_b64_e32 v[54:55], s[0:1]
	s_branch .LBB137_136
.LBB137_134:
	s_mov_b64 s[0:1], -1
.LBB137_135:
	v_lshl_add_u64 v[56:57], v[66:67], 0, v[140:141]
	flat_load_dwordx2 v[56:57], v[56:57]
	v_lshl_add_u64 v[58:59], v[64:65], 0, v[140:141]
	s_waitcnt vmcnt(0) lgkmcnt(0)
	v_fmac_f64_e32 v[54:55], s[10:11], v[56:57]
	global_store_dwordx2 v[58:59], v[54:55], off
	v_lshl_add_u64 v[54:55], v[122:123], 3, v[66:67]
	flat_load_dwordx2 v[54:55], v[54:55]
	s_waitcnt vmcnt(0) lgkmcnt(0)
	v_mul_f64 v[54:55], v[54:55], s[10:11]
.LBB137_136:
	;; [unrolled: 28-line block ×14, first 2 shown]
	v_add_f64 v[4:5], v[4:5], v[6:7]
	v_lshl_add_u64 v[6:7], v[74:75], 3, v[64:65]
	s_mov_b64 vcc, s[6:7]
	global_store_dwordx2 v[6:7], v[4:5], off
	s_cbranch_vccz .LBB137_199
; %bb.197:
	v_add_f64 v[4:5], v[2:3], 0
	v_lshl_add_u64 v[6:7], v[72:73], 3, v[64:65]
	s_mov_b64 s[0:1], 0
	global_store_dwordx2 v[6:7], v[4:5], off
	s_cbranch_execz .LBB137_200
; %bb.198:
	v_mov_b64_e32 v[2:3], s[0:1]
	v_add_f64 v[0:1], v[0:1], v[2:3]
	v_lshl_add_u64 v[2:3], v[70:71], 3, v[64:65]
	global_store_dwordx2 v[2:3], v[0:1], off
	s_endpgm
.LBB137_199:
	s_mov_b64 s[0:1], -1
.LBB137_200:
	v_lshl_add_u64 v[4:5], v[66:67], 0, v[68:69]
	flat_load_dwordx2 v[4:5], v[4:5]
	v_lshl_add_u64 v[6:7], v[64:65], 0, v[68:69]
	s_waitcnt vmcnt(0) lgkmcnt(0)
	v_fmac_f64_e32 v[2:3], s[10:11], v[4:5]
	global_store_dwordx2 v[6:7], v[2:3], off
	v_lshl_add_u64 v[2:3], v[70:71], 3, v[66:67]
	flat_load_dwordx2 v[2:3], v[2:3]
	s_waitcnt vmcnt(0) lgkmcnt(0)
	v_mul_f64 v[2:3], v[2:3], s[10:11]
	v_add_f64 v[0:1], v[0:1], v[2:3]
	v_lshl_add_u64 v[2:3], v[70:71], 3, v[64:65]
	global_store_dwordx2 v[2:3], v[0:1], off
	s_endpgm
	.section	.rodata,"a",@progbits
	.p2align	6, 0x0
	.amdhsa_kernel _ZN12_GLOBAL__N_120geam_min_plus_kernelIdddLi4ELi64ELi128ELi128ELi4ELi4ELi64ELi4ELi64ELc84ELc78ELb0ELb0ELb0EdKPKdKPdEEviiiT16_PT17_ilS8_ilS6_S8_ilPT18_ili26rocblas_geam_ex_operation_
		.amdhsa_group_segment_fixed_size 16384
		.amdhsa_private_segment_fixed_size 0
		.amdhsa_kernarg_size 136
		.amdhsa_user_sgpr_count 2
		.amdhsa_user_sgpr_dispatch_ptr 0
		.amdhsa_user_sgpr_queue_ptr 0
		.amdhsa_user_sgpr_kernarg_segment_ptr 1
		.amdhsa_user_sgpr_dispatch_id 0
		.amdhsa_user_sgpr_kernarg_preload_length 0
		.amdhsa_user_sgpr_kernarg_preload_offset 0
		.amdhsa_user_sgpr_private_segment_size 0
		.amdhsa_uses_dynamic_stack 0
		.amdhsa_enable_private_segment 0
		.amdhsa_system_sgpr_workgroup_id_x 1
		.amdhsa_system_sgpr_workgroup_id_y 0
		.amdhsa_system_sgpr_workgroup_id_z 1
		.amdhsa_system_sgpr_workgroup_info 0
		.amdhsa_system_vgpr_workitem_id 1
		.amdhsa_next_free_vgpr 250
		.amdhsa_next_free_sgpr 29
		.amdhsa_accum_offset 252
		.amdhsa_reserve_vcc 1
		.amdhsa_float_round_mode_32 0
		.amdhsa_float_round_mode_16_64 0
		.amdhsa_float_denorm_mode_32 3
		.amdhsa_float_denorm_mode_16_64 3
		.amdhsa_dx10_clamp 1
		.amdhsa_ieee_mode 1
		.amdhsa_fp16_overflow 0
		.amdhsa_tg_split 0
		.amdhsa_exception_fp_ieee_invalid_op 0
		.amdhsa_exception_fp_denorm_src 0
		.amdhsa_exception_fp_ieee_div_zero 0
		.amdhsa_exception_fp_ieee_overflow 0
		.amdhsa_exception_fp_ieee_underflow 0
		.amdhsa_exception_fp_ieee_inexact 0
		.amdhsa_exception_int_div_zero 0
	.end_amdhsa_kernel
	.section	.text._ZN12_GLOBAL__N_120geam_min_plus_kernelIdddLi4ELi64ELi128ELi128ELi4ELi4ELi64ELi4ELi64ELc84ELc78ELb0ELb0ELb0EdKPKdKPdEEviiiT16_PT17_ilS8_ilS6_S8_ilPT18_ili26rocblas_geam_ex_operation_,"axG",@progbits,_ZN12_GLOBAL__N_120geam_min_plus_kernelIdddLi4ELi64ELi128ELi128ELi4ELi4ELi64ELi4ELi64ELc84ELc78ELb0ELb0ELb0EdKPKdKPdEEviiiT16_PT17_ilS8_ilS6_S8_ilPT18_ili26rocblas_geam_ex_operation_,comdat
.Lfunc_end137:
	.size	_ZN12_GLOBAL__N_120geam_min_plus_kernelIdddLi4ELi64ELi128ELi128ELi4ELi4ELi64ELi4ELi64ELc84ELc78ELb0ELb0ELb0EdKPKdKPdEEviiiT16_PT17_ilS8_ilS6_S8_ilPT18_ili26rocblas_geam_ex_operation_, .Lfunc_end137-_ZN12_GLOBAL__N_120geam_min_plus_kernelIdddLi4ELi64ELi128ELi128ELi4ELi4ELi64ELi4ELi64ELc84ELc78ELb0ELb0ELb0EdKPKdKPdEEviiiT16_PT17_ilS8_ilS6_S8_ilPT18_ili26rocblas_geam_ex_operation_
                                        ; -- End function
	.section	.AMDGPU.csdata,"",@progbits
; Kernel info:
; codeLenInByte = 13072
; NumSgprs: 35
; NumVgprs: 250
; NumAgprs: 0
; TotalNumVgprs: 250
; ScratchSize: 0
; MemoryBound: 0
; FloatMode: 240
; IeeeMode: 1
; LDSByteSize: 16384 bytes/workgroup (compile time only)
; SGPRBlocks: 4
; VGPRBlocks: 31
; NumSGPRsForWavesPerEU: 35
; NumVGPRsForWavesPerEU: 250
; AccumOffset: 252
; Occupancy: 2
; WaveLimiterHint : 1
; COMPUTE_PGM_RSRC2:SCRATCH_EN: 0
; COMPUTE_PGM_RSRC2:USER_SGPR: 2
; COMPUTE_PGM_RSRC2:TRAP_HANDLER: 0
; COMPUTE_PGM_RSRC2:TGID_X_EN: 1
; COMPUTE_PGM_RSRC2:TGID_Y_EN: 0
; COMPUTE_PGM_RSRC2:TGID_Z_EN: 1
; COMPUTE_PGM_RSRC2:TIDIG_COMP_CNT: 1
; COMPUTE_PGM_RSRC3_GFX90A:ACCUM_OFFSET: 62
; COMPUTE_PGM_RSRC3_GFX90A:TG_SPLIT: 0
	.section	.text._ZN12_GLOBAL__N_120geam_min_plus_kernelIdddLi4ELi64ELi128ELi128ELi4ELi4ELi64ELi4ELi64ELc84ELc78ELb0ELb1ELb0EPKdKS2_KPdEEviiiT16_PT17_ilS8_ilS6_S8_ilPT18_ili26rocblas_geam_ex_operation_,"axG",@progbits,_ZN12_GLOBAL__N_120geam_min_plus_kernelIdddLi4ELi64ELi128ELi128ELi4ELi4ELi64ELi4ELi64ELc84ELc78ELb0ELb1ELb0EPKdKS2_KPdEEviiiT16_PT17_ilS8_ilS6_S8_ilPT18_ili26rocblas_geam_ex_operation_,comdat
	.globl	_ZN12_GLOBAL__N_120geam_min_plus_kernelIdddLi4ELi64ELi128ELi128ELi4ELi4ELi64ELi4ELi64ELc84ELc78ELb0ELb1ELb0EPKdKS2_KPdEEviiiT16_PT17_ilS8_ilS6_S8_ilPT18_ili26rocblas_geam_ex_operation_ ; -- Begin function _ZN12_GLOBAL__N_120geam_min_plus_kernelIdddLi4ELi64ELi128ELi128ELi4ELi4ELi64ELi4ELi64ELc84ELc78ELb0ELb1ELb0EPKdKS2_KPdEEviiiT16_PT17_ilS8_ilS6_S8_ilPT18_ili26rocblas_geam_ex_operation_
	.p2align	8
	.type	_ZN12_GLOBAL__N_120geam_min_plus_kernelIdddLi4ELi64ELi128ELi128ELi4ELi4ELi64ELi4ELi64ELc84ELc78ELb0ELb1ELb0EPKdKS2_KPdEEviiiT16_PT17_ilS8_ilS6_S8_ilPT18_ili26rocblas_geam_ex_operation_,@function
_ZN12_GLOBAL__N_120geam_min_plus_kernelIdddLi4ELi64ELi128ELi128ELi4ELi4ELi64ELi4ELi64ELc84ELc78ELb0ELb1ELb0EPKdKS2_KPdEEviiiT16_PT17_ilS8_ilS6_S8_ilPT18_ili26rocblas_geam_ex_operation_: ; @_ZN12_GLOBAL__N_120geam_min_plus_kernelIdddLi4ELi64ELi128ELi128ELi4ELi4ELi64ELi4ELi64ELc84ELc78ELb0ELb1ELb0EPKdKS2_KPdEEviiiT16_PT17_ilS8_ilS6_S8_ilPT18_ili26rocblas_geam_ex_operation_
; %bb.0:
	s_load_dwordx4 s[12:15], s[0:1], 0x10
	s_load_dwordx4 s[4:7], s[0:1], 0x28
	s_mov_b32 s8, s3
	s_mov_b32 s9, 0
	s_lshl_b64 s[22:23], s[8:9], 3
	s_waitcnt lgkmcnt(0)
	s_add_u32 s18, s12, s22
	s_load_dwordx4 s[8:11], s[0:1], 0x40
	s_addc_u32 s19, s13, s23
	s_load_dwordx2 s[16:17], s[18:19], 0x0
	s_load_dwordx2 s[12:13], s[0:1], 0x50
	s_mov_b64 s[18:19], 0
	s_waitcnt lgkmcnt(0)
	s_add_u32 s10, s10, s22
	v_cmp_eq_f64_e64 s[20:21], s[16:17], 0
	s_addc_u32 s11, s11, s23
	v_cmp_neq_f64_e64 s[24:25], s[16:17], 0
	s_and_b64 vcc, exec, s[20:21]
	s_mov_b64 s[20:21], 0
	s_cbranch_vccnz .LBB138_2
; %bb.1:
	s_add_u32 s14, s14, s22
	s_addc_u32 s15, s15, s23
	s_load_dwordx2 s[14:15], s[14:15], 0x0
	s_lshl_b64 s[4:5], s[4:5], 3
	s_waitcnt lgkmcnt(0)
	s_add_u32 s20, s14, s4
	s_addc_u32 s21, s15, s5
.LBB138_2:
	s_load_dwordx2 s[70:71], s[10:11], 0x0
	s_andn2_b64 vcc, exec, s[24:25]
	s_cbranch_vccnz .LBB138_4
; %bb.3:
	s_add_u32 s4, s6, s22
	s_addc_u32 s5, s7, s23
	s_load_dwordx2 s[4:5], s[4:5], 0x0
	s_lshl_b64 s[6:7], s[8:9], 3
	s_waitcnt lgkmcnt(0)
	s_add_u32 s18, s4, s6
	s_addc_u32 s19, s5, s7
.LBB138_4:
	s_load_dwordx4 s[4:7], s[0:1], 0x60
	s_waitcnt lgkmcnt(0)
	v_cmp_eq_f64_e64 s[8:9], s[70:71], 0
	s_mov_b64 s[76:77], 0
	v_cmp_neq_f64_e64 s[10:11], s[70:71], 0
	s_and_b64 vcc, exec, s[8:9]
	s_cbranch_vccnz .LBB138_6
; %bb.5:
	s_add_u32 s8, s12, s22
	s_addc_u32 s9, s13, s23
	s_load_dwordx2 s[8:9], s[8:9], 0x0
	s_lshl_b64 s[4:5], s[4:5], 3
	s_waitcnt lgkmcnt(0)
	s_add_u32 s76, s8, s4
	s_addc_u32 s77, s9, s5
.LBB138_6:
	s_load_dwordx4 s[72:75], s[0:1], 0x0
	s_load_dword s28, s[0:1], 0x20
	s_add_u32 s4, s6, s22
	s_addc_u32 s5, s7, s23
	v_and_b32_e32 v146, 0x3ff, v0
	s_waitcnt lgkmcnt(0)
	s_add_i32 s3, s72, -1
	s_ashr_i32 s6, s3, 31
	s_lshr_b32 s6, s6, 25
	s_add_i32 s3, s3, s6
	s_ashr_i32 s3, s3, 7
	s_add_i32 s6, s3, 1
	v_cvt_f32_u32_e32 v1, s6
	v_bfe_u32 v147, v0, 10, 10
	s_load_dwordx2 s[12:13], s[4:5], 0x0
	s_not_b32 s3, s3
	v_rcp_iflag_f32_e32 v0, v1
	v_lshrrev_b32_e32 v1, 2, v146
	v_add_u32_e32 v12, v1, v147
	v_and_b32_e32 v148, 3, v146
	v_mul_f32_e32 v0, 0x4f7ffffe, v0
	v_cvt_u32_f32_e32 v0, v0
	v_cmp_le_i32_e32 vcc, s74, v148
	v_cmp_eq_f64_e64 s[14:15], s[16:17], 0
	v_readfirstlane_b32 s4, v0
	s_mul_i32 s3, s3, s4
	s_mul_hi_u32 s3, s4, s3
	s_add_i32 s4, s4, s3
	s_mul_hi_u32 s3, s2, s4
	s_mul_i32 s4, s3, s6
	s_sub_i32 s4, s2, s4
	s_add_i32 s5, s3, 1
	s_sub_i32 s7, s4, s6
	s_cmp_ge_u32 s4, s6
	s_cselect_b32 s3, s5, s3
	s_cselect_b32 s4, s7, s4
	s_add_i32 s5, s3, 1
	s_cmp_ge_u32 s4, s6
	s_cselect_b32 s8, s5, s3
	s_mul_i32 s3, s8, s6
	s_sub_i32 s2, s2, s3
	s_lshl_b32 s24, s2, 7
	v_add_u32_e32 v136, s24, v12
	s_add_i32 s26, s74, -1
	v_cmp_le_i32_e64 s[2:3], s72, v136
	v_min_i32_e32 v6, s26, v148
	s_or_b64 s[4:5], vcc, s[2:3]
	v_mov_b64_e32 v[0:1], 0
	v_ashrrev_i32_e32 v7, 31, v6
	s_or_b64 s[4:5], s[14:15], s[4:5]
	v_lshl_add_u64 v[8:9], v[6:7], 3, s[20:21]
	s_xor_b64 s[6:7], s[4:5], -1
	v_mov_b64_e32 v[2:3], v[0:1]
	s_and_saveexec_b64 s[4:5], s[6:7]
	s_cbranch_execz .LBB138_8
; %bb.7:
	v_mad_i64_i32 v[2:3], s[6:7], v136, s28, 0
	v_lshl_add_u64 v[2:3], v[2:3], 3, v[8:9]
	flat_load_dwordx2 v[2:3], v[2:3]
	s_waitcnt vmcnt(0) lgkmcnt(0)
	v_mul_f64 v[2:3], s[16:17], v[2:3]
.LBB138_8:
	s_or_b64 exec, exec, s[4:5]
	v_add_u32_e32 v137, 64, v136
	v_cmp_le_i32_e64 s[4:5], s72, v137
	s_or_b64 s[6:7], vcc, s[4:5]
	s_or_b64 s[6:7], s[14:15], s[6:7]
	s_xor_b64 s[22:23], s[6:7], -1
	v_mov_b64_e32 v[4:5], v[0:1]
	s_and_saveexec_b64 s[6:7], s[22:23]
	s_cbranch_execz .LBB138_10
; %bb.9:
	v_mad_i64_i32 v[4:5], s[22:23], v137, s28, 0
	v_lshl_add_u64 v[4:5], v[4:5], 3, v[8:9]
	flat_load_dwordx2 v[4:5], v[4:5]
	s_waitcnt vmcnt(0) lgkmcnt(0)
	v_mul_f64 v[4:5], s[16:17], v[4:5]
.LBB138_10:
	s_or_b64 exec, exec, s[6:7]
	s_lshl_b32 s25, s8, 7
	s_load_dword s29, s[0:1], 0x38
	v_add_u32_e32 v138, s25, v12
	v_cmp_le_i32_e64 s[6:7], s73, v138
	s_or_b64 s[8:9], vcc, s[6:7]
	s_or_b64 s[8:9], s[14:15], s[8:9]
	v_lshl_add_u64 v[8:9], v[6:7], 3, s[18:19]
	s_xor_b64 s[22:23], s[8:9], -1
	s_and_saveexec_b64 s[8:9], s[22:23]
	s_cbranch_execz .LBB138_12
; %bb.11:
	s_waitcnt lgkmcnt(0)
	v_mad_i64_i32 v[0:1], s[22:23], v138, s29, 0
	v_lshl_add_u64 v[0:1], v[0:1], 3, v[8:9]
	flat_load_dwordx2 v[0:1], v[0:1]
	s_waitcnt vmcnt(0) lgkmcnt(0)
	v_mul_f64 v[0:1], s[16:17], v[0:1]
.LBB138_12:
	s_or_b64 exec, exec, s[8:9]
	v_add_u32_e32 v139, 64, v138
	v_cmp_le_i32_e64 s[8:9], s73, v139
	s_or_b64 s[22:23], vcc, s[8:9]
	s_or_b64 s[22:23], s[14:15], s[22:23]
	v_mov_b64_e32 v[128:129], 0
	s_xor_b64 s[30:31], s[22:23], -1
	v_mov_b64_e32 v[6:7], v[128:129]
	s_and_saveexec_b64 s[22:23], s[30:31]
	s_cbranch_execz .LBB138_14
; %bb.13:
	s_waitcnt lgkmcnt(0)
	v_mad_i64_i32 v[6:7], s[30:31], v139, s29, 0
	v_lshl_add_u64 v[6:7], v[6:7], 3, v[8:9]
	flat_load_dwordx2 v[6:7], v[6:7]
	s_waitcnt vmcnt(0) lgkmcnt(0)
	v_mul_f64 v[6:7], s[16:17], v[6:7]
.LBB138_14:
	s_or_b64 exec, exec, s[22:23]
	v_or_b32_e32 v8, 4, v148
	v_cmp_le_i32_e32 vcc, s74, v8
	v_min_i32_e32 v8, s26, v8
	s_or_b64 s[22:23], vcc, s[2:3]
	v_ashrrev_i32_e32 v9, 31, v8
	s_or_b64 s[22:23], s[14:15], s[22:23]
	v_lshl_add_u64 v[10:11], v[8:9], 3, s[20:21]
	s_xor_b64 s[30:31], s[22:23], -1
	s_and_saveexec_b64 s[22:23], s[30:31]
	s_cbranch_execz .LBB138_16
; %bb.15:
	v_mad_i64_i32 v[14:15], s[30:31], v136, s28, 0
	v_lshl_add_u64 v[14:15], v[14:15], 3, v[10:11]
	flat_load_dwordx2 v[14:15], v[14:15]
	s_waitcnt vmcnt(0) lgkmcnt(0)
	v_mul_f64 v[128:129], s[16:17], v[14:15]
.LBB138_16:
	s_or_b64 exec, exec, s[22:23]
	s_or_b64 s[22:23], vcc, s[4:5]
	s_or_b64 s[22:23], s[14:15], s[22:23]
	v_mov_b64_e32 v[130:131], 0
	s_xor_b64 s[30:31], s[22:23], -1
	v_mov_b64_e32 v[132:133], v[130:131]
	s_and_saveexec_b64 s[22:23], s[30:31]
	s_cbranch_execz .LBB138_18
; %bb.17:
	v_mad_i64_i32 v[14:15], s[30:31], v137, s28, 0
	v_lshl_add_u64 v[10:11], v[14:15], 3, v[10:11]
	flat_load_dwordx2 v[10:11], v[10:11]
	s_waitcnt vmcnt(0) lgkmcnt(0)
	v_mul_f64 v[132:133], s[16:17], v[10:11]
.LBB138_18:
	s_or_b64 exec, exec, s[22:23]
	s_or_b64 s[22:23], vcc, s[6:7]
	s_or_b64 s[22:23], s[14:15], s[22:23]
	v_lshl_add_u64 v[8:9], v[8:9], 3, s[18:19]
	s_xor_b64 s[30:31], s[22:23], -1
	s_and_saveexec_b64 s[22:23], s[30:31]
	s_cbranch_execz .LBB138_20
; %bb.19:
	s_waitcnt lgkmcnt(0)
	v_mad_i64_i32 v[10:11], s[30:31], v138, s29, 0
	v_lshl_add_u64 v[10:11], v[10:11], 3, v[8:9]
	flat_load_dwordx2 v[10:11], v[10:11]
	s_waitcnt vmcnt(0) lgkmcnt(0)
	v_mul_f64 v[130:131], s[16:17], v[10:11]
.LBB138_20:
	s_or_b64 exec, exec, s[22:23]
	s_or_b64 s[22:23], vcc, s[8:9]
	s_or_b64 s[22:23], s[14:15], s[22:23]
	v_mov_b64_e32 v[126:127], 0
	s_xor_b64 s[30:31], s[22:23], -1
	v_mov_b64_e32 v[134:135], v[126:127]
	s_and_saveexec_b64 s[22:23], s[30:31]
	s_cbranch_execz .LBB138_22
; %bb.21:
	s_waitcnt lgkmcnt(0)
	v_mad_i64_i32 v[10:11], s[30:31], v139, s29, 0
	v_lshl_add_u64 v[8:9], v[10:11], 3, v[8:9]
	flat_load_dwordx2 v[8:9], v[8:9]
	s_waitcnt vmcnt(0) lgkmcnt(0)
	v_mul_f64 v[134:135], s[16:17], v[8:9]
.LBB138_22:
	s_or_b64 exec, exec, s[22:23]
	v_lshlrev_b32_e32 v8, 3, v148
	v_lshl_or_b32 v149, v12, 5, v8
	v_lshlrev_b32_e32 v140, 5, v147
	ds_write2st64_b64 v149, v[2:3], v[4:5] offset1:4
	v_add_u32_e32 v150, 0x2000, v149
	ds_write2st64_b64 v149, v[0:1], v[6:7] offset0:16 offset1:20
	v_lshlrev_b32_e32 v151, 5, v146
	v_add_u32_e32 v152, 0x2000, v140
	s_mov_b32 s22, 0
	v_mov_b64_e32 v[124:125], v[126:127]
	v_mov_b64_e32 v[122:123], v[126:127]
	;; [unrolled: 1-line block ×63, first 2 shown]
	s_waitcnt lgkmcnt(0)
	s_barrier
.LBB138_23:                             ; =>This Inner Loop Header: Depth=1
	v_add_u32_e32 v141, s22, v151
	v_add_u32_e32 v153, s22, v152
	ds_read2_b64 v[142:145], v141 offset1:16
	ds_read2_b64 v[154:157], v141 offset0:32 offset1:48
	ds_read2_b64 v[158:161], v141 offset0:64 offset1:80
	;; [unrolled: 1-line block ×7, first 2 shown]
	ds_read2st64_b64 v[182:185], v153 offset1:4
	v_add_u32_e32 v141, 0x800, v141
	ds_read2_b64 v[186:189], v141 offset1:16
	ds_read2_b64 v[190:193], v141 offset0:32 offset1:48
	ds_read2_b64 v[194:197], v141 offset0:64 offset1:80
	;; [unrolled: 1-line block ×7, first 2 shown]
	s_waitcnt lgkmcnt(14)
	v_max_f64 v[142:143], v[142:143], v[142:143]
	v_max_f64 v[144:145], v[144:145], v[144:145]
	;; [unrolled: 1-line block ×6, first 2 shown]
	s_waitcnt lgkmcnt(13)
	v_max_f64 v[162:163], v[162:163], v[162:163]
	v_max_f64 v[164:165], v[164:165], v[164:165]
	s_waitcnt lgkmcnt(12)
	v_max_f64 v[166:167], v[166:167], v[166:167]
	v_max_f64 v[168:169], v[168:169], v[168:169]
	;; [unrolled: 3-line block ×14, first 2 shown]
	v_min_f64 v[218:219], v[142:143], v[182:183]
	v_min_f64 v[220:221], v[144:145], v[182:183]
	v_min_f64 v[222:223], v[154:155], v[182:183]
	v_min_f64 v[224:225], v[156:157], v[182:183]
	v_min_f64 v[226:227], v[158:159], v[182:183]
	v_min_f64 v[228:229], v[160:161], v[182:183]
	v_min_f64 v[230:231], v[162:163], v[182:183]
	v_min_f64 v[232:233], v[164:165], v[182:183]
	v_min_f64 v[234:235], v[166:167], v[182:183]
	v_min_f64 v[236:237], v[168:169], v[182:183]
	v_min_f64 v[238:239], v[170:171], v[182:183]
	v_min_f64 v[240:241], v[172:173], v[182:183]
	v_min_f64 v[242:243], v[174:175], v[182:183]
	v_min_f64 v[244:245], v[176:177], v[182:183]
	v_min_f64 v[246:247], v[178:179], v[182:183]
	v_min_f64 v[248:249], v[180:181], v[182:183]
	v_min_f64 v[142:143], v[142:143], v[184:185]
	v_min_f64 v[144:145], v[144:145], v[184:185]
	v_min_f64 v[154:155], v[154:155], v[184:185]
	v_min_f64 v[156:157], v[156:157], v[184:185]
	v_min_f64 v[158:159], v[158:159], v[184:185]
	v_min_f64 v[160:161], v[160:161], v[184:185]
	v_min_f64 v[162:163], v[162:163], v[184:185]
	v_min_f64 v[164:165], v[164:165], v[184:185]
	v_min_f64 v[166:167], v[166:167], v[184:185]
	v_min_f64 v[168:169], v[168:169], v[184:185]
	v_min_f64 v[170:171], v[170:171], v[184:185]
	v_min_f64 v[172:173], v[172:173], v[184:185]
	v_min_f64 v[174:175], v[174:175], v[184:185]
	v_min_f64 v[176:177], v[176:177], v[184:185]
	v_min_f64 v[178:179], v[178:179], v[184:185]
	v_min_f64 v[180:181], v[180:181], v[184:185]
	s_add_i32 s22, s22, 8
	v_add_f64 v[62:63], v[142:143], v[62:63]
	v_add_f64 v[60:61], v[144:145], v[60:61]
	v_add_f64 v[58:59], v[154:155], v[58:59]
	v_add_f64 v[56:57], v[156:157], v[56:57]
	v_add_f64 v[54:55], v[158:159], v[54:55]
	v_add_f64 v[52:53], v[160:161], v[52:53]
	v_add_f64 v[50:51], v[162:163], v[50:51]
	v_add_f64 v[48:49], v[164:165], v[48:49]
	v_add_f64 v[46:47], v[166:167], v[46:47]
	v_add_f64 v[44:45], v[168:169], v[44:45]
	v_add_f64 v[42:43], v[170:171], v[42:43]
	v_add_f64 v[40:41], v[172:173], v[40:41]
	v_add_f64 v[38:39], v[174:175], v[38:39]
	v_add_f64 v[36:37], v[176:177], v[36:37]
	v_add_f64 v[34:35], v[178:179], v[34:35]
	v_add_f64 v[32:33], v[180:181], v[32:33]
	v_min_f64 v[142:143], v[186:187], v[182:183]
	v_min_f64 v[144:145], v[188:189], v[182:183]
	;; [unrolled: 1-line block ×32, first 2 shown]
	s_cmp_eq_u32 s22, 32
	v_add_f64 v[126:127], v[218:219], v[126:127]
	v_add_f64 v[124:125], v[220:221], v[124:125]
	;; [unrolled: 1-line block ×48, first 2 shown]
	s_cbranch_scc0 .LBB138_23
; %bb.24:
	s_cmp_gt_i32 s74, 8
	ds_write2st64_b64 v149, v[128:129], v[132:133] offset0:8 offset1:12
	ds_write2st64_b64 v149, v[130:131], v[134:135] offset0:24 offset1:28
	s_waitcnt lgkmcnt(0)
	s_barrier
	s_cbranch_scc1 .LBB138_26
; %bb.25:
	v_add_u32_e32 v153, 0x1000, v151
	v_add_u32_e32 v154, 0x3000, v140
	s_cbranch_execz .LBB138_27
	s_branch .LBB138_49
.LBB138_26:
                                        ; implicit-def: $vgpr153
                                        ; implicit-def: $vgpr154
.LBB138_27:
	v_add_u32_e32 v155, 0x1000, v149
	v_add_u32_e32 v156, 0x3000, v149
	s_add_i32 s27, s74, -8
	v_mad_i64_i32 v[128:129], s[22:23], v136, s28, 0
	v_mad_i64_i32 v[130:131], s[22:23], v137, s28, 0
	;; [unrolled: 1-line block ×4, first 2 shown]
	v_add_u32_e32 v153, 0x1000, v151
	v_add_u32_e32 v154, 0x3000, v140
	s_mov_b32 s28, 8
	s_mov_b32 s29, 0
.LBB138_28:                             ; =>This Loop Header: Depth=1
                                        ;     Child Loop BB138_37 Depth 2
                                        ;     Child Loop BB138_47 Depth 2
	v_or_b32_e32 v157, s28, v148
	v_cmp_le_i32_e32 vcc, s74, v157
	v_min_i32_e32 v140, s26, v157
	s_or_b64 s[22:23], s[2:3], vcc
	v_ashrrev_i32_e32 v141, 31, v140
	s_or_b64 s[22:23], s[14:15], s[22:23]
	v_mov_b64_e32 v[136:137], 0
	v_lshl_add_u64 v[142:143], v[140:141], 3, s[20:21]
	s_xor_b64 s[30:31], s[22:23], -1
	v_mov_b64_e32 v[138:139], v[136:137]
	s_and_saveexec_b64 s[22:23], s[30:31]
	s_cbranch_execz .LBB138_30
; %bb.29:                               ;   in Loop: Header=BB138_28 Depth=1
	v_lshl_add_u64 v[138:139], v[128:129], 3, v[142:143]
	flat_load_dwordx2 v[138:139], v[138:139]
	s_waitcnt vmcnt(0) lgkmcnt(0)
	v_mul_f64 v[138:139], s[16:17], v[138:139]
.LBB138_30:                             ;   in Loop: Header=BB138_28 Depth=1
	s_or_b64 exec, exec, s[22:23]
	s_or_b64 s[22:23], s[4:5], vcc
	s_or_b64 s[22:23], s[14:15], s[22:23]
	s_xor_b64 s[30:31], s[22:23], -1
	s_and_saveexec_b64 s[22:23], s[30:31]
	s_cbranch_execz .LBB138_32
; %bb.31:                               ;   in Loop: Header=BB138_28 Depth=1
	v_lshl_add_u64 v[136:137], v[130:131], 3, v[142:143]
	flat_load_dwordx2 v[136:137], v[136:137]
	s_waitcnt vmcnt(0) lgkmcnt(0)
	v_mul_f64 v[136:137], s[16:17], v[136:137]
.LBB138_32:                             ;   in Loop: Header=BB138_28 Depth=1
	s_or_b64 exec, exec, s[22:23]
	s_or_b64 s[22:23], s[6:7], vcc
	v_lshl_add_u64 v[144:145], v[140:141], 3, s[18:19]
	s_or_b64 s[22:23], s[14:15], s[22:23]
	v_mov_b64_e32 v[140:141], 0
	s_xor_b64 s[30:31], s[22:23], -1
	v_mov_b64_e32 v[142:143], v[140:141]
	s_and_saveexec_b64 s[22:23], s[30:31]
	s_cbranch_execz .LBB138_34
; %bb.33:                               ;   in Loop: Header=BB138_28 Depth=1
	v_lshl_add_u64 v[142:143], v[132:133], 3, v[144:145]
	flat_load_dwordx2 v[142:143], v[142:143]
	s_waitcnt vmcnt(0) lgkmcnt(0)
	v_mul_f64 v[142:143], s[16:17], v[142:143]
.LBB138_34:                             ;   in Loop: Header=BB138_28 Depth=1
	s_or_b64 exec, exec, s[22:23]
	s_or_b64 s[22:23], s[8:9], vcc
	s_or_b64 s[22:23], s[14:15], s[22:23]
	s_xor_b64 s[30:31], s[22:23], -1
	s_and_saveexec_b64 s[22:23], s[30:31]
	s_cbranch_execz .LBB138_36
; %bb.35:                               ;   in Loop: Header=BB138_28 Depth=1
	v_lshl_add_u64 v[140:141], v[134:135], 3, v[144:145]
	flat_load_dwordx2 v[140:141], v[140:141]
	s_waitcnt vmcnt(0) lgkmcnt(0)
	v_mul_f64 v[140:141], s[16:17], v[140:141]
.LBB138_36:                             ;   in Loop: Header=BB138_28 Depth=1
	s_or_b64 exec, exec, s[22:23]
	s_mov_b32 s22, 0
.LBB138_37:                             ;   Parent Loop BB138_28 Depth=1
                                        ; =>  This Inner Loop Header: Depth=2
	v_add_u32_e32 v144, s22, v153
	ds_read2_b64 v[158:161], v144 offset1:16
	ds_read2_b64 v[162:165], v144 offset0:32 offset1:48
	ds_read2_b64 v[166:169], v144 offset0:64 offset1:80
	;; [unrolled: 1-line block ×7, first 2 shown]
	v_add_u32_e32 v144, 0x800, v144
	ds_read2_b64 v[190:193], v144 offset1:16
	ds_read2_b64 v[194:197], v144 offset0:32 offset1:48
	ds_read2_b64 v[198:201], v144 offset0:64 offset1:80
	;; [unrolled: 1-line block ×7, first 2 shown]
	v_add_u32_e32 v144, s22, v154
	ds_read2st64_b64 v[222:225], v144 offset1:4
	s_waitcnt lgkmcnt(14)
	v_max_f64 v[158:159], v[158:159], v[158:159]
	v_max_f64 v[160:161], v[160:161], v[160:161]
	v_max_f64 v[162:163], v[162:163], v[162:163]
	v_max_f64 v[164:165], v[164:165], v[164:165]
	s_waitcnt lgkmcnt(0)
	v_max_f64 v[144:145], v[222:223], v[222:223]
	v_min_f64 v[222:223], v[158:159], v[144:145]
	v_add_f64 v[126:127], v[222:223], v[126:127]
	v_min_f64 v[222:223], v[160:161], v[144:145]
	v_add_f64 v[124:125], v[222:223], v[124:125]
	;; [unrolled: 2-line block ×3, first 2 shown]
	v_min_f64 v[222:223], v[164:165], v[144:145]
	v_max_f64 v[166:167], v[166:167], v[166:167]
	v_add_f64 v[120:121], v[222:223], v[120:121]
	v_min_f64 v[222:223], v[166:167], v[144:145]
	v_max_f64 v[168:169], v[168:169], v[168:169]
	v_add_f64 v[118:119], v[222:223], v[118:119]
	v_min_f64 v[222:223], v[168:169], v[144:145]
	v_max_f64 v[170:171], v[170:171], v[170:171]
	v_add_f64 v[116:117], v[222:223], v[116:117]
	v_min_f64 v[222:223], v[170:171], v[144:145]
	v_max_f64 v[172:173], v[172:173], v[172:173]
	v_add_f64 v[114:115], v[222:223], v[114:115]
	v_min_f64 v[222:223], v[172:173], v[144:145]
	v_max_f64 v[174:175], v[174:175], v[174:175]
	v_add_f64 v[112:113], v[222:223], v[112:113]
	v_min_f64 v[222:223], v[174:175], v[144:145]
	v_max_f64 v[176:177], v[176:177], v[176:177]
	v_add_f64 v[110:111], v[222:223], v[110:111]
	v_min_f64 v[222:223], v[176:177], v[144:145]
	v_max_f64 v[178:179], v[178:179], v[178:179]
	v_add_f64 v[108:109], v[222:223], v[108:109]
	v_min_f64 v[222:223], v[178:179], v[144:145]
	v_max_f64 v[180:181], v[180:181], v[180:181]
	v_add_f64 v[106:107], v[222:223], v[106:107]
	v_min_f64 v[222:223], v[180:181], v[144:145]
	v_max_f64 v[182:183], v[182:183], v[182:183]
	v_add_f64 v[104:105], v[222:223], v[104:105]
	v_min_f64 v[222:223], v[182:183], v[144:145]
	v_max_f64 v[184:185], v[184:185], v[184:185]
	v_add_f64 v[102:103], v[222:223], v[102:103]
	v_min_f64 v[222:223], v[184:185], v[144:145]
	v_max_f64 v[186:187], v[186:187], v[186:187]
	v_add_f64 v[100:101], v[222:223], v[100:101]
	v_min_f64 v[222:223], v[186:187], v[144:145]
	v_max_f64 v[188:189], v[188:189], v[188:189]
	v_add_f64 v[98:99], v[222:223], v[98:99]
	v_min_f64 v[222:223], v[188:189], v[144:145]
	v_max_f64 v[190:191], v[190:191], v[190:191]
	v_add_f64 v[96:97], v[222:223], v[96:97]
	v_min_f64 v[222:223], v[190:191], v[144:145]
	v_max_f64 v[192:193], v[192:193], v[192:193]
	v_add_f64 v[94:95], v[222:223], v[94:95]
	v_min_f64 v[222:223], v[192:193], v[144:145]
	v_max_f64 v[194:195], v[194:195], v[194:195]
	v_add_f64 v[92:93], v[222:223], v[92:93]
	v_min_f64 v[222:223], v[194:195], v[144:145]
	v_max_f64 v[196:197], v[196:197], v[196:197]
	v_add_f64 v[90:91], v[222:223], v[90:91]
	v_min_f64 v[222:223], v[196:197], v[144:145]
	v_max_f64 v[198:199], v[198:199], v[198:199]
	v_add_f64 v[88:89], v[222:223], v[88:89]
	v_min_f64 v[222:223], v[198:199], v[144:145]
	v_max_f64 v[200:201], v[200:201], v[200:201]
	v_add_f64 v[86:87], v[222:223], v[86:87]
	v_min_f64 v[222:223], v[200:201], v[144:145]
	v_max_f64 v[202:203], v[202:203], v[202:203]
	v_add_f64 v[84:85], v[222:223], v[84:85]
	v_min_f64 v[222:223], v[202:203], v[144:145]
	v_max_f64 v[204:205], v[204:205], v[204:205]
	v_add_f64 v[82:83], v[222:223], v[82:83]
	v_min_f64 v[222:223], v[204:205], v[144:145]
	v_max_f64 v[206:207], v[206:207], v[206:207]
	v_add_f64 v[80:81], v[222:223], v[80:81]
	v_min_f64 v[222:223], v[206:207], v[144:145]
	v_max_f64 v[208:209], v[208:209], v[208:209]
	v_add_f64 v[78:79], v[222:223], v[78:79]
	v_min_f64 v[222:223], v[208:209], v[144:145]
	v_max_f64 v[210:211], v[210:211], v[210:211]
	v_add_f64 v[76:77], v[222:223], v[76:77]
	v_min_f64 v[222:223], v[210:211], v[144:145]
	v_max_f64 v[212:213], v[212:213], v[212:213]
	v_add_f64 v[74:75], v[222:223], v[74:75]
	v_min_f64 v[222:223], v[212:213], v[144:145]
	v_max_f64 v[214:215], v[214:215], v[214:215]
	v_add_f64 v[72:73], v[222:223], v[72:73]
	v_min_f64 v[222:223], v[214:215], v[144:145]
	v_max_f64 v[216:217], v[216:217], v[216:217]
	v_add_f64 v[70:71], v[222:223], v[70:71]
	v_min_f64 v[222:223], v[216:217], v[144:145]
	v_max_f64 v[218:219], v[218:219], v[218:219]
	v_max_f64 v[220:221], v[220:221], v[220:221]
	v_add_f64 v[68:69], v[222:223], v[68:69]
	v_min_f64 v[222:223], v[218:219], v[144:145]
	v_min_f64 v[144:145], v[220:221], v[144:145]
	v_add_f64 v[64:65], v[144:145], v[64:65]
	v_max_f64 v[144:145], v[224:225], v[224:225]
	v_min_f64 v[158:159], v[158:159], v[144:145]
	v_add_f64 v[62:63], v[158:159], v[62:63]
	v_min_f64 v[158:159], v[160:161], v[144:145]
	v_add_f64 v[60:61], v[158:159], v[60:61]
	;; [unrolled: 2-line block ×30, first 2 shown]
	v_min_f64 v[158:159], v[218:219], v[144:145]
	v_min_f64 v[144:145], v[220:221], v[144:145]
	s_add_i32 s22, s22, 8
	v_add_f64 v[66:67], v[222:223], v[66:67]
	v_add_f64 v[2:3], v[158:159], v[2:3]
	;; [unrolled: 1-line block ×3, first 2 shown]
	s_cmp_eq_u32 s22, 32
	s_cbranch_scc0 .LBB138_37
; %bb.38:                               ;   in Loop: Header=BB138_28 Depth=1
	ds_write2st64_b64 v149, v[138:139], v[136:137] offset1:4
	ds_write2st64_b64 v150, v[142:143], v[140:141] offset1:4
	v_or_b32_e32 v136, 4, v157
	v_cmp_le_i32_e32 vcc, s74, v136
	v_min_i32_e32 v140, s26, v136
	s_or_b64 s[22:23], s[2:3], vcc
	v_ashrrev_i32_e32 v141, 31, v140
	s_or_b64 s[22:23], s[14:15], s[22:23]
	v_mov_b64_e32 v[136:137], 0
	v_lshl_add_u64 v[142:143], v[140:141], 3, s[20:21]
	s_xor_b64 s[30:31], s[22:23], -1
	v_mov_b64_e32 v[138:139], v[136:137]
	s_waitcnt lgkmcnt(0)
	s_barrier
	s_and_saveexec_b64 s[22:23], s[30:31]
	s_cbranch_execz .LBB138_40
; %bb.39:                               ;   in Loop: Header=BB138_28 Depth=1
	v_lshl_add_u64 v[138:139], v[128:129], 3, v[142:143]
	flat_load_dwordx2 v[138:139], v[138:139]
	s_waitcnt vmcnt(0) lgkmcnt(0)
	v_mul_f64 v[138:139], s[16:17], v[138:139]
.LBB138_40:                             ;   in Loop: Header=BB138_28 Depth=1
	s_or_b64 exec, exec, s[22:23]
	s_or_b64 s[22:23], s[4:5], vcc
	s_or_b64 s[22:23], s[14:15], s[22:23]
	s_xor_b64 s[30:31], s[22:23], -1
	s_and_saveexec_b64 s[22:23], s[30:31]
	s_cbranch_execz .LBB138_42
; %bb.41:                               ;   in Loop: Header=BB138_28 Depth=1
	v_lshl_add_u64 v[136:137], v[130:131], 3, v[142:143]
	flat_load_dwordx2 v[136:137], v[136:137]
	s_waitcnt vmcnt(0) lgkmcnt(0)
	v_mul_f64 v[136:137], s[16:17], v[136:137]
.LBB138_42:                             ;   in Loop: Header=BB138_28 Depth=1
	s_or_b64 exec, exec, s[22:23]
	s_or_b64 s[22:23], s[6:7], vcc
	v_lshl_add_u64 v[144:145], v[140:141], 3, s[18:19]
	s_or_b64 s[22:23], s[14:15], s[22:23]
	v_mov_b64_e32 v[140:141], 0
	s_xor_b64 s[30:31], s[22:23], -1
	v_mov_b64_e32 v[142:143], v[140:141]
	s_and_saveexec_b64 s[22:23], s[30:31]
	s_cbranch_execz .LBB138_44
; %bb.43:                               ;   in Loop: Header=BB138_28 Depth=1
	v_lshl_add_u64 v[142:143], v[132:133], 3, v[144:145]
	flat_load_dwordx2 v[142:143], v[142:143]
	s_waitcnt vmcnt(0) lgkmcnt(0)
	v_mul_f64 v[142:143], s[16:17], v[142:143]
.LBB138_44:                             ;   in Loop: Header=BB138_28 Depth=1
	s_or_b64 exec, exec, s[22:23]
	s_or_b64 s[22:23], s[8:9], vcc
	s_or_b64 s[22:23], s[14:15], s[22:23]
	s_xor_b64 s[30:31], s[22:23], -1
	s_and_saveexec_b64 s[22:23], s[30:31]
	s_cbranch_execz .LBB138_46
; %bb.45:                               ;   in Loop: Header=BB138_28 Depth=1
	v_lshl_add_u64 v[140:141], v[134:135], 3, v[144:145]
	flat_load_dwordx2 v[140:141], v[140:141]
	s_waitcnt vmcnt(0) lgkmcnt(0)
	v_mul_f64 v[140:141], s[16:17], v[140:141]
.LBB138_46:                             ;   in Loop: Header=BB138_28 Depth=1
	s_or_b64 exec, exec, s[22:23]
	s_mov_b32 s22, 0
.LBB138_47:                             ;   Parent Loop BB138_28 Depth=1
                                        ; =>  This Inner Loop Header: Depth=2
	v_add_u32_e32 v144, s22, v151
	ds_read2_b64 v[158:161], v144 offset1:16
	ds_read2_b64 v[162:165], v144 offset0:32 offset1:48
	ds_read2_b64 v[166:169], v144 offset0:64 offset1:80
	;; [unrolled: 1-line block ×7, first 2 shown]
	v_add_u32_e32 v144, 0x800, v144
	ds_read2_b64 v[190:193], v144 offset1:16
	ds_read2_b64 v[194:197], v144 offset0:32 offset1:48
	ds_read2_b64 v[198:201], v144 offset0:64 offset1:80
	;; [unrolled: 1-line block ×7, first 2 shown]
	v_add_u32_e32 v144, s22, v152
	ds_read2st64_b64 v[222:225], v144 offset1:4
	s_waitcnt lgkmcnt(14)
	v_max_f64 v[158:159], v[158:159], v[158:159]
	v_max_f64 v[160:161], v[160:161], v[160:161]
	;; [unrolled: 1-line block ×4, first 2 shown]
	s_waitcnt lgkmcnt(0)
	v_max_f64 v[144:145], v[222:223], v[222:223]
	v_min_f64 v[222:223], v[158:159], v[144:145]
	v_add_f64 v[126:127], v[222:223], v[126:127]
	v_min_f64 v[222:223], v[160:161], v[144:145]
	v_add_f64 v[124:125], v[222:223], v[124:125]
	;; [unrolled: 2-line block ×3, first 2 shown]
	v_min_f64 v[222:223], v[164:165], v[144:145]
	v_max_f64 v[166:167], v[166:167], v[166:167]
	v_add_f64 v[120:121], v[222:223], v[120:121]
	v_min_f64 v[222:223], v[166:167], v[144:145]
	v_max_f64 v[168:169], v[168:169], v[168:169]
	v_add_f64 v[118:119], v[222:223], v[118:119]
	;; [unrolled: 3-line block ×26, first 2 shown]
	v_min_f64 v[222:223], v[216:217], v[144:145]
	v_max_f64 v[218:219], v[218:219], v[218:219]
	v_max_f64 v[220:221], v[220:221], v[220:221]
	v_add_f64 v[68:69], v[222:223], v[68:69]
	v_min_f64 v[222:223], v[218:219], v[144:145]
	v_min_f64 v[144:145], v[220:221], v[144:145]
	v_add_f64 v[64:65], v[144:145], v[64:65]
	v_max_f64 v[144:145], v[224:225], v[224:225]
	v_min_f64 v[158:159], v[158:159], v[144:145]
	v_add_f64 v[62:63], v[158:159], v[62:63]
	v_min_f64 v[158:159], v[160:161], v[144:145]
	v_add_f64 v[60:61], v[158:159], v[60:61]
	;; [unrolled: 2-line block ×30, first 2 shown]
	v_min_f64 v[158:159], v[218:219], v[144:145]
	v_min_f64 v[144:145], v[220:221], v[144:145]
	s_add_i32 s22, s22, 8
	v_add_f64 v[66:67], v[222:223], v[66:67]
	v_add_f64 v[2:3], v[158:159], v[2:3]
	;; [unrolled: 1-line block ×3, first 2 shown]
	s_cmp_eq_u32 s22, 32
	s_cbranch_scc0 .LBB138_47
; %bb.48:                               ;   in Loop: Header=BB138_28 Depth=1
	s_add_i32 s28, s28, 8
	s_add_i32 s29, s29, 8
	s_cmp_ge_i32 s29, s27
	ds_write2st64_b64 v155, v[138:139], v[136:137] offset1:4
	ds_write2st64_b64 v156, v[142:143], v[140:141] offset1:4
	s_waitcnt lgkmcnt(0)
	s_barrier
	s_cbranch_scc0 .LBB138_28
.LBB138_49:
	s_mov_b32 s2, 0
.LBB138_50:                             ; =>This Inner Loop Header: Depth=1
	v_add_u32_e32 v144, s2, v153
	v_add_u32_e32 v145, s2, v154
	ds_read2_b64 v[128:131], v144 offset1:16
	ds_read2_b64 v[132:135], v144 offset0:32 offset1:48
	ds_read2_b64 v[136:139], v144 offset0:64 offset1:80
	;; [unrolled: 1-line block ×7, first 2 shown]
	v_add_u32_e32 v144, 0x800, v144
	ds_read2st64_b64 v[168:171], v145 offset1:4
	ds_read2_b64 v[172:175], v144 offset1:16
	ds_read2_b64 v[176:179], v144 offset0:32 offset1:48
	ds_read2_b64 v[180:183], v144 offset0:64 offset1:80
	;; [unrolled: 1-line block ×7, first 2 shown]
	s_waitcnt lgkmcnt(14)
	v_max_f64 v[128:129], v[128:129], v[128:129]
	v_max_f64 v[130:131], v[130:131], v[130:131]
	v_max_f64 v[132:133], v[132:133], v[132:133]
	s_waitcnt lgkmcnt(8)
	v_max_f64 v[144:145], v[168:169], v[168:169]
	v_max_f64 v[134:135], v[134:135], v[134:135]
	;; [unrolled: 1-line block ×15, first 2 shown]
	v_min_f64 v[170:171], v[128:129], v[144:145]
	v_min_f64 v[204:205], v[130:131], v[144:145]
	;; [unrolled: 1-line block ×16, first 2 shown]
	s_waitcnt lgkmcnt(7)
	v_max_f64 v[172:173], v[172:173], v[172:173]
	v_max_f64 v[174:175], v[174:175], v[174:175]
	s_waitcnt lgkmcnt(6)
	v_max_f64 v[176:177], v[176:177], v[176:177]
	v_max_f64 v[178:179], v[178:179], v[178:179]
	;; [unrolled: 3-line block ×8, first 2 shown]
	v_min_f64 v[128:129], v[128:129], v[168:169]
	v_min_f64 v[130:131], v[130:131], v[168:169]
	;; [unrolled: 1-line block ×16, first 2 shown]
	s_add_i32 s2, s2, 8
	v_add_f64 v[126:127], v[170:171], v[126:127]
	v_add_f64 v[124:125], v[204:205], v[124:125]
	;; [unrolled: 1-line block ×15, first 2 shown]
	v_min_f64 v[170:171], v[172:173], v[144:145]
	v_min_f64 v[204:205], v[174:175], v[144:145]
	;; [unrolled: 1-line block ×16, first 2 shown]
	v_add_f64 v[62:63], v[128:129], v[62:63]
	v_add_f64 v[60:61], v[130:131], v[60:61]
	;; [unrolled: 1-line block ×16, first 2 shown]
	v_min_f64 v[128:129], v[172:173], v[168:169]
	v_min_f64 v[130:131], v[174:175], v[168:169]
	;; [unrolled: 1-line block ×16, first 2 shown]
	s_cmp_eq_u32 s2, 32
	v_add_f64 v[96:97], v[232:233], v[96:97]
	v_add_f64 v[94:95], v[170:171], v[94:95]
	;; [unrolled: 1-line block ×33, first 2 shown]
	s_cbranch_scc0 .LBB138_50
; %bb.51:
	s_load_dwordx2 s[2:3], s[0:1], 0x78
	s_load_dword s78, s[0:1], 0x58
	s_load_dword s33, s[0:1], 0x70
	v_add_u32_e32 v136, s25, v147
	v_add_u32_e32 v128, s24, v146
	s_waitcnt lgkmcnt(0)
	s_lshl_b64 s[0:1], s[2:3], 3
	s_add_u32 s74, s12, s0
	s_addc_u32 s75, s13, s1
	v_mad_i64_i32 v[130:131], s[0:1], v136, s78, 0
	v_cmp_gt_i32_e64 s[24:25], s73, v136
	v_lshl_add_u64 v[132:133], v[130:131], 3, s[76:77]
	v_mad_i64_i32 v[130:131], s[0:1], v136, s33, 0
	v_cmp_gt_i32_e64 s[2:3], s72, v128
	v_cndmask_b32_e64 v134, 0, 1, s[10:11]
	v_lshl_add_u64 v[130:131], v[130:131], 3, s[74:75]
	s_and_b64 s[6:7], s[24:25], s[2:3]
	v_ashrrev_i32_e32 v129, 31, v128
	v_cmp_ne_u32_e64 s[0:1], 1, v134
	s_and_saveexec_b64 s[4:5], s[6:7]
	s_cbranch_execz .LBB138_56
; %bb.52:
	s_and_b64 vcc, exec, s[0:1]
	s_cbranch_vccnz .LBB138_54
; %bb.53:
	v_lshl_add_u64 v[134:135], v[128:129], 3, v[132:133]
	flat_load_dwordx2 v[134:135], v[134:135]
	s_waitcnt vmcnt(0) lgkmcnt(0)
	v_mul_f64 v[134:135], s[70:71], v[134:135]
	s_branch .LBB138_55
.LBB138_54:
	v_mov_b64_e32 v[134:135], 0
.LBB138_55:
	v_add_f64 v[126:127], v[126:127], v[134:135]
	v_lshl_add_u64 v[134:135], v[128:129], 3, v[130:131]
	global_store_dwordx2 v[134:135], v[126:127], off
.LBB138_56:
	s_or_b64 exec, exec, s[4:5]
	v_add_u32_e32 v126, 4, v128
	v_cmp_gt_i32_e64 s[4:5], s72, v126
	s_and_b64 s[8:9], s[24:25], s[4:5]
	v_ashrrev_i32_e32 v127, 31, v126
	s_and_saveexec_b64 s[6:7], s[8:9]
	s_cbranch_execz .LBB138_61
; %bb.57:
	s_and_b64 vcc, exec, s[0:1]
	s_cbranch_vccnz .LBB138_59
; %bb.58:
	v_lshl_add_u64 v[134:135], v[126:127], 3, v[132:133]
	flat_load_dwordx2 v[134:135], v[134:135]
	s_waitcnt vmcnt(0) lgkmcnt(0)
	v_mul_f64 v[134:135], s[70:71], v[134:135]
	s_branch .LBB138_60
.LBB138_59:
	v_mov_b64_e32 v[134:135], 0
.LBB138_60:
	v_add_f64 v[124:125], v[124:125], v[134:135]
	v_lshl_add_u64 v[134:135], v[126:127], 3, v[130:131]
	global_store_dwordx2 v[134:135], v[124:125], off
.LBB138_61:
	s_or_b64 exec, exec, s[6:7]
	v_add_u32_e32 v124, 8, v128
	v_cmp_gt_i32_e64 s[6:7], s72, v124
	s_and_b64 s[10:11], s[24:25], s[6:7]
	v_ashrrev_i32_e32 v125, 31, v124
	;; [unrolled: 23-line block ×31, first 2 shown]
	s_and_saveexec_b64 s[24:25], s[80:81]
	s_cbranch_execz .LBB138_211
; %bb.207:
	s_and_b64 vcc, exec, s[0:1]
	s_cbranch_vccnz .LBB138_209
; %bb.208:
	v_lshl_add_u64 v[132:133], v[66:67], 3, v[132:133]
	flat_load_dwordx2 v[132:133], v[132:133]
	s_waitcnt vmcnt(0) lgkmcnt(0)
	v_mul_f64 v[132:133], s[70:71], v[132:133]
	s_branch .LBB138_210
.LBB138_209:
	v_mov_b64_e32 v[132:133], 0
.LBB138_210:
	v_add_f64 v[64:65], v[64:65], v[132:133]
	v_lshl_add_u64 v[130:131], v[66:67], 3, v[130:131]
	global_store_dwordx2 v[130:131], v[64:65], off
.LBB138_211:
	s_or_b64 exec, exec, s[24:25]
	v_add_u32_e32 v132, 64, v136
	v_cmp_gt_i32_e64 s[24:25], s73, v132
	v_mad_i64_i32 v[64:65], s[72:73], v132, s78, 0
	v_lshl_add_u64 v[130:131], v[64:65], 3, s[76:77]
	v_mad_i64_i32 v[64:65], s[72:73], v132, s33, 0
	v_lshl_add_u64 v[64:65], v[64:65], 3, s[74:75]
	s_and_b64 s[2:3], s[24:25], s[2:3]
	s_and_saveexec_b64 s[72:73], s[2:3]
	s_xor_b64 s[2:3], exec, s[72:73]
	s_cbranch_execnz .LBB138_244
; %bb.212:
	s_or_b64 exec, exec, s[2:3]
	s_and_b64 s[4:5], s[24:25], s[4:5]
	s_and_saveexec_b64 s[2:3], s[4:5]
	s_cbranch_execnz .LBB138_248
.LBB138_213:
	s_or_b64 exec, exec, s[2:3]
	s_and_b64 s[4:5], s[24:25], s[6:7]
	s_and_saveexec_b64 s[2:3], s[4:5]
	s_cbranch_execnz .LBB138_252
.LBB138_214:
	s_or_b64 exec, exec, s[2:3]
	s_and_b64 s[4:5], s[24:25], s[8:9]
	s_and_saveexec_b64 s[2:3], s[4:5]
	s_cbranch_execnz .LBB138_256
.LBB138_215:
	s_or_b64 exec, exec, s[2:3]
	s_and_b64 s[4:5], s[24:25], s[10:11]
	s_and_saveexec_b64 s[2:3], s[4:5]
	s_cbranch_execnz .LBB138_260
.LBB138_216:
	s_or_b64 exec, exec, s[2:3]
	s_and_b64 s[4:5], s[24:25], s[12:13]
	s_and_saveexec_b64 s[2:3], s[4:5]
	s_cbranch_execnz .LBB138_264
.LBB138_217:
	s_or_b64 exec, exec, s[2:3]
	s_and_b64 s[4:5], s[24:25], s[14:15]
	s_and_saveexec_b64 s[2:3], s[4:5]
	s_cbranch_execnz .LBB138_268
.LBB138_218:
	s_or_b64 exec, exec, s[2:3]
	s_and_b64 s[4:5], s[24:25], s[16:17]
	s_and_saveexec_b64 s[2:3], s[4:5]
	s_cbranch_execnz .LBB138_272
.LBB138_219:
	s_or_b64 exec, exec, s[2:3]
	s_and_b64 s[4:5], s[24:25], s[18:19]
	s_and_saveexec_b64 s[2:3], s[4:5]
	s_cbranch_execnz .LBB138_276
.LBB138_220:
	s_or_b64 exec, exec, s[2:3]
	s_and_b64 s[4:5], s[24:25], s[20:21]
	s_and_saveexec_b64 s[2:3], s[4:5]
	s_cbranch_execnz .LBB138_280
.LBB138_221:
	s_or_b64 exec, exec, s[2:3]
	s_and_b64 s[4:5], s[24:25], s[22:23]
	s_and_saveexec_b64 s[2:3], s[4:5]
	s_cbranch_execnz .LBB138_284
.LBB138_222:
	s_or_b64 exec, exec, s[2:3]
	s_and_b64 s[4:5], s[24:25], s[26:27]
	s_and_saveexec_b64 s[2:3], s[4:5]
	s_cbranch_execnz .LBB138_288
.LBB138_223:
	s_or_b64 exec, exec, s[2:3]
	s_and_b64 s[4:5], s[24:25], s[28:29]
	s_and_saveexec_b64 s[2:3], s[4:5]
	s_cbranch_execnz .LBB138_292
.LBB138_224:
	s_or_b64 exec, exec, s[2:3]
	s_and_b64 s[4:5], s[24:25], s[30:31]
	s_and_saveexec_b64 s[2:3], s[4:5]
	s_cbranch_execnz .LBB138_296
.LBB138_225:
	s_or_b64 exec, exec, s[2:3]
	s_and_b64 s[4:5], s[24:25], s[34:35]
	s_and_saveexec_b64 s[2:3], s[4:5]
	s_cbranch_execnz .LBB138_300
.LBB138_226:
	s_or_b64 exec, exec, s[2:3]
	s_and_b64 s[4:5], s[24:25], s[36:37]
	s_and_saveexec_b64 s[2:3], s[4:5]
	s_cbranch_execnz .LBB138_304
.LBB138_227:
	s_or_b64 exec, exec, s[2:3]
	s_and_b64 s[4:5], s[24:25], s[38:39]
	s_and_saveexec_b64 s[2:3], s[4:5]
	s_cbranch_execnz .LBB138_308
.LBB138_228:
	s_or_b64 exec, exec, s[2:3]
	s_and_b64 s[4:5], s[24:25], s[40:41]
	s_and_saveexec_b64 s[2:3], s[4:5]
	s_cbranch_execnz .LBB138_312
.LBB138_229:
	s_or_b64 exec, exec, s[2:3]
	s_and_b64 s[4:5], s[24:25], s[42:43]
	s_and_saveexec_b64 s[2:3], s[4:5]
	s_cbranch_execnz .LBB138_316
.LBB138_230:
	s_or_b64 exec, exec, s[2:3]
	s_and_b64 s[4:5], s[24:25], s[44:45]
	s_and_saveexec_b64 s[2:3], s[4:5]
	s_cbranch_execnz .LBB138_320
.LBB138_231:
	s_or_b64 exec, exec, s[2:3]
	s_and_b64 s[4:5], s[24:25], s[46:47]
	s_and_saveexec_b64 s[2:3], s[4:5]
	s_cbranch_execnz .LBB138_324
.LBB138_232:
	s_or_b64 exec, exec, s[2:3]
	s_and_b64 s[4:5], s[24:25], s[48:49]
	s_and_saveexec_b64 s[2:3], s[4:5]
	s_cbranch_execnz .LBB138_328
.LBB138_233:
	s_or_b64 exec, exec, s[2:3]
	s_and_b64 s[4:5], s[24:25], s[50:51]
	s_and_saveexec_b64 s[2:3], s[4:5]
	s_cbranch_execnz .LBB138_332
.LBB138_234:
	s_or_b64 exec, exec, s[2:3]
	s_and_b64 s[4:5], s[24:25], s[52:53]
	s_and_saveexec_b64 s[2:3], s[4:5]
	s_cbranch_execnz .LBB138_336
.LBB138_235:
	s_or_b64 exec, exec, s[2:3]
	s_and_b64 s[4:5], s[24:25], s[54:55]
	s_and_saveexec_b64 s[2:3], s[4:5]
	s_cbranch_execnz .LBB138_340
.LBB138_236:
	s_or_b64 exec, exec, s[2:3]
	s_and_b64 s[4:5], s[24:25], s[56:57]
	s_and_saveexec_b64 s[2:3], s[4:5]
	s_cbranch_execnz .LBB138_344
.LBB138_237:
	s_or_b64 exec, exec, s[2:3]
	s_and_b64 s[4:5], s[24:25], s[58:59]
	s_and_saveexec_b64 s[2:3], s[4:5]
	s_cbranch_execnz .LBB138_348
.LBB138_238:
	s_or_b64 exec, exec, s[2:3]
	s_and_b64 s[4:5], s[24:25], s[60:61]
	s_and_saveexec_b64 s[2:3], s[4:5]
	s_cbranch_execnz .LBB138_352
.LBB138_239:
	s_or_b64 exec, exec, s[2:3]
	s_and_b64 s[4:5], s[24:25], s[62:63]
	s_and_saveexec_b64 s[2:3], s[4:5]
	s_cbranch_execnz .LBB138_356
.LBB138_240:
	s_or_b64 exec, exec, s[2:3]
	s_and_b64 s[4:5], s[24:25], s[64:65]
	s_and_saveexec_b64 s[2:3], s[4:5]
	s_cbranch_execnz .LBB138_360
.LBB138_241:
	s_or_b64 exec, exec, s[2:3]
	s_and_b64 s[4:5], s[24:25], s[66:67]
	s_and_saveexec_b64 s[2:3], s[4:5]
	s_cbranch_execnz .LBB138_364
.LBB138_242:
	s_or_b64 exec, exec, s[2:3]
	s_and_b64 s[2:3], s[24:25], s[68:69]
	s_and_saveexec_b64 s[4:5], s[2:3]
	s_cbranch_execnz .LBB138_368
.LBB138_243:
	s_endpgm
.LBB138_244:
	s_and_b64 vcc, exec, s[0:1]
	s_cbranch_vccnz .LBB138_246
; %bb.245:
	v_lshl_add_u64 v[132:133], v[128:129], 3, v[130:131]
	flat_load_dwordx2 v[132:133], v[132:133]
	s_waitcnt vmcnt(0) lgkmcnt(0)
	v_mul_f64 v[132:133], s[70:71], v[132:133]
	s_branch .LBB138_247
.LBB138_246:
	v_mov_b64_e32 v[132:133], 0
.LBB138_247:
	v_add_f64 v[62:63], v[62:63], v[132:133]
	v_lshl_add_u64 v[128:129], v[128:129], 3, v[64:65]
	global_store_dwordx2 v[128:129], v[62:63], off
	s_or_b64 exec, exec, s[2:3]
	s_and_b64 s[4:5], s[24:25], s[4:5]
	s_and_saveexec_b64 s[2:3], s[4:5]
	s_cbranch_execz .LBB138_213
.LBB138_248:
	s_and_b64 vcc, exec, s[0:1]
	s_cbranch_vccnz .LBB138_250
; %bb.249:
	v_lshl_add_u64 v[62:63], v[126:127], 3, v[130:131]
	flat_load_dwordx2 v[62:63], v[62:63]
	s_waitcnt vmcnt(0) lgkmcnt(0)
	v_mul_f64 v[62:63], s[70:71], v[62:63]
	s_branch .LBB138_251
.LBB138_250:
	v_mov_b64_e32 v[62:63], 0
.LBB138_251:
	v_add_f64 v[60:61], v[60:61], v[62:63]
	v_lshl_add_u64 v[62:63], v[126:127], 3, v[64:65]
	global_store_dwordx2 v[62:63], v[60:61], off
	s_or_b64 exec, exec, s[2:3]
	s_and_b64 s[4:5], s[24:25], s[6:7]
	s_and_saveexec_b64 s[2:3], s[4:5]
	s_cbranch_execz .LBB138_214
.LBB138_252:
	s_and_b64 vcc, exec, s[0:1]
	s_cbranch_vccnz .LBB138_254
; %bb.253:
	v_lshl_add_u64 v[60:61], v[124:125], 3, v[130:131]
	flat_load_dwordx2 v[60:61], v[60:61]
	s_waitcnt vmcnt(0) lgkmcnt(0)
	v_mul_f64 v[60:61], s[70:71], v[60:61]
	s_branch .LBB138_255
.LBB138_254:
	v_mov_b64_e32 v[60:61], 0
.LBB138_255:
	v_add_f64 v[58:59], v[58:59], v[60:61]
	v_lshl_add_u64 v[60:61], v[124:125], 3, v[64:65]
	global_store_dwordx2 v[60:61], v[58:59], off
	s_or_b64 exec, exec, s[2:3]
	s_and_b64 s[4:5], s[24:25], s[8:9]
	s_and_saveexec_b64 s[2:3], s[4:5]
	s_cbranch_execz .LBB138_215
.LBB138_256:
	s_and_b64 vcc, exec, s[0:1]
	s_cbranch_vccnz .LBB138_258
; %bb.257:
	v_lshl_add_u64 v[58:59], v[122:123], 3, v[130:131]
	flat_load_dwordx2 v[58:59], v[58:59]
	s_waitcnt vmcnt(0) lgkmcnt(0)
	v_mul_f64 v[58:59], s[70:71], v[58:59]
	s_branch .LBB138_259
.LBB138_258:
	v_mov_b64_e32 v[58:59], 0
.LBB138_259:
	v_add_f64 v[56:57], v[56:57], v[58:59]
	v_lshl_add_u64 v[58:59], v[122:123], 3, v[64:65]
	global_store_dwordx2 v[58:59], v[56:57], off
	s_or_b64 exec, exec, s[2:3]
	s_and_b64 s[4:5], s[24:25], s[10:11]
	s_and_saveexec_b64 s[2:3], s[4:5]
	s_cbranch_execz .LBB138_216
.LBB138_260:
	s_and_b64 vcc, exec, s[0:1]
	s_cbranch_vccnz .LBB138_262
; %bb.261:
	v_lshl_add_u64 v[56:57], v[120:121], 3, v[130:131]
	flat_load_dwordx2 v[56:57], v[56:57]
	s_waitcnt vmcnt(0) lgkmcnt(0)
	v_mul_f64 v[56:57], s[70:71], v[56:57]
	s_branch .LBB138_263
.LBB138_262:
	v_mov_b64_e32 v[56:57], 0
.LBB138_263:
	v_add_f64 v[54:55], v[54:55], v[56:57]
	v_lshl_add_u64 v[56:57], v[120:121], 3, v[64:65]
	global_store_dwordx2 v[56:57], v[54:55], off
	s_or_b64 exec, exec, s[2:3]
	s_and_b64 s[4:5], s[24:25], s[12:13]
	s_and_saveexec_b64 s[2:3], s[4:5]
	s_cbranch_execz .LBB138_217
.LBB138_264:
	s_and_b64 vcc, exec, s[0:1]
	s_cbranch_vccnz .LBB138_266
; %bb.265:
	v_lshl_add_u64 v[54:55], v[118:119], 3, v[130:131]
	flat_load_dwordx2 v[54:55], v[54:55]
	s_waitcnt vmcnt(0) lgkmcnt(0)
	v_mul_f64 v[54:55], s[70:71], v[54:55]
	s_branch .LBB138_267
.LBB138_266:
	v_mov_b64_e32 v[54:55], 0
.LBB138_267:
	v_add_f64 v[52:53], v[52:53], v[54:55]
	v_lshl_add_u64 v[54:55], v[118:119], 3, v[64:65]
	global_store_dwordx2 v[54:55], v[52:53], off
	s_or_b64 exec, exec, s[2:3]
	s_and_b64 s[4:5], s[24:25], s[14:15]
	s_and_saveexec_b64 s[2:3], s[4:5]
	s_cbranch_execz .LBB138_218
.LBB138_268:
	s_and_b64 vcc, exec, s[0:1]
	s_cbranch_vccnz .LBB138_270
; %bb.269:
	v_lshl_add_u64 v[52:53], v[116:117], 3, v[130:131]
	flat_load_dwordx2 v[52:53], v[52:53]
	s_waitcnt vmcnt(0) lgkmcnt(0)
	v_mul_f64 v[52:53], s[70:71], v[52:53]
	s_branch .LBB138_271
.LBB138_270:
	v_mov_b64_e32 v[52:53], 0
.LBB138_271:
	v_add_f64 v[50:51], v[50:51], v[52:53]
	v_lshl_add_u64 v[52:53], v[116:117], 3, v[64:65]
	global_store_dwordx2 v[52:53], v[50:51], off
	s_or_b64 exec, exec, s[2:3]
	s_and_b64 s[4:5], s[24:25], s[16:17]
	s_and_saveexec_b64 s[2:3], s[4:5]
	s_cbranch_execz .LBB138_219
.LBB138_272:
	s_and_b64 vcc, exec, s[0:1]
	s_cbranch_vccnz .LBB138_274
; %bb.273:
	v_lshl_add_u64 v[50:51], v[114:115], 3, v[130:131]
	flat_load_dwordx2 v[50:51], v[50:51]
	s_waitcnt vmcnt(0) lgkmcnt(0)
	v_mul_f64 v[50:51], s[70:71], v[50:51]
	s_branch .LBB138_275
.LBB138_274:
	v_mov_b64_e32 v[50:51], 0
.LBB138_275:
	v_add_f64 v[48:49], v[48:49], v[50:51]
	v_lshl_add_u64 v[50:51], v[114:115], 3, v[64:65]
	global_store_dwordx2 v[50:51], v[48:49], off
	s_or_b64 exec, exec, s[2:3]
	s_and_b64 s[4:5], s[24:25], s[18:19]
	s_and_saveexec_b64 s[2:3], s[4:5]
	s_cbranch_execz .LBB138_220
.LBB138_276:
	s_and_b64 vcc, exec, s[0:1]
	s_cbranch_vccnz .LBB138_278
; %bb.277:
	v_lshl_add_u64 v[48:49], v[112:113], 3, v[130:131]
	flat_load_dwordx2 v[48:49], v[48:49]
	s_waitcnt vmcnt(0) lgkmcnt(0)
	v_mul_f64 v[48:49], s[70:71], v[48:49]
	s_branch .LBB138_279
.LBB138_278:
	v_mov_b64_e32 v[48:49], 0
.LBB138_279:
	v_add_f64 v[46:47], v[46:47], v[48:49]
	v_lshl_add_u64 v[48:49], v[112:113], 3, v[64:65]
	global_store_dwordx2 v[48:49], v[46:47], off
	s_or_b64 exec, exec, s[2:3]
	s_and_b64 s[4:5], s[24:25], s[20:21]
	s_and_saveexec_b64 s[2:3], s[4:5]
	s_cbranch_execz .LBB138_221
.LBB138_280:
	s_and_b64 vcc, exec, s[0:1]
	s_cbranch_vccnz .LBB138_282
; %bb.281:
	v_lshl_add_u64 v[46:47], v[110:111], 3, v[130:131]
	flat_load_dwordx2 v[46:47], v[46:47]
	s_waitcnt vmcnt(0) lgkmcnt(0)
	v_mul_f64 v[46:47], s[70:71], v[46:47]
	s_branch .LBB138_283
.LBB138_282:
	v_mov_b64_e32 v[46:47], 0
.LBB138_283:
	v_add_f64 v[44:45], v[44:45], v[46:47]
	v_lshl_add_u64 v[46:47], v[110:111], 3, v[64:65]
	global_store_dwordx2 v[46:47], v[44:45], off
	s_or_b64 exec, exec, s[2:3]
	s_and_b64 s[4:5], s[24:25], s[22:23]
	s_and_saveexec_b64 s[2:3], s[4:5]
	s_cbranch_execz .LBB138_222
.LBB138_284:
	s_and_b64 vcc, exec, s[0:1]
	s_cbranch_vccnz .LBB138_286
; %bb.285:
	v_lshl_add_u64 v[44:45], v[108:109], 3, v[130:131]
	flat_load_dwordx2 v[44:45], v[44:45]
	s_waitcnt vmcnt(0) lgkmcnt(0)
	v_mul_f64 v[44:45], s[70:71], v[44:45]
	s_branch .LBB138_287
.LBB138_286:
	v_mov_b64_e32 v[44:45], 0
.LBB138_287:
	v_add_f64 v[42:43], v[42:43], v[44:45]
	v_lshl_add_u64 v[44:45], v[108:109], 3, v[64:65]
	global_store_dwordx2 v[44:45], v[42:43], off
	s_or_b64 exec, exec, s[2:3]
	s_and_b64 s[4:5], s[24:25], s[26:27]
	s_and_saveexec_b64 s[2:3], s[4:5]
	s_cbranch_execz .LBB138_223
.LBB138_288:
	s_and_b64 vcc, exec, s[0:1]
	s_cbranch_vccnz .LBB138_290
; %bb.289:
	v_lshl_add_u64 v[42:43], v[106:107], 3, v[130:131]
	flat_load_dwordx2 v[42:43], v[42:43]
	s_waitcnt vmcnt(0) lgkmcnt(0)
	v_mul_f64 v[42:43], s[70:71], v[42:43]
	s_branch .LBB138_291
.LBB138_290:
	v_mov_b64_e32 v[42:43], 0
.LBB138_291:
	v_add_f64 v[40:41], v[40:41], v[42:43]
	v_lshl_add_u64 v[42:43], v[106:107], 3, v[64:65]
	global_store_dwordx2 v[42:43], v[40:41], off
	s_or_b64 exec, exec, s[2:3]
	s_and_b64 s[4:5], s[24:25], s[28:29]
	s_and_saveexec_b64 s[2:3], s[4:5]
	s_cbranch_execz .LBB138_224
.LBB138_292:
	s_and_b64 vcc, exec, s[0:1]
	s_cbranch_vccnz .LBB138_294
; %bb.293:
	v_lshl_add_u64 v[40:41], v[104:105], 3, v[130:131]
	flat_load_dwordx2 v[40:41], v[40:41]
	s_waitcnt vmcnt(0) lgkmcnt(0)
	v_mul_f64 v[40:41], s[70:71], v[40:41]
	s_branch .LBB138_295
.LBB138_294:
	v_mov_b64_e32 v[40:41], 0
.LBB138_295:
	v_add_f64 v[38:39], v[38:39], v[40:41]
	v_lshl_add_u64 v[40:41], v[104:105], 3, v[64:65]
	global_store_dwordx2 v[40:41], v[38:39], off
	s_or_b64 exec, exec, s[2:3]
	s_and_b64 s[4:5], s[24:25], s[30:31]
	s_and_saveexec_b64 s[2:3], s[4:5]
	s_cbranch_execz .LBB138_225
.LBB138_296:
	s_and_b64 vcc, exec, s[0:1]
	s_cbranch_vccnz .LBB138_298
; %bb.297:
	v_lshl_add_u64 v[38:39], v[102:103], 3, v[130:131]
	flat_load_dwordx2 v[38:39], v[38:39]
	s_waitcnt vmcnt(0) lgkmcnt(0)
	v_mul_f64 v[38:39], s[70:71], v[38:39]
	s_branch .LBB138_299
.LBB138_298:
	v_mov_b64_e32 v[38:39], 0
.LBB138_299:
	v_add_f64 v[36:37], v[36:37], v[38:39]
	v_lshl_add_u64 v[38:39], v[102:103], 3, v[64:65]
	global_store_dwordx2 v[38:39], v[36:37], off
	s_or_b64 exec, exec, s[2:3]
	s_and_b64 s[4:5], s[24:25], s[34:35]
	s_and_saveexec_b64 s[2:3], s[4:5]
	s_cbranch_execz .LBB138_226
.LBB138_300:
	s_and_b64 vcc, exec, s[0:1]
	s_cbranch_vccnz .LBB138_302
; %bb.301:
	v_lshl_add_u64 v[36:37], v[100:101], 3, v[130:131]
	flat_load_dwordx2 v[36:37], v[36:37]
	s_waitcnt vmcnt(0) lgkmcnt(0)
	v_mul_f64 v[36:37], s[70:71], v[36:37]
	s_branch .LBB138_303
.LBB138_302:
	v_mov_b64_e32 v[36:37], 0
.LBB138_303:
	v_add_f64 v[34:35], v[34:35], v[36:37]
	v_lshl_add_u64 v[36:37], v[100:101], 3, v[64:65]
	global_store_dwordx2 v[36:37], v[34:35], off
	s_or_b64 exec, exec, s[2:3]
	s_and_b64 s[4:5], s[24:25], s[36:37]
	s_and_saveexec_b64 s[2:3], s[4:5]
	s_cbranch_execz .LBB138_227
.LBB138_304:
	s_and_b64 vcc, exec, s[0:1]
	s_cbranch_vccnz .LBB138_306
; %bb.305:
	v_lshl_add_u64 v[34:35], v[98:99], 3, v[130:131]
	flat_load_dwordx2 v[34:35], v[34:35]
	s_waitcnt vmcnt(0) lgkmcnt(0)
	v_mul_f64 v[34:35], s[70:71], v[34:35]
	s_branch .LBB138_307
.LBB138_306:
	v_mov_b64_e32 v[34:35], 0
.LBB138_307:
	v_add_f64 v[32:33], v[32:33], v[34:35]
	v_lshl_add_u64 v[34:35], v[98:99], 3, v[64:65]
	global_store_dwordx2 v[34:35], v[32:33], off
	s_or_b64 exec, exec, s[2:3]
	s_and_b64 s[4:5], s[24:25], s[38:39]
	s_and_saveexec_b64 s[2:3], s[4:5]
	s_cbranch_execz .LBB138_228
.LBB138_308:
	s_and_b64 vcc, exec, s[0:1]
	s_cbranch_vccnz .LBB138_310
; %bb.309:
	v_lshl_add_u64 v[32:33], v[96:97], 3, v[130:131]
	flat_load_dwordx2 v[32:33], v[32:33]
	s_waitcnt vmcnt(0) lgkmcnt(0)
	v_mul_f64 v[32:33], s[70:71], v[32:33]
	s_branch .LBB138_311
.LBB138_310:
	v_mov_b64_e32 v[32:33], 0
.LBB138_311:
	v_add_f64 v[30:31], v[30:31], v[32:33]
	v_lshl_add_u64 v[32:33], v[96:97], 3, v[64:65]
	global_store_dwordx2 v[32:33], v[30:31], off
	s_or_b64 exec, exec, s[2:3]
	s_and_b64 s[4:5], s[24:25], s[40:41]
	s_and_saveexec_b64 s[2:3], s[4:5]
	s_cbranch_execz .LBB138_229
.LBB138_312:
	s_and_b64 vcc, exec, s[0:1]
	s_cbranch_vccnz .LBB138_314
; %bb.313:
	v_lshl_add_u64 v[30:31], v[94:95], 3, v[130:131]
	flat_load_dwordx2 v[30:31], v[30:31]
	s_waitcnt vmcnt(0) lgkmcnt(0)
	v_mul_f64 v[30:31], s[70:71], v[30:31]
	s_branch .LBB138_315
.LBB138_314:
	v_mov_b64_e32 v[30:31], 0
.LBB138_315:
	v_add_f64 v[28:29], v[28:29], v[30:31]
	v_lshl_add_u64 v[30:31], v[94:95], 3, v[64:65]
	global_store_dwordx2 v[30:31], v[28:29], off
	s_or_b64 exec, exec, s[2:3]
	s_and_b64 s[4:5], s[24:25], s[42:43]
	s_and_saveexec_b64 s[2:3], s[4:5]
	s_cbranch_execz .LBB138_230
.LBB138_316:
	s_and_b64 vcc, exec, s[0:1]
	s_cbranch_vccnz .LBB138_318
; %bb.317:
	v_lshl_add_u64 v[28:29], v[92:93], 3, v[130:131]
	flat_load_dwordx2 v[28:29], v[28:29]
	s_waitcnt vmcnt(0) lgkmcnt(0)
	v_mul_f64 v[28:29], s[70:71], v[28:29]
	s_branch .LBB138_319
.LBB138_318:
	v_mov_b64_e32 v[28:29], 0
.LBB138_319:
	v_add_f64 v[26:27], v[26:27], v[28:29]
	v_lshl_add_u64 v[28:29], v[92:93], 3, v[64:65]
	global_store_dwordx2 v[28:29], v[26:27], off
	s_or_b64 exec, exec, s[2:3]
	s_and_b64 s[4:5], s[24:25], s[44:45]
	s_and_saveexec_b64 s[2:3], s[4:5]
	s_cbranch_execz .LBB138_231
.LBB138_320:
	s_and_b64 vcc, exec, s[0:1]
	s_cbranch_vccnz .LBB138_322
; %bb.321:
	v_lshl_add_u64 v[26:27], v[90:91], 3, v[130:131]
	flat_load_dwordx2 v[26:27], v[26:27]
	s_waitcnt vmcnt(0) lgkmcnt(0)
	v_mul_f64 v[26:27], s[70:71], v[26:27]
	s_branch .LBB138_323
.LBB138_322:
	v_mov_b64_e32 v[26:27], 0
.LBB138_323:
	v_add_f64 v[24:25], v[24:25], v[26:27]
	v_lshl_add_u64 v[26:27], v[90:91], 3, v[64:65]
	global_store_dwordx2 v[26:27], v[24:25], off
	s_or_b64 exec, exec, s[2:3]
	s_and_b64 s[4:5], s[24:25], s[46:47]
	s_and_saveexec_b64 s[2:3], s[4:5]
	s_cbranch_execz .LBB138_232
.LBB138_324:
	s_and_b64 vcc, exec, s[0:1]
	s_cbranch_vccnz .LBB138_326
; %bb.325:
	v_lshl_add_u64 v[24:25], v[88:89], 3, v[130:131]
	flat_load_dwordx2 v[24:25], v[24:25]
	s_waitcnt vmcnt(0) lgkmcnt(0)
	v_mul_f64 v[24:25], s[70:71], v[24:25]
	s_branch .LBB138_327
.LBB138_326:
	v_mov_b64_e32 v[24:25], 0
.LBB138_327:
	v_add_f64 v[22:23], v[22:23], v[24:25]
	v_lshl_add_u64 v[24:25], v[88:89], 3, v[64:65]
	global_store_dwordx2 v[24:25], v[22:23], off
	s_or_b64 exec, exec, s[2:3]
	s_and_b64 s[4:5], s[24:25], s[48:49]
	s_and_saveexec_b64 s[2:3], s[4:5]
	s_cbranch_execz .LBB138_233
.LBB138_328:
	s_and_b64 vcc, exec, s[0:1]
	s_cbranch_vccnz .LBB138_330
; %bb.329:
	v_lshl_add_u64 v[22:23], v[86:87], 3, v[130:131]
	flat_load_dwordx2 v[22:23], v[22:23]
	s_waitcnt vmcnt(0) lgkmcnt(0)
	v_mul_f64 v[22:23], s[70:71], v[22:23]
	s_branch .LBB138_331
.LBB138_330:
	v_mov_b64_e32 v[22:23], 0
.LBB138_331:
	v_add_f64 v[20:21], v[20:21], v[22:23]
	v_lshl_add_u64 v[22:23], v[86:87], 3, v[64:65]
	global_store_dwordx2 v[22:23], v[20:21], off
	s_or_b64 exec, exec, s[2:3]
	s_and_b64 s[4:5], s[24:25], s[50:51]
	s_and_saveexec_b64 s[2:3], s[4:5]
	s_cbranch_execz .LBB138_234
.LBB138_332:
	s_and_b64 vcc, exec, s[0:1]
	s_cbranch_vccnz .LBB138_334
; %bb.333:
	v_lshl_add_u64 v[20:21], v[84:85], 3, v[130:131]
	flat_load_dwordx2 v[20:21], v[20:21]
	s_waitcnt vmcnt(0) lgkmcnt(0)
	v_mul_f64 v[20:21], s[70:71], v[20:21]
	s_branch .LBB138_335
.LBB138_334:
	v_mov_b64_e32 v[20:21], 0
.LBB138_335:
	v_add_f64 v[18:19], v[18:19], v[20:21]
	v_lshl_add_u64 v[20:21], v[84:85], 3, v[64:65]
	global_store_dwordx2 v[20:21], v[18:19], off
	s_or_b64 exec, exec, s[2:3]
	s_and_b64 s[4:5], s[24:25], s[52:53]
	s_and_saveexec_b64 s[2:3], s[4:5]
	s_cbranch_execz .LBB138_235
.LBB138_336:
	s_and_b64 vcc, exec, s[0:1]
	s_cbranch_vccnz .LBB138_338
; %bb.337:
	v_lshl_add_u64 v[18:19], v[82:83], 3, v[130:131]
	flat_load_dwordx2 v[18:19], v[18:19]
	s_waitcnt vmcnt(0) lgkmcnt(0)
	v_mul_f64 v[18:19], s[70:71], v[18:19]
	s_branch .LBB138_339
.LBB138_338:
	v_mov_b64_e32 v[18:19], 0
.LBB138_339:
	v_add_f64 v[16:17], v[16:17], v[18:19]
	v_lshl_add_u64 v[18:19], v[82:83], 3, v[64:65]
	global_store_dwordx2 v[18:19], v[16:17], off
	s_or_b64 exec, exec, s[2:3]
	s_and_b64 s[4:5], s[24:25], s[54:55]
	s_and_saveexec_b64 s[2:3], s[4:5]
	s_cbranch_execz .LBB138_236
.LBB138_340:
	s_and_b64 vcc, exec, s[0:1]
	s_cbranch_vccnz .LBB138_342
; %bb.341:
	v_lshl_add_u64 v[16:17], v[80:81], 3, v[130:131]
	flat_load_dwordx2 v[16:17], v[16:17]
	s_waitcnt vmcnt(0) lgkmcnt(0)
	v_mul_f64 v[16:17], s[70:71], v[16:17]
	s_branch .LBB138_343
.LBB138_342:
	v_mov_b64_e32 v[16:17], 0
.LBB138_343:
	v_add_f64 v[14:15], v[14:15], v[16:17]
	v_lshl_add_u64 v[16:17], v[80:81], 3, v[64:65]
	global_store_dwordx2 v[16:17], v[14:15], off
	s_or_b64 exec, exec, s[2:3]
	s_and_b64 s[4:5], s[24:25], s[56:57]
	s_and_saveexec_b64 s[2:3], s[4:5]
	s_cbranch_execz .LBB138_237
.LBB138_344:
	s_and_b64 vcc, exec, s[0:1]
	s_cbranch_vccnz .LBB138_346
; %bb.345:
	v_lshl_add_u64 v[14:15], v[78:79], 3, v[130:131]
	flat_load_dwordx2 v[14:15], v[14:15]
	s_waitcnt vmcnt(0) lgkmcnt(0)
	v_mul_f64 v[14:15], s[70:71], v[14:15]
	s_branch .LBB138_347
.LBB138_346:
	v_mov_b64_e32 v[14:15], 0
.LBB138_347:
	v_add_f64 v[12:13], v[12:13], v[14:15]
	v_lshl_add_u64 v[14:15], v[78:79], 3, v[64:65]
	global_store_dwordx2 v[14:15], v[12:13], off
	s_or_b64 exec, exec, s[2:3]
	s_and_b64 s[4:5], s[24:25], s[58:59]
	s_and_saveexec_b64 s[2:3], s[4:5]
	s_cbranch_execz .LBB138_238
.LBB138_348:
	s_and_b64 vcc, exec, s[0:1]
	s_cbranch_vccnz .LBB138_350
; %bb.349:
	v_lshl_add_u64 v[12:13], v[76:77], 3, v[130:131]
	flat_load_dwordx2 v[12:13], v[12:13]
	s_waitcnt vmcnt(0) lgkmcnt(0)
	v_mul_f64 v[12:13], s[70:71], v[12:13]
	s_branch .LBB138_351
.LBB138_350:
	v_mov_b64_e32 v[12:13], 0
.LBB138_351:
	v_add_f64 v[10:11], v[10:11], v[12:13]
	v_lshl_add_u64 v[12:13], v[76:77], 3, v[64:65]
	global_store_dwordx2 v[12:13], v[10:11], off
	s_or_b64 exec, exec, s[2:3]
	s_and_b64 s[4:5], s[24:25], s[60:61]
	s_and_saveexec_b64 s[2:3], s[4:5]
	s_cbranch_execz .LBB138_239
.LBB138_352:
	s_and_b64 vcc, exec, s[0:1]
	s_cbranch_vccnz .LBB138_354
; %bb.353:
	v_lshl_add_u64 v[10:11], v[74:75], 3, v[130:131]
	flat_load_dwordx2 v[10:11], v[10:11]
	s_waitcnt vmcnt(0) lgkmcnt(0)
	v_mul_f64 v[10:11], s[70:71], v[10:11]
	s_branch .LBB138_355
.LBB138_354:
	v_mov_b64_e32 v[10:11], 0
.LBB138_355:
	v_add_f64 v[8:9], v[8:9], v[10:11]
	v_lshl_add_u64 v[10:11], v[74:75], 3, v[64:65]
	global_store_dwordx2 v[10:11], v[8:9], off
	s_or_b64 exec, exec, s[2:3]
	s_and_b64 s[4:5], s[24:25], s[62:63]
	s_and_saveexec_b64 s[2:3], s[4:5]
	s_cbranch_execz .LBB138_240
.LBB138_356:
	s_and_b64 vcc, exec, s[0:1]
	s_cbranch_vccnz .LBB138_358
; %bb.357:
	v_lshl_add_u64 v[8:9], v[72:73], 3, v[130:131]
	flat_load_dwordx2 v[8:9], v[8:9]
	s_waitcnt vmcnt(0) lgkmcnt(0)
	v_mul_f64 v[8:9], s[70:71], v[8:9]
	s_branch .LBB138_359
.LBB138_358:
	v_mov_b64_e32 v[8:9], 0
.LBB138_359:
	v_add_f64 v[6:7], v[6:7], v[8:9]
	v_lshl_add_u64 v[8:9], v[72:73], 3, v[64:65]
	global_store_dwordx2 v[8:9], v[6:7], off
	s_or_b64 exec, exec, s[2:3]
	s_and_b64 s[4:5], s[24:25], s[64:65]
	s_and_saveexec_b64 s[2:3], s[4:5]
	s_cbranch_execz .LBB138_241
.LBB138_360:
	s_and_b64 vcc, exec, s[0:1]
	s_cbranch_vccnz .LBB138_362
; %bb.361:
	v_lshl_add_u64 v[6:7], v[70:71], 3, v[130:131]
	flat_load_dwordx2 v[6:7], v[6:7]
	s_waitcnt vmcnt(0) lgkmcnt(0)
	v_mul_f64 v[6:7], s[70:71], v[6:7]
	s_branch .LBB138_363
.LBB138_362:
	v_mov_b64_e32 v[6:7], 0
.LBB138_363:
	v_add_f64 v[4:5], v[4:5], v[6:7]
	v_lshl_add_u64 v[6:7], v[70:71], 3, v[64:65]
	global_store_dwordx2 v[6:7], v[4:5], off
	s_or_b64 exec, exec, s[2:3]
	s_and_b64 s[4:5], s[24:25], s[66:67]
	s_and_saveexec_b64 s[2:3], s[4:5]
	s_cbranch_execz .LBB138_242
.LBB138_364:
	s_and_b64 vcc, exec, s[0:1]
	s_cbranch_vccnz .LBB138_366
; %bb.365:
	v_lshl_add_u64 v[4:5], v[68:69], 3, v[130:131]
	flat_load_dwordx2 v[4:5], v[4:5]
	s_waitcnt vmcnt(0) lgkmcnt(0)
	v_mul_f64 v[4:5], s[70:71], v[4:5]
	s_branch .LBB138_367
.LBB138_366:
	v_mov_b64_e32 v[4:5], 0
.LBB138_367:
	v_add_f64 v[2:3], v[2:3], v[4:5]
	v_lshl_add_u64 v[4:5], v[68:69], 3, v[64:65]
	global_store_dwordx2 v[4:5], v[2:3], off
	s_or_b64 exec, exec, s[2:3]
	s_and_b64 s[2:3], s[24:25], s[68:69]
	s_and_saveexec_b64 s[4:5], s[2:3]
	s_cbranch_execz .LBB138_243
.LBB138_368:
	s_and_b64 vcc, exec, s[0:1]
	s_cbranch_vccnz .LBB138_370
; %bb.369:
	v_lshl_add_u64 v[2:3], v[66:67], 3, v[130:131]
	flat_load_dwordx2 v[2:3], v[2:3]
	s_waitcnt vmcnt(0) lgkmcnt(0)
	v_mul_f64 v[2:3], s[70:71], v[2:3]
	v_add_f64 v[0:1], v[0:1], v[2:3]
	v_lshl_add_u64 v[2:3], v[66:67], 3, v[64:65]
	global_store_dwordx2 v[2:3], v[0:1], off
	s_endpgm
.LBB138_370:
	v_mov_b64_e32 v[2:3], 0
	v_add_f64 v[0:1], v[0:1], v[2:3]
	v_lshl_add_u64 v[2:3], v[66:67], 3, v[64:65]
	global_store_dwordx2 v[2:3], v[0:1], off
	s_endpgm
	.section	.rodata,"a",@progbits
	.p2align	6, 0x0
	.amdhsa_kernel _ZN12_GLOBAL__N_120geam_min_plus_kernelIdddLi4ELi64ELi128ELi128ELi4ELi4ELi64ELi4ELi64ELc84ELc78ELb0ELb1ELb0EPKdKS2_KPdEEviiiT16_PT17_ilS8_ilS6_S8_ilPT18_ili26rocblas_geam_ex_operation_
		.amdhsa_group_segment_fixed_size 16384
		.amdhsa_private_segment_fixed_size 0
		.amdhsa_kernarg_size 136
		.amdhsa_user_sgpr_count 2
		.amdhsa_user_sgpr_dispatch_ptr 0
		.amdhsa_user_sgpr_queue_ptr 0
		.amdhsa_user_sgpr_kernarg_segment_ptr 1
		.amdhsa_user_sgpr_dispatch_id 0
		.amdhsa_user_sgpr_kernarg_preload_length 0
		.amdhsa_user_sgpr_kernarg_preload_offset 0
		.amdhsa_user_sgpr_private_segment_size 0
		.amdhsa_uses_dynamic_stack 0
		.amdhsa_enable_private_segment 0
		.amdhsa_system_sgpr_workgroup_id_x 1
		.amdhsa_system_sgpr_workgroup_id_y 0
		.amdhsa_system_sgpr_workgroup_id_z 1
		.amdhsa_system_sgpr_workgroup_info 0
		.amdhsa_system_vgpr_workitem_id 1
		.amdhsa_next_free_vgpr 250
		.amdhsa_next_free_sgpr 82
		.amdhsa_accum_offset 252
		.amdhsa_reserve_vcc 1
		.amdhsa_float_round_mode_32 0
		.amdhsa_float_round_mode_16_64 0
		.amdhsa_float_denorm_mode_32 3
		.amdhsa_float_denorm_mode_16_64 3
		.amdhsa_dx10_clamp 1
		.amdhsa_ieee_mode 1
		.amdhsa_fp16_overflow 0
		.amdhsa_tg_split 0
		.amdhsa_exception_fp_ieee_invalid_op 0
		.amdhsa_exception_fp_denorm_src 0
		.amdhsa_exception_fp_ieee_div_zero 0
		.amdhsa_exception_fp_ieee_overflow 0
		.amdhsa_exception_fp_ieee_underflow 0
		.amdhsa_exception_fp_ieee_inexact 0
		.amdhsa_exception_int_div_zero 0
	.end_amdhsa_kernel
	.section	.text._ZN12_GLOBAL__N_120geam_min_plus_kernelIdddLi4ELi64ELi128ELi128ELi4ELi4ELi64ELi4ELi64ELc84ELc78ELb0ELb1ELb0EPKdKS2_KPdEEviiiT16_PT17_ilS8_ilS6_S8_ilPT18_ili26rocblas_geam_ex_operation_,"axG",@progbits,_ZN12_GLOBAL__N_120geam_min_plus_kernelIdddLi4ELi64ELi128ELi128ELi4ELi4ELi64ELi4ELi64ELc84ELc78ELb0ELb1ELb0EPKdKS2_KPdEEviiiT16_PT17_ilS8_ilS6_S8_ilPT18_ili26rocblas_geam_ex_operation_,comdat
.Lfunc_end138:
	.size	_ZN12_GLOBAL__N_120geam_min_plus_kernelIdddLi4ELi64ELi128ELi128ELi4ELi4ELi64ELi4ELi64ELc84ELc78ELb0ELb1ELb0EPKdKS2_KPdEEviiiT16_PT17_ilS8_ilS6_S8_ilPT18_ili26rocblas_geam_ex_operation_, .Lfunc_end138-_ZN12_GLOBAL__N_120geam_min_plus_kernelIdddLi4ELi64ELi128ELi128ELi4ELi4ELi64ELi4ELi64ELc84ELc78ELb0ELb1ELb0EPKdKS2_KPdEEviiiT16_PT17_ilS8_ilS6_S8_ilPT18_ili26rocblas_geam_ex_operation_
                                        ; -- End function
	.section	.AMDGPU.csdata,"",@progbits
; Kernel info:
; codeLenInByte = 14720
; NumSgprs: 88
; NumVgprs: 250
; NumAgprs: 0
; TotalNumVgprs: 250
; ScratchSize: 0
; MemoryBound: 0
; FloatMode: 240
; IeeeMode: 1
; LDSByteSize: 16384 bytes/workgroup (compile time only)
; SGPRBlocks: 10
; VGPRBlocks: 31
; NumSGPRsForWavesPerEU: 88
; NumVGPRsForWavesPerEU: 250
; AccumOffset: 252
; Occupancy: 2
; WaveLimiterHint : 1
; COMPUTE_PGM_RSRC2:SCRATCH_EN: 0
; COMPUTE_PGM_RSRC2:USER_SGPR: 2
; COMPUTE_PGM_RSRC2:TRAP_HANDLER: 0
; COMPUTE_PGM_RSRC2:TGID_X_EN: 1
; COMPUTE_PGM_RSRC2:TGID_Y_EN: 0
; COMPUTE_PGM_RSRC2:TGID_Z_EN: 1
; COMPUTE_PGM_RSRC2:TIDIG_COMP_CNT: 1
; COMPUTE_PGM_RSRC3_GFX90A:ACCUM_OFFSET: 62
; COMPUTE_PGM_RSRC3_GFX90A:TG_SPLIT: 0
	.section	.text._ZN12_GLOBAL__N_120geam_min_plus_kernelIdddLi4ELi64ELi128ELi128ELi4ELi4ELi64ELi4ELi64ELc84ELc78ELb1ELb1ELb0EdKPKdKPdEEviiiT16_PT17_ilS8_ilS6_S8_ilPT18_ili26rocblas_geam_ex_operation_,"axG",@progbits,_ZN12_GLOBAL__N_120geam_min_plus_kernelIdddLi4ELi64ELi128ELi128ELi4ELi4ELi64ELi4ELi64ELc84ELc78ELb1ELb1ELb0EdKPKdKPdEEviiiT16_PT17_ilS8_ilS6_S8_ilPT18_ili26rocblas_geam_ex_operation_,comdat
	.globl	_ZN12_GLOBAL__N_120geam_min_plus_kernelIdddLi4ELi64ELi128ELi128ELi4ELi4ELi64ELi4ELi64ELc84ELc78ELb1ELb1ELb0EdKPKdKPdEEviiiT16_PT17_ilS8_ilS6_S8_ilPT18_ili26rocblas_geam_ex_operation_ ; -- Begin function _ZN12_GLOBAL__N_120geam_min_plus_kernelIdddLi4ELi64ELi128ELi128ELi4ELi4ELi64ELi4ELi64ELc84ELc78ELb1ELb1ELb0EdKPKdKPdEEviiiT16_PT17_ilS8_ilS6_S8_ilPT18_ili26rocblas_geam_ex_operation_
	.p2align	8
	.type	_ZN12_GLOBAL__N_120geam_min_plus_kernelIdddLi4ELi64ELi128ELi128ELi4ELi4ELi64ELi4ELi64ELc84ELc78ELb1ELb1ELb0EdKPKdKPdEEviiiT16_PT17_ilS8_ilS6_S8_ilPT18_ili26rocblas_geam_ex_operation_,@function
_ZN12_GLOBAL__N_120geam_min_plus_kernelIdddLi4ELi64ELi128ELi128ELi4ELi4ELi64ELi4ELi64ELc84ELc78ELb1ELb1ELb0EdKPKdKPdEEviiiT16_PT17_ilS8_ilS6_S8_ilPT18_ili26rocblas_geam_ex_operation_: ; @_ZN12_GLOBAL__N_120geam_min_plus_kernelIdddLi4ELi64ELi128ELi128ELi4ELi4ELi64ELi4ELi64ELc84ELc78ELb1ELb1ELb0EdKPKdKPdEEviiiT16_PT17_ilS8_ilS6_S8_ilPT18_ili26rocblas_geam_ex_operation_
; %bb.0:
	s_load_dwordx4 s[8:11], s[0:1], 0x10
	s_load_dwordx4 s[4:7], s[0:1], 0x28
	s_mov_b32 s12, s3
	s_mov_b64 s[14:15], 0
	s_waitcnt lgkmcnt(0)
	v_cmp_eq_f64_e64 s[16:17], s[8:9], 0
	s_and_b64 vcc, exec, s[16:17]
	s_cbranch_vccnz .LBB139_2
; %bb.1:
	s_mov_b32 s13, 0
	s_lshl_b64 s[8:9], s[12:13], 3
	s_add_u32 s8, s10, s8
	s_addc_u32 s9, s11, s9
	s_load_dwordx2 s[8:9], s[8:9], 0x0
	s_lshl_b64 s[4:5], s[4:5], 3
	s_waitcnt lgkmcnt(0)
	s_add_u32 s14, s8, s4
	s_addc_u32 s15, s9, s5
.LBB139_2:
	s_load_dwordx4 s[68:71], s[0:1], 0x40
	s_load_dwordx2 s[8:9], s[0:1], 0x50
	s_andn2_b64 vcc, exec, s[16:17]
	s_cbranch_vccnz .LBB139_4
; %bb.3:
	s_mov_b32 s13, 0
	s_mov_b64 s[16:17], 0
	s_cbranch_execz .LBB139_5
	s_branch .LBB139_6
.LBB139_4:
                                        ; implicit-def: $sgpr16_sgpr17
.LBB139_5:
	s_mov_b32 s13, 0
	s_lshl_b64 s[4:5], s[12:13], 3
	s_add_u32 s4, s6, s4
	s_addc_u32 s5, s7, s5
	s_load_dwordx2 s[4:5], s[4:5], 0x0
	s_waitcnt lgkmcnt(0)
	s_lshl_b64 s[6:7], s[68:69], 3
	s_add_u32 s16, s4, s6
	s_addc_u32 s17, s5, s7
.LBB139_6:
	s_load_dwordx4 s[4:7], s[0:1], 0x60
	s_waitcnt lgkmcnt(0)
	v_cmp_eq_f64_e64 s[18:19], s[70:71], 0
	s_mov_b64 s[76:77], 0
	v_cmp_neq_f64_e64 s[10:11], s[70:71], 0
	s_and_b64 vcc, exec, s[18:19]
	s_cbranch_vccnz .LBB139_8
; %bb.7:
	s_lshl_b64 s[18:19], s[12:13], 3
	s_add_u32 s8, s8, s18
	s_addc_u32 s9, s9, s19
	s_load_dwordx2 s[8:9], s[8:9], 0x0
	s_lshl_b64 s[4:5], s[4:5], 3
	s_waitcnt lgkmcnt(0)
	s_add_u32 s76, s8, s4
	s_addc_u32 s77, s9, s5
.LBB139_8:
	s_load_dwordx4 s[72:75], s[0:1], 0x0
	s_load_dword s23, s[0:1], 0x20
	s_lshl_b64 s[4:5], s[12:13], 3
	s_add_u32 s4, s6, s4
	s_addc_u32 s5, s7, s5
	s_waitcnt lgkmcnt(0)
	s_add_i32 s3, s72, -1
	s_ashr_i32 s6, s3, 31
	s_lshr_b32 s6, s6, 25
	s_add_i32 s3, s3, s6
	s_ashr_i32 s3, s3, 7
	s_add_i32 s6, s3, 1
	v_cvt_f32_u32_e32 v1, s6
	s_load_dwordx2 s[12:13], s[4:5], 0x0
	s_not_b32 s3, s3
	v_and_b32_e32 v154, 0x3ff, v0
	v_rcp_iflag_f32_e32 v1, v1
	v_bfe_u32 v155, v0, 10, 10
	v_lshrrev_b32_e32 v0, 2, v154
	v_add_u32_e32 v14, v0, v155
	v_mul_f32_e32 v1, 0x4f7ffffe, v1
	v_cvt_u32_f32_e32 v1, v1
	v_and_b32_e32 v156, 3, v154
	v_cmp_le_i32_e32 vcc, s74, v156
	v_lshlrev_b32_e32 v0, 3, v156
	v_readfirstlane_b32 s4, v1
	s_mul_i32 s3, s3, s4
	s_mul_hi_u32 s3, s4, s3
	s_add_i32 s4, s4, s3
	s_mul_hi_u32 s3, s2, s4
	s_mul_i32 s4, s3, s6
	s_sub_i32 s4, s2, s4
	s_add_i32 s5, s3, 1
	s_sub_i32 s7, s4, s6
	s_cmp_ge_u32 s4, s6
	s_cselect_b32 s3, s5, s3
	s_cselect_b32 s4, s7, s4
	s_add_i32 s5, s3, 1
	s_cmp_ge_u32 s4, s6
	s_cselect_b32 s8, s5, s3
	s_mul_i32 s3, s8, s6
	s_sub_i32 s2, s2, s3
	s_lshl_b32 s20, s2, 7
	v_add_u32_e32 v136, s20, v14
	v_cmp_le_i32_e64 s[2:3], s72, v136
	v_mov_b32_e32 v1, 0
	s_or_b64 s[4:5], vcc, s[2:3]
	v_mov_b64_e32 v[2:3], 0
	v_lshl_add_u64 v[6:7], s[14:15], 0, v[0:1]
	s_xor_b64 s[6:7], s[4:5], -1
	v_mov_b64_e32 v[4:5], v[2:3]
	s_and_saveexec_b64 s[4:5], s[6:7]
	s_cbranch_execz .LBB139_10
; %bb.9:
	v_mad_i64_i32 v[4:5], s[6:7], v136, s23, 0
	v_lshl_add_u64 v[4:5], v[4:5], 3, v[6:7]
	flat_load_dwordx2 v[4:5], v[4:5]
.LBB139_10:
	s_or_b64 exec, exec, s[4:5]
	v_add_u32_e32 v137, 64, v136
	v_cmp_le_i32_e64 s[4:5], s72, v137
	s_or_b64 s[6:7], vcc, s[4:5]
	s_xor_b64 s[18:19], s[6:7], -1
	s_and_saveexec_b64 s[6:7], s[18:19]
	s_cbranch_execz .LBB139_12
; %bb.11:
	v_mad_i64_i32 v[2:3], s[18:19], v137, s23, 0
	v_lshl_add_u64 v[2:3], v[2:3], 3, v[6:7]
	flat_load_dwordx2 v[2:3], v[2:3]
.LBB139_12:
	s_or_b64 exec, exec, s[6:7]
	s_load_dword s24, s[0:1], 0x38
	s_lshl_b32 s21, s8, 7
	v_add_u32_e32 v138, s21, v14
	v_cmp_le_i32_e64 s[6:7], s73, v138
	v_mov_b32_e32 v1, 0
	s_or_b64 s[8:9], vcc, s[6:7]
	v_mov_b64_e32 v[10:11], 0
	v_lshl_add_u64 v[8:9], s[16:17], 0, v[0:1]
	s_xor_b64 s[18:19], s[8:9], -1
	v_mov_b64_e32 v[12:13], v[10:11]
	s_and_saveexec_b64 s[8:9], s[18:19]
	s_cbranch_execz .LBB139_14
; %bb.13:
	s_waitcnt lgkmcnt(0)
	v_mad_i64_i32 v[12:13], s[18:19], v138, s24, 0
	v_lshl_add_u64 v[12:13], v[12:13], 3, v[8:9]
	flat_load_dwordx2 v[12:13], v[12:13]
.LBB139_14:
	s_or_b64 exec, exec, s[8:9]
	v_add_u32_e32 v139, 64, v138
	v_cmp_le_i32_e64 s[8:9], s73, v139
	s_or_b64 s[18:19], vcc, s[8:9]
	s_xor_b64 s[26:27], s[18:19], -1
	s_and_saveexec_b64 s[18:19], s[26:27]
	s_cbranch_execz .LBB139_16
; %bb.15:
	s_waitcnt lgkmcnt(0)
	v_mad_i64_i32 v[10:11], s[26:27], v139, s24, 0
	v_lshl_add_u64 v[10:11], v[10:11], 3, v[8:9]
	flat_load_dwordx2 v[10:11], v[10:11]
.LBB139_16:
	s_or_b64 exec, exec, s[18:19]
	v_or_b32_e32 v1, 4, v156
	v_cmp_le_i32_e32 vcc, s74, v1
	s_or_b64 s[18:19], vcc, s[2:3]
	v_mov_b64_e32 v[128:129], 0
	s_xor_b64 s[26:27], s[18:19], -1
	v_mov_b64_e32 v[130:131], v[128:129]
	s_and_saveexec_b64 s[18:19], s[26:27]
	s_cbranch_execz .LBB139_18
; %bb.17:
	v_mad_i64_i32 v[16:17], s[26:27], v136, s23, 0
	v_lshl_add_u64 v[16:17], v[16:17], 3, v[6:7]
	flat_load_dwordx2 v[130:131], v[16:17] offset:32
.LBB139_18:
	s_or_b64 exec, exec, s[18:19]
	s_or_b64 s[18:19], vcc, s[4:5]
	s_xor_b64 s[26:27], s[18:19], -1
	s_and_saveexec_b64 s[18:19], s[26:27]
	s_cbranch_execz .LBB139_20
; %bb.19:
	v_mad_i64_i32 v[16:17], s[26:27], v137, s23, 0
	v_lshl_add_u64 v[6:7], v[16:17], 3, v[6:7]
	flat_load_dwordx2 v[128:129], v[6:7] offset:32
.LBB139_20:
	s_or_b64 exec, exec, s[18:19]
	s_or_b64 s[18:19], vcc, s[6:7]
	v_mov_b64_e32 v[132:133], 0
	s_xor_b64 s[26:27], s[18:19], -1
	v_mov_b64_e32 v[134:135], v[132:133]
	s_and_saveexec_b64 s[18:19], s[26:27]
	s_cbranch_execz .LBB139_22
; %bb.21:
	s_waitcnt lgkmcnt(0)
	v_mad_i64_i32 v[6:7], s[26:27], v138, s24, 0
	v_lshl_add_u64 v[6:7], v[6:7], 3, v[8:9]
	flat_load_dwordx2 v[134:135], v[6:7] offset:32
.LBB139_22:
	s_or_b64 exec, exec, s[18:19]
	s_or_b64 s[18:19], vcc, s[8:9]
	s_xor_b64 s[26:27], s[18:19], -1
	s_and_saveexec_b64 s[18:19], s[26:27]
	s_cbranch_execz .LBB139_24
; %bb.23:
	s_waitcnt lgkmcnt(0)
	v_mad_i64_i32 v[6:7], s[26:27], v139, s24, 0
	v_lshl_add_u64 v[6:7], v[6:7], 3, v[8:9]
	flat_load_dwordx2 v[132:133], v[6:7] offset:32
.LBB139_24:
	s_or_b64 exec, exec, s[18:19]
	v_lshl_or_b32 v157, v14, 5, v0
	v_lshlrev_b32_e32 v140, 5, v155
	v_mov_b64_e32 v[126:127], 0
	s_waitcnt vmcnt(0) lgkmcnt(0)
	ds_write2st64_b64 v157, v[4:5], v[2:3] offset1:4
	v_add_u32_e32 v158, 0x2000, v157
	ds_write2st64_b64 v157, v[12:13], v[10:11] offset0:16 offset1:20
	v_lshlrev_b32_e32 v159, 5, v154
	v_add_u32_e32 v160, 0x2000, v140
	s_mov_b32 s18, 0
	v_mov_b64_e32 v[124:125], v[126:127]
	v_mov_b64_e32 v[122:123], v[126:127]
	;; [unrolled: 1-line block ×63, first 2 shown]
	s_waitcnt lgkmcnt(0)
	s_barrier
.LBB139_25:                             ; =>This Inner Loop Header: Depth=1
	v_add_u32_e32 v141, s18, v159
	v_add_u32_e32 v161, s18, v160
	ds_read2_b64 v[142:145], v141 offset1:16
	ds_read2_b64 v[146:149], v141 offset0:32 offset1:48
	ds_read2_b64 v[150:153], v141 offset0:64 offset1:80
	;; [unrolled: 1-line block ×7, first 2 shown]
	ds_read2st64_b64 v[182:185], v161 offset1:4
	v_add_u32_e32 v141, 0x800, v141
	ds_read2_b64 v[186:189], v141 offset1:16
	ds_read2_b64 v[190:193], v141 offset0:32 offset1:48
	ds_read2_b64 v[194:197], v141 offset0:64 offset1:80
	;; [unrolled: 1-line block ×7, first 2 shown]
	s_waitcnt lgkmcnt(14)
	v_max_f64 v[142:143], v[142:143], v[142:143]
	v_max_f64 v[144:145], v[144:145], v[144:145]
	;; [unrolled: 1-line block ×6, first 2 shown]
	s_waitcnt lgkmcnt(13)
	v_max_f64 v[162:163], v[162:163], v[162:163]
	v_max_f64 v[164:165], v[164:165], v[164:165]
	s_waitcnt lgkmcnt(12)
	v_max_f64 v[166:167], v[166:167], v[166:167]
	v_max_f64 v[168:169], v[168:169], v[168:169]
	;; [unrolled: 3-line block ×14, first 2 shown]
	v_min_f64 v[218:219], v[142:143], v[182:183]
	v_min_f64 v[220:221], v[144:145], v[182:183]
	v_min_f64 v[222:223], v[146:147], v[182:183]
	v_min_f64 v[224:225], v[148:149], v[182:183]
	v_min_f64 v[226:227], v[150:151], v[182:183]
	v_min_f64 v[228:229], v[152:153], v[182:183]
	v_min_f64 v[230:231], v[162:163], v[182:183]
	v_min_f64 v[232:233], v[164:165], v[182:183]
	v_min_f64 v[234:235], v[166:167], v[182:183]
	v_min_f64 v[236:237], v[168:169], v[182:183]
	v_min_f64 v[238:239], v[170:171], v[182:183]
	v_min_f64 v[240:241], v[172:173], v[182:183]
	v_min_f64 v[242:243], v[174:175], v[182:183]
	v_min_f64 v[244:245], v[176:177], v[182:183]
	v_min_f64 v[246:247], v[178:179], v[182:183]
	v_min_f64 v[248:249], v[180:181], v[182:183]
	v_min_f64 v[142:143], v[142:143], v[184:185]
	v_min_f64 v[144:145], v[144:145], v[184:185]
	v_min_f64 v[146:147], v[146:147], v[184:185]
	v_min_f64 v[148:149], v[148:149], v[184:185]
	v_min_f64 v[150:151], v[150:151], v[184:185]
	v_min_f64 v[152:153], v[152:153], v[184:185]
	v_min_f64 v[162:163], v[162:163], v[184:185]
	v_min_f64 v[164:165], v[164:165], v[184:185]
	v_min_f64 v[166:167], v[166:167], v[184:185]
	v_min_f64 v[168:169], v[168:169], v[184:185]
	v_min_f64 v[170:171], v[170:171], v[184:185]
	v_min_f64 v[172:173], v[172:173], v[184:185]
	v_min_f64 v[174:175], v[174:175], v[184:185]
	v_min_f64 v[176:177], v[176:177], v[184:185]
	v_min_f64 v[178:179], v[178:179], v[184:185]
	v_min_f64 v[180:181], v[180:181], v[184:185]
	s_add_i32 s18, s18, 8
	v_add_f64 v[62:63], v[142:143], v[62:63]
	v_add_f64 v[60:61], v[144:145], v[60:61]
	;; [unrolled: 1-line block ×16, first 2 shown]
	v_min_f64 v[142:143], v[186:187], v[182:183]
	v_min_f64 v[144:145], v[188:189], v[182:183]
	;; [unrolled: 1-line block ×32, first 2 shown]
	s_cmp_eq_u32 s18, 32
	v_add_f64 v[126:127], v[218:219], v[126:127]
	v_add_f64 v[124:125], v[220:221], v[124:125]
	;; [unrolled: 1-line block ×48, first 2 shown]
	s_cbranch_scc0 .LBB139_25
; %bb.26:
	s_cmp_gt_i32 s74, 8
	ds_write2st64_b64 v157, v[130:131], v[128:129] offset0:8 offset1:12
	ds_write2st64_b64 v157, v[134:135], v[132:133] offset0:24 offset1:28
	s_waitcnt lgkmcnt(0)
	s_barrier
	s_cbranch_scc1 .LBB139_28
; %bb.27:
	v_add_u32_e32 v161, 0x1000, v159
	v_add_u32_e32 v162, 0x3000, v140
	s_cbranch_execz .LBB139_29
	s_branch .LBB139_51
.LBB139_28:
                                        ; implicit-def: $vgpr161
                                        ; implicit-def: $vgpr162
.LBB139_29:
	v_add_u32_e32 v163, 0x1000, v157
	v_add_u32_e32 v164, 0x3000, v157
	s_add_i32 s22, s74, -8
	v_mad_i64_i32 v[128:129], s[18:19], v136, s23, 0
	v_mad_i64_i32 v[130:131], s[18:19], v137, s23, 0
	;; [unrolled: 1-line block ×4, first 2 shown]
	v_add_u32_e32 v161, 0x1000, v159
	v_add_u32_e32 v162, 0x3000, v140
	s_mov_b32 s23, 8
	s_mov_b32 s24, 0
	v_mov_b32_e32 v137, 0
.LBB139_30:                             ; =>This Loop Header: Depth=1
                                        ;     Child Loop BB139_39 Depth 2
                                        ;     Child Loop BB139_49 Depth 2
	v_or_b32_e32 v136, s23, v156
	v_cmp_le_i32_e32 vcc, s74, v136
	v_lshl_add_u64 v[140:141], v[136:137], 3, s[14:15]
	s_or_b64 s[18:19], s[2:3], vcc
	v_mov_b64_e32 v[146:147], 0
	s_xor_b64 s[26:27], s[18:19], -1
	v_lshl_add_u64 v[138:139], v[128:129], 3, v[140:141]
	v_mov_b64_e32 v[148:149], v[146:147]
	s_and_saveexec_b64 s[18:19], s[26:27]
	s_cbranch_execz .LBB139_32
; %bb.31:                               ;   in Loop: Header=BB139_30 Depth=1
	flat_load_dwordx2 v[148:149], v[138:139]
.LBB139_32:                             ;   in Loop: Header=BB139_30 Depth=1
	s_or_b64 exec, exec, s[18:19]
	s_or_b64 s[18:19], s[4:5], vcc
	s_xor_b64 s[26:27], s[18:19], -1
	v_lshl_add_u64 v[140:141], v[130:131], 3, v[140:141]
	s_and_saveexec_b64 s[18:19], s[26:27]
	s_cbranch_execz .LBB139_34
; %bb.33:                               ;   in Loop: Header=BB139_30 Depth=1
	flat_load_dwordx2 v[146:147], v[140:141]
.LBB139_34:                             ;   in Loop: Header=BB139_30 Depth=1
	s_or_b64 exec, exec, s[18:19]
	v_lshl_add_u64 v[144:145], v[136:137], 3, s[16:17]
	s_or_b64 s[18:19], s[6:7], vcc
	v_mov_b64_e32 v[150:151], 0
	s_xor_b64 s[26:27], s[18:19], -1
	v_lshl_add_u64 v[142:143], v[132:133], 3, v[144:145]
	v_mov_b64_e32 v[152:153], v[150:151]
	s_and_saveexec_b64 s[18:19], s[26:27]
	s_cbranch_execz .LBB139_36
; %bb.35:                               ;   in Loop: Header=BB139_30 Depth=1
	flat_load_dwordx2 v[152:153], v[142:143]
.LBB139_36:                             ;   in Loop: Header=BB139_30 Depth=1
	s_or_b64 exec, exec, s[18:19]
	s_or_b64 s[18:19], s[8:9], vcc
	s_xor_b64 s[26:27], s[18:19], -1
	v_lshl_add_u64 v[144:145], v[134:135], 3, v[144:145]
	s_and_saveexec_b64 s[18:19], s[26:27]
	s_cbranch_execz .LBB139_38
; %bb.37:                               ;   in Loop: Header=BB139_30 Depth=1
	flat_load_dwordx2 v[150:151], v[144:145]
.LBB139_38:                             ;   in Loop: Header=BB139_30 Depth=1
	s_or_b64 exec, exec, s[18:19]
	s_mov_b32 s18, 0
.LBB139_39:                             ;   Parent Loop BB139_30 Depth=1
                                        ; =>  This Inner Loop Header: Depth=2
	v_add_u32_e32 v165, s18, v161
	ds_read2_b64 v[166:169], v165 offset1:16
	ds_read2_b64 v[170:173], v165 offset0:32 offset1:48
	ds_read2_b64 v[174:177], v165 offset0:64 offset1:80
	;; [unrolled: 1-line block ×7, first 2 shown]
	v_add_u32_e32 v165, 0x800, v165
	ds_read2_b64 v[198:201], v165 offset1:16
	ds_read2_b64 v[202:205], v165 offset0:32 offset1:48
	ds_read2_b64 v[206:209], v165 offset0:64 offset1:80
	;; [unrolled: 1-line block ×7, first 2 shown]
	v_add_u32_e32 v165, s18, v162
	ds_read2st64_b64 v[230:233], v165 offset1:4
	s_waitcnt lgkmcnt(0)
	v_max_f64 v[166:167], v[166:167], v[166:167]
	v_max_f64 v[168:169], v[168:169], v[168:169]
	;; [unrolled: 1-line block ×5, first 2 shown]
	v_min_f64 v[234:235], v[166:167], v[230:231]
	v_add_f64 v[126:127], v[234:235], v[126:127]
	v_min_f64 v[234:235], v[168:169], v[230:231]
	v_add_f64 v[124:125], v[234:235], v[124:125]
	;; [unrolled: 2-line block ×3, first 2 shown]
	v_min_f64 v[234:235], v[172:173], v[230:231]
	v_max_f64 v[174:175], v[174:175], v[174:175]
	v_add_f64 v[120:121], v[234:235], v[120:121]
	v_min_f64 v[234:235], v[174:175], v[230:231]
	v_max_f64 v[176:177], v[176:177], v[176:177]
	v_add_f64 v[118:119], v[234:235], v[118:119]
	;; [unrolled: 3-line block ×26, first 2 shown]
	v_min_f64 v[234:235], v[224:225], v[230:231]
	v_max_f64 v[226:227], v[226:227], v[226:227]
	v_max_f64 v[228:229], v[228:229], v[228:229]
	v_add_f64 v[68:69], v[234:235], v[68:69]
	v_min_f64 v[234:235], v[226:227], v[230:231]
	v_min_f64 v[230:231], v[228:229], v[230:231]
	v_add_f64 v[64:65], v[230:231], v[64:65]
	v_max_f64 v[230:231], v[232:233], v[232:233]
	v_min_f64 v[166:167], v[166:167], v[230:231]
	v_add_f64 v[62:63], v[166:167], v[62:63]
	v_min_f64 v[166:167], v[168:169], v[230:231]
	v_add_f64 v[60:61], v[166:167], v[60:61]
	;; [unrolled: 2-line block ×31, first 2 shown]
	v_min_f64 v[166:167], v[228:229], v[230:231]
	s_add_i32 s18, s18, 8
	v_add_f64 v[66:67], v[234:235], v[66:67]
	v_add_f64 v[0:1], v[166:167], v[0:1]
	s_cmp_eq_u32 s18, 32
	s_cbranch_scc0 .LBB139_39
; %bb.40:                               ;   in Loop: Header=BB139_30 Depth=1
	v_or_b32_e32 v136, 4, v136
	v_cmp_le_i32_e32 vcc, s74, v136
	s_waitcnt vmcnt(0)
	ds_write2st64_b64 v157, v[148:149], v[146:147] offset1:4
	ds_write2st64_b64 v158, v[152:153], v[150:151] offset1:4
	s_or_b64 s[18:19], s[2:3], vcc
	v_mov_b64_e32 v[146:147], 0
	s_xor_b64 s[26:27], s[18:19], -1
	v_mov_b64_e32 v[148:149], v[146:147]
	s_waitcnt lgkmcnt(0)
	s_barrier
	s_and_saveexec_b64 s[18:19], s[26:27]
	s_cbranch_execz .LBB139_42
; %bb.41:                               ;   in Loop: Header=BB139_30 Depth=1
	flat_load_dwordx2 v[148:149], v[138:139] offset:32
.LBB139_42:                             ;   in Loop: Header=BB139_30 Depth=1
	s_or_b64 exec, exec, s[18:19]
	s_or_b64 s[18:19], s[4:5], vcc
	s_xor_b64 s[26:27], s[18:19], -1
	s_and_saveexec_b64 s[18:19], s[26:27]
	s_cbranch_execz .LBB139_44
; %bb.43:                               ;   in Loop: Header=BB139_30 Depth=1
	flat_load_dwordx2 v[146:147], v[140:141] offset:32
.LBB139_44:                             ;   in Loop: Header=BB139_30 Depth=1
	s_or_b64 exec, exec, s[18:19]
	s_or_b64 s[18:19], s[6:7], vcc
	v_mov_b64_e32 v[138:139], 0
	s_xor_b64 s[26:27], s[18:19], -1
	v_mov_b64_e32 v[140:141], v[138:139]
	s_and_saveexec_b64 s[18:19], s[26:27]
	s_cbranch_execz .LBB139_46
; %bb.45:                               ;   in Loop: Header=BB139_30 Depth=1
	flat_load_dwordx2 v[140:141], v[142:143] offset:32
.LBB139_46:                             ;   in Loop: Header=BB139_30 Depth=1
	s_or_b64 exec, exec, s[18:19]
	s_or_b64 s[18:19], s[8:9], vcc
	s_xor_b64 s[26:27], s[18:19], -1
	s_and_saveexec_b64 s[18:19], s[26:27]
	s_cbranch_execz .LBB139_48
; %bb.47:                               ;   in Loop: Header=BB139_30 Depth=1
	flat_load_dwordx2 v[138:139], v[144:145] offset:32
.LBB139_48:                             ;   in Loop: Header=BB139_30 Depth=1
	s_or_b64 exec, exec, s[18:19]
	s_mov_b32 s18, 0
.LBB139_49:                             ;   Parent Loop BB139_30 Depth=1
                                        ; =>  This Inner Loop Header: Depth=2
	v_add_u32_e32 v136, s18, v159
	ds_read2_b64 v[142:145], v136 offset1:16
	ds_read2_b64 v[150:153], v136 offset0:32 offset1:48
	ds_read2_b64 v[166:169], v136 offset0:64 offset1:80
	;; [unrolled: 1-line block ×7, first 2 shown]
	v_add_u32_e32 v136, 0x800, v136
	ds_read2_b64 v[190:193], v136 offset1:16
	ds_read2_b64 v[194:197], v136 offset0:32 offset1:48
	ds_read2_b64 v[198:201], v136 offset0:64 offset1:80
	;; [unrolled: 1-line block ×7, first 2 shown]
	v_add_u32_e32 v136, s18, v160
	ds_read2st64_b64 v[222:225], v136 offset1:4
	s_waitcnt lgkmcnt(0)
	v_max_f64 v[142:143], v[142:143], v[142:143]
	v_max_f64 v[144:145], v[144:145], v[144:145]
	;; [unrolled: 1-line block ×5, first 2 shown]
	v_min_f64 v[226:227], v[142:143], v[222:223]
	v_add_f64 v[126:127], v[226:227], v[126:127]
	v_min_f64 v[226:227], v[144:145], v[222:223]
	v_add_f64 v[124:125], v[226:227], v[124:125]
	;; [unrolled: 2-line block ×3, first 2 shown]
	v_min_f64 v[226:227], v[152:153], v[222:223]
	v_max_f64 v[166:167], v[166:167], v[166:167]
	v_add_f64 v[120:121], v[226:227], v[120:121]
	v_min_f64 v[226:227], v[166:167], v[222:223]
	v_max_f64 v[168:169], v[168:169], v[168:169]
	v_add_f64 v[118:119], v[226:227], v[118:119]
	;; [unrolled: 3-line block ×26, first 2 shown]
	v_min_f64 v[226:227], v[216:217], v[222:223]
	v_max_f64 v[218:219], v[218:219], v[218:219]
	v_max_f64 v[220:221], v[220:221], v[220:221]
	v_add_f64 v[68:69], v[226:227], v[68:69]
	v_min_f64 v[226:227], v[218:219], v[222:223]
	v_min_f64 v[222:223], v[220:221], v[222:223]
	v_add_f64 v[64:65], v[222:223], v[64:65]
	v_max_f64 v[222:223], v[224:225], v[224:225]
	v_min_f64 v[142:143], v[142:143], v[222:223]
	v_add_f64 v[62:63], v[142:143], v[62:63]
	v_min_f64 v[142:143], v[144:145], v[222:223]
	v_add_f64 v[60:61], v[142:143], v[60:61]
	;; [unrolled: 2-line block ×31, first 2 shown]
	v_min_f64 v[142:143], v[220:221], v[222:223]
	s_add_i32 s18, s18, 8
	v_add_f64 v[66:67], v[226:227], v[66:67]
	v_add_f64 v[0:1], v[142:143], v[0:1]
	s_cmp_eq_u32 s18, 32
	s_cbranch_scc0 .LBB139_49
; %bb.50:                               ;   in Loop: Header=BB139_30 Depth=1
	s_add_i32 s23, s23, 8
	s_add_i32 s24, s24, 8
	s_cmp_ge_i32 s24, s22
	s_waitcnt vmcnt(0)
	ds_write2st64_b64 v163, v[148:149], v[146:147] offset1:4
	ds_write2st64_b64 v164, v[140:141], v[138:139] offset1:4
	s_waitcnt lgkmcnt(0)
	s_barrier
	s_cbranch_scc0 .LBB139_30
.LBB139_51:
	s_mov_b32 s2, 0
.LBB139_52:                             ; =>This Inner Loop Header: Depth=1
	v_add_u32_e32 v152, s2, v161
	v_add_u32_e32 v153, s2, v162
	ds_read2_b64 v[128:131], v152 offset1:16
	ds_read2_b64 v[132:135], v152 offset0:32 offset1:48
	ds_read2_b64 v[136:139], v152 offset0:64 offset1:80
	;; [unrolled: 1-line block ×7, first 2 shown]
	v_add_u32_e32 v152, 0x800, v152
	ds_read2st64_b64 v[168:171], v153 offset1:4
	ds_read2_b64 v[172:175], v152 offset1:16
	ds_read2_b64 v[176:179], v152 offset0:32 offset1:48
	ds_read2_b64 v[180:183], v152 offset0:64 offset1:80
	;; [unrolled: 1-line block ×7, first 2 shown]
	s_waitcnt lgkmcnt(14)
	v_max_f64 v[128:129], v[128:129], v[128:129]
	v_max_f64 v[130:131], v[130:131], v[130:131]
	;; [unrolled: 1-line block ×3, first 2 shown]
	s_waitcnt lgkmcnt(8)
	v_max_f64 v[152:153], v[168:169], v[168:169]
	v_max_f64 v[134:135], v[134:135], v[134:135]
	;; [unrolled: 1-line block ×15, first 2 shown]
	v_min_f64 v[170:171], v[128:129], v[152:153]
	v_min_f64 v[204:205], v[130:131], v[152:153]
	v_min_f64 v[206:207], v[132:133], v[152:153]
	v_min_f64 v[208:209], v[134:135], v[152:153]
	v_min_f64 v[210:211], v[136:137], v[152:153]
	v_min_f64 v[212:213], v[138:139], v[152:153]
	v_min_f64 v[214:215], v[140:141], v[152:153]
	v_min_f64 v[216:217], v[142:143], v[152:153]
	v_min_f64 v[218:219], v[144:145], v[152:153]
	v_min_f64 v[220:221], v[146:147], v[152:153]
	v_min_f64 v[222:223], v[148:149], v[152:153]
	v_min_f64 v[224:225], v[150:151], v[152:153]
	v_min_f64 v[226:227], v[156:157], v[152:153]
	v_min_f64 v[228:229], v[158:159], v[152:153]
	v_min_f64 v[230:231], v[164:165], v[152:153]
	v_min_f64 v[232:233], v[166:167], v[152:153]
	s_waitcnt lgkmcnt(7)
	v_max_f64 v[172:173], v[172:173], v[172:173]
	v_max_f64 v[174:175], v[174:175], v[174:175]
	s_waitcnt lgkmcnt(6)
	v_max_f64 v[176:177], v[176:177], v[176:177]
	v_max_f64 v[178:179], v[178:179], v[178:179]
	;; [unrolled: 3-line block ×8, first 2 shown]
	v_min_f64 v[128:129], v[128:129], v[168:169]
	v_min_f64 v[130:131], v[130:131], v[168:169]
	;; [unrolled: 1-line block ×16, first 2 shown]
	s_add_i32 s2, s2, 8
	v_add_f64 v[126:127], v[170:171], v[126:127]
	v_add_f64 v[124:125], v[204:205], v[124:125]
	;; [unrolled: 1-line block ×15, first 2 shown]
	v_min_f64 v[170:171], v[172:173], v[152:153]
	v_min_f64 v[204:205], v[174:175], v[152:153]
	;; [unrolled: 1-line block ×16, first 2 shown]
	v_add_f64 v[62:63], v[128:129], v[62:63]
	v_add_f64 v[60:61], v[130:131], v[60:61]
	;; [unrolled: 1-line block ×16, first 2 shown]
	v_min_f64 v[128:129], v[172:173], v[168:169]
	v_min_f64 v[130:131], v[174:175], v[168:169]
	;; [unrolled: 1-line block ×16, first 2 shown]
	s_cmp_eq_u32 s2, 32
	v_add_f64 v[96:97], v[232:233], v[96:97]
	v_add_f64 v[94:95], v[170:171], v[94:95]
	;; [unrolled: 1-line block ×33, first 2 shown]
	s_cbranch_scc0 .LBB139_52
; %bb.53:
	s_load_dwordx2 s[2:3], s[0:1], 0x78
	s_load_dword s78, s[0:1], 0x58
	s_load_dword s33, s[0:1], 0x70
	v_add_u32_e32 v136, s21, v155
	v_add_u32_e32 v128, s20, v154
	s_waitcnt lgkmcnt(0)
	s_lshl_b64 s[0:1], s[2:3], 3
	s_add_u32 s74, s12, s0
	s_addc_u32 s75, s13, s1
	v_mad_i64_i32 v[130:131], s[0:1], v136, s78, 0
	v_cmp_gt_i32_e64 s[24:25], s73, v136
	v_lshl_add_u64 v[132:133], v[130:131], 3, s[76:77]
	v_mad_i64_i32 v[130:131], s[0:1], v136, s33, 0
	v_cmp_gt_i32_e64 s[2:3], s72, v128
	v_cndmask_b32_e64 v134, 0, 1, s[10:11]
	v_lshl_add_u64 v[130:131], v[130:131], 3, s[74:75]
	s_and_b64 s[6:7], s[24:25], s[2:3]
	v_ashrrev_i32_e32 v129, 31, v128
	v_cmp_ne_u32_e64 s[0:1], 1, v134
	s_and_saveexec_b64 s[4:5], s[6:7]
	s_cbranch_execz .LBB139_58
; %bb.54:
	s_and_b64 vcc, exec, s[0:1]
	s_cbranch_vccnz .LBB139_56
; %bb.55:
	v_lshl_add_u64 v[134:135], v[128:129], 3, v[132:133]
	flat_load_dwordx2 v[134:135], v[134:135]
	s_waitcnt vmcnt(0) lgkmcnt(0)
	v_mul_f64 v[134:135], v[134:135], s[70:71]
	s_branch .LBB139_57
.LBB139_56:
	v_mov_b64_e32 v[134:135], 0
.LBB139_57:
	v_add_f64 v[126:127], v[126:127], v[134:135]
	v_lshl_add_u64 v[134:135], v[128:129], 3, v[130:131]
	global_store_dwordx2 v[134:135], v[126:127], off
.LBB139_58:
	s_or_b64 exec, exec, s[4:5]
	v_add_u32_e32 v126, 4, v128
	v_cmp_gt_i32_e64 s[4:5], s72, v126
	s_and_b64 s[8:9], s[24:25], s[4:5]
	v_ashrrev_i32_e32 v127, 31, v126
	s_and_saveexec_b64 s[6:7], s[8:9]
	s_cbranch_execz .LBB139_63
; %bb.59:
	s_and_b64 vcc, exec, s[0:1]
	s_cbranch_vccnz .LBB139_61
; %bb.60:
	v_lshl_add_u64 v[134:135], v[126:127], 3, v[132:133]
	flat_load_dwordx2 v[134:135], v[134:135]
	s_waitcnt vmcnt(0) lgkmcnt(0)
	v_mul_f64 v[134:135], v[134:135], s[70:71]
	s_branch .LBB139_62
.LBB139_61:
	v_mov_b64_e32 v[134:135], 0
.LBB139_62:
	v_add_f64 v[124:125], v[124:125], v[134:135]
	v_lshl_add_u64 v[134:135], v[126:127], 3, v[130:131]
	global_store_dwordx2 v[134:135], v[124:125], off
.LBB139_63:
	s_or_b64 exec, exec, s[6:7]
	v_add_u32_e32 v124, 8, v128
	v_cmp_gt_i32_e64 s[6:7], s72, v124
	s_and_b64 s[10:11], s[24:25], s[6:7]
	v_ashrrev_i32_e32 v125, 31, v124
	;; [unrolled: 23-line block ×31, first 2 shown]
	s_and_saveexec_b64 s[24:25], s[80:81]
	s_cbranch_execz .LBB139_213
; %bb.209:
	s_and_b64 vcc, exec, s[0:1]
	s_cbranch_vccnz .LBB139_211
; %bb.210:
	v_lshl_add_u64 v[132:133], v[66:67], 3, v[132:133]
	flat_load_dwordx2 v[132:133], v[132:133]
	s_waitcnt vmcnt(0) lgkmcnt(0)
	v_mul_f64 v[132:133], v[132:133], s[70:71]
	s_branch .LBB139_212
.LBB139_211:
	v_mov_b64_e32 v[132:133], 0
.LBB139_212:
	v_add_f64 v[64:65], v[64:65], v[132:133]
	v_lshl_add_u64 v[130:131], v[66:67], 3, v[130:131]
	global_store_dwordx2 v[130:131], v[64:65], off
.LBB139_213:
	s_or_b64 exec, exec, s[24:25]
	v_add_u32_e32 v132, 64, v136
	v_cmp_gt_i32_e64 s[24:25], s73, v132
	v_mad_i64_i32 v[64:65], s[72:73], v132, s78, 0
	v_lshl_add_u64 v[130:131], v[64:65], 3, s[76:77]
	v_mad_i64_i32 v[64:65], s[72:73], v132, s33, 0
	v_lshl_add_u64 v[64:65], v[64:65], 3, s[74:75]
	s_and_b64 s[2:3], s[24:25], s[2:3]
	s_and_saveexec_b64 s[72:73], s[2:3]
	s_xor_b64 s[2:3], exec, s[72:73]
	s_cbranch_execnz .LBB139_246
; %bb.214:
	s_or_b64 exec, exec, s[2:3]
	s_and_b64 s[4:5], s[24:25], s[4:5]
	s_and_saveexec_b64 s[2:3], s[4:5]
	s_cbranch_execnz .LBB139_250
.LBB139_215:
	s_or_b64 exec, exec, s[2:3]
	s_and_b64 s[4:5], s[24:25], s[6:7]
	s_and_saveexec_b64 s[2:3], s[4:5]
	s_cbranch_execnz .LBB139_254
.LBB139_216:
	s_or_b64 exec, exec, s[2:3]
	s_and_b64 s[4:5], s[24:25], s[8:9]
	s_and_saveexec_b64 s[2:3], s[4:5]
	s_cbranch_execnz .LBB139_258
.LBB139_217:
	s_or_b64 exec, exec, s[2:3]
	s_and_b64 s[4:5], s[24:25], s[10:11]
	s_and_saveexec_b64 s[2:3], s[4:5]
	s_cbranch_execnz .LBB139_262
.LBB139_218:
	s_or_b64 exec, exec, s[2:3]
	s_and_b64 s[4:5], s[24:25], s[12:13]
	s_and_saveexec_b64 s[2:3], s[4:5]
	s_cbranch_execnz .LBB139_266
.LBB139_219:
	s_or_b64 exec, exec, s[2:3]
	s_and_b64 s[4:5], s[24:25], s[14:15]
	s_and_saveexec_b64 s[2:3], s[4:5]
	s_cbranch_execnz .LBB139_270
.LBB139_220:
	s_or_b64 exec, exec, s[2:3]
	s_and_b64 s[4:5], s[24:25], s[16:17]
	s_and_saveexec_b64 s[2:3], s[4:5]
	s_cbranch_execnz .LBB139_274
.LBB139_221:
	s_or_b64 exec, exec, s[2:3]
	s_and_b64 s[4:5], s[24:25], s[18:19]
	s_and_saveexec_b64 s[2:3], s[4:5]
	s_cbranch_execnz .LBB139_278
.LBB139_222:
	s_or_b64 exec, exec, s[2:3]
	s_and_b64 s[4:5], s[24:25], s[20:21]
	s_and_saveexec_b64 s[2:3], s[4:5]
	s_cbranch_execnz .LBB139_282
.LBB139_223:
	s_or_b64 exec, exec, s[2:3]
	s_and_b64 s[4:5], s[24:25], s[22:23]
	s_and_saveexec_b64 s[2:3], s[4:5]
	s_cbranch_execnz .LBB139_286
.LBB139_224:
	s_or_b64 exec, exec, s[2:3]
	s_and_b64 s[4:5], s[24:25], s[26:27]
	s_and_saveexec_b64 s[2:3], s[4:5]
	s_cbranch_execnz .LBB139_290
.LBB139_225:
	s_or_b64 exec, exec, s[2:3]
	s_and_b64 s[4:5], s[24:25], s[28:29]
	s_and_saveexec_b64 s[2:3], s[4:5]
	s_cbranch_execnz .LBB139_294
.LBB139_226:
	s_or_b64 exec, exec, s[2:3]
	s_and_b64 s[4:5], s[24:25], s[30:31]
	s_and_saveexec_b64 s[2:3], s[4:5]
	s_cbranch_execnz .LBB139_298
.LBB139_227:
	s_or_b64 exec, exec, s[2:3]
	s_and_b64 s[4:5], s[24:25], s[34:35]
	s_and_saveexec_b64 s[2:3], s[4:5]
	s_cbranch_execnz .LBB139_302
.LBB139_228:
	s_or_b64 exec, exec, s[2:3]
	s_and_b64 s[4:5], s[24:25], s[36:37]
	s_and_saveexec_b64 s[2:3], s[4:5]
	s_cbranch_execnz .LBB139_306
.LBB139_229:
	s_or_b64 exec, exec, s[2:3]
	s_and_b64 s[4:5], s[24:25], s[38:39]
	s_and_saveexec_b64 s[2:3], s[4:5]
	s_cbranch_execnz .LBB139_310
.LBB139_230:
	s_or_b64 exec, exec, s[2:3]
	s_and_b64 s[4:5], s[24:25], s[40:41]
	s_and_saveexec_b64 s[2:3], s[4:5]
	s_cbranch_execnz .LBB139_314
.LBB139_231:
	s_or_b64 exec, exec, s[2:3]
	s_and_b64 s[4:5], s[24:25], s[42:43]
	s_and_saveexec_b64 s[2:3], s[4:5]
	s_cbranch_execnz .LBB139_318
.LBB139_232:
	s_or_b64 exec, exec, s[2:3]
	s_and_b64 s[4:5], s[24:25], s[44:45]
	s_and_saveexec_b64 s[2:3], s[4:5]
	s_cbranch_execnz .LBB139_322
.LBB139_233:
	s_or_b64 exec, exec, s[2:3]
	s_and_b64 s[4:5], s[24:25], s[46:47]
	s_and_saveexec_b64 s[2:3], s[4:5]
	s_cbranch_execnz .LBB139_326
.LBB139_234:
	s_or_b64 exec, exec, s[2:3]
	s_and_b64 s[4:5], s[24:25], s[48:49]
	s_and_saveexec_b64 s[2:3], s[4:5]
	s_cbranch_execnz .LBB139_330
.LBB139_235:
	s_or_b64 exec, exec, s[2:3]
	s_and_b64 s[4:5], s[24:25], s[50:51]
	s_and_saveexec_b64 s[2:3], s[4:5]
	s_cbranch_execnz .LBB139_334
.LBB139_236:
	s_or_b64 exec, exec, s[2:3]
	s_and_b64 s[4:5], s[24:25], s[52:53]
	s_and_saveexec_b64 s[2:3], s[4:5]
	s_cbranch_execnz .LBB139_338
.LBB139_237:
	s_or_b64 exec, exec, s[2:3]
	s_and_b64 s[4:5], s[24:25], s[54:55]
	s_and_saveexec_b64 s[2:3], s[4:5]
	s_cbranch_execnz .LBB139_342
.LBB139_238:
	s_or_b64 exec, exec, s[2:3]
	s_and_b64 s[4:5], s[24:25], s[56:57]
	s_and_saveexec_b64 s[2:3], s[4:5]
	s_cbranch_execnz .LBB139_346
.LBB139_239:
	s_or_b64 exec, exec, s[2:3]
	s_and_b64 s[4:5], s[24:25], s[58:59]
	s_and_saveexec_b64 s[2:3], s[4:5]
	s_cbranch_execnz .LBB139_350
.LBB139_240:
	s_or_b64 exec, exec, s[2:3]
	s_and_b64 s[4:5], s[24:25], s[60:61]
	s_and_saveexec_b64 s[2:3], s[4:5]
	s_cbranch_execnz .LBB139_354
.LBB139_241:
	s_or_b64 exec, exec, s[2:3]
	s_and_b64 s[4:5], s[24:25], s[62:63]
	s_and_saveexec_b64 s[2:3], s[4:5]
	s_cbranch_execnz .LBB139_358
.LBB139_242:
	s_or_b64 exec, exec, s[2:3]
	s_and_b64 s[4:5], s[24:25], s[64:65]
	s_and_saveexec_b64 s[2:3], s[4:5]
	s_cbranch_execnz .LBB139_362
.LBB139_243:
	s_or_b64 exec, exec, s[2:3]
	s_and_b64 s[4:5], s[24:25], s[66:67]
	s_and_saveexec_b64 s[2:3], s[4:5]
	s_cbranch_execnz .LBB139_366
.LBB139_244:
	s_or_b64 exec, exec, s[2:3]
	s_and_b64 s[2:3], s[24:25], s[68:69]
	s_and_saveexec_b64 s[4:5], s[2:3]
	s_cbranch_execnz .LBB139_370
.LBB139_245:
	s_endpgm
.LBB139_246:
	s_and_b64 vcc, exec, s[0:1]
	s_cbranch_vccnz .LBB139_248
; %bb.247:
	v_lshl_add_u64 v[132:133], v[128:129], 3, v[130:131]
	flat_load_dwordx2 v[132:133], v[132:133]
	s_waitcnt vmcnt(0) lgkmcnt(0)
	v_mul_f64 v[132:133], v[132:133], s[70:71]
	s_branch .LBB139_249
.LBB139_248:
	v_mov_b64_e32 v[132:133], 0
.LBB139_249:
	v_add_f64 v[62:63], v[62:63], v[132:133]
	v_lshl_add_u64 v[128:129], v[128:129], 3, v[64:65]
	global_store_dwordx2 v[128:129], v[62:63], off
	s_or_b64 exec, exec, s[2:3]
	s_and_b64 s[4:5], s[24:25], s[4:5]
	s_and_saveexec_b64 s[2:3], s[4:5]
	s_cbranch_execz .LBB139_215
.LBB139_250:
	s_and_b64 vcc, exec, s[0:1]
	s_cbranch_vccnz .LBB139_252
; %bb.251:
	v_lshl_add_u64 v[62:63], v[126:127], 3, v[130:131]
	flat_load_dwordx2 v[62:63], v[62:63]
	s_waitcnt vmcnt(0) lgkmcnt(0)
	v_mul_f64 v[62:63], v[62:63], s[70:71]
	s_branch .LBB139_253
.LBB139_252:
	v_mov_b64_e32 v[62:63], 0
.LBB139_253:
	v_add_f64 v[60:61], v[60:61], v[62:63]
	v_lshl_add_u64 v[62:63], v[126:127], 3, v[64:65]
	global_store_dwordx2 v[62:63], v[60:61], off
	s_or_b64 exec, exec, s[2:3]
	s_and_b64 s[4:5], s[24:25], s[6:7]
	s_and_saveexec_b64 s[2:3], s[4:5]
	s_cbranch_execz .LBB139_216
.LBB139_254:
	s_and_b64 vcc, exec, s[0:1]
	s_cbranch_vccnz .LBB139_256
; %bb.255:
	v_lshl_add_u64 v[60:61], v[124:125], 3, v[130:131]
	flat_load_dwordx2 v[60:61], v[60:61]
	s_waitcnt vmcnt(0) lgkmcnt(0)
	v_mul_f64 v[60:61], v[60:61], s[70:71]
	s_branch .LBB139_257
.LBB139_256:
	v_mov_b64_e32 v[60:61], 0
.LBB139_257:
	v_add_f64 v[58:59], v[58:59], v[60:61]
	v_lshl_add_u64 v[60:61], v[124:125], 3, v[64:65]
	global_store_dwordx2 v[60:61], v[58:59], off
	s_or_b64 exec, exec, s[2:3]
	s_and_b64 s[4:5], s[24:25], s[8:9]
	s_and_saveexec_b64 s[2:3], s[4:5]
	s_cbranch_execz .LBB139_217
.LBB139_258:
	s_and_b64 vcc, exec, s[0:1]
	s_cbranch_vccnz .LBB139_260
; %bb.259:
	v_lshl_add_u64 v[58:59], v[122:123], 3, v[130:131]
	flat_load_dwordx2 v[58:59], v[58:59]
	s_waitcnt vmcnt(0) lgkmcnt(0)
	v_mul_f64 v[58:59], v[58:59], s[70:71]
	s_branch .LBB139_261
.LBB139_260:
	v_mov_b64_e32 v[58:59], 0
.LBB139_261:
	v_add_f64 v[56:57], v[56:57], v[58:59]
	v_lshl_add_u64 v[58:59], v[122:123], 3, v[64:65]
	global_store_dwordx2 v[58:59], v[56:57], off
	s_or_b64 exec, exec, s[2:3]
	s_and_b64 s[4:5], s[24:25], s[10:11]
	s_and_saveexec_b64 s[2:3], s[4:5]
	s_cbranch_execz .LBB139_218
.LBB139_262:
	s_and_b64 vcc, exec, s[0:1]
	s_cbranch_vccnz .LBB139_264
; %bb.263:
	v_lshl_add_u64 v[56:57], v[120:121], 3, v[130:131]
	flat_load_dwordx2 v[56:57], v[56:57]
	s_waitcnt vmcnt(0) lgkmcnt(0)
	v_mul_f64 v[56:57], v[56:57], s[70:71]
	s_branch .LBB139_265
.LBB139_264:
	v_mov_b64_e32 v[56:57], 0
.LBB139_265:
	v_add_f64 v[54:55], v[54:55], v[56:57]
	v_lshl_add_u64 v[56:57], v[120:121], 3, v[64:65]
	global_store_dwordx2 v[56:57], v[54:55], off
	s_or_b64 exec, exec, s[2:3]
	s_and_b64 s[4:5], s[24:25], s[12:13]
	s_and_saveexec_b64 s[2:3], s[4:5]
	s_cbranch_execz .LBB139_219
.LBB139_266:
	s_and_b64 vcc, exec, s[0:1]
	s_cbranch_vccnz .LBB139_268
; %bb.267:
	v_lshl_add_u64 v[54:55], v[118:119], 3, v[130:131]
	flat_load_dwordx2 v[54:55], v[54:55]
	s_waitcnt vmcnt(0) lgkmcnt(0)
	v_mul_f64 v[54:55], v[54:55], s[70:71]
	s_branch .LBB139_269
.LBB139_268:
	v_mov_b64_e32 v[54:55], 0
.LBB139_269:
	v_add_f64 v[52:53], v[52:53], v[54:55]
	v_lshl_add_u64 v[54:55], v[118:119], 3, v[64:65]
	global_store_dwordx2 v[54:55], v[52:53], off
	s_or_b64 exec, exec, s[2:3]
	s_and_b64 s[4:5], s[24:25], s[14:15]
	s_and_saveexec_b64 s[2:3], s[4:5]
	s_cbranch_execz .LBB139_220
.LBB139_270:
	s_and_b64 vcc, exec, s[0:1]
	s_cbranch_vccnz .LBB139_272
; %bb.271:
	v_lshl_add_u64 v[52:53], v[116:117], 3, v[130:131]
	flat_load_dwordx2 v[52:53], v[52:53]
	s_waitcnt vmcnt(0) lgkmcnt(0)
	v_mul_f64 v[52:53], v[52:53], s[70:71]
	s_branch .LBB139_273
.LBB139_272:
	v_mov_b64_e32 v[52:53], 0
.LBB139_273:
	v_add_f64 v[50:51], v[50:51], v[52:53]
	v_lshl_add_u64 v[52:53], v[116:117], 3, v[64:65]
	global_store_dwordx2 v[52:53], v[50:51], off
	s_or_b64 exec, exec, s[2:3]
	s_and_b64 s[4:5], s[24:25], s[16:17]
	s_and_saveexec_b64 s[2:3], s[4:5]
	s_cbranch_execz .LBB139_221
.LBB139_274:
	s_and_b64 vcc, exec, s[0:1]
	s_cbranch_vccnz .LBB139_276
; %bb.275:
	v_lshl_add_u64 v[50:51], v[114:115], 3, v[130:131]
	flat_load_dwordx2 v[50:51], v[50:51]
	s_waitcnt vmcnt(0) lgkmcnt(0)
	v_mul_f64 v[50:51], v[50:51], s[70:71]
	s_branch .LBB139_277
.LBB139_276:
	v_mov_b64_e32 v[50:51], 0
.LBB139_277:
	v_add_f64 v[48:49], v[48:49], v[50:51]
	v_lshl_add_u64 v[50:51], v[114:115], 3, v[64:65]
	global_store_dwordx2 v[50:51], v[48:49], off
	s_or_b64 exec, exec, s[2:3]
	s_and_b64 s[4:5], s[24:25], s[18:19]
	s_and_saveexec_b64 s[2:3], s[4:5]
	s_cbranch_execz .LBB139_222
.LBB139_278:
	s_and_b64 vcc, exec, s[0:1]
	s_cbranch_vccnz .LBB139_280
; %bb.279:
	v_lshl_add_u64 v[48:49], v[112:113], 3, v[130:131]
	flat_load_dwordx2 v[48:49], v[48:49]
	s_waitcnt vmcnt(0) lgkmcnt(0)
	v_mul_f64 v[48:49], v[48:49], s[70:71]
	s_branch .LBB139_281
.LBB139_280:
	v_mov_b64_e32 v[48:49], 0
.LBB139_281:
	v_add_f64 v[46:47], v[46:47], v[48:49]
	v_lshl_add_u64 v[48:49], v[112:113], 3, v[64:65]
	global_store_dwordx2 v[48:49], v[46:47], off
	s_or_b64 exec, exec, s[2:3]
	s_and_b64 s[4:5], s[24:25], s[20:21]
	s_and_saveexec_b64 s[2:3], s[4:5]
	s_cbranch_execz .LBB139_223
.LBB139_282:
	s_and_b64 vcc, exec, s[0:1]
	s_cbranch_vccnz .LBB139_284
; %bb.283:
	v_lshl_add_u64 v[46:47], v[110:111], 3, v[130:131]
	flat_load_dwordx2 v[46:47], v[46:47]
	s_waitcnt vmcnt(0) lgkmcnt(0)
	v_mul_f64 v[46:47], v[46:47], s[70:71]
	s_branch .LBB139_285
.LBB139_284:
	v_mov_b64_e32 v[46:47], 0
.LBB139_285:
	v_add_f64 v[44:45], v[44:45], v[46:47]
	v_lshl_add_u64 v[46:47], v[110:111], 3, v[64:65]
	global_store_dwordx2 v[46:47], v[44:45], off
	s_or_b64 exec, exec, s[2:3]
	s_and_b64 s[4:5], s[24:25], s[22:23]
	s_and_saveexec_b64 s[2:3], s[4:5]
	s_cbranch_execz .LBB139_224
.LBB139_286:
	s_and_b64 vcc, exec, s[0:1]
	s_cbranch_vccnz .LBB139_288
; %bb.287:
	v_lshl_add_u64 v[44:45], v[108:109], 3, v[130:131]
	flat_load_dwordx2 v[44:45], v[44:45]
	s_waitcnt vmcnt(0) lgkmcnt(0)
	v_mul_f64 v[44:45], v[44:45], s[70:71]
	s_branch .LBB139_289
.LBB139_288:
	v_mov_b64_e32 v[44:45], 0
.LBB139_289:
	v_add_f64 v[42:43], v[42:43], v[44:45]
	v_lshl_add_u64 v[44:45], v[108:109], 3, v[64:65]
	global_store_dwordx2 v[44:45], v[42:43], off
	s_or_b64 exec, exec, s[2:3]
	s_and_b64 s[4:5], s[24:25], s[26:27]
	s_and_saveexec_b64 s[2:3], s[4:5]
	s_cbranch_execz .LBB139_225
.LBB139_290:
	s_and_b64 vcc, exec, s[0:1]
	s_cbranch_vccnz .LBB139_292
; %bb.291:
	v_lshl_add_u64 v[42:43], v[106:107], 3, v[130:131]
	flat_load_dwordx2 v[42:43], v[42:43]
	s_waitcnt vmcnt(0) lgkmcnt(0)
	v_mul_f64 v[42:43], v[42:43], s[70:71]
	s_branch .LBB139_293
.LBB139_292:
	v_mov_b64_e32 v[42:43], 0
.LBB139_293:
	v_add_f64 v[40:41], v[40:41], v[42:43]
	v_lshl_add_u64 v[42:43], v[106:107], 3, v[64:65]
	global_store_dwordx2 v[42:43], v[40:41], off
	s_or_b64 exec, exec, s[2:3]
	s_and_b64 s[4:5], s[24:25], s[28:29]
	s_and_saveexec_b64 s[2:3], s[4:5]
	s_cbranch_execz .LBB139_226
.LBB139_294:
	s_and_b64 vcc, exec, s[0:1]
	s_cbranch_vccnz .LBB139_296
; %bb.295:
	v_lshl_add_u64 v[40:41], v[104:105], 3, v[130:131]
	flat_load_dwordx2 v[40:41], v[40:41]
	s_waitcnt vmcnt(0) lgkmcnt(0)
	v_mul_f64 v[40:41], v[40:41], s[70:71]
	s_branch .LBB139_297
.LBB139_296:
	v_mov_b64_e32 v[40:41], 0
.LBB139_297:
	v_add_f64 v[38:39], v[38:39], v[40:41]
	v_lshl_add_u64 v[40:41], v[104:105], 3, v[64:65]
	global_store_dwordx2 v[40:41], v[38:39], off
	s_or_b64 exec, exec, s[2:3]
	s_and_b64 s[4:5], s[24:25], s[30:31]
	s_and_saveexec_b64 s[2:3], s[4:5]
	s_cbranch_execz .LBB139_227
.LBB139_298:
	s_and_b64 vcc, exec, s[0:1]
	s_cbranch_vccnz .LBB139_300
; %bb.299:
	v_lshl_add_u64 v[38:39], v[102:103], 3, v[130:131]
	flat_load_dwordx2 v[38:39], v[38:39]
	s_waitcnt vmcnt(0) lgkmcnt(0)
	v_mul_f64 v[38:39], v[38:39], s[70:71]
	s_branch .LBB139_301
.LBB139_300:
	v_mov_b64_e32 v[38:39], 0
.LBB139_301:
	v_add_f64 v[36:37], v[36:37], v[38:39]
	v_lshl_add_u64 v[38:39], v[102:103], 3, v[64:65]
	global_store_dwordx2 v[38:39], v[36:37], off
	s_or_b64 exec, exec, s[2:3]
	s_and_b64 s[4:5], s[24:25], s[34:35]
	s_and_saveexec_b64 s[2:3], s[4:5]
	s_cbranch_execz .LBB139_228
.LBB139_302:
	s_and_b64 vcc, exec, s[0:1]
	s_cbranch_vccnz .LBB139_304
; %bb.303:
	v_lshl_add_u64 v[36:37], v[100:101], 3, v[130:131]
	flat_load_dwordx2 v[36:37], v[36:37]
	s_waitcnt vmcnt(0) lgkmcnt(0)
	v_mul_f64 v[36:37], v[36:37], s[70:71]
	s_branch .LBB139_305
.LBB139_304:
	v_mov_b64_e32 v[36:37], 0
.LBB139_305:
	v_add_f64 v[34:35], v[34:35], v[36:37]
	v_lshl_add_u64 v[36:37], v[100:101], 3, v[64:65]
	global_store_dwordx2 v[36:37], v[34:35], off
	s_or_b64 exec, exec, s[2:3]
	s_and_b64 s[4:5], s[24:25], s[36:37]
	s_and_saveexec_b64 s[2:3], s[4:5]
	s_cbranch_execz .LBB139_229
.LBB139_306:
	s_and_b64 vcc, exec, s[0:1]
	s_cbranch_vccnz .LBB139_308
; %bb.307:
	v_lshl_add_u64 v[34:35], v[98:99], 3, v[130:131]
	flat_load_dwordx2 v[34:35], v[34:35]
	s_waitcnt vmcnt(0) lgkmcnt(0)
	v_mul_f64 v[34:35], v[34:35], s[70:71]
	s_branch .LBB139_309
.LBB139_308:
	v_mov_b64_e32 v[34:35], 0
.LBB139_309:
	v_add_f64 v[32:33], v[32:33], v[34:35]
	v_lshl_add_u64 v[34:35], v[98:99], 3, v[64:65]
	global_store_dwordx2 v[34:35], v[32:33], off
	s_or_b64 exec, exec, s[2:3]
	s_and_b64 s[4:5], s[24:25], s[38:39]
	s_and_saveexec_b64 s[2:3], s[4:5]
	s_cbranch_execz .LBB139_230
.LBB139_310:
	s_and_b64 vcc, exec, s[0:1]
	s_cbranch_vccnz .LBB139_312
; %bb.311:
	v_lshl_add_u64 v[32:33], v[96:97], 3, v[130:131]
	flat_load_dwordx2 v[32:33], v[32:33]
	s_waitcnt vmcnt(0) lgkmcnt(0)
	v_mul_f64 v[32:33], v[32:33], s[70:71]
	s_branch .LBB139_313
.LBB139_312:
	v_mov_b64_e32 v[32:33], 0
.LBB139_313:
	v_add_f64 v[30:31], v[30:31], v[32:33]
	v_lshl_add_u64 v[32:33], v[96:97], 3, v[64:65]
	global_store_dwordx2 v[32:33], v[30:31], off
	s_or_b64 exec, exec, s[2:3]
	s_and_b64 s[4:5], s[24:25], s[40:41]
	s_and_saveexec_b64 s[2:3], s[4:5]
	s_cbranch_execz .LBB139_231
.LBB139_314:
	s_and_b64 vcc, exec, s[0:1]
	s_cbranch_vccnz .LBB139_316
; %bb.315:
	v_lshl_add_u64 v[30:31], v[94:95], 3, v[130:131]
	flat_load_dwordx2 v[30:31], v[30:31]
	s_waitcnt vmcnt(0) lgkmcnt(0)
	v_mul_f64 v[30:31], v[30:31], s[70:71]
	s_branch .LBB139_317
.LBB139_316:
	v_mov_b64_e32 v[30:31], 0
.LBB139_317:
	v_add_f64 v[28:29], v[28:29], v[30:31]
	v_lshl_add_u64 v[30:31], v[94:95], 3, v[64:65]
	global_store_dwordx2 v[30:31], v[28:29], off
	s_or_b64 exec, exec, s[2:3]
	s_and_b64 s[4:5], s[24:25], s[42:43]
	s_and_saveexec_b64 s[2:3], s[4:5]
	s_cbranch_execz .LBB139_232
.LBB139_318:
	s_and_b64 vcc, exec, s[0:1]
	s_cbranch_vccnz .LBB139_320
; %bb.319:
	v_lshl_add_u64 v[28:29], v[92:93], 3, v[130:131]
	flat_load_dwordx2 v[28:29], v[28:29]
	s_waitcnt vmcnt(0) lgkmcnt(0)
	v_mul_f64 v[28:29], v[28:29], s[70:71]
	s_branch .LBB139_321
.LBB139_320:
	v_mov_b64_e32 v[28:29], 0
.LBB139_321:
	v_add_f64 v[26:27], v[26:27], v[28:29]
	v_lshl_add_u64 v[28:29], v[92:93], 3, v[64:65]
	global_store_dwordx2 v[28:29], v[26:27], off
	s_or_b64 exec, exec, s[2:3]
	s_and_b64 s[4:5], s[24:25], s[44:45]
	s_and_saveexec_b64 s[2:3], s[4:5]
	s_cbranch_execz .LBB139_233
.LBB139_322:
	s_and_b64 vcc, exec, s[0:1]
	s_cbranch_vccnz .LBB139_324
; %bb.323:
	v_lshl_add_u64 v[26:27], v[90:91], 3, v[130:131]
	flat_load_dwordx2 v[26:27], v[26:27]
	s_waitcnt vmcnt(0) lgkmcnt(0)
	v_mul_f64 v[26:27], v[26:27], s[70:71]
	s_branch .LBB139_325
.LBB139_324:
	v_mov_b64_e32 v[26:27], 0
.LBB139_325:
	v_add_f64 v[24:25], v[24:25], v[26:27]
	v_lshl_add_u64 v[26:27], v[90:91], 3, v[64:65]
	global_store_dwordx2 v[26:27], v[24:25], off
	s_or_b64 exec, exec, s[2:3]
	s_and_b64 s[4:5], s[24:25], s[46:47]
	s_and_saveexec_b64 s[2:3], s[4:5]
	s_cbranch_execz .LBB139_234
.LBB139_326:
	s_and_b64 vcc, exec, s[0:1]
	s_cbranch_vccnz .LBB139_328
; %bb.327:
	v_lshl_add_u64 v[24:25], v[88:89], 3, v[130:131]
	flat_load_dwordx2 v[24:25], v[24:25]
	s_waitcnt vmcnt(0) lgkmcnt(0)
	v_mul_f64 v[24:25], v[24:25], s[70:71]
	s_branch .LBB139_329
.LBB139_328:
	v_mov_b64_e32 v[24:25], 0
.LBB139_329:
	v_add_f64 v[22:23], v[22:23], v[24:25]
	v_lshl_add_u64 v[24:25], v[88:89], 3, v[64:65]
	global_store_dwordx2 v[24:25], v[22:23], off
	s_or_b64 exec, exec, s[2:3]
	s_and_b64 s[4:5], s[24:25], s[48:49]
	s_and_saveexec_b64 s[2:3], s[4:5]
	s_cbranch_execz .LBB139_235
.LBB139_330:
	s_and_b64 vcc, exec, s[0:1]
	s_cbranch_vccnz .LBB139_332
; %bb.331:
	v_lshl_add_u64 v[22:23], v[86:87], 3, v[130:131]
	flat_load_dwordx2 v[22:23], v[22:23]
	s_waitcnt vmcnt(0) lgkmcnt(0)
	v_mul_f64 v[22:23], v[22:23], s[70:71]
	s_branch .LBB139_333
.LBB139_332:
	v_mov_b64_e32 v[22:23], 0
.LBB139_333:
	v_add_f64 v[20:21], v[20:21], v[22:23]
	v_lshl_add_u64 v[22:23], v[86:87], 3, v[64:65]
	global_store_dwordx2 v[22:23], v[20:21], off
	s_or_b64 exec, exec, s[2:3]
	s_and_b64 s[4:5], s[24:25], s[50:51]
	s_and_saveexec_b64 s[2:3], s[4:5]
	s_cbranch_execz .LBB139_236
.LBB139_334:
	s_and_b64 vcc, exec, s[0:1]
	s_cbranch_vccnz .LBB139_336
; %bb.335:
	v_lshl_add_u64 v[20:21], v[84:85], 3, v[130:131]
	flat_load_dwordx2 v[20:21], v[20:21]
	s_waitcnt vmcnt(0) lgkmcnt(0)
	v_mul_f64 v[20:21], v[20:21], s[70:71]
	s_branch .LBB139_337
.LBB139_336:
	v_mov_b64_e32 v[20:21], 0
.LBB139_337:
	v_add_f64 v[18:19], v[18:19], v[20:21]
	v_lshl_add_u64 v[20:21], v[84:85], 3, v[64:65]
	global_store_dwordx2 v[20:21], v[18:19], off
	s_or_b64 exec, exec, s[2:3]
	s_and_b64 s[4:5], s[24:25], s[52:53]
	s_and_saveexec_b64 s[2:3], s[4:5]
	s_cbranch_execz .LBB139_237
.LBB139_338:
	s_and_b64 vcc, exec, s[0:1]
	s_cbranch_vccnz .LBB139_340
; %bb.339:
	v_lshl_add_u64 v[18:19], v[82:83], 3, v[130:131]
	flat_load_dwordx2 v[18:19], v[18:19]
	s_waitcnt vmcnt(0) lgkmcnt(0)
	v_mul_f64 v[18:19], v[18:19], s[70:71]
	s_branch .LBB139_341
.LBB139_340:
	v_mov_b64_e32 v[18:19], 0
.LBB139_341:
	v_add_f64 v[16:17], v[16:17], v[18:19]
	v_lshl_add_u64 v[18:19], v[82:83], 3, v[64:65]
	global_store_dwordx2 v[18:19], v[16:17], off
	s_or_b64 exec, exec, s[2:3]
	s_and_b64 s[4:5], s[24:25], s[54:55]
	s_and_saveexec_b64 s[2:3], s[4:5]
	s_cbranch_execz .LBB139_238
.LBB139_342:
	s_and_b64 vcc, exec, s[0:1]
	s_cbranch_vccnz .LBB139_344
; %bb.343:
	v_lshl_add_u64 v[16:17], v[80:81], 3, v[130:131]
	flat_load_dwordx2 v[16:17], v[16:17]
	s_waitcnt vmcnt(0) lgkmcnt(0)
	v_mul_f64 v[16:17], v[16:17], s[70:71]
	s_branch .LBB139_345
.LBB139_344:
	v_mov_b64_e32 v[16:17], 0
.LBB139_345:
	v_add_f64 v[14:15], v[14:15], v[16:17]
	v_lshl_add_u64 v[16:17], v[80:81], 3, v[64:65]
	global_store_dwordx2 v[16:17], v[14:15], off
	s_or_b64 exec, exec, s[2:3]
	s_and_b64 s[4:5], s[24:25], s[56:57]
	s_and_saveexec_b64 s[2:3], s[4:5]
	s_cbranch_execz .LBB139_239
.LBB139_346:
	s_and_b64 vcc, exec, s[0:1]
	s_cbranch_vccnz .LBB139_348
; %bb.347:
	v_lshl_add_u64 v[14:15], v[78:79], 3, v[130:131]
	flat_load_dwordx2 v[14:15], v[14:15]
	s_waitcnt vmcnt(0) lgkmcnt(0)
	v_mul_f64 v[14:15], v[14:15], s[70:71]
	s_branch .LBB139_349
.LBB139_348:
	v_mov_b64_e32 v[14:15], 0
.LBB139_349:
	v_add_f64 v[12:13], v[12:13], v[14:15]
	v_lshl_add_u64 v[14:15], v[78:79], 3, v[64:65]
	global_store_dwordx2 v[14:15], v[12:13], off
	s_or_b64 exec, exec, s[2:3]
	s_and_b64 s[4:5], s[24:25], s[58:59]
	s_and_saveexec_b64 s[2:3], s[4:5]
	s_cbranch_execz .LBB139_240
.LBB139_350:
	s_and_b64 vcc, exec, s[0:1]
	s_cbranch_vccnz .LBB139_352
; %bb.351:
	v_lshl_add_u64 v[12:13], v[76:77], 3, v[130:131]
	flat_load_dwordx2 v[12:13], v[12:13]
	s_waitcnt vmcnt(0) lgkmcnt(0)
	v_mul_f64 v[12:13], v[12:13], s[70:71]
	s_branch .LBB139_353
.LBB139_352:
	v_mov_b64_e32 v[12:13], 0
.LBB139_353:
	v_add_f64 v[10:11], v[10:11], v[12:13]
	v_lshl_add_u64 v[12:13], v[76:77], 3, v[64:65]
	global_store_dwordx2 v[12:13], v[10:11], off
	s_or_b64 exec, exec, s[2:3]
	s_and_b64 s[4:5], s[24:25], s[60:61]
	s_and_saveexec_b64 s[2:3], s[4:5]
	s_cbranch_execz .LBB139_241
.LBB139_354:
	s_and_b64 vcc, exec, s[0:1]
	s_cbranch_vccnz .LBB139_356
; %bb.355:
	v_lshl_add_u64 v[10:11], v[74:75], 3, v[130:131]
	flat_load_dwordx2 v[10:11], v[10:11]
	s_waitcnt vmcnt(0) lgkmcnt(0)
	v_mul_f64 v[10:11], v[10:11], s[70:71]
	s_branch .LBB139_357
.LBB139_356:
	v_mov_b64_e32 v[10:11], 0
.LBB139_357:
	v_add_f64 v[8:9], v[8:9], v[10:11]
	v_lshl_add_u64 v[10:11], v[74:75], 3, v[64:65]
	global_store_dwordx2 v[10:11], v[8:9], off
	s_or_b64 exec, exec, s[2:3]
	s_and_b64 s[4:5], s[24:25], s[62:63]
	s_and_saveexec_b64 s[2:3], s[4:5]
	s_cbranch_execz .LBB139_242
.LBB139_358:
	s_and_b64 vcc, exec, s[0:1]
	s_cbranch_vccnz .LBB139_360
; %bb.359:
	v_lshl_add_u64 v[8:9], v[72:73], 3, v[130:131]
	flat_load_dwordx2 v[8:9], v[8:9]
	s_waitcnt vmcnt(0) lgkmcnt(0)
	v_mul_f64 v[8:9], v[8:9], s[70:71]
	s_branch .LBB139_361
.LBB139_360:
	v_mov_b64_e32 v[8:9], 0
.LBB139_361:
	v_add_f64 v[6:7], v[6:7], v[8:9]
	v_lshl_add_u64 v[8:9], v[72:73], 3, v[64:65]
	global_store_dwordx2 v[8:9], v[6:7], off
	s_or_b64 exec, exec, s[2:3]
	s_and_b64 s[4:5], s[24:25], s[64:65]
	s_and_saveexec_b64 s[2:3], s[4:5]
	s_cbranch_execz .LBB139_243
.LBB139_362:
	s_and_b64 vcc, exec, s[0:1]
	s_cbranch_vccnz .LBB139_364
; %bb.363:
	v_lshl_add_u64 v[6:7], v[70:71], 3, v[130:131]
	flat_load_dwordx2 v[6:7], v[6:7]
	s_waitcnt vmcnt(0) lgkmcnt(0)
	v_mul_f64 v[6:7], v[6:7], s[70:71]
	s_branch .LBB139_365
.LBB139_364:
	v_mov_b64_e32 v[6:7], 0
.LBB139_365:
	v_add_f64 v[4:5], v[4:5], v[6:7]
	v_lshl_add_u64 v[6:7], v[70:71], 3, v[64:65]
	global_store_dwordx2 v[6:7], v[4:5], off
	s_or_b64 exec, exec, s[2:3]
	s_and_b64 s[4:5], s[24:25], s[66:67]
	s_and_saveexec_b64 s[2:3], s[4:5]
	s_cbranch_execz .LBB139_244
.LBB139_366:
	s_and_b64 vcc, exec, s[0:1]
	s_cbranch_vccnz .LBB139_368
; %bb.367:
	v_lshl_add_u64 v[4:5], v[68:69], 3, v[130:131]
	flat_load_dwordx2 v[4:5], v[4:5]
	s_waitcnt vmcnt(0) lgkmcnt(0)
	v_mul_f64 v[4:5], v[4:5], s[70:71]
	s_branch .LBB139_369
.LBB139_368:
	v_mov_b64_e32 v[4:5], 0
.LBB139_369:
	v_add_f64 v[2:3], v[2:3], v[4:5]
	v_lshl_add_u64 v[4:5], v[68:69], 3, v[64:65]
	global_store_dwordx2 v[4:5], v[2:3], off
	s_or_b64 exec, exec, s[2:3]
	s_and_b64 s[2:3], s[24:25], s[68:69]
	s_and_saveexec_b64 s[4:5], s[2:3]
	s_cbranch_execz .LBB139_245
.LBB139_370:
	s_and_b64 vcc, exec, s[0:1]
	s_cbranch_vccnz .LBB139_372
; %bb.371:
	v_lshl_add_u64 v[2:3], v[66:67], 3, v[130:131]
	flat_load_dwordx2 v[2:3], v[2:3]
	s_waitcnt vmcnt(0) lgkmcnt(0)
	v_mul_f64 v[2:3], v[2:3], s[70:71]
	v_add_f64 v[0:1], v[0:1], v[2:3]
	v_lshl_add_u64 v[2:3], v[66:67], 3, v[64:65]
	global_store_dwordx2 v[2:3], v[0:1], off
	s_endpgm
.LBB139_372:
	v_mov_b64_e32 v[2:3], 0
	v_add_f64 v[0:1], v[0:1], v[2:3]
	v_lshl_add_u64 v[2:3], v[66:67], 3, v[64:65]
	global_store_dwordx2 v[2:3], v[0:1], off
	s_endpgm
	.section	.rodata,"a",@progbits
	.p2align	6, 0x0
	.amdhsa_kernel _ZN12_GLOBAL__N_120geam_min_plus_kernelIdddLi4ELi64ELi128ELi128ELi4ELi4ELi64ELi4ELi64ELc84ELc78ELb1ELb1ELb0EdKPKdKPdEEviiiT16_PT17_ilS8_ilS6_S8_ilPT18_ili26rocblas_geam_ex_operation_
		.amdhsa_group_segment_fixed_size 16384
		.amdhsa_private_segment_fixed_size 0
		.amdhsa_kernarg_size 136
		.amdhsa_user_sgpr_count 2
		.amdhsa_user_sgpr_dispatch_ptr 0
		.amdhsa_user_sgpr_queue_ptr 0
		.amdhsa_user_sgpr_kernarg_segment_ptr 1
		.amdhsa_user_sgpr_dispatch_id 0
		.amdhsa_user_sgpr_kernarg_preload_length 0
		.amdhsa_user_sgpr_kernarg_preload_offset 0
		.amdhsa_user_sgpr_private_segment_size 0
		.amdhsa_uses_dynamic_stack 0
		.amdhsa_enable_private_segment 0
		.amdhsa_system_sgpr_workgroup_id_x 1
		.amdhsa_system_sgpr_workgroup_id_y 0
		.amdhsa_system_sgpr_workgroup_id_z 1
		.amdhsa_system_sgpr_workgroup_info 0
		.amdhsa_system_vgpr_workitem_id 1
		.amdhsa_next_free_vgpr 250
		.amdhsa_next_free_sgpr 82
		.amdhsa_accum_offset 252
		.amdhsa_reserve_vcc 1
		.amdhsa_float_round_mode_32 0
		.amdhsa_float_round_mode_16_64 0
		.amdhsa_float_denorm_mode_32 3
		.amdhsa_float_denorm_mode_16_64 3
		.amdhsa_dx10_clamp 1
		.amdhsa_ieee_mode 1
		.amdhsa_fp16_overflow 0
		.amdhsa_tg_split 0
		.amdhsa_exception_fp_ieee_invalid_op 0
		.amdhsa_exception_fp_denorm_src 0
		.amdhsa_exception_fp_ieee_div_zero 0
		.amdhsa_exception_fp_ieee_overflow 0
		.amdhsa_exception_fp_ieee_underflow 0
		.amdhsa_exception_fp_ieee_inexact 0
		.amdhsa_exception_int_div_zero 0
	.end_amdhsa_kernel
	.section	.text._ZN12_GLOBAL__N_120geam_min_plus_kernelIdddLi4ELi64ELi128ELi128ELi4ELi4ELi64ELi4ELi64ELc84ELc78ELb1ELb1ELb0EdKPKdKPdEEviiiT16_PT17_ilS8_ilS6_S8_ilPT18_ili26rocblas_geam_ex_operation_,"axG",@progbits,_ZN12_GLOBAL__N_120geam_min_plus_kernelIdddLi4ELi64ELi128ELi128ELi4ELi4ELi64ELi4ELi64ELc84ELc78ELb1ELb1ELb0EdKPKdKPdEEviiiT16_PT17_ilS8_ilS6_S8_ilPT18_ili26rocblas_geam_ex_operation_,comdat
.Lfunc_end139:
	.size	_ZN12_GLOBAL__N_120geam_min_plus_kernelIdddLi4ELi64ELi128ELi128ELi4ELi4ELi64ELi4ELi64ELc84ELc78ELb1ELb1ELb0EdKPKdKPdEEviiiT16_PT17_ilS8_ilS6_S8_ilPT18_ili26rocblas_geam_ex_operation_, .Lfunc_end139-_ZN12_GLOBAL__N_120geam_min_plus_kernelIdddLi4ELi64ELi128ELi128ELi4ELi4ELi64ELi4ELi64ELc84ELc78ELb1ELb1ELb0EdKPKdKPdEEviiiT16_PT17_ilS8_ilS6_S8_ilPT18_ili26rocblas_geam_ex_operation_
                                        ; -- End function
	.section	.AMDGPU.csdata,"",@progbits
; Kernel info:
; codeLenInByte = 14356
; NumSgprs: 88
; NumVgprs: 250
; NumAgprs: 0
; TotalNumVgprs: 250
; ScratchSize: 0
; MemoryBound: 0
; FloatMode: 240
; IeeeMode: 1
; LDSByteSize: 16384 bytes/workgroup (compile time only)
; SGPRBlocks: 10
; VGPRBlocks: 31
; NumSGPRsForWavesPerEU: 88
; NumVGPRsForWavesPerEU: 250
; AccumOffset: 252
; Occupancy: 2
; WaveLimiterHint : 1
; COMPUTE_PGM_RSRC2:SCRATCH_EN: 0
; COMPUTE_PGM_RSRC2:USER_SGPR: 2
; COMPUTE_PGM_RSRC2:TRAP_HANDLER: 0
; COMPUTE_PGM_RSRC2:TGID_X_EN: 1
; COMPUTE_PGM_RSRC2:TGID_Y_EN: 0
; COMPUTE_PGM_RSRC2:TGID_Z_EN: 1
; COMPUTE_PGM_RSRC2:TIDIG_COMP_CNT: 1
; COMPUTE_PGM_RSRC3_GFX90A:ACCUM_OFFSET: 62
; COMPUTE_PGM_RSRC3_GFX90A:TG_SPLIT: 0
	.section	.text._ZN12_GLOBAL__N_120geam_min_plus_kernelIdddLi4ELi64ELi128ELi128ELi4ELi4ELi64ELi4ELi64ELc84ELc78ELb0ELb1ELb0EdKPKdKPdEEviiiT16_PT17_ilS8_ilS6_S8_ilPT18_ili26rocblas_geam_ex_operation_,"axG",@progbits,_ZN12_GLOBAL__N_120geam_min_plus_kernelIdddLi4ELi64ELi128ELi128ELi4ELi4ELi64ELi4ELi64ELc84ELc78ELb0ELb1ELb0EdKPKdKPdEEviiiT16_PT17_ilS8_ilS6_S8_ilPT18_ili26rocblas_geam_ex_operation_,comdat
	.globl	_ZN12_GLOBAL__N_120geam_min_plus_kernelIdddLi4ELi64ELi128ELi128ELi4ELi4ELi64ELi4ELi64ELc84ELc78ELb0ELb1ELb0EdKPKdKPdEEviiiT16_PT17_ilS8_ilS6_S8_ilPT18_ili26rocblas_geam_ex_operation_ ; -- Begin function _ZN12_GLOBAL__N_120geam_min_plus_kernelIdddLi4ELi64ELi128ELi128ELi4ELi4ELi64ELi4ELi64ELc84ELc78ELb0ELb1ELb0EdKPKdKPdEEviiiT16_PT17_ilS8_ilS6_S8_ilPT18_ili26rocblas_geam_ex_operation_
	.p2align	8
	.type	_ZN12_GLOBAL__N_120geam_min_plus_kernelIdddLi4ELi64ELi128ELi128ELi4ELi4ELi64ELi4ELi64ELc84ELc78ELb0ELb1ELb0EdKPKdKPdEEviiiT16_PT17_ilS8_ilS6_S8_ilPT18_ili26rocblas_geam_ex_operation_,@function
_ZN12_GLOBAL__N_120geam_min_plus_kernelIdddLi4ELi64ELi128ELi128ELi4ELi4ELi64ELi4ELi64ELc84ELc78ELb0ELb1ELb0EdKPKdKPdEEviiiT16_PT17_ilS8_ilS6_S8_ilPT18_ili26rocblas_geam_ex_operation_: ; @_ZN12_GLOBAL__N_120geam_min_plus_kernelIdddLi4ELi64ELi128ELi128ELi4ELi4ELi64ELi4ELi64ELc84ELc78ELb0ELb1ELb0EdKPKdKPdEEviiiT16_PT17_ilS8_ilS6_S8_ilPT18_ili26rocblas_geam_ex_operation_
; %bb.0:
	s_load_dwordx4 s[12:15], s[0:1], 0x10
	s_load_dwordx4 s[4:7], s[0:1], 0x28
	s_mov_b32 s8, s3
	s_mov_b64 s[16:17], 0
	s_waitcnt lgkmcnt(0)
	v_cmp_eq_f64_e64 s[10:11], s[12:13], 0
	s_and_b64 vcc, exec, s[10:11]
	s_cbranch_vccnz .LBB140_2
; %bb.1:
	s_mov_b32 s9, 0
	s_lshl_b64 s[16:17], s[8:9], 3
	s_add_u32 s14, s14, s16
	s_addc_u32 s15, s15, s17
	s_load_dwordx2 s[14:15], s[14:15], 0x0
	s_lshl_b64 s[4:5], s[4:5], 3
	s_waitcnt lgkmcnt(0)
	s_add_u32 s16, s14, s4
	s_addc_u32 s17, s15, s5
.LBB140_2:
	s_load_dwordx4 s[68:71], s[0:1], 0x40
	s_load_dwordx2 s[14:15], s[0:1], 0x50
	s_andn2_b64 vcc, exec, s[10:11]
	s_cbranch_vccnz .LBB140_4
; %bb.3:
	s_mov_b32 s9, 0
	s_mov_b64 s[18:19], 0
	s_cbranch_execz .LBB140_5
	s_branch .LBB140_6
.LBB140_4:
                                        ; implicit-def: $sgpr18_sgpr19
.LBB140_5:
	s_mov_b32 s9, 0
	s_lshl_b64 s[4:5], s[8:9], 3
	s_add_u32 s4, s6, s4
	s_addc_u32 s5, s7, s5
	s_load_dwordx2 s[4:5], s[4:5], 0x0
	s_waitcnt lgkmcnt(0)
	s_lshl_b64 s[6:7], s[68:69], 3
	s_add_u32 s18, s4, s6
	s_addc_u32 s19, s5, s7
.LBB140_6:
	s_load_dwordx4 s[4:7], s[0:1], 0x60
	s_waitcnt lgkmcnt(0)
	v_cmp_eq_f64_e64 s[20:21], s[70:71], 0
	s_mov_b64 s[76:77], 0
	v_cmp_neq_f64_e64 s[10:11], s[70:71], 0
	s_and_b64 vcc, exec, s[20:21]
	s_cbranch_vccnz .LBB140_8
; %bb.7:
	s_lshl_b64 s[20:21], s[8:9], 3
	s_add_u32 s14, s14, s20
	s_addc_u32 s15, s15, s21
	s_load_dwordx2 s[14:15], s[14:15], 0x0
	s_lshl_b64 s[4:5], s[4:5], 3
	s_waitcnt lgkmcnt(0)
	s_add_u32 s76, s14, s4
	s_addc_u32 s77, s15, s5
.LBB140_8:
	s_load_dwordx4 s[72:75], s[0:1], 0x0
	s_load_dword s28, s[0:1], 0x20
	s_lshl_b64 s[4:5], s[8:9], 3
	s_add_u32 s4, s6, s4
	s_addc_u32 s5, s7, s5
	s_waitcnt lgkmcnt(0)
	s_add_i32 s3, s72, -1
	s_ashr_i32 s6, s3, 31
	s_lshr_b32 s6, s6, 25
	s_add_i32 s3, s3, s6
	s_ashr_i32 s3, s3, 7
	s_add_i32 s6, s3, 1
	v_cvt_f32_u32_e32 v1, s6
	s_load_dwordx2 s[14:15], s[4:5], 0x0
	s_not_b32 s3, s3
	v_and_b32_e32 v146, 0x3ff, v0
	v_rcp_iflag_f32_e32 v1, v1
	v_bfe_u32 v147, v0, 10, 10
	v_lshrrev_b32_e32 v0, 2, v146
	v_add_u32_e32 v12, v0, v147
	v_mul_f32_e32 v1, 0x4f7ffffe, v1
	v_cvt_u32_f32_e32 v1, v1
	v_and_b32_e32 v148, 3, v146
	v_cmp_le_i32_e32 vcc, s74, v148
	v_cmp_eq_f64_e64 s[20:21], s[12:13], 0
	v_readfirstlane_b32 s4, v1
	s_mul_i32 s3, s3, s4
	s_mul_hi_u32 s3, s4, s3
	s_add_i32 s4, s4, s3
	s_mul_hi_u32 s3, s2, s4
	s_mul_i32 s4, s3, s6
	s_sub_i32 s4, s2, s4
	s_add_i32 s5, s3, 1
	s_sub_i32 s7, s4, s6
	s_cmp_ge_u32 s4, s6
	s_cselect_b32 s3, s5, s3
	s_cselect_b32 s4, s7, s4
	s_add_i32 s5, s3, 1
	s_cmp_ge_u32 s4, s6
	s_cselect_b32 s8, s5, s3
	s_mul_i32 s3, s8, s6
	s_sub_i32 s2, s2, s3
	s_lshl_b32 s24, s2, 7
	v_add_u32_e32 v136, s24, v12
	s_add_i32 s26, s74, -1
	v_cmp_le_i32_e64 s[2:3], s72, v136
	v_min_i32_e32 v6, s26, v148
	s_or_b64 s[4:5], vcc, s[2:3]
	v_mov_b64_e32 v[0:1], 0
	v_ashrrev_i32_e32 v7, 31, v6
	s_or_b64 s[4:5], s[20:21], s[4:5]
	v_lshl_add_u64 v[8:9], v[6:7], 3, s[16:17]
	s_xor_b64 s[6:7], s[4:5], -1
	v_mov_b64_e32 v[2:3], v[0:1]
	s_and_saveexec_b64 s[4:5], s[6:7]
	s_cbranch_execz .LBB140_10
; %bb.9:
	v_mad_i64_i32 v[2:3], s[6:7], v136, s28, 0
	v_lshl_add_u64 v[2:3], v[2:3], 3, v[8:9]
	flat_load_dwordx2 v[2:3], v[2:3]
	s_waitcnt vmcnt(0) lgkmcnt(0)
	v_mul_f64 v[2:3], v[2:3], s[12:13]
.LBB140_10:
	s_or_b64 exec, exec, s[4:5]
	v_add_u32_e32 v137, 64, v136
	v_cmp_le_i32_e64 s[4:5], s72, v137
	s_or_b64 s[6:7], vcc, s[4:5]
	s_or_b64 s[6:7], s[20:21], s[6:7]
	s_xor_b64 s[22:23], s[6:7], -1
	v_mov_b64_e32 v[4:5], v[0:1]
	s_and_saveexec_b64 s[6:7], s[22:23]
	s_cbranch_execz .LBB140_12
; %bb.11:
	v_mad_i64_i32 v[4:5], s[22:23], v137, s28, 0
	v_lshl_add_u64 v[4:5], v[4:5], 3, v[8:9]
	flat_load_dwordx2 v[4:5], v[4:5]
	s_waitcnt vmcnt(0) lgkmcnt(0)
	v_mul_f64 v[4:5], v[4:5], s[12:13]
.LBB140_12:
	s_or_b64 exec, exec, s[6:7]
	s_lshl_b32 s25, s8, 7
	s_load_dword s29, s[0:1], 0x38
	v_add_u32_e32 v138, s25, v12
	v_cmp_le_i32_e64 s[6:7], s73, v138
	s_or_b64 s[8:9], vcc, s[6:7]
	s_or_b64 s[8:9], s[20:21], s[8:9]
	v_lshl_add_u64 v[8:9], v[6:7], 3, s[18:19]
	s_xor_b64 s[22:23], s[8:9], -1
	s_and_saveexec_b64 s[8:9], s[22:23]
	s_cbranch_execz .LBB140_14
; %bb.13:
	s_waitcnt lgkmcnt(0)
	v_mad_i64_i32 v[0:1], s[22:23], v138, s29, 0
	v_lshl_add_u64 v[0:1], v[0:1], 3, v[8:9]
	flat_load_dwordx2 v[0:1], v[0:1]
	s_waitcnt vmcnt(0) lgkmcnt(0)
	v_mul_f64 v[0:1], v[0:1], s[12:13]
.LBB140_14:
	s_or_b64 exec, exec, s[8:9]
	v_add_u32_e32 v139, 64, v138
	v_cmp_le_i32_e64 s[8:9], s73, v139
	s_or_b64 s[22:23], vcc, s[8:9]
	s_or_b64 s[22:23], s[20:21], s[22:23]
	v_mov_b64_e32 v[128:129], 0
	s_xor_b64 s[30:31], s[22:23], -1
	v_mov_b64_e32 v[6:7], v[128:129]
	s_and_saveexec_b64 s[22:23], s[30:31]
	s_cbranch_execz .LBB140_16
; %bb.15:
	s_waitcnt lgkmcnt(0)
	v_mad_i64_i32 v[6:7], s[30:31], v139, s29, 0
	v_lshl_add_u64 v[6:7], v[6:7], 3, v[8:9]
	flat_load_dwordx2 v[6:7], v[6:7]
	s_waitcnt vmcnt(0) lgkmcnt(0)
	v_mul_f64 v[6:7], v[6:7], s[12:13]
.LBB140_16:
	s_or_b64 exec, exec, s[22:23]
	v_or_b32_e32 v8, 4, v148
	v_cmp_le_i32_e32 vcc, s74, v8
	v_min_i32_e32 v8, s26, v8
	s_or_b64 s[22:23], vcc, s[2:3]
	v_ashrrev_i32_e32 v9, 31, v8
	s_or_b64 s[22:23], s[20:21], s[22:23]
	v_lshl_add_u64 v[10:11], v[8:9], 3, s[16:17]
	s_xor_b64 s[30:31], s[22:23], -1
	s_and_saveexec_b64 s[22:23], s[30:31]
	s_cbranch_execz .LBB140_18
; %bb.17:
	v_mad_i64_i32 v[14:15], s[30:31], v136, s28, 0
	v_lshl_add_u64 v[14:15], v[14:15], 3, v[10:11]
	flat_load_dwordx2 v[14:15], v[14:15]
	s_waitcnt vmcnt(0) lgkmcnt(0)
	v_mul_f64 v[128:129], v[14:15], s[12:13]
.LBB140_18:
	s_or_b64 exec, exec, s[22:23]
	s_or_b64 s[22:23], vcc, s[4:5]
	s_or_b64 s[22:23], s[20:21], s[22:23]
	v_mov_b64_e32 v[130:131], 0
	s_xor_b64 s[30:31], s[22:23], -1
	v_mov_b64_e32 v[132:133], v[130:131]
	s_and_saveexec_b64 s[22:23], s[30:31]
	s_cbranch_execz .LBB140_20
; %bb.19:
	v_mad_i64_i32 v[14:15], s[30:31], v137, s28, 0
	v_lshl_add_u64 v[10:11], v[14:15], 3, v[10:11]
	flat_load_dwordx2 v[10:11], v[10:11]
	s_waitcnt vmcnt(0) lgkmcnt(0)
	v_mul_f64 v[132:133], v[10:11], s[12:13]
.LBB140_20:
	s_or_b64 exec, exec, s[22:23]
	s_or_b64 s[22:23], vcc, s[6:7]
	s_or_b64 s[22:23], s[20:21], s[22:23]
	v_lshl_add_u64 v[8:9], v[8:9], 3, s[18:19]
	s_xor_b64 s[30:31], s[22:23], -1
	s_and_saveexec_b64 s[22:23], s[30:31]
	s_cbranch_execz .LBB140_22
; %bb.21:
	s_waitcnt lgkmcnt(0)
	v_mad_i64_i32 v[10:11], s[30:31], v138, s29, 0
	v_lshl_add_u64 v[10:11], v[10:11], 3, v[8:9]
	flat_load_dwordx2 v[10:11], v[10:11]
	s_waitcnt vmcnt(0) lgkmcnt(0)
	v_mul_f64 v[130:131], v[10:11], s[12:13]
.LBB140_22:
	s_or_b64 exec, exec, s[22:23]
	s_or_b64 s[22:23], vcc, s[8:9]
	s_or_b64 s[22:23], s[20:21], s[22:23]
	v_mov_b64_e32 v[126:127], 0
	s_xor_b64 s[30:31], s[22:23], -1
	v_mov_b64_e32 v[134:135], v[126:127]
	s_and_saveexec_b64 s[22:23], s[30:31]
	s_cbranch_execz .LBB140_24
; %bb.23:
	s_waitcnt lgkmcnt(0)
	v_mad_i64_i32 v[10:11], s[30:31], v139, s29, 0
	v_lshl_add_u64 v[8:9], v[10:11], 3, v[8:9]
	flat_load_dwordx2 v[8:9], v[8:9]
	s_waitcnt vmcnt(0) lgkmcnt(0)
	v_mul_f64 v[134:135], v[8:9], s[12:13]
.LBB140_24:
	s_or_b64 exec, exec, s[22:23]
	v_lshlrev_b32_e32 v8, 3, v148
	v_lshl_or_b32 v149, v12, 5, v8
	v_lshlrev_b32_e32 v140, 5, v147
	ds_write2st64_b64 v149, v[2:3], v[4:5] offset1:4
	v_add_u32_e32 v150, 0x2000, v149
	ds_write2st64_b64 v149, v[0:1], v[6:7] offset0:16 offset1:20
	v_lshlrev_b32_e32 v151, 5, v146
	v_add_u32_e32 v152, 0x2000, v140
	s_mov_b32 s22, 0
	v_mov_b64_e32 v[124:125], v[126:127]
	v_mov_b64_e32 v[122:123], v[126:127]
	;; [unrolled: 1-line block ×63, first 2 shown]
	s_waitcnt lgkmcnt(0)
	s_barrier
.LBB140_25:                             ; =>This Inner Loop Header: Depth=1
	v_add_u32_e32 v141, s22, v151
	v_add_u32_e32 v153, s22, v152
	ds_read2_b64 v[142:145], v141 offset1:16
	ds_read2_b64 v[154:157], v141 offset0:32 offset1:48
	ds_read2_b64 v[158:161], v141 offset0:64 offset1:80
	ds_read2_b64 v[162:165], v141 offset0:96 offset1:112
	ds_read2_b64 v[166:169], v141 offset0:128 offset1:144
	ds_read2_b64 v[170:173], v141 offset0:160 offset1:176
	ds_read2_b64 v[174:177], v141 offset0:192 offset1:208
	ds_read2_b64 v[178:181], v141 offset0:224 offset1:240
	ds_read2st64_b64 v[182:185], v153 offset1:4
	v_add_u32_e32 v141, 0x800, v141
	ds_read2_b64 v[186:189], v141 offset1:16
	ds_read2_b64 v[190:193], v141 offset0:32 offset1:48
	ds_read2_b64 v[194:197], v141 offset0:64 offset1:80
	;; [unrolled: 1-line block ×7, first 2 shown]
	s_waitcnt lgkmcnt(14)
	v_max_f64 v[142:143], v[142:143], v[142:143]
	v_max_f64 v[144:145], v[144:145], v[144:145]
	;; [unrolled: 1-line block ×6, first 2 shown]
	s_waitcnt lgkmcnt(13)
	v_max_f64 v[162:163], v[162:163], v[162:163]
	v_max_f64 v[164:165], v[164:165], v[164:165]
	s_waitcnt lgkmcnt(12)
	v_max_f64 v[166:167], v[166:167], v[166:167]
	v_max_f64 v[168:169], v[168:169], v[168:169]
	;; [unrolled: 3-line block ×14, first 2 shown]
	v_min_f64 v[218:219], v[142:143], v[182:183]
	v_min_f64 v[220:221], v[144:145], v[182:183]
	;; [unrolled: 1-line block ×32, first 2 shown]
	s_add_i32 s22, s22, 8
	v_add_f64 v[62:63], v[142:143], v[62:63]
	v_add_f64 v[60:61], v[144:145], v[60:61]
	;; [unrolled: 1-line block ×16, first 2 shown]
	v_min_f64 v[142:143], v[186:187], v[182:183]
	v_min_f64 v[144:145], v[188:189], v[182:183]
	;; [unrolled: 1-line block ×32, first 2 shown]
	s_cmp_eq_u32 s22, 32
	v_add_f64 v[126:127], v[218:219], v[126:127]
	v_add_f64 v[124:125], v[220:221], v[124:125]
	;; [unrolled: 1-line block ×48, first 2 shown]
	s_cbranch_scc0 .LBB140_25
; %bb.26:
	s_cmp_gt_i32 s74, 8
	ds_write2st64_b64 v149, v[128:129], v[132:133] offset0:8 offset1:12
	ds_write2st64_b64 v149, v[130:131], v[134:135] offset0:24 offset1:28
	s_waitcnt lgkmcnt(0)
	s_barrier
	s_cbranch_scc1 .LBB140_28
; %bb.27:
	v_add_u32_e32 v153, 0x1000, v151
	v_add_u32_e32 v154, 0x3000, v140
	s_cbranch_execz .LBB140_29
	s_branch .LBB140_51
.LBB140_28:
                                        ; implicit-def: $vgpr153
                                        ; implicit-def: $vgpr154
.LBB140_29:
	v_add_u32_e32 v155, 0x1000, v149
	v_add_u32_e32 v156, 0x3000, v149
	s_add_i32 s27, s74, -8
	v_mad_i64_i32 v[128:129], s[22:23], v136, s28, 0
	v_mad_i64_i32 v[130:131], s[22:23], v137, s28, 0
	;; [unrolled: 1-line block ×4, first 2 shown]
	v_add_u32_e32 v153, 0x1000, v151
	v_add_u32_e32 v154, 0x3000, v140
	s_mov_b32 s28, 8
	s_mov_b32 s29, 0
.LBB140_30:                             ; =>This Loop Header: Depth=1
                                        ;     Child Loop BB140_39 Depth 2
                                        ;     Child Loop BB140_49 Depth 2
	v_or_b32_e32 v157, s28, v148
	v_cmp_le_i32_e32 vcc, s74, v157
	v_min_i32_e32 v140, s26, v157
	s_or_b64 s[22:23], s[2:3], vcc
	v_ashrrev_i32_e32 v141, 31, v140
	s_or_b64 s[22:23], s[20:21], s[22:23]
	v_mov_b64_e32 v[136:137], 0
	v_lshl_add_u64 v[142:143], v[140:141], 3, s[16:17]
	s_xor_b64 s[30:31], s[22:23], -1
	v_mov_b64_e32 v[138:139], v[136:137]
	s_and_saveexec_b64 s[22:23], s[30:31]
	s_cbranch_execz .LBB140_32
; %bb.31:                               ;   in Loop: Header=BB140_30 Depth=1
	v_lshl_add_u64 v[138:139], v[128:129], 3, v[142:143]
	flat_load_dwordx2 v[138:139], v[138:139]
	s_waitcnt vmcnt(0) lgkmcnt(0)
	v_mul_f64 v[138:139], v[138:139], s[12:13]
.LBB140_32:                             ;   in Loop: Header=BB140_30 Depth=1
	s_or_b64 exec, exec, s[22:23]
	s_or_b64 s[22:23], s[4:5], vcc
	s_or_b64 s[22:23], s[20:21], s[22:23]
	s_xor_b64 s[30:31], s[22:23], -1
	s_and_saveexec_b64 s[22:23], s[30:31]
	s_cbranch_execz .LBB140_34
; %bb.33:                               ;   in Loop: Header=BB140_30 Depth=1
	v_lshl_add_u64 v[136:137], v[130:131], 3, v[142:143]
	flat_load_dwordx2 v[136:137], v[136:137]
	s_waitcnt vmcnt(0) lgkmcnt(0)
	v_mul_f64 v[136:137], v[136:137], s[12:13]
.LBB140_34:                             ;   in Loop: Header=BB140_30 Depth=1
	s_or_b64 exec, exec, s[22:23]
	s_or_b64 s[22:23], s[6:7], vcc
	v_lshl_add_u64 v[144:145], v[140:141], 3, s[18:19]
	s_or_b64 s[22:23], s[20:21], s[22:23]
	v_mov_b64_e32 v[140:141], 0
	s_xor_b64 s[30:31], s[22:23], -1
	v_mov_b64_e32 v[142:143], v[140:141]
	s_and_saveexec_b64 s[22:23], s[30:31]
	s_cbranch_execz .LBB140_36
; %bb.35:                               ;   in Loop: Header=BB140_30 Depth=1
	v_lshl_add_u64 v[142:143], v[132:133], 3, v[144:145]
	flat_load_dwordx2 v[142:143], v[142:143]
	s_waitcnt vmcnt(0) lgkmcnt(0)
	v_mul_f64 v[142:143], v[142:143], s[12:13]
.LBB140_36:                             ;   in Loop: Header=BB140_30 Depth=1
	s_or_b64 exec, exec, s[22:23]
	s_or_b64 s[22:23], s[8:9], vcc
	s_or_b64 s[22:23], s[20:21], s[22:23]
	s_xor_b64 s[30:31], s[22:23], -1
	s_and_saveexec_b64 s[22:23], s[30:31]
	s_cbranch_execz .LBB140_38
; %bb.37:                               ;   in Loop: Header=BB140_30 Depth=1
	v_lshl_add_u64 v[140:141], v[134:135], 3, v[144:145]
	flat_load_dwordx2 v[140:141], v[140:141]
	s_waitcnt vmcnt(0) lgkmcnt(0)
	v_mul_f64 v[140:141], v[140:141], s[12:13]
.LBB140_38:                             ;   in Loop: Header=BB140_30 Depth=1
	s_or_b64 exec, exec, s[22:23]
	s_mov_b32 s22, 0
.LBB140_39:                             ;   Parent Loop BB140_30 Depth=1
                                        ; =>  This Inner Loop Header: Depth=2
	v_add_u32_e32 v144, s22, v153
	ds_read2_b64 v[158:161], v144 offset1:16
	ds_read2_b64 v[162:165], v144 offset0:32 offset1:48
	ds_read2_b64 v[166:169], v144 offset0:64 offset1:80
	;; [unrolled: 1-line block ×7, first 2 shown]
	v_add_u32_e32 v144, 0x800, v144
	ds_read2_b64 v[190:193], v144 offset1:16
	ds_read2_b64 v[194:197], v144 offset0:32 offset1:48
	ds_read2_b64 v[198:201], v144 offset0:64 offset1:80
	ds_read2_b64 v[202:205], v144 offset0:96 offset1:112
	ds_read2_b64 v[206:209], v144 offset0:128 offset1:144
	ds_read2_b64 v[210:213], v144 offset0:160 offset1:176
	ds_read2_b64 v[214:217], v144 offset0:192 offset1:208
	ds_read2_b64 v[218:221], v144 offset0:224 offset1:240
	v_add_u32_e32 v144, s22, v154
	ds_read2st64_b64 v[222:225], v144 offset1:4
	s_waitcnt lgkmcnt(14)
	v_max_f64 v[158:159], v[158:159], v[158:159]
	v_max_f64 v[160:161], v[160:161], v[160:161]
	;; [unrolled: 1-line block ×4, first 2 shown]
	s_waitcnt lgkmcnt(0)
	v_max_f64 v[144:145], v[222:223], v[222:223]
	v_min_f64 v[222:223], v[158:159], v[144:145]
	v_add_f64 v[126:127], v[222:223], v[126:127]
	v_min_f64 v[222:223], v[160:161], v[144:145]
	v_add_f64 v[124:125], v[222:223], v[124:125]
	;; [unrolled: 2-line block ×3, first 2 shown]
	v_min_f64 v[222:223], v[164:165], v[144:145]
	v_max_f64 v[166:167], v[166:167], v[166:167]
	v_add_f64 v[120:121], v[222:223], v[120:121]
	v_min_f64 v[222:223], v[166:167], v[144:145]
	v_max_f64 v[168:169], v[168:169], v[168:169]
	v_add_f64 v[118:119], v[222:223], v[118:119]
	;; [unrolled: 3-line block ×26, first 2 shown]
	v_min_f64 v[222:223], v[216:217], v[144:145]
	v_max_f64 v[218:219], v[218:219], v[218:219]
	v_max_f64 v[220:221], v[220:221], v[220:221]
	v_add_f64 v[68:69], v[222:223], v[68:69]
	v_min_f64 v[222:223], v[218:219], v[144:145]
	v_min_f64 v[144:145], v[220:221], v[144:145]
	v_add_f64 v[64:65], v[144:145], v[64:65]
	v_max_f64 v[144:145], v[224:225], v[224:225]
	v_min_f64 v[158:159], v[158:159], v[144:145]
	v_add_f64 v[62:63], v[158:159], v[62:63]
	v_min_f64 v[158:159], v[160:161], v[144:145]
	v_add_f64 v[60:61], v[158:159], v[60:61]
	;; [unrolled: 2-line block ×30, first 2 shown]
	v_min_f64 v[158:159], v[218:219], v[144:145]
	v_min_f64 v[144:145], v[220:221], v[144:145]
	s_add_i32 s22, s22, 8
	v_add_f64 v[66:67], v[222:223], v[66:67]
	v_add_f64 v[2:3], v[158:159], v[2:3]
	;; [unrolled: 1-line block ×3, first 2 shown]
	s_cmp_eq_u32 s22, 32
	s_cbranch_scc0 .LBB140_39
; %bb.40:                               ;   in Loop: Header=BB140_30 Depth=1
	ds_write2st64_b64 v149, v[138:139], v[136:137] offset1:4
	ds_write2st64_b64 v150, v[142:143], v[140:141] offset1:4
	v_or_b32_e32 v136, 4, v157
	v_cmp_le_i32_e32 vcc, s74, v136
	v_min_i32_e32 v140, s26, v136
	s_or_b64 s[22:23], s[2:3], vcc
	v_ashrrev_i32_e32 v141, 31, v140
	s_or_b64 s[22:23], s[20:21], s[22:23]
	v_mov_b64_e32 v[136:137], 0
	v_lshl_add_u64 v[142:143], v[140:141], 3, s[16:17]
	s_xor_b64 s[30:31], s[22:23], -1
	v_mov_b64_e32 v[138:139], v[136:137]
	s_waitcnt lgkmcnt(0)
	s_barrier
	s_and_saveexec_b64 s[22:23], s[30:31]
	s_cbranch_execz .LBB140_42
; %bb.41:                               ;   in Loop: Header=BB140_30 Depth=1
	v_lshl_add_u64 v[138:139], v[128:129], 3, v[142:143]
	flat_load_dwordx2 v[138:139], v[138:139]
	s_waitcnt vmcnt(0) lgkmcnt(0)
	v_mul_f64 v[138:139], v[138:139], s[12:13]
.LBB140_42:                             ;   in Loop: Header=BB140_30 Depth=1
	s_or_b64 exec, exec, s[22:23]
	s_or_b64 s[22:23], s[4:5], vcc
	s_or_b64 s[22:23], s[20:21], s[22:23]
	s_xor_b64 s[30:31], s[22:23], -1
	s_and_saveexec_b64 s[22:23], s[30:31]
	s_cbranch_execz .LBB140_44
; %bb.43:                               ;   in Loop: Header=BB140_30 Depth=1
	v_lshl_add_u64 v[136:137], v[130:131], 3, v[142:143]
	flat_load_dwordx2 v[136:137], v[136:137]
	s_waitcnt vmcnt(0) lgkmcnt(0)
	v_mul_f64 v[136:137], v[136:137], s[12:13]
.LBB140_44:                             ;   in Loop: Header=BB140_30 Depth=1
	s_or_b64 exec, exec, s[22:23]
	s_or_b64 s[22:23], s[6:7], vcc
	v_lshl_add_u64 v[144:145], v[140:141], 3, s[18:19]
	s_or_b64 s[22:23], s[20:21], s[22:23]
	v_mov_b64_e32 v[140:141], 0
	s_xor_b64 s[30:31], s[22:23], -1
	v_mov_b64_e32 v[142:143], v[140:141]
	s_and_saveexec_b64 s[22:23], s[30:31]
	s_cbranch_execz .LBB140_46
; %bb.45:                               ;   in Loop: Header=BB140_30 Depth=1
	v_lshl_add_u64 v[142:143], v[132:133], 3, v[144:145]
	flat_load_dwordx2 v[142:143], v[142:143]
	s_waitcnt vmcnt(0) lgkmcnt(0)
	v_mul_f64 v[142:143], v[142:143], s[12:13]
.LBB140_46:                             ;   in Loop: Header=BB140_30 Depth=1
	s_or_b64 exec, exec, s[22:23]
	s_or_b64 s[22:23], s[8:9], vcc
	s_or_b64 s[22:23], s[20:21], s[22:23]
	s_xor_b64 s[30:31], s[22:23], -1
	s_and_saveexec_b64 s[22:23], s[30:31]
	s_cbranch_execz .LBB140_48
; %bb.47:                               ;   in Loop: Header=BB140_30 Depth=1
	v_lshl_add_u64 v[140:141], v[134:135], 3, v[144:145]
	flat_load_dwordx2 v[140:141], v[140:141]
	s_waitcnt vmcnt(0) lgkmcnt(0)
	v_mul_f64 v[140:141], v[140:141], s[12:13]
.LBB140_48:                             ;   in Loop: Header=BB140_30 Depth=1
	s_or_b64 exec, exec, s[22:23]
	s_mov_b32 s22, 0
.LBB140_49:                             ;   Parent Loop BB140_30 Depth=1
                                        ; =>  This Inner Loop Header: Depth=2
	v_add_u32_e32 v144, s22, v151
	ds_read2_b64 v[158:161], v144 offset1:16
	ds_read2_b64 v[162:165], v144 offset0:32 offset1:48
	ds_read2_b64 v[166:169], v144 offset0:64 offset1:80
	;; [unrolled: 1-line block ×7, first 2 shown]
	v_add_u32_e32 v144, 0x800, v144
	ds_read2_b64 v[190:193], v144 offset1:16
	ds_read2_b64 v[194:197], v144 offset0:32 offset1:48
	ds_read2_b64 v[198:201], v144 offset0:64 offset1:80
	ds_read2_b64 v[202:205], v144 offset0:96 offset1:112
	ds_read2_b64 v[206:209], v144 offset0:128 offset1:144
	ds_read2_b64 v[210:213], v144 offset0:160 offset1:176
	ds_read2_b64 v[214:217], v144 offset0:192 offset1:208
	ds_read2_b64 v[218:221], v144 offset0:224 offset1:240
	v_add_u32_e32 v144, s22, v152
	ds_read2st64_b64 v[222:225], v144 offset1:4
	s_waitcnt lgkmcnt(14)
	v_max_f64 v[158:159], v[158:159], v[158:159]
	v_max_f64 v[160:161], v[160:161], v[160:161]
	;; [unrolled: 1-line block ×4, first 2 shown]
	s_waitcnt lgkmcnt(0)
	v_max_f64 v[144:145], v[222:223], v[222:223]
	v_min_f64 v[222:223], v[158:159], v[144:145]
	v_add_f64 v[126:127], v[222:223], v[126:127]
	v_min_f64 v[222:223], v[160:161], v[144:145]
	v_add_f64 v[124:125], v[222:223], v[124:125]
	;; [unrolled: 2-line block ×3, first 2 shown]
	v_min_f64 v[222:223], v[164:165], v[144:145]
	v_max_f64 v[166:167], v[166:167], v[166:167]
	v_add_f64 v[120:121], v[222:223], v[120:121]
	v_min_f64 v[222:223], v[166:167], v[144:145]
	v_max_f64 v[168:169], v[168:169], v[168:169]
	v_add_f64 v[118:119], v[222:223], v[118:119]
	;; [unrolled: 3-line block ×26, first 2 shown]
	v_min_f64 v[222:223], v[216:217], v[144:145]
	v_max_f64 v[218:219], v[218:219], v[218:219]
	v_max_f64 v[220:221], v[220:221], v[220:221]
	v_add_f64 v[68:69], v[222:223], v[68:69]
	v_min_f64 v[222:223], v[218:219], v[144:145]
	v_min_f64 v[144:145], v[220:221], v[144:145]
	v_add_f64 v[64:65], v[144:145], v[64:65]
	v_max_f64 v[144:145], v[224:225], v[224:225]
	v_min_f64 v[158:159], v[158:159], v[144:145]
	v_add_f64 v[62:63], v[158:159], v[62:63]
	v_min_f64 v[158:159], v[160:161], v[144:145]
	v_add_f64 v[60:61], v[158:159], v[60:61]
	;; [unrolled: 2-line block ×30, first 2 shown]
	v_min_f64 v[158:159], v[218:219], v[144:145]
	v_min_f64 v[144:145], v[220:221], v[144:145]
	s_add_i32 s22, s22, 8
	v_add_f64 v[66:67], v[222:223], v[66:67]
	v_add_f64 v[2:3], v[158:159], v[2:3]
	;; [unrolled: 1-line block ×3, first 2 shown]
	s_cmp_eq_u32 s22, 32
	s_cbranch_scc0 .LBB140_49
; %bb.50:                               ;   in Loop: Header=BB140_30 Depth=1
	s_add_i32 s28, s28, 8
	s_add_i32 s29, s29, 8
	s_cmp_ge_i32 s29, s27
	ds_write2st64_b64 v155, v[138:139], v[136:137] offset1:4
	ds_write2st64_b64 v156, v[142:143], v[140:141] offset1:4
	s_waitcnt lgkmcnt(0)
	s_barrier
	s_cbranch_scc0 .LBB140_30
.LBB140_51:
	s_mov_b32 s2, 0
.LBB140_52:                             ; =>This Inner Loop Header: Depth=1
	v_add_u32_e32 v144, s2, v153
	v_add_u32_e32 v145, s2, v154
	ds_read2_b64 v[128:131], v144 offset1:16
	ds_read2_b64 v[132:135], v144 offset0:32 offset1:48
	ds_read2_b64 v[136:139], v144 offset0:64 offset1:80
	;; [unrolled: 1-line block ×7, first 2 shown]
	v_add_u32_e32 v144, 0x800, v144
	ds_read2st64_b64 v[168:171], v145 offset1:4
	ds_read2_b64 v[172:175], v144 offset1:16
	ds_read2_b64 v[176:179], v144 offset0:32 offset1:48
	ds_read2_b64 v[180:183], v144 offset0:64 offset1:80
	;; [unrolled: 1-line block ×7, first 2 shown]
	s_waitcnt lgkmcnt(14)
	v_max_f64 v[128:129], v[128:129], v[128:129]
	v_max_f64 v[130:131], v[130:131], v[130:131]
	;; [unrolled: 1-line block ×3, first 2 shown]
	s_waitcnt lgkmcnt(8)
	v_max_f64 v[144:145], v[168:169], v[168:169]
	v_max_f64 v[134:135], v[134:135], v[134:135]
	;; [unrolled: 1-line block ×15, first 2 shown]
	v_min_f64 v[170:171], v[128:129], v[144:145]
	v_min_f64 v[204:205], v[130:131], v[144:145]
	;; [unrolled: 1-line block ×16, first 2 shown]
	s_waitcnt lgkmcnt(7)
	v_max_f64 v[172:173], v[172:173], v[172:173]
	v_max_f64 v[174:175], v[174:175], v[174:175]
	s_waitcnt lgkmcnt(6)
	v_max_f64 v[176:177], v[176:177], v[176:177]
	v_max_f64 v[178:179], v[178:179], v[178:179]
	;; [unrolled: 3-line block ×8, first 2 shown]
	v_min_f64 v[128:129], v[128:129], v[168:169]
	v_min_f64 v[130:131], v[130:131], v[168:169]
	;; [unrolled: 1-line block ×16, first 2 shown]
	s_add_i32 s2, s2, 8
	v_add_f64 v[126:127], v[170:171], v[126:127]
	v_add_f64 v[124:125], v[204:205], v[124:125]
	;; [unrolled: 1-line block ×15, first 2 shown]
	v_min_f64 v[170:171], v[172:173], v[144:145]
	v_min_f64 v[204:205], v[174:175], v[144:145]
	;; [unrolled: 1-line block ×16, first 2 shown]
	v_add_f64 v[62:63], v[128:129], v[62:63]
	v_add_f64 v[60:61], v[130:131], v[60:61]
	;; [unrolled: 1-line block ×16, first 2 shown]
	v_min_f64 v[128:129], v[172:173], v[168:169]
	v_min_f64 v[130:131], v[174:175], v[168:169]
	;; [unrolled: 1-line block ×16, first 2 shown]
	s_cmp_eq_u32 s2, 32
	v_add_f64 v[96:97], v[232:233], v[96:97]
	v_add_f64 v[94:95], v[170:171], v[94:95]
	;; [unrolled: 1-line block ×33, first 2 shown]
	s_cbranch_scc0 .LBB140_52
; %bb.53:
	s_load_dwordx2 s[2:3], s[0:1], 0x78
	s_load_dword s78, s[0:1], 0x58
	s_load_dword s33, s[0:1], 0x70
	v_add_u32_e32 v136, s25, v147
	v_add_u32_e32 v128, s24, v146
	s_waitcnt lgkmcnt(0)
	s_lshl_b64 s[0:1], s[2:3], 3
	s_add_u32 s74, s14, s0
	s_addc_u32 s75, s15, s1
	v_mad_i64_i32 v[130:131], s[0:1], v136, s78, 0
	v_cmp_gt_i32_e64 s[24:25], s73, v136
	v_lshl_add_u64 v[132:133], v[130:131], 3, s[76:77]
	v_mad_i64_i32 v[130:131], s[0:1], v136, s33, 0
	v_cmp_gt_i32_e64 s[2:3], s72, v128
	v_cndmask_b32_e64 v134, 0, 1, s[10:11]
	v_lshl_add_u64 v[130:131], v[130:131], 3, s[74:75]
	s_and_b64 s[6:7], s[24:25], s[2:3]
	v_ashrrev_i32_e32 v129, 31, v128
	v_cmp_ne_u32_e64 s[0:1], 1, v134
	s_and_saveexec_b64 s[4:5], s[6:7]
	s_cbranch_execz .LBB140_58
; %bb.54:
	s_and_b64 vcc, exec, s[0:1]
	s_cbranch_vccnz .LBB140_56
; %bb.55:
	v_lshl_add_u64 v[134:135], v[128:129], 3, v[132:133]
	flat_load_dwordx2 v[134:135], v[134:135]
	s_waitcnt vmcnt(0) lgkmcnt(0)
	v_mul_f64 v[134:135], v[134:135], s[70:71]
	s_branch .LBB140_57
.LBB140_56:
	v_mov_b64_e32 v[134:135], 0
.LBB140_57:
	v_add_f64 v[126:127], v[126:127], v[134:135]
	v_lshl_add_u64 v[134:135], v[128:129], 3, v[130:131]
	global_store_dwordx2 v[134:135], v[126:127], off
.LBB140_58:
	s_or_b64 exec, exec, s[4:5]
	v_add_u32_e32 v126, 4, v128
	v_cmp_gt_i32_e64 s[4:5], s72, v126
	s_and_b64 s[8:9], s[24:25], s[4:5]
	v_ashrrev_i32_e32 v127, 31, v126
	s_and_saveexec_b64 s[6:7], s[8:9]
	s_cbranch_execz .LBB140_63
; %bb.59:
	s_and_b64 vcc, exec, s[0:1]
	s_cbranch_vccnz .LBB140_61
; %bb.60:
	v_lshl_add_u64 v[134:135], v[126:127], 3, v[132:133]
	flat_load_dwordx2 v[134:135], v[134:135]
	s_waitcnt vmcnt(0) lgkmcnt(0)
	v_mul_f64 v[134:135], v[134:135], s[70:71]
	s_branch .LBB140_62
.LBB140_61:
	v_mov_b64_e32 v[134:135], 0
.LBB140_62:
	v_add_f64 v[124:125], v[124:125], v[134:135]
	v_lshl_add_u64 v[134:135], v[126:127], 3, v[130:131]
	global_store_dwordx2 v[134:135], v[124:125], off
.LBB140_63:
	s_or_b64 exec, exec, s[6:7]
	v_add_u32_e32 v124, 8, v128
	v_cmp_gt_i32_e64 s[6:7], s72, v124
	s_and_b64 s[10:11], s[24:25], s[6:7]
	v_ashrrev_i32_e32 v125, 31, v124
	;; [unrolled: 23-line block ×31, first 2 shown]
	s_and_saveexec_b64 s[24:25], s[80:81]
	s_cbranch_execz .LBB140_213
; %bb.209:
	s_and_b64 vcc, exec, s[0:1]
	s_cbranch_vccnz .LBB140_211
; %bb.210:
	v_lshl_add_u64 v[132:133], v[66:67], 3, v[132:133]
	flat_load_dwordx2 v[132:133], v[132:133]
	s_waitcnt vmcnt(0) lgkmcnt(0)
	v_mul_f64 v[132:133], v[132:133], s[70:71]
	s_branch .LBB140_212
.LBB140_211:
	v_mov_b64_e32 v[132:133], 0
.LBB140_212:
	v_add_f64 v[64:65], v[64:65], v[132:133]
	v_lshl_add_u64 v[130:131], v[66:67], 3, v[130:131]
	global_store_dwordx2 v[130:131], v[64:65], off
.LBB140_213:
	s_or_b64 exec, exec, s[24:25]
	v_add_u32_e32 v132, 64, v136
	v_cmp_gt_i32_e64 s[24:25], s73, v132
	v_mad_i64_i32 v[64:65], s[72:73], v132, s78, 0
	v_lshl_add_u64 v[130:131], v[64:65], 3, s[76:77]
	v_mad_i64_i32 v[64:65], s[72:73], v132, s33, 0
	v_lshl_add_u64 v[64:65], v[64:65], 3, s[74:75]
	s_and_b64 s[2:3], s[24:25], s[2:3]
	s_and_saveexec_b64 s[72:73], s[2:3]
	s_xor_b64 s[2:3], exec, s[72:73]
	s_cbranch_execnz .LBB140_246
; %bb.214:
	s_or_b64 exec, exec, s[2:3]
	s_and_b64 s[4:5], s[24:25], s[4:5]
	s_and_saveexec_b64 s[2:3], s[4:5]
	s_cbranch_execnz .LBB140_250
.LBB140_215:
	s_or_b64 exec, exec, s[2:3]
	s_and_b64 s[4:5], s[24:25], s[6:7]
	s_and_saveexec_b64 s[2:3], s[4:5]
	s_cbranch_execnz .LBB140_254
.LBB140_216:
	s_or_b64 exec, exec, s[2:3]
	s_and_b64 s[4:5], s[24:25], s[8:9]
	s_and_saveexec_b64 s[2:3], s[4:5]
	s_cbranch_execnz .LBB140_258
.LBB140_217:
	s_or_b64 exec, exec, s[2:3]
	s_and_b64 s[4:5], s[24:25], s[10:11]
	s_and_saveexec_b64 s[2:3], s[4:5]
	s_cbranch_execnz .LBB140_262
.LBB140_218:
	s_or_b64 exec, exec, s[2:3]
	s_and_b64 s[4:5], s[24:25], s[12:13]
	s_and_saveexec_b64 s[2:3], s[4:5]
	s_cbranch_execnz .LBB140_266
.LBB140_219:
	s_or_b64 exec, exec, s[2:3]
	s_and_b64 s[4:5], s[24:25], s[14:15]
	s_and_saveexec_b64 s[2:3], s[4:5]
	s_cbranch_execnz .LBB140_270
.LBB140_220:
	s_or_b64 exec, exec, s[2:3]
	s_and_b64 s[4:5], s[24:25], s[16:17]
	s_and_saveexec_b64 s[2:3], s[4:5]
	s_cbranch_execnz .LBB140_274
.LBB140_221:
	s_or_b64 exec, exec, s[2:3]
	s_and_b64 s[4:5], s[24:25], s[18:19]
	s_and_saveexec_b64 s[2:3], s[4:5]
	s_cbranch_execnz .LBB140_278
.LBB140_222:
	s_or_b64 exec, exec, s[2:3]
	s_and_b64 s[4:5], s[24:25], s[20:21]
	s_and_saveexec_b64 s[2:3], s[4:5]
	s_cbranch_execnz .LBB140_282
.LBB140_223:
	s_or_b64 exec, exec, s[2:3]
	s_and_b64 s[4:5], s[24:25], s[22:23]
	s_and_saveexec_b64 s[2:3], s[4:5]
	s_cbranch_execnz .LBB140_286
.LBB140_224:
	s_or_b64 exec, exec, s[2:3]
	s_and_b64 s[4:5], s[24:25], s[26:27]
	s_and_saveexec_b64 s[2:3], s[4:5]
	s_cbranch_execnz .LBB140_290
.LBB140_225:
	s_or_b64 exec, exec, s[2:3]
	s_and_b64 s[4:5], s[24:25], s[28:29]
	s_and_saveexec_b64 s[2:3], s[4:5]
	s_cbranch_execnz .LBB140_294
.LBB140_226:
	s_or_b64 exec, exec, s[2:3]
	s_and_b64 s[4:5], s[24:25], s[30:31]
	s_and_saveexec_b64 s[2:3], s[4:5]
	s_cbranch_execnz .LBB140_298
.LBB140_227:
	s_or_b64 exec, exec, s[2:3]
	s_and_b64 s[4:5], s[24:25], s[34:35]
	s_and_saveexec_b64 s[2:3], s[4:5]
	s_cbranch_execnz .LBB140_302
.LBB140_228:
	s_or_b64 exec, exec, s[2:3]
	s_and_b64 s[4:5], s[24:25], s[36:37]
	s_and_saveexec_b64 s[2:3], s[4:5]
	s_cbranch_execnz .LBB140_306
.LBB140_229:
	s_or_b64 exec, exec, s[2:3]
	s_and_b64 s[4:5], s[24:25], s[38:39]
	s_and_saveexec_b64 s[2:3], s[4:5]
	s_cbranch_execnz .LBB140_310
.LBB140_230:
	s_or_b64 exec, exec, s[2:3]
	s_and_b64 s[4:5], s[24:25], s[40:41]
	s_and_saveexec_b64 s[2:3], s[4:5]
	s_cbranch_execnz .LBB140_314
.LBB140_231:
	s_or_b64 exec, exec, s[2:3]
	s_and_b64 s[4:5], s[24:25], s[42:43]
	s_and_saveexec_b64 s[2:3], s[4:5]
	s_cbranch_execnz .LBB140_318
.LBB140_232:
	s_or_b64 exec, exec, s[2:3]
	s_and_b64 s[4:5], s[24:25], s[44:45]
	s_and_saveexec_b64 s[2:3], s[4:5]
	s_cbranch_execnz .LBB140_322
.LBB140_233:
	s_or_b64 exec, exec, s[2:3]
	s_and_b64 s[4:5], s[24:25], s[46:47]
	s_and_saveexec_b64 s[2:3], s[4:5]
	s_cbranch_execnz .LBB140_326
.LBB140_234:
	s_or_b64 exec, exec, s[2:3]
	s_and_b64 s[4:5], s[24:25], s[48:49]
	s_and_saveexec_b64 s[2:3], s[4:5]
	s_cbranch_execnz .LBB140_330
.LBB140_235:
	s_or_b64 exec, exec, s[2:3]
	s_and_b64 s[4:5], s[24:25], s[50:51]
	s_and_saveexec_b64 s[2:3], s[4:5]
	s_cbranch_execnz .LBB140_334
.LBB140_236:
	s_or_b64 exec, exec, s[2:3]
	s_and_b64 s[4:5], s[24:25], s[52:53]
	s_and_saveexec_b64 s[2:3], s[4:5]
	s_cbranch_execnz .LBB140_338
.LBB140_237:
	s_or_b64 exec, exec, s[2:3]
	s_and_b64 s[4:5], s[24:25], s[54:55]
	s_and_saveexec_b64 s[2:3], s[4:5]
	s_cbranch_execnz .LBB140_342
.LBB140_238:
	s_or_b64 exec, exec, s[2:3]
	s_and_b64 s[4:5], s[24:25], s[56:57]
	s_and_saveexec_b64 s[2:3], s[4:5]
	s_cbranch_execnz .LBB140_346
.LBB140_239:
	s_or_b64 exec, exec, s[2:3]
	s_and_b64 s[4:5], s[24:25], s[58:59]
	s_and_saveexec_b64 s[2:3], s[4:5]
	s_cbranch_execnz .LBB140_350
.LBB140_240:
	s_or_b64 exec, exec, s[2:3]
	s_and_b64 s[4:5], s[24:25], s[60:61]
	s_and_saveexec_b64 s[2:3], s[4:5]
	s_cbranch_execnz .LBB140_354
.LBB140_241:
	s_or_b64 exec, exec, s[2:3]
	s_and_b64 s[4:5], s[24:25], s[62:63]
	s_and_saveexec_b64 s[2:3], s[4:5]
	s_cbranch_execnz .LBB140_358
.LBB140_242:
	s_or_b64 exec, exec, s[2:3]
	s_and_b64 s[4:5], s[24:25], s[64:65]
	s_and_saveexec_b64 s[2:3], s[4:5]
	s_cbranch_execnz .LBB140_362
.LBB140_243:
	s_or_b64 exec, exec, s[2:3]
	s_and_b64 s[4:5], s[24:25], s[66:67]
	s_and_saveexec_b64 s[2:3], s[4:5]
	s_cbranch_execnz .LBB140_366
.LBB140_244:
	s_or_b64 exec, exec, s[2:3]
	s_and_b64 s[2:3], s[24:25], s[68:69]
	s_and_saveexec_b64 s[4:5], s[2:3]
	s_cbranch_execnz .LBB140_370
.LBB140_245:
	s_endpgm
.LBB140_246:
	s_and_b64 vcc, exec, s[0:1]
	s_cbranch_vccnz .LBB140_248
; %bb.247:
	v_lshl_add_u64 v[132:133], v[128:129], 3, v[130:131]
	flat_load_dwordx2 v[132:133], v[132:133]
	s_waitcnt vmcnt(0) lgkmcnt(0)
	v_mul_f64 v[132:133], v[132:133], s[70:71]
	s_branch .LBB140_249
.LBB140_248:
	v_mov_b64_e32 v[132:133], 0
.LBB140_249:
	v_add_f64 v[62:63], v[62:63], v[132:133]
	v_lshl_add_u64 v[128:129], v[128:129], 3, v[64:65]
	global_store_dwordx2 v[128:129], v[62:63], off
	s_or_b64 exec, exec, s[2:3]
	s_and_b64 s[4:5], s[24:25], s[4:5]
	s_and_saveexec_b64 s[2:3], s[4:5]
	s_cbranch_execz .LBB140_215
.LBB140_250:
	s_and_b64 vcc, exec, s[0:1]
	s_cbranch_vccnz .LBB140_252
; %bb.251:
	v_lshl_add_u64 v[62:63], v[126:127], 3, v[130:131]
	flat_load_dwordx2 v[62:63], v[62:63]
	s_waitcnt vmcnt(0) lgkmcnt(0)
	v_mul_f64 v[62:63], v[62:63], s[70:71]
	s_branch .LBB140_253
.LBB140_252:
	v_mov_b64_e32 v[62:63], 0
.LBB140_253:
	v_add_f64 v[60:61], v[60:61], v[62:63]
	v_lshl_add_u64 v[62:63], v[126:127], 3, v[64:65]
	global_store_dwordx2 v[62:63], v[60:61], off
	s_or_b64 exec, exec, s[2:3]
	s_and_b64 s[4:5], s[24:25], s[6:7]
	s_and_saveexec_b64 s[2:3], s[4:5]
	s_cbranch_execz .LBB140_216
.LBB140_254:
	s_and_b64 vcc, exec, s[0:1]
	s_cbranch_vccnz .LBB140_256
; %bb.255:
	v_lshl_add_u64 v[60:61], v[124:125], 3, v[130:131]
	flat_load_dwordx2 v[60:61], v[60:61]
	s_waitcnt vmcnt(0) lgkmcnt(0)
	v_mul_f64 v[60:61], v[60:61], s[70:71]
	s_branch .LBB140_257
.LBB140_256:
	v_mov_b64_e32 v[60:61], 0
.LBB140_257:
	v_add_f64 v[58:59], v[58:59], v[60:61]
	v_lshl_add_u64 v[60:61], v[124:125], 3, v[64:65]
	global_store_dwordx2 v[60:61], v[58:59], off
	s_or_b64 exec, exec, s[2:3]
	s_and_b64 s[4:5], s[24:25], s[8:9]
	s_and_saveexec_b64 s[2:3], s[4:5]
	s_cbranch_execz .LBB140_217
.LBB140_258:
	s_and_b64 vcc, exec, s[0:1]
	s_cbranch_vccnz .LBB140_260
; %bb.259:
	v_lshl_add_u64 v[58:59], v[122:123], 3, v[130:131]
	flat_load_dwordx2 v[58:59], v[58:59]
	s_waitcnt vmcnt(0) lgkmcnt(0)
	v_mul_f64 v[58:59], v[58:59], s[70:71]
	s_branch .LBB140_261
.LBB140_260:
	v_mov_b64_e32 v[58:59], 0
.LBB140_261:
	v_add_f64 v[56:57], v[56:57], v[58:59]
	v_lshl_add_u64 v[58:59], v[122:123], 3, v[64:65]
	global_store_dwordx2 v[58:59], v[56:57], off
	s_or_b64 exec, exec, s[2:3]
	s_and_b64 s[4:5], s[24:25], s[10:11]
	s_and_saveexec_b64 s[2:3], s[4:5]
	s_cbranch_execz .LBB140_218
.LBB140_262:
	s_and_b64 vcc, exec, s[0:1]
	s_cbranch_vccnz .LBB140_264
; %bb.263:
	v_lshl_add_u64 v[56:57], v[120:121], 3, v[130:131]
	flat_load_dwordx2 v[56:57], v[56:57]
	s_waitcnt vmcnt(0) lgkmcnt(0)
	v_mul_f64 v[56:57], v[56:57], s[70:71]
	s_branch .LBB140_265
.LBB140_264:
	v_mov_b64_e32 v[56:57], 0
.LBB140_265:
	v_add_f64 v[54:55], v[54:55], v[56:57]
	v_lshl_add_u64 v[56:57], v[120:121], 3, v[64:65]
	global_store_dwordx2 v[56:57], v[54:55], off
	s_or_b64 exec, exec, s[2:3]
	s_and_b64 s[4:5], s[24:25], s[12:13]
	s_and_saveexec_b64 s[2:3], s[4:5]
	s_cbranch_execz .LBB140_219
.LBB140_266:
	s_and_b64 vcc, exec, s[0:1]
	s_cbranch_vccnz .LBB140_268
; %bb.267:
	v_lshl_add_u64 v[54:55], v[118:119], 3, v[130:131]
	flat_load_dwordx2 v[54:55], v[54:55]
	s_waitcnt vmcnt(0) lgkmcnt(0)
	v_mul_f64 v[54:55], v[54:55], s[70:71]
	s_branch .LBB140_269
.LBB140_268:
	v_mov_b64_e32 v[54:55], 0
.LBB140_269:
	v_add_f64 v[52:53], v[52:53], v[54:55]
	v_lshl_add_u64 v[54:55], v[118:119], 3, v[64:65]
	global_store_dwordx2 v[54:55], v[52:53], off
	s_or_b64 exec, exec, s[2:3]
	s_and_b64 s[4:5], s[24:25], s[14:15]
	s_and_saveexec_b64 s[2:3], s[4:5]
	s_cbranch_execz .LBB140_220
.LBB140_270:
	s_and_b64 vcc, exec, s[0:1]
	s_cbranch_vccnz .LBB140_272
; %bb.271:
	v_lshl_add_u64 v[52:53], v[116:117], 3, v[130:131]
	flat_load_dwordx2 v[52:53], v[52:53]
	s_waitcnt vmcnt(0) lgkmcnt(0)
	v_mul_f64 v[52:53], v[52:53], s[70:71]
	s_branch .LBB140_273
.LBB140_272:
	v_mov_b64_e32 v[52:53], 0
.LBB140_273:
	v_add_f64 v[50:51], v[50:51], v[52:53]
	v_lshl_add_u64 v[52:53], v[116:117], 3, v[64:65]
	global_store_dwordx2 v[52:53], v[50:51], off
	s_or_b64 exec, exec, s[2:3]
	s_and_b64 s[4:5], s[24:25], s[16:17]
	s_and_saveexec_b64 s[2:3], s[4:5]
	s_cbranch_execz .LBB140_221
.LBB140_274:
	s_and_b64 vcc, exec, s[0:1]
	s_cbranch_vccnz .LBB140_276
; %bb.275:
	v_lshl_add_u64 v[50:51], v[114:115], 3, v[130:131]
	flat_load_dwordx2 v[50:51], v[50:51]
	s_waitcnt vmcnt(0) lgkmcnt(0)
	v_mul_f64 v[50:51], v[50:51], s[70:71]
	s_branch .LBB140_277
.LBB140_276:
	v_mov_b64_e32 v[50:51], 0
.LBB140_277:
	v_add_f64 v[48:49], v[48:49], v[50:51]
	v_lshl_add_u64 v[50:51], v[114:115], 3, v[64:65]
	global_store_dwordx2 v[50:51], v[48:49], off
	s_or_b64 exec, exec, s[2:3]
	s_and_b64 s[4:5], s[24:25], s[18:19]
	s_and_saveexec_b64 s[2:3], s[4:5]
	s_cbranch_execz .LBB140_222
.LBB140_278:
	s_and_b64 vcc, exec, s[0:1]
	s_cbranch_vccnz .LBB140_280
; %bb.279:
	v_lshl_add_u64 v[48:49], v[112:113], 3, v[130:131]
	flat_load_dwordx2 v[48:49], v[48:49]
	s_waitcnt vmcnt(0) lgkmcnt(0)
	v_mul_f64 v[48:49], v[48:49], s[70:71]
	s_branch .LBB140_281
.LBB140_280:
	v_mov_b64_e32 v[48:49], 0
.LBB140_281:
	v_add_f64 v[46:47], v[46:47], v[48:49]
	v_lshl_add_u64 v[48:49], v[112:113], 3, v[64:65]
	global_store_dwordx2 v[48:49], v[46:47], off
	s_or_b64 exec, exec, s[2:3]
	s_and_b64 s[4:5], s[24:25], s[20:21]
	s_and_saveexec_b64 s[2:3], s[4:5]
	s_cbranch_execz .LBB140_223
.LBB140_282:
	s_and_b64 vcc, exec, s[0:1]
	s_cbranch_vccnz .LBB140_284
; %bb.283:
	v_lshl_add_u64 v[46:47], v[110:111], 3, v[130:131]
	flat_load_dwordx2 v[46:47], v[46:47]
	s_waitcnt vmcnt(0) lgkmcnt(0)
	v_mul_f64 v[46:47], v[46:47], s[70:71]
	s_branch .LBB140_285
.LBB140_284:
	v_mov_b64_e32 v[46:47], 0
.LBB140_285:
	v_add_f64 v[44:45], v[44:45], v[46:47]
	v_lshl_add_u64 v[46:47], v[110:111], 3, v[64:65]
	global_store_dwordx2 v[46:47], v[44:45], off
	s_or_b64 exec, exec, s[2:3]
	s_and_b64 s[4:5], s[24:25], s[22:23]
	s_and_saveexec_b64 s[2:3], s[4:5]
	s_cbranch_execz .LBB140_224
.LBB140_286:
	s_and_b64 vcc, exec, s[0:1]
	s_cbranch_vccnz .LBB140_288
; %bb.287:
	v_lshl_add_u64 v[44:45], v[108:109], 3, v[130:131]
	flat_load_dwordx2 v[44:45], v[44:45]
	s_waitcnt vmcnt(0) lgkmcnt(0)
	v_mul_f64 v[44:45], v[44:45], s[70:71]
	s_branch .LBB140_289
.LBB140_288:
	v_mov_b64_e32 v[44:45], 0
.LBB140_289:
	v_add_f64 v[42:43], v[42:43], v[44:45]
	v_lshl_add_u64 v[44:45], v[108:109], 3, v[64:65]
	global_store_dwordx2 v[44:45], v[42:43], off
	s_or_b64 exec, exec, s[2:3]
	s_and_b64 s[4:5], s[24:25], s[26:27]
	s_and_saveexec_b64 s[2:3], s[4:5]
	s_cbranch_execz .LBB140_225
.LBB140_290:
	s_and_b64 vcc, exec, s[0:1]
	s_cbranch_vccnz .LBB140_292
; %bb.291:
	v_lshl_add_u64 v[42:43], v[106:107], 3, v[130:131]
	flat_load_dwordx2 v[42:43], v[42:43]
	s_waitcnt vmcnt(0) lgkmcnt(0)
	v_mul_f64 v[42:43], v[42:43], s[70:71]
	s_branch .LBB140_293
.LBB140_292:
	v_mov_b64_e32 v[42:43], 0
.LBB140_293:
	v_add_f64 v[40:41], v[40:41], v[42:43]
	v_lshl_add_u64 v[42:43], v[106:107], 3, v[64:65]
	global_store_dwordx2 v[42:43], v[40:41], off
	s_or_b64 exec, exec, s[2:3]
	s_and_b64 s[4:5], s[24:25], s[28:29]
	s_and_saveexec_b64 s[2:3], s[4:5]
	s_cbranch_execz .LBB140_226
.LBB140_294:
	s_and_b64 vcc, exec, s[0:1]
	s_cbranch_vccnz .LBB140_296
; %bb.295:
	v_lshl_add_u64 v[40:41], v[104:105], 3, v[130:131]
	flat_load_dwordx2 v[40:41], v[40:41]
	s_waitcnt vmcnt(0) lgkmcnt(0)
	v_mul_f64 v[40:41], v[40:41], s[70:71]
	s_branch .LBB140_297
.LBB140_296:
	v_mov_b64_e32 v[40:41], 0
.LBB140_297:
	v_add_f64 v[38:39], v[38:39], v[40:41]
	v_lshl_add_u64 v[40:41], v[104:105], 3, v[64:65]
	global_store_dwordx2 v[40:41], v[38:39], off
	s_or_b64 exec, exec, s[2:3]
	s_and_b64 s[4:5], s[24:25], s[30:31]
	s_and_saveexec_b64 s[2:3], s[4:5]
	s_cbranch_execz .LBB140_227
.LBB140_298:
	s_and_b64 vcc, exec, s[0:1]
	s_cbranch_vccnz .LBB140_300
; %bb.299:
	v_lshl_add_u64 v[38:39], v[102:103], 3, v[130:131]
	flat_load_dwordx2 v[38:39], v[38:39]
	s_waitcnt vmcnt(0) lgkmcnt(0)
	v_mul_f64 v[38:39], v[38:39], s[70:71]
	s_branch .LBB140_301
.LBB140_300:
	v_mov_b64_e32 v[38:39], 0
.LBB140_301:
	v_add_f64 v[36:37], v[36:37], v[38:39]
	v_lshl_add_u64 v[38:39], v[102:103], 3, v[64:65]
	global_store_dwordx2 v[38:39], v[36:37], off
	s_or_b64 exec, exec, s[2:3]
	s_and_b64 s[4:5], s[24:25], s[34:35]
	s_and_saveexec_b64 s[2:3], s[4:5]
	s_cbranch_execz .LBB140_228
.LBB140_302:
	s_and_b64 vcc, exec, s[0:1]
	s_cbranch_vccnz .LBB140_304
; %bb.303:
	v_lshl_add_u64 v[36:37], v[100:101], 3, v[130:131]
	flat_load_dwordx2 v[36:37], v[36:37]
	s_waitcnt vmcnt(0) lgkmcnt(0)
	v_mul_f64 v[36:37], v[36:37], s[70:71]
	s_branch .LBB140_305
.LBB140_304:
	v_mov_b64_e32 v[36:37], 0
.LBB140_305:
	v_add_f64 v[34:35], v[34:35], v[36:37]
	v_lshl_add_u64 v[36:37], v[100:101], 3, v[64:65]
	global_store_dwordx2 v[36:37], v[34:35], off
	s_or_b64 exec, exec, s[2:3]
	s_and_b64 s[4:5], s[24:25], s[36:37]
	s_and_saveexec_b64 s[2:3], s[4:5]
	s_cbranch_execz .LBB140_229
.LBB140_306:
	s_and_b64 vcc, exec, s[0:1]
	s_cbranch_vccnz .LBB140_308
; %bb.307:
	v_lshl_add_u64 v[34:35], v[98:99], 3, v[130:131]
	flat_load_dwordx2 v[34:35], v[34:35]
	s_waitcnt vmcnt(0) lgkmcnt(0)
	v_mul_f64 v[34:35], v[34:35], s[70:71]
	s_branch .LBB140_309
.LBB140_308:
	v_mov_b64_e32 v[34:35], 0
.LBB140_309:
	v_add_f64 v[32:33], v[32:33], v[34:35]
	v_lshl_add_u64 v[34:35], v[98:99], 3, v[64:65]
	global_store_dwordx2 v[34:35], v[32:33], off
	s_or_b64 exec, exec, s[2:3]
	s_and_b64 s[4:5], s[24:25], s[38:39]
	s_and_saveexec_b64 s[2:3], s[4:5]
	s_cbranch_execz .LBB140_230
.LBB140_310:
	s_and_b64 vcc, exec, s[0:1]
	s_cbranch_vccnz .LBB140_312
; %bb.311:
	v_lshl_add_u64 v[32:33], v[96:97], 3, v[130:131]
	flat_load_dwordx2 v[32:33], v[32:33]
	s_waitcnt vmcnt(0) lgkmcnt(0)
	v_mul_f64 v[32:33], v[32:33], s[70:71]
	s_branch .LBB140_313
.LBB140_312:
	v_mov_b64_e32 v[32:33], 0
.LBB140_313:
	v_add_f64 v[30:31], v[30:31], v[32:33]
	v_lshl_add_u64 v[32:33], v[96:97], 3, v[64:65]
	global_store_dwordx2 v[32:33], v[30:31], off
	s_or_b64 exec, exec, s[2:3]
	s_and_b64 s[4:5], s[24:25], s[40:41]
	s_and_saveexec_b64 s[2:3], s[4:5]
	s_cbranch_execz .LBB140_231
.LBB140_314:
	s_and_b64 vcc, exec, s[0:1]
	s_cbranch_vccnz .LBB140_316
; %bb.315:
	v_lshl_add_u64 v[30:31], v[94:95], 3, v[130:131]
	flat_load_dwordx2 v[30:31], v[30:31]
	s_waitcnt vmcnt(0) lgkmcnt(0)
	v_mul_f64 v[30:31], v[30:31], s[70:71]
	s_branch .LBB140_317
.LBB140_316:
	v_mov_b64_e32 v[30:31], 0
.LBB140_317:
	v_add_f64 v[28:29], v[28:29], v[30:31]
	v_lshl_add_u64 v[30:31], v[94:95], 3, v[64:65]
	global_store_dwordx2 v[30:31], v[28:29], off
	s_or_b64 exec, exec, s[2:3]
	s_and_b64 s[4:5], s[24:25], s[42:43]
	s_and_saveexec_b64 s[2:3], s[4:5]
	s_cbranch_execz .LBB140_232
.LBB140_318:
	s_and_b64 vcc, exec, s[0:1]
	s_cbranch_vccnz .LBB140_320
; %bb.319:
	v_lshl_add_u64 v[28:29], v[92:93], 3, v[130:131]
	flat_load_dwordx2 v[28:29], v[28:29]
	s_waitcnt vmcnt(0) lgkmcnt(0)
	v_mul_f64 v[28:29], v[28:29], s[70:71]
	s_branch .LBB140_321
.LBB140_320:
	v_mov_b64_e32 v[28:29], 0
.LBB140_321:
	v_add_f64 v[26:27], v[26:27], v[28:29]
	v_lshl_add_u64 v[28:29], v[92:93], 3, v[64:65]
	global_store_dwordx2 v[28:29], v[26:27], off
	s_or_b64 exec, exec, s[2:3]
	s_and_b64 s[4:5], s[24:25], s[44:45]
	s_and_saveexec_b64 s[2:3], s[4:5]
	s_cbranch_execz .LBB140_233
.LBB140_322:
	s_and_b64 vcc, exec, s[0:1]
	s_cbranch_vccnz .LBB140_324
; %bb.323:
	v_lshl_add_u64 v[26:27], v[90:91], 3, v[130:131]
	flat_load_dwordx2 v[26:27], v[26:27]
	s_waitcnt vmcnt(0) lgkmcnt(0)
	v_mul_f64 v[26:27], v[26:27], s[70:71]
	s_branch .LBB140_325
.LBB140_324:
	v_mov_b64_e32 v[26:27], 0
.LBB140_325:
	v_add_f64 v[24:25], v[24:25], v[26:27]
	v_lshl_add_u64 v[26:27], v[90:91], 3, v[64:65]
	global_store_dwordx2 v[26:27], v[24:25], off
	s_or_b64 exec, exec, s[2:3]
	s_and_b64 s[4:5], s[24:25], s[46:47]
	s_and_saveexec_b64 s[2:3], s[4:5]
	s_cbranch_execz .LBB140_234
.LBB140_326:
	s_and_b64 vcc, exec, s[0:1]
	s_cbranch_vccnz .LBB140_328
; %bb.327:
	v_lshl_add_u64 v[24:25], v[88:89], 3, v[130:131]
	flat_load_dwordx2 v[24:25], v[24:25]
	s_waitcnt vmcnt(0) lgkmcnt(0)
	v_mul_f64 v[24:25], v[24:25], s[70:71]
	s_branch .LBB140_329
.LBB140_328:
	v_mov_b64_e32 v[24:25], 0
.LBB140_329:
	v_add_f64 v[22:23], v[22:23], v[24:25]
	v_lshl_add_u64 v[24:25], v[88:89], 3, v[64:65]
	global_store_dwordx2 v[24:25], v[22:23], off
	s_or_b64 exec, exec, s[2:3]
	s_and_b64 s[4:5], s[24:25], s[48:49]
	s_and_saveexec_b64 s[2:3], s[4:5]
	s_cbranch_execz .LBB140_235
.LBB140_330:
	s_and_b64 vcc, exec, s[0:1]
	s_cbranch_vccnz .LBB140_332
; %bb.331:
	v_lshl_add_u64 v[22:23], v[86:87], 3, v[130:131]
	flat_load_dwordx2 v[22:23], v[22:23]
	s_waitcnt vmcnt(0) lgkmcnt(0)
	v_mul_f64 v[22:23], v[22:23], s[70:71]
	s_branch .LBB140_333
.LBB140_332:
	v_mov_b64_e32 v[22:23], 0
.LBB140_333:
	v_add_f64 v[20:21], v[20:21], v[22:23]
	v_lshl_add_u64 v[22:23], v[86:87], 3, v[64:65]
	global_store_dwordx2 v[22:23], v[20:21], off
	s_or_b64 exec, exec, s[2:3]
	s_and_b64 s[4:5], s[24:25], s[50:51]
	s_and_saveexec_b64 s[2:3], s[4:5]
	s_cbranch_execz .LBB140_236
.LBB140_334:
	s_and_b64 vcc, exec, s[0:1]
	s_cbranch_vccnz .LBB140_336
; %bb.335:
	v_lshl_add_u64 v[20:21], v[84:85], 3, v[130:131]
	flat_load_dwordx2 v[20:21], v[20:21]
	s_waitcnt vmcnt(0) lgkmcnt(0)
	v_mul_f64 v[20:21], v[20:21], s[70:71]
	s_branch .LBB140_337
.LBB140_336:
	v_mov_b64_e32 v[20:21], 0
.LBB140_337:
	v_add_f64 v[18:19], v[18:19], v[20:21]
	v_lshl_add_u64 v[20:21], v[84:85], 3, v[64:65]
	global_store_dwordx2 v[20:21], v[18:19], off
	s_or_b64 exec, exec, s[2:3]
	s_and_b64 s[4:5], s[24:25], s[52:53]
	s_and_saveexec_b64 s[2:3], s[4:5]
	s_cbranch_execz .LBB140_237
.LBB140_338:
	s_and_b64 vcc, exec, s[0:1]
	s_cbranch_vccnz .LBB140_340
; %bb.339:
	v_lshl_add_u64 v[18:19], v[82:83], 3, v[130:131]
	flat_load_dwordx2 v[18:19], v[18:19]
	s_waitcnt vmcnt(0) lgkmcnt(0)
	v_mul_f64 v[18:19], v[18:19], s[70:71]
	s_branch .LBB140_341
.LBB140_340:
	v_mov_b64_e32 v[18:19], 0
.LBB140_341:
	v_add_f64 v[16:17], v[16:17], v[18:19]
	v_lshl_add_u64 v[18:19], v[82:83], 3, v[64:65]
	global_store_dwordx2 v[18:19], v[16:17], off
	s_or_b64 exec, exec, s[2:3]
	s_and_b64 s[4:5], s[24:25], s[54:55]
	s_and_saveexec_b64 s[2:3], s[4:5]
	s_cbranch_execz .LBB140_238
.LBB140_342:
	s_and_b64 vcc, exec, s[0:1]
	s_cbranch_vccnz .LBB140_344
; %bb.343:
	v_lshl_add_u64 v[16:17], v[80:81], 3, v[130:131]
	flat_load_dwordx2 v[16:17], v[16:17]
	s_waitcnt vmcnt(0) lgkmcnt(0)
	v_mul_f64 v[16:17], v[16:17], s[70:71]
	s_branch .LBB140_345
.LBB140_344:
	v_mov_b64_e32 v[16:17], 0
.LBB140_345:
	v_add_f64 v[14:15], v[14:15], v[16:17]
	v_lshl_add_u64 v[16:17], v[80:81], 3, v[64:65]
	global_store_dwordx2 v[16:17], v[14:15], off
	s_or_b64 exec, exec, s[2:3]
	s_and_b64 s[4:5], s[24:25], s[56:57]
	s_and_saveexec_b64 s[2:3], s[4:5]
	s_cbranch_execz .LBB140_239
.LBB140_346:
	s_and_b64 vcc, exec, s[0:1]
	s_cbranch_vccnz .LBB140_348
; %bb.347:
	v_lshl_add_u64 v[14:15], v[78:79], 3, v[130:131]
	flat_load_dwordx2 v[14:15], v[14:15]
	s_waitcnt vmcnt(0) lgkmcnt(0)
	v_mul_f64 v[14:15], v[14:15], s[70:71]
	s_branch .LBB140_349
.LBB140_348:
	v_mov_b64_e32 v[14:15], 0
.LBB140_349:
	v_add_f64 v[12:13], v[12:13], v[14:15]
	v_lshl_add_u64 v[14:15], v[78:79], 3, v[64:65]
	global_store_dwordx2 v[14:15], v[12:13], off
	s_or_b64 exec, exec, s[2:3]
	s_and_b64 s[4:5], s[24:25], s[58:59]
	s_and_saveexec_b64 s[2:3], s[4:5]
	s_cbranch_execz .LBB140_240
.LBB140_350:
	s_and_b64 vcc, exec, s[0:1]
	s_cbranch_vccnz .LBB140_352
; %bb.351:
	v_lshl_add_u64 v[12:13], v[76:77], 3, v[130:131]
	flat_load_dwordx2 v[12:13], v[12:13]
	s_waitcnt vmcnt(0) lgkmcnt(0)
	v_mul_f64 v[12:13], v[12:13], s[70:71]
	s_branch .LBB140_353
.LBB140_352:
	v_mov_b64_e32 v[12:13], 0
.LBB140_353:
	v_add_f64 v[10:11], v[10:11], v[12:13]
	v_lshl_add_u64 v[12:13], v[76:77], 3, v[64:65]
	global_store_dwordx2 v[12:13], v[10:11], off
	s_or_b64 exec, exec, s[2:3]
	s_and_b64 s[4:5], s[24:25], s[60:61]
	s_and_saveexec_b64 s[2:3], s[4:5]
	s_cbranch_execz .LBB140_241
.LBB140_354:
	s_and_b64 vcc, exec, s[0:1]
	s_cbranch_vccnz .LBB140_356
; %bb.355:
	v_lshl_add_u64 v[10:11], v[74:75], 3, v[130:131]
	flat_load_dwordx2 v[10:11], v[10:11]
	s_waitcnt vmcnt(0) lgkmcnt(0)
	v_mul_f64 v[10:11], v[10:11], s[70:71]
	s_branch .LBB140_357
.LBB140_356:
	v_mov_b64_e32 v[10:11], 0
.LBB140_357:
	v_add_f64 v[8:9], v[8:9], v[10:11]
	v_lshl_add_u64 v[10:11], v[74:75], 3, v[64:65]
	global_store_dwordx2 v[10:11], v[8:9], off
	s_or_b64 exec, exec, s[2:3]
	s_and_b64 s[4:5], s[24:25], s[62:63]
	s_and_saveexec_b64 s[2:3], s[4:5]
	s_cbranch_execz .LBB140_242
.LBB140_358:
	s_and_b64 vcc, exec, s[0:1]
	s_cbranch_vccnz .LBB140_360
; %bb.359:
	v_lshl_add_u64 v[8:9], v[72:73], 3, v[130:131]
	flat_load_dwordx2 v[8:9], v[8:9]
	s_waitcnt vmcnt(0) lgkmcnt(0)
	v_mul_f64 v[8:9], v[8:9], s[70:71]
	s_branch .LBB140_361
.LBB140_360:
	v_mov_b64_e32 v[8:9], 0
.LBB140_361:
	v_add_f64 v[6:7], v[6:7], v[8:9]
	v_lshl_add_u64 v[8:9], v[72:73], 3, v[64:65]
	global_store_dwordx2 v[8:9], v[6:7], off
	s_or_b64 exec, exec, s[2:3]
	s_and_b64 s[4:5], s[24:25], s[64:65]
	s_and_saveexec_b64 s[2:3], s[4:5]
	s_cbranch_execz .LBB140_243
.LBB140_362:
	s_and_b64 vcc, exec, s[0:1]
	s_cbranch_vccnz .LBB140_364
; %bb.363:
	v_lshl_add_u64 v[6:7], v[70:71], 3, v[130:131]
	flat_load_dwordx2 v[6:7], v[6:7]
	s_waitcnt vmcnt(0) lgkmcnt(0)
	v_mul_f64 v[6:7], v[6:7], s[70:71]
	s_branch .LBB140_365
.LBB140_364:
	v_mov_b64_e32 v[6:7], 0
.LBB140_365:
	v_add_f64 v[4:5], v[4:5], v[6:7]
	v_lshl_add_u64 v[6:7], v[70:71], 3, v[64:65]
	global_store_dwordx2 v[6:7], v[4:5], off
	s_or_b64 exec, exec, s[2:3]
	s_and_b64 s[4:5], s[24:25], s[66:67]
	s_and_saveexec_b64 s[2:3], s[4:5]
	s_cbranch_execz .LBB140_244
.LBB140_366:
	s_and_b64 vcc, exec, s[0:1]
	s_cbranch_vccnz .LBB140_368
; %bb.367:
	v_lshl_add_u64 v[4:5], v[68:69], 3, v[130:131]
	flat_load_dwordx2 v[4:5], v[4:5]
	s_waitcnt vmcnt(0) lgkmcnt(0)
	v_mul_f64 v[4:5], v[4:5], s[70:71]
	s_branch .LBB140_369
.LBB140_368:
	v_mov_b64_e32 v[4:5], 0
.LBB140_369:
	v_add_f64 v[2:3], v[2:3], v[4:5]
	v_lshl_add_u64 v[4:5], v[68:69], 3, v[64:65]
	global_store_dwordx2 v[4:5], v[2:3], off
	s_or_b64 exec, exec, s[2:3]
	s_and_b64 s[2:3], s[24:25], s[68:69]
	s_and_saveexec_b64 s[4:5], s[2:3]
	s_cbranch_execz .LBB140_245
.LBB140_370:
	s_and_b64 vcc, exec, s[0:1]
	s_cbranch_vccnz .LBB140_372
; %bb.371:
	v_lshl_add_u64 v[2:3], v[66:67], 3, v[130:131]
	flat_load_dwordx2 v[2:3], v[2:3]
	s_waitcnt vmcnt(0) lgkmcnt(0)
	v_mul_f64 v[2:3], v[2:3], s[70:71]
	v_add_f64 v[0:1], v[0:1], v[2:3]
	v_lshl_add_u64 v[2:3], v[66:67], 3, v[64:65]
	global_store_dwordx2 v[2:3], v[0:1], off
	s_endpgm
.LBB140_372:
	v_mov_b64_e32 v[2:3], 0
	v_add_f64 v[0:1], v[0:1], v[2:3]
	v_lshl_add_u64 v[2:3], v[66:67], 3, v[64:65]
	global_store_dwordx2 v[2:3], v[0:1], off
	s_endpgm
	.section	.rodata,"a",@progbits
	.p2align	6, 0x0
	.amdhsa_kernel _ZN12_GLOBAL__N_120geam_min_plus_kernelIdddLi4ELi64ELi128ELi128ELi4ELi4ELi64ELi4ELi64ELc84ELc78ELb0ELb1ELb0EdKPKdKPdEEviiiT16_PT17_ilS8_ilS6_S8_ilPT18_ili26rocblas_geam_ex_operation_
		.amdhsa_group_segment_fixed_size 16384
		.amdhsa_private_segment_fixed_size 0
		.amdhsa_kernarg_size 136
		.amdhsa_user_sgpr_count 2
		.amdhsa_user_sgpr_dispatch_ptr 0
		.amdhsa_user_sgpr_queue_ptr 0
		.amdhsa_user_sgpr_kernarg_segment_ptr 1
		.amdhsa_user_sgpr_dispatch_id 0
		.amdhsa_user_sgpr_kernarg_preload_length 0
		.amdhsa_user_sgpr_kernarg_preload_offset 0
		.amdhsa_user_sgpr_private_segment_size 0
		.amdhsa_uses_dynamic_stack 0
		.amdhsa_enable_private_segment 0
		.amdhsa_system_sgpr_workgroup_id_x 1
		.amdhsa_system_sgpr_workgroup_id_y 0
		.amdhsa_system_sgpr_workgroup_id_z 1
		.amdhsa_system_sgpr_workgroup_info 0
		.amdhsa_system_vgpr_workitem_id 1
		.amdhsa_next_free_vgpr 250
		.amdhsa_next_free_sgpr 82
		.amdhsa_accum_offset 252
		.amdhsa_reserve_vcc 1
		.amdhsa_float_round_mode_32 0
		.amdhsa_float_round_mode_16_64 0
		.amdhsa_float_denorm_mode_32 3
		.amdhsa_float_denorm_mode_16_64 3
		.amdhsa_dx10_clamp 1
		.amdhsa_ieee_mode 1
		.amdhsa_fp16_overflow 0
		.amdhsa_tg_split 0
		.amdhsa_exception_fp_ieee_invalid_op 0
		.amdhsa_exception_fp_denorm_src 0
		.amdhsa_exception_fp_ieee_div_zero 0
		.amdhsa_exception_fp_ieee_overflow 0
		.amdhsa_exception_fp_ieee_underflow 0
		.amdhsa_exception_fp_ieee_inexact 0
		.amdhsa_exception_int_div_zero 0
	.end_amdhsa_kernel
	.section	.text._ZN12_GLOBAL__N_120geam_min_plus_kernelIdddLi4ELi64ELi128ELi128ELi4ELi4ELi64ELi4ELi64ELc84ELc78ELb0ELb1ELb0EdKPKdKPdEEviiiT16_PT17_ilS8_ilS6_S8_ilPT18_ili26rocblas_geam_ex_operation_,"axG",@progbits,_ZN12_GLOBAL__N_120geam_min_plus_kernelIdddLi4ELi64ELi128ELi128ELi4ELi4ELi64ELi4ELi64ELc84ELc78ELb0ELb1ELb0EdKPKdKPdEEviiiT16_PT17_ilS8_ilS6_S8_ilPT18_ili26rocblas_geam_ex_operation_,comdat
.Lfunc_end140:
	.size	_ZN12_GLOBAL__N_120geam_min_plus_kernelIdddLi4ELi64ELi128ELi128ELi4ELi4ELi64ELi4ELi64ELc84ELc78ELb0ELb1ELb0EdKPKdKPdEEviiiT16_PT17_ilS8_ilS6_S8_ilPT18_ili26rocblas_geam_ex_operation_, .Lfunc_end140-_ZN12_GLOBAL__N_120geam_min_plus_kernelIdddLi4ELi64ELi128ELi128ELi4ELi4ELi64ELi4ELi64ELc84ELc78ELb0ELb1ELb0EdKPKdKPdEEviiiT16_PT17_ilS8_ilS6_S8_ilPT18_ili26rocblas_geam_ex_operation_
                                        ; -- End function
	.section	.AMDGPU.csdata,"",@progbits
; Kernel info:
; codeLenInByte = 14704
; NumSgprs: 88
; NumVgprs: 250
; NumAgprs: 0
; TotalNumVgprs: 250
; ScratchSize: 0
; MemoryBound: 0
; FloatMode: 240
; IeeeMode: 1
; LDSByteSize: 16384 bytes/workgroup (compile time only)
; SGPRBlocks: 10
; VGPRBlocks: 31
; NumSGPRsForWavesPerEU: 88
; NumVGPRsForWavesPerEU: 250
; AccumOffset: 252
; Occupancy: 2
; WaveLimiterHint : 1
; COMPUTE_PGM_RSRC2:SCRATCH_EN: 0
; COMPUTE_PGM_RSRC2:USER_SGPR: 2
; COMPUTE_PGM_RSRC2:TRAP_HANDLER: 0
; COMPUTE_PGM_RSRC2:TGID_X_EN: 1
; COMPUTE_PGM_RSRC2:TGID_Y_EN: 0
; COMPUTE_PGM_RSRC2:TGID_Z_EN: 1
; COMPUTE_PGM_RSRC2:TIDIG_COMP_CNT: 1
; COMPUTE_PGM_RSRC3_GFX90A:ACCUM_OFFSET: 62
; COMPUTE_PGM_RSRC3_GFX90A:TG_SPLIT: 0
	.section	.text._ZN12_GLOBAL__N_120geam_min_plus_kernelIdddLi4ELi64ELi128ELi128ELi4ELi64ELi4ELi64ELi4ELc78ELc84ELb0ELb0ELb0EPKdKS2_KPdEEviiiT16_PT17_ilS8_ilS6_S8_ilPT18_ili26rocblas_geam_ex_operation_,"axG",@progbits,_ZN12_GLOBAL__N_120geam_min_plus_kernelIdddLi4ELi64ELi128ELi128ELi4ELi64ELi4ELi64ELi4ELc78ELc84ELb0ELb0ELb0EPKdKS2_KPdEEviiiT16_PT17_ilS8_ilS6_S8_ilPT18_ili26rocblas_geam_ex_operation_,comdat
	.globl	_ZN12_GLOBAL__N_120geam_min_plus_kernelIdddLi4ELi64ELi128ELi128ELi4ELi64ELi4ELi64ELi4ELc78ELc84ELb0ELb0ELb0EPKdKS2_KPdEEviiiT16_PT17_ilS8_ilS6_S8_ilPT18_ili26rocblas_geam_ex_operation_ ; -- Begin function _ZN12_GLOBAL__N_120geam_min_plus_kernelIdddLi4ELi64ELi128ELi128ELi4ELi64ELi4ELi64ELi4ELc78ELc84ELb0ELb0ELb0EPKdKS2_KPdEEviiiT16_PT17_ilS8_ilS6_S8_ilPT18_ili26rocblas_geam_ex_operation_
	.p2align	8
	.type	_ZN12_GLOBAL__N_120geam_min_plus_kernelIdddLi4ELi64ELi128ELi128ELi4ELi64ELi4ELi64ELi4ELc78ELc84ELb0ELb0ELb0EPKdKS2_KPdEEviiiT16_PT17_ilS8_ilS6_S8_ilPT18_ili26rocblas_geam_ex_operation_,@function
_ZN12_GLOBAL__N_120geam_min_plus_kernelIdddLi4ELi64ELi128ELi128ELi4ELi64ELi4ELi64ELi4ELc78ELc84ELb0ELb0ELb0EPKdKS2_KPdEEviiiT16_PT17_ilS8_ilS6_S8_ilPT18_ili26rocblas_geam_ex_operation_: ; @_ZN12_GLOBAL__N_120geam_min_plus_kernelIdddLi4ELi64ELi128ELi128ELi4ELi64ELi4ELi64ELi4ELc78ELc84ELb0ELb0ELb0EPKdKS2_KPdEEviiiT16_PT17_ilS8_ilS6_S8_ilPT18_ili26rocblas_geam_ex_operation_
; %bb.0:
	s_load_dwordx4 s[12:15], s[0:1], 0x10
	s_load_dwordx4 s[4:7], s[0:1], 0x28
	s_mov_b32 s8, s3
	s_mov_b32 s9, 0
	s_lshl_b64 s[22:23], s[8:9], 3
	s_waitcnt lgkmcnt(0)
	s_add_u32 s12, s12, s22
	s_load_dwordx4 s[8:11], s[0:1], 0x40
	s_addc_u32 s13, s13, s23
	s_load_dwordx2 s[16:17], s[12:13], 0x0
	s_load_dwordx2 s[24:25], s[0:1], 0x50
	s_mov_b64 s[18:19], 0
	s_mov_b64 s[20:21], 0
	s_waitcnt lgkmcnt(0)
	s_add_u32 s10, s10, s22
	v_cmp_eq_f64_e64 s[12:13], s[16:17], 0
	s_addc_u32 s11, s11, s23
	v_cmp_neq_f64_e64 s[26:27], s[16:17], 0
	s_and_b64 vcc, exec, s[12:13]
	s_cbranch_vccnz .LBB141_2
; %bb.1:
	s_add_u32 s12, s14, s22
	s_addc_u32 s13, s15, s23
	s_load_dwordx2 s[12:13], s[12:13], 0x0
	s_lshl_b64 s[4:5], s[4:5], 3
	s_waitcnt lgkmcnt(0)
	s_add_u32 s20, s12, s4
	s_addc_u32 s21, s13, s5
.LBB141_2:
	s_load_dwordx2 s[12:13], s[10:11], 0x0
	v_cndmask_b32_e64 v1, 0, 1, s[26:27]
	v_cmp_ne_u32_e64 s[4:5], 1, v1
	s_andn2_b64 vcc, exec, s[26:27]
	s_cbranch_vccnz .LBB141_4
; %bb.3:
	s_add_u32 s6, s6, s22
	s_addc_u32 s7, s7, s23
	s_load_dwordx2 s[6:7], s[6:7], 0x0
	s_lshl_b64 s[8:9], s[8:9], 3
	s_waitcnt lgkmcnt(0)
	s_add_u32 s18, s6, s8
	s_addc_u32 s19, s7, s9
.LBB141_4:
	s_load_dwordx4 s[8:11], s[0:1], 0x60
	s_waitcnt lgkmcnt(0)
	v_cmp_eq_f64_e64 s[6:7], s[12:13], 0
	s_and_b64 s[6:7], exec, s[6:7]
	s_mov_b64 s[14:15], 0
	s_mov_b64 vcc, s[6:7]
	s_cbranch_vccnz .LBB141_6
; %bb.5:
	s_add_u32 s14, s24, s22
	s_addc_u32 s15, s25, s23
	s_load_dwordx2 s[14:15], s[14:15], 0x0
	s_lshl_b64 s[8:9], s[8:9], 3
	s_waitcnt lgkmcnt(0)
	s_add_u32 s14, s14, s8
	s_addc_u32 s15, s15, s9
.LBB141_6:
	s_load_dword s24, s[0:1], 0x20
	s_load_dword s3, s[0:1], 0x0
	v_and_b32_e32 v140, 0x3ff, v0
	v_bfe_u32 v141, v0, 10, 10
	v_lshl_add_u32 v0, v141, 2, v140
	s_waitcnt lgkmcnt(0)
	s_ashr_i32 s25, s24, 31
	s_add_u32 s8, s10, s22
	s_addc_u32 s9, s11, s23
	s_add_i32 s3, s3, -1
	s_ashr_i32 s10, s3, 31
	s_lshr_b32 s10, s10, 25
	s_add_i32 s3, s3, s10
	s_ashr_i32 s3, s3, 7
	s_add_i32 s10, s3, 1
	v_cvt_f32_u32_e32 v1, s10
	s_not_b32 s3, s3
	s_load_dwordx2 s[8:9], s[8:9], 0x0
	v_and_b32_e32 v148, 63, v0
	v_rcp_iflag_f32_e32 v1, v1
	v_lshrrev_b32_e32 v142, 6, v0
	v_mul_f32_e32 v1, 0x4f7ffffe, v1
	v_cvt_u32_f32_e32 v1, v1
	s_nop 0
	v_readfirstlane_b32 s11, v1
	s_mul_i32 s3, s3, s11
	s_mul_hi_u32 s3, s11, s3
	s_add_i32 s11, s11, s3
	s_mul_hi_u32 s3, s2, s11
	s_mul_i32 s11, s3, s10
	s_sub_i32 s11, s2, s11
	s_add_i32 s22, s3, 1
	s_sub_i32 s23, s11, s10
	s_cmp_ge_u32 s11, s10
	s_cselect_b32 s3, s22, s3
	s_cselect_b32 s11, s23, s11
	s_add_i32 s22, s3, 1
	s_cmp_ge_u32 s11, s10
	s_cselect_b32 s3, s22, s3
	s_mul_i32 s10, s3, s10
	s_sub_i32 s2, s2, s10
	s_lshl_b32 s10, s2, 7
	v_or_b32_e32 v128, s10, v148
	s_and_b64 vcc, exec, s[4:5]
	v_ashrrev_i32_e32 v129, 31, v128
	s_cbranch_vccnz .LBB141_8
; %bb.7:
	v_mad_i64_i32 v[0:1], s[22:23], s24, v142, 0
	v_lshl_add_u64 v[0:1], v[0:1], 3, s[20:21]
	v_lshl_add_u64 v[0:1], v[128:129], 3, v[0:1]
	flat_load_dwordx2 v[2:3], v[0:1]
	flat_load_dwordx2 v[4:5], v[0:1] offset:512
	s_waitcnt vmcnt(0) lgkmcnt(0)
	v_mul_f64 v[0:1], s[16:17], v[2:3]
	v_mul_f64 v[2:3], s[16:17], v[4:5]
	s_branch .LBB141_9
.LBB141_8:
	v_mov_b64_e32 v[0:1], 0
	v_mov_b64_e32 v[2:3], 0
.LBB141_9:
	s_load_dword s22, s[0:1], 0x38
	s_lshl_b32 s11, s3, 7
	v_or_b32_e32 v130, s11, v148
	s_and_b64 vcc, exec, s[4:5]
	v_ashrrev_i32_e32 v131, 31, v130
	s_waitcnt lgkmcnt(0)
	s_ashr_i32 s23, s22, 31
	s_cbranch_vccnz .LBB141_13
; %bb.10:
	v_mad_i64_i32 v[4:5], s[2:3], s22, v142, 0
	v_lshl_add_u64 v[4:5], v[4:5], 3, s[18:19]
	v_lshl_add_u64 v[4:5], v[130:131], 3, v[4:5]
	flat_load_dwordx2 v[6:7], v[4:5]
	flat_load_dwordx2 v[8:9], v[4:5] offset:512
	s_waitcnt vmcnt(0) lgkmcnt(0)
	v_mul_f64 v[4:5], s[16:17], v[6:7]
	v_mul_f64 v[6:7], s[16:17], v[8:9]
	s_and_b64 vcc, exec, s[4:5]
	v_add_u32_e32 v143, 4, v142
	s_cbranch_vccnz .LBB141_14
.LBB141_11:
	v_mad_i64_i32 v[8:9], s[2:3], s24, v143, 0
	v_lshl_add_u64 v[8:9], v[8:9], 3, s[20:21]
	v_lshl_add_u64 v[8:9], v[128:129], 3, v[8:9]
	flat_load_dwordx2 v[10:11], v[8:9]
	flat_load_dwordx2 v[12:13], v[8:9] offset:512
	s_waitcnt vmcnt(0) lgkmcnt(0)
	v_mul_f64 v[132:133], s[16:17], v[10:11]
	v_mul_f64 v[134:135], s[16:17], v[12:13]
	s_and_b64 vcc, exec, s[4:5]
	s_cbranch_vccnz .LBB141_15
.LBB141_12:
	v_mad_i64_i32 v[8:9], s[2:3], s22, v143, 0
	v_lshl_add_u64 v[8:9], v[8:9], 3, s[18:19]
	v_lshl_add_u64 v[8:9], v[130:131], 3, v[8:9]
	flat_load_dwordx2 v[10:11], v[8:9]
	flat_load_dwordx2 v[12:13], v[8:9] offset:512
	s_waitcnt vmcnt(0) lgkmcnt(0)
	v_mul_f64 v[136:137], s[16:17], v[10:11]
	v_mul_f64 v[138:139], s[16:17], v[12:13]
	s_branch .LBB141_16
.LBB141_13:
	v_mov_b64_e32 v[4:5], 0
	v_mov_b64_e32 v[6:7], 0
	s_and_b64 vcc, exec, s[4:5]
	v_add_u32_e32 v143, 4, v142
	s_cbranch_vccz .LBB141_11
.LBB141_14:
	v_mov_b64_e32 v[132:133], 0
	v_mov_b64_e32 v[134:135], 0
	s_and_b64 vcc, exec, s[4:5]
	s_cbranch_vccz .LBB141_12
.LBB141_15:
	v_mov_b64_e32 v[136:137], 0
	v_mov_b64_e32 v[138:139], 0
.LBB141_16:
	v_lshlrev_b32_e32 v8, 3, v142
	v_lshl_add_u32 v144, v148, 5, v8
	v_lshlrev_b32_e32 v152, 5, v141
	ds_write2st64_b64 v144, v[0:1], v[2:3] offset1:4
	v_or_b32_e32 v145, 0x2000, v144
	ds_write2st64_b64 v144, v[4:5], v[6:7] offset0:16 offset1:20
	v_lshlrev_b32_e32 v146, 5, v140
	v_add_u32_e32 v147, 0x2000, v152
	s_mov_b32 s2, 0
	v_mov_b64_e32 v[126:127], 0
	v_mov_b64_e32 v[124:125], 0
	;; [unrolled: 1-line block ×64, first 2 shown]
	s_waitcnt lgkmcnt(0)
	s_barrier
.LBB141_17:                             ; =>This Inner Loop Header: Depth=1
	v_add_u32_e32 v149, s2, v146
	v_add_u32_e32 v150, s2, v147
	ds_read2_b64 v[154:157], v149 offset1:16
	ds_read2_b64 v[158:161], v149 offset0:32 offset1:48
	ds_read2_b64 v[162:165], v149 offset0:64 offset1:80
	;; [unrolled: 1-line block ×7, first 2 shown]
	ds_read2st64_b64 v[186:189], v150 offset1:4
	v_add_u32_e32 v149, 0x800, v149
	ds_read2_b64 v[190:193], v149 offset1:16
	ds_read2_b64 v[194:197], v149 offset0:32 offset1:48
	ds_read2_b64 v[198:201], v149 offset0:64 offset1:80
	;; [unrolled: 1-line block ×7, first 2 shown]
	s_waitcnt lgkmcnt(14)
	v_max_f64 v[150:151], v[154:155], v[154:155]
	v_max_f64 v[154:155], v[156:157], v[156:157]
	;; [unrolled: 1-line block ×6, first 2 shown]
	s_waitcnt lgkmcnt(13)
	v_max_f64 v[164:165], v[166:167], v[166:167]
	v_max_f64 v[166:167], v[168:169], v[168:169]
	s_waitcnt lgkmcnt(12)
	v_max_f64 v[168:169], v[170:171], v[170:171]
	v_max_f64 v[170:171], v[172:173], v[172:173]
	;; [unrolled: 3-line block ×14, first 2 shown]
	v_min_f64 v[220:221], v[150:151], v[184:185]
	v_min_f64 v[222:223], v[154:155], v[184:185]
	;; [unrolled: 1-line block ×32, first 2 shown]
	s_add_i32 s2, s2, 8
	v_add_f64 v[62:63], v[150:151], v[62:63]
	v_add_f64 v[60:61], v[154:155], v[60:61]
	;; [unrolled: 1-line block ×16, first 2 shown]
	v_min_f64 v[150:151], v[188:189], v[184:185]
	v_min_f64 v[154:155], v[190:191], v[184:185]
	;; [unrolled: 1-line block ×32, first 2 shown]
	s_cmp_eq_u32 s2, 32
	v_add_f64 v[126:127], v[220:221], v[126:127]
	v_add_f64 v[124:125], v[222:223], v[124:125]
	;; [unrolled: 1-line block ×48, first 2 shown]
	s_cbranch_scc0 .LBB141_17
; %bb.18:
	s_load_dword s26, s[0:1], 0x8
	v_lshlrev_b32_e32 v148, 5, v148
	v_lshl_add_u32 v151, v142, 3, v148
	ds_write2st64_b64 v151, v[132:133], v[134:135] offset0:8 offset1:12
	ds_write2st64_b64 v151, v[136:137], v[138:139] offset0:24 offset1:28
	s_waitcnt lgkmcnt(0)
	s_cmp_gt_i32 s26, 8
	s_barrier
	s_cbranch_scc1 .LBB141_20
; %bb.19:
	v_add_u32_e32 v148, 0x1000, v146
	v_add_u32_e32 v149, 0x3000, v152
	s_cbranch_execz .LBB141_21
	s_branch .LBB141_37
.LBB141_20:
                                        ; implicit-def: $vgpr148
                                        ; implicit-def: $vgpr149
.LBB141_21:
	v_or_b32_e32 v150, 0x1000, v151
	v_or_b32_e32 v151, 0x3000, v151
	s_add_i32 s2, s26, -8
	v_lshl_add_u64 v[128:129], v[128:129], 3, s[20:21]
	v_lshl_add_u64 v[130:131], v[130:131], 3, s[18:19]
	v_add_u32_e32 v148, 0x1000, v146
	v_add_u32_e32 v149, 0x3000, v152
	s_mov_b32 s3, 8
	s_mov_b32 s18, 0
.LBB141_22:                             ; =>This Loop Header: Depth=1
                                        ;     Child Loop BB141_28 Depth 2
                                        ;     Child Loop BB141_35 Depth 2
	s_and_b64 vcc, exec, s[4:5]
	v_add_u32_e32 v136, s3, v142
	s_cbranch_vccnz .LBB141_25
; %bb.23:                               ;   in Loop: Header=BB141_22 Depth=1
	v_mad_u64_u32 v[132:133], s[20:21], v136, s24, 0
	v_mov_b32_e32 v134, v133
	v_mad_u64_u32 v[134:135], s[20:21], v136, s25, v[134:135]
	v_mov_b32_e32 v133, v134
	v_lshl_add_u64 v[132:133], v[132:133], 3, v[128:129]
	flat_load_dwordx2 v[134:135], v[132:133]
	flat_load_dwordx2 v[138:139], v[132:133] offset:512
	s_waitcnt vmcnt(0) lgkmcnt(0)
	v_mul_f64 v[132:133], s[16:17], v[134:135]
	v_mul_f64 v[134:135], s[16:17], v[138:139]
	s_and_b64 vcc, exec, s[4:5]
	s_cbranch_vccnz .LBB141_26
.LBB141_24:                             ;   in Loop: Header=BB141_22 Depth=1
	v_mad_u64_u32 v[138:139], s[20:21], v136, s22, 0
	v_mov_b32_e32 v152, v139
	v_mad_u64_u32 v[136:137], s[20:21], v136, s23, v[152:153]
	v_mov_b32_e32 v139, v136
	v_lshl_add_u64 v[136:137], v[138:139], 3, v[130:131]
	flat_load_dwordx2 v[138:139], v[136:137]
	flat_load_dwordx2 v[152:153], v[136:137] offset:512
	s_waitcnt vmcnt(0) lgkmcnt(0)
	v_mul_f64 v[136:137], s[16:17], v[138:139]
	v_mul_f64 v[138:139], s[16:17], v[152:153]
	s_branch .LBB141_27
.LBB141_25:                             ;   in Loop: Header=BB141_22 Depth=1
	v_mov_b64_e32 v[132:133], 0
	v_mov_b64_e32 v[134:135], 0
	s_and_b64 vcc, exec, s[4:5]
	s_cbranch_vccz .LBB141_24
.LBB141_26:                             ;   in Loop: Header=BB141_22 Depth=1
	v_mov_b64_e32 v[136:137], 0
	v_mov_b64_e32 v[138:139], 0
.LBB141_27:                             ;   in Loop: Header=BB141_22 Depth=1
	s_mov_b32 s19, 0
.LBB141_28:                             ;   Parent Loop BB141_22 Depth=1
                                        ; =>  This Inner Loop Header: Depth=2
	v_add_u32_e32 v184, s19, v148
	v_add_u32_e32 v185, s19, v149
	ds_read2_b64 v[152:155], v184 offset1:16
	ds_read2_b64 v[156:159], v184 offset0:32 offset1:48
	ds_read2_b64 v[160:163], v184 offset0:64 offset1:80
	;; [unrolled: 1-line block ×7, first 2 shown]
	v_add_u32_e32 v216, 0x800, v184
	ds_read2st64_b64 v[184:187], v185 offset1:4
	ds_read2_b64 v[188:191], v216 offset1:16
	ds_read2_b64 v[192:195], v216 offset0:32 offset1:48
	ds_read2_b64 v[196:199], v216 offset0:64 offset1:80
	ds_read2_b64 v[200:203], v216 offset0:96 offset1:112
	ds_read2_b64 v[204:207], v216 offset0:128 offset1:144
	ds_read2_b64 v[208:211], v216 offset0:160 offset1:176
	ds_read2_b64 v[212:215], v216 offset0:192 offset1:208
	ds_read2_b64 v[216:219], v216 offset0:224 offset1:240
	s_waitcnt lgkmcnt(14)
	v_max_f64 v[152:153], v[152:153], v[152:153]
	v_max_f64 v[154:155], v[154:155], v[154:155]
	;; [unrolled: 1-line block ×3, first 2 shown]
	s_waitcnt lgkmcnt(8)
	v_max_f64 v[184:185], v[184:185], v[184:185]
	v_max_f64 v[158:159], v[158:159], v[158:159]
	;; [unrolled: 1-line block ×15, first 2 shown]
	v_min_f64 v[220:221], v[152:153], v[184:185]
	v_min_f64 v[222:223], v[154:155], v[184:185]
	;; [unrolled: 1-line block ×16, first 2 shown]
	s_waitcnt lgkmcnt(7)
	v_max_f64 v[188:189], v[188:189], v[188:189]
	v_max_f64 v[190:191], v[190:191], v[190:191]
	s_waitcnt lgkmcnt(6)
	v_max_f64 v[192:193], v[192:193], v[192:193]
	v_max_f64 v[194:195], v[194:195], v[194:195]
	;; [unrolled: 3-line block ×8, first 2 shown]
	v_min_f64 v[152:153], v[152:153], v[186:187]
	v_min_f64 v[154:155], v[154:155], v[186:187]
	;; [unrolled: 1-line block ×16, first 2 shown]
	s_add_i32 s19, s19, 8
	v_add_f64 v[126:127], v[220:221], v[126:127]
	v_add_f64 v[124:125], v[222:223], v[124:125]
	;; [unrolled: 1-line block ×15, first 2 shown]
	v_min_f64 v[220:221], v[188:189], v[184:185]
	v_min_f64 v[222:223], v[190:191], v[184:185]
	;; [unrolled: 1-line block ×16, first 2 shown]
	v_add_f64 v[62:63], v[152:153], v[62:63]
	v_add_f64 v[60:61], v[154:155], v[60:61]
	;; [unrolled: 1-line block ×16, first 2 shown]
	v_min_f64 v[152:153], v[188:189], v[186:187]
	v_min_f64 v[154:155], v[190:191], v[186:187]
	;; [unrolled: 1-line block ×16, first 2 shown]
	s_cmp_eq_u32 s19, 32
	v_add_f64 v[96:97], v[250:251], v[96:97]
	v_add_f64 v[94:95], v[220:221], v[94:95]
	;; [unrolled: 1-line block ×33, first 2 shown]
	s_cbranch_scc0 .LBB141_28
; %bb.29:                               ;   in Loop: Header=BB141_22 Depth=1
	ds_write2st64_b64 v144, v[132:133], v[134:135] offset1:4
	ds_write2st64_b64 v145, v[136:137], v[138:139] offset1:4
	s_and_b64 vcc, exec, s[4:5]
	v_add_u32_e32 v136, s3, v143
	s_waitcnt lgkmcnt(0)
	s_barrier
	s_cbranch_vccnz .LBB141_32
; %bb.30:                               ;   in Loop: Header=BB141_22 Depth=1
	v_mad_u64_u32 v[132:133], s[20:21], v136, s24, 0
	v_mov_b32_e32 v134, v133
	v_mad_u64_u32 v[134:135], s[20:21], v136, s25, v[134:135]
	v_mov_b32_e32 v133, v134
	v_lshl_add_u64 v[132:133], v[132:133], 3, v[128:129]
	flat_load_dwordx2 v[134:135], v[132:133]
	flat_load_dwordx2 v[138:139], v[132:133] offset:512
	s_waitcnt vmcnt(0) lgkmcnt(0)
	v_mul_f64 v[132:133], s[16:17], v[134:135]
	v_mul_f64 v[134:135], s[16:17], v[138:139]
	s_and_b64 vcc, exec, s[4:5]
	s_cbranch_vccnz .LBB141_33
.LBB141_31:                             ;   in Loop: Header=BB141_22 Depth=1
	v_mad_u64_u32 v[138:139], s[20:21], v136, s22, 0
	v_mov_b32_e32 v152, v139
	v_mad_u64_u32 v[136:137], s[20:21], v136, s23, v[152:153]
	v_mov_b32_e32 v139, v136
	v_lshl_add_u64 v[136:137], v[138:139], 3, v[130:131]
	flat_load_dwordx2 v[138:139], v[136:137]
	flat_load_dwordx2 v[152:153], v[136:137] offset:512
	s_waitcnt vmcnt(0) lgkmcnt(0)
	v_mul_f64 v[136:137], s[16:17], v[138:139]
	v_mul_f64 v[138:139], s[16:17], v[152:153]
	s_branch .LBB141_34
.LBB141_32:                             ;   in Loop: Header=BB141_22 Depth=1
	v_mov_b64_e32 v[132:133], 0
	v_mov_b64_e32 v[134:135], 0
	s_and_b64 vcc, exec, s[4:5]
	s_cbranch_vccz .LBB141_31
.LBB141_33:                             ;   in Loop: Header=BB141_22 Depth=1
	v_mov_b64_e32 v[136:137], 0
	v_mov_b64_e32 v[138:139], 0
.LBB141_34:                             ;   in Loop: Header=BB141_22 Depth=1
	s_mov_b32 s19, 0
.LBB141_35:                             ;   Parent Loop BB141_22 Depth=1
                                        ; =>  This Inner Loop Header: Depth=2
	v_add_u32_e32 v184, s19, v146
	v_add_u32_e32 v185, s19, v147
	ds_read2_b64 v[152:155], v184 offset1:16
	ds_read2_b64 v[156:159], v184 offset0:32 offset1:48
	ds_read2_b64 v[160:163], v184 offset0:64 offset1:80
	;; [unrolled: 1-line block ×7, first 2 shown]
	v_add_u32_e32 v216, 0x800, v184
	ds_read2st64_b64 v[184:187], v185 offset1:4
	ds_read2_b64 v[188:191], v216 offset1:16
	ds_read2_b64 v[192:195], v216 offset0:32 offset1:48
	ds_read2_b64 v[196:199], v216 offset0:64 offset1:80
	;; [unrolled: 1-line block ×7, first 2 shown]
	s_waitcnt lgkmcnt(14)
	v_max_f64 v[152:153], v[152:153], v[152:153]
	v_max_f64 v[154:155], v[154:155], v[154:155]
	;; [unrolled: 1-line block ×3, first 2 shown]
	s_waitcnt lgkmcnt(8)
	v_max_f64 v[184:185], v[184:185], v[184:185]
	v_max_f64 v[158:159], v[158:159], v[158:159]
	;; [unrolled: 1-line block ×15, first 2 shown]
	v_min_f64 v[220:221], v[152:153], v[184:185]
	v_min_f64 v[222:223], v[154:155], v[184:185]
	;; [unrolled: 1-line block ×16, first 2 shown]
	s_waitcnt lgkmcnt(7)
	v_max_f64 v[188:189], v[188:189], v[188:189]
	v_max_f64 v[190:191], v[190:191], v[190:191]
	s_waitcnt lgkmcnt(6)
	v_max_f64 v[192:193], v[192:193], v[192:193]
	v_max_f64 v[194:195], v[194:195], v[194:195]
	;; [unrolled: 3-line block ×8, first 2 shown]
	v_min_f64 v[152:153], v[152:153], v[186:187]
	v_min_f64 v[154:155], v[154:155], v[186:187]
	;; [unrolled: 1-line block ×16, first 2 shown]
	s_add_i32 s19, s19, 8
	v_add_f64 v[126:127], v[220:221], v[126:127]
	v_add_f64 v[124:125], v[222:223], v[124:125]
	;; [unrolled: 1-line block ×15, first 2 shown]
	v_min_f64 v[220:221], v[188:189], v[184:185]
	v_min_f64 v[222:223], v[190:191], v[184:185]
	;; [unrolled: 1-line block ×16, first 2 shown]
	v_add_f64 v[62:63], v[152:153], v[62:63]
	v_add_f64 v[60:61], v[154:155], v[60:61]
	;; [unrolled: 1-line block ×16, first 2 shown]
	v_min_f64 v[152:153], v[188:189], v[186:187]
	v_min_f64 v[154:155], v[190:191], v[186:187]
	;; [unrolled: 1-line block ×16, first 2 shown]
	s_cmp_eq_u32 s19, 32
	v_add_f64 v[96:97], v[250:251], v[96:97]
	v_add_f64 v[94:95], v[220:221], v[94:95]
	v_add_f64 v[92:93], v[222:223], v[92:93]
	v_add_f64 v[90:91], v[224:225], v[90:91]
	v_add_f64 v[88:89], v[226:227], v[88:89]
	v_add_f64 v[86:87], v[228:229], v[86:87]
	v_add_f64 v[84:85], v[230:231], v[84:85]
	v_add_f64 v[82:83], v[232:233], v[82:83]
	v_add_f64 v[80:81], v[234:235], v[80:81]
	v_add_f64 v[78:79], v[236:237], v[78:79]
	v_add_f64 v[76:77], v[238:239], v[76:77]
	v_add_f64 v[74:75], v[240:241], v[74:75]
	v_add_f64 v[72:73], v[242:243], v[72:73]
	v_add_f64 v[70:71], v[244:245], v[70:71]
	v_add_f64 v[68:69], v[246:247], v[68:69]
	v_add_f64 v[66:67], v[248:249], v[66:67]
	v_add_f64 v[64:65], v[184:185], v[64:65]
	v_add_f64 v[30:31], v[152:153], v[30:31]
	v_add_f64 v[28:29], v[154:155], v[28:29]
	v_add_f64 v[26:27], v[156:157], v[26:27]
	v_add_f64 v[24:25], v[158:159], v[24:25]
	v_add_f64 v[22:23], v[160:161], v[22:23]
	v_add_f64 v[20:21], v[162:163], v[20:21]
	v_add_f64 v[18:19], v[164:165], v[18:19]
	v_add_f64 v[16:17], v[166:167], v[16:17]
	v_add_f64 v[14:15], v[168:169], v[14:15]
	v_add_f64 v[12:13], v[170:171], v[12:13]
	v_add_f64 v[10:11], v[172:173], v[10:11]
	v_add_f64 v[8:9], v[174:175], v[8:9]
	v_add_f64 v[6:7], v[176:177], v[6:7]
	v_add_f64 v[4:5], v[178:179], v[4:5]
	v_add_f64 v[2:3], v[180:181], v[2:3]
	v_add_f64 v[0:1], v[182:183], v[0:1]
	s_cbranch_scc0 .LBB141_35
; %bb.36:                               ;   in Loop: Header=BB141_22 Depth=1
	s_add_i32 s3, s3, 8
	s_add_i32 s18, s18, 8
	s_cmp_ge_i32 s18, s2
	ds_write2st64_b64 v150, v[132:133], v[134:135] offset1:4
	ds_write2st64_b64 v151, v[136:137], v[138:139] offset1:4
	s_waitcnt lgkmcnt(0)
	s_barrier
	s_cbranch_scc0 .LBB141_22
.LBB141_37:
	s_mov_b32 s2, 0
.LBB141_38:                             ; =>This Inner Loop Header: Depth=1
	v_add_u32_e32 v146, s2, v148
	v_add_u32_e32 v147, s2, v149
	ds_read2_b64 v[128:131], v146 offset1:16
	ds_read2_b64 v[132:135], v146 offset0:32 offset1:48
	ds_read2_b64 v[136:139], v146 offset0:64 offset1:80
	;; [unrolled: 1-line block ×7, first 2 shown]
	v_add_u32_e32 v146, 0x800, v146
	ds_read2st64_b64 v[166:169], v147 offset1:4
	ds_read2_b64 v[170:173], v146 offset1:16
	ds_read2_b64 v[174:177], v146 offset0:32 offset1:48
	ds_read2_b64 v[178:181], v146 offset0:64 offset1:80
	;; [unrolled: 1-line block ×7, first 2 shown]
	s_waitcnt lgkmcnt(14)
	v_max_f64 v[128:129], v[128:129], v[128:129]
	v_max_f64 v[130:131], v[130:131], v[130:131]
	;; [unrolled: 1-line block ×3, first 2 shown]
	s_waitcnt lgkmcnt(8)
	v_max_f64 v[146:147], v[166:167], v[166:167]
	v_max_f64 v[134:135], v[134:135], v[134:135]
	;; [unrolled: 1-line block ×15, first 2 shown]
	v_min_f64 v[168:169], v[128:129], v[146:147]
	v_min_f64 v[202:203], v[130:131], v[146:147]
	;; [unrolled: 1-line block ×16, first 2 shown]
	s_waitcnt lgkmcnt(7)
	v_max_f64 v[170:171], v[170:171], v[170:171]
	v_max_f64 v[172:173], v[172:173], v[172:173]
	s_waitcnt lgkmcnt(6)
	v_max_f64 v[174:175], v[174:175], v[174:175]
	v_max_f64 v[176:177], v[176:177], v[176:177]
	;; [unrolled: 3-line block ×8, first 2 shown]
	v_min_f64 v[128:129], v[128:129], v[166:167]
	v_min_f64 v[130:131], v[130:131], v[166:167]
	;; [unrolled: 1-line block ×16, first 2 shown]
	s_add_i32 s2, s2, 8
	v_add_f64 v[126:127], v[168:169], v[126:127]
	v_add_f64 v[124:125], v[202:203], v[124:125]
	;; [unrolled: 1-line block ×15, first 2 shown]
	v_min_f64 v[168:169], v[170:171], v[146:147]
	v_min_f64 v[202:203], v[172:173], v[146:147]
	;; [unrolled: 1-line block ×16, first 2 shown]
	v_add_f64 v[62:63], v[128:129], v[62:63]
	v_add_f64 v[60:61], v[130:131], v[60:61]
	;; [unrolled: 1-line block ×16, first 2 shown]
	v_min_f64 v[128:129], v[170:171], v[166:167]
	v_min_f64 v[130:131], v[172:173], v[166:167]
	v_min_f64 v[132:133], v[174:175], v[166:167]
	v_min_f64 v[134:135], v[176:177], v[166:167]
	v_min_f64 v[136:137], v[178:179], v[166:167]
	v_min_f64 v[138:139], v[180:181], v[166:167]
	v_min_f64 v[142:143], v[182:183], v[166:167]
	v_min_f64 v[144:145], v[184:185], v[166:167]
	v_min_f64 v[150:151], v[186:187], v[166:167]
	v_min_f64 v[152:153], v[188:189], v[166:167]
	v_min_f64 v[154:155], v[190:191], v[166:167]
	v_min_f64 v[156:157], v[192:193], v[166:167]
	v_min_f64 v[158:159], v[194:195], v[166:167]
	v_min_f64 v[160:161], v[196:197], v[166:167]
	v_min_f64 v[162:163], v[198:199], v[166:167]
	v_min_f64 v[164:165], v[200:201], v[166:167]
	s_cmp_eq_u32 s2, 32
	v_add_f64 v[96:97], v[230:231], v[96:97]
	v_add_f64 v[94:95], v[168:169], v[94:95]
	;; [unrolled: 1-line block ×33, first 2 shown]
	s_cbranch_scc0 .LBB141_38
; %bb.39:
	s_load_dwordx2 s[2:3], s[0:1], 0x78
	s_load_dword s4, s[0:1], 0x58
	s_load_dword s5, s[0:1], 0x70
	v_add_u32_e32 v130, s10, v140
	v_add_u32_e32 v170, s11, v141
	s_waitcnt lgkmcnt(0)
	s_lshl_b64 s[0:1], s[2:3], 3
	s_add_u32 s0, s8, s0
	s_addc_u32 s1, s9, s1
	v_add_u32_e32 v128, 4, v130
	v_mad_i64_i32 v[132:133], s[2:3], v170, s5, 0
	v_ashrrev_i32_e32 v131, 31, v130
	v_ashrrev_i32_e32 v129, 31, v128
	v_lshl_add_u64 v[138:139], v[132:133], 3, s[0:1]
	v_mad_i64_i32 v[132:133], s[2:3], v170, s4, 0
	s_mov_b64 vcc, s[6:7]
	s_cbranch_vccz .LBB141_42
; %bb.40:
	v_add_f64 v[134:135], v[126:127], 0
	v_lshl_add_u64 v[136:137], v[130:131], 3, v[138:139]
	s_mov_b64 s[2:3], 0
	global_store_dwordx2 v[136:137], v[134:135], off
	v_lshl_add_u64 v[146:147], v[132:133], 3, s[14:15]
	v_lshlrev_b64 v[134:135], 3, v[130:131]
	s_cbranch_execz .LBB141_43
; %bb.41:
	v_mov_b64_e32 v[136:137], s[2:3]
	s_branch .LBB141_44
.LBB141_42:
	s_mov_b64 s[2:3], -1
	v_lshl_add_u64 v[146:147], v[132:133], 3, s[14:15]
	v_lshlrev_b64 v[134:135], 3, v[130:131]
.LBB141_43:
	v_lshl_add_u64 v[132:133], v[146:147], 0, v[134:135]
	flat_load_dwordx2 v[132:133], v[132:133]
	v_lshl_add_u64 v[136:137], v[138:139], 0, v[134:135]
	s_waitcnt vmcnt(0) lgkmcnt(0)
	v_fmac_f64_e32 v[126:127], s[12:13], v[132:133]
	global_store_dwordx2 v[136:137], v[126:127], off
	v_lshl_add_u64 v[126:127], v[128:129], 3, v[146:147]
	flat_load_dwordx2 v[126:127], v[126:127]
	s_waitcnt vmcnt(0) lgkmcnt(0)
	v_mul_f64 v[136:137], s[12:13], v[126:127]
.LBB141_44:
	v_add_u32_e32 v132, 8, v130
	v_add_u32_e32 v126, 12, v130
	v_ashrrev_i32_e32 v133, 31, v132
	v_ashrrev_i32_e32 v127, 31, v126
	v_add_f64 v[124:125], v[124:125], v[136:137]
	v_lshl_add_u64 v[136:137], v[128:129], 3, v[138:139]
	s_mov_b64 vcc, s[6:7]
	global_store_dwordx2 v[136:137], v[124:125], off
	s_cbranch_vccz .LBB141_47
; %bb.45:
	v_add_f64 v[124:125], v[122:123], 0
	v_lshl_add_u64 v[136:137], v[132:133], 3, v[138:139]
	s_mov_b64 s[2:3], 0
	global_store_dwordx2 v[136:137], v[124:125], off
	v_lshlrev_b64 v[136:137], 3, v[132:133]
	s_cbranch_execz .LBB141_48
; %bb.46:
	v_mov_b64_e32 v[140:141], s[2:3]
	s_branch .LBB141_49
.LBB141_47:
	s_mov_b64 s[2:3], -1
	v_lshlrev_b64 v[136:137], 3, v[132:133]
.LBB141_48:
	v_lshl_add_u64 v[124:125], v[146:147], 0, v[136:137]
	flat_load_dwordx2 v[124:125], v[124:125]
	v_lshl_add_u64 v[140:141], v[138:139], 0, v[136:137]
	s_waitcnt vmcnt(0) lgkmcnt(0)
	v_fmac_f64_e32 v[122:123], s[12:13], v[124:125]
	global_store_dwordx2 v[140:141], v[122:123], off
	v_lshl_add_u64 v[122:123], v[126:127], 3, v[146:147]
	flat_load_dwordx2 v[122:123], v[122:123]
	s_waitcnt vmcnt(0) lgkmcnt(0)
	v_mul_f64 v[140:141], s[12:13], v[122:123]
.LBB141_49:
	v_add_u32_e32 v124, 16, v130
	v_add_u32_e32 v122, 20, v130
	v_ashrrev_i32_e32 v125, 31, v124
	v_ashrrev_i32_e32 v123, 31, v122
	v_add_f64 v[120:121], v[120:121], v[140:141]
	v_lshl_add_u64 v[140:141], v[126:127], 3, v[138:139]
	s_mov_b64 vcc, s[6:7]
	global_store_dwordx2 v[140:141], v[120:121], off
	s_cbranch_vccz .LBB141_52
; %bb.50:
	v_add_f64 v[120:121], v[118:119], 0
	v_lshl_add_u64 v[140:141], v[124:125], 3, v[138:139]
	s_mov_b64 s[2:3], 0
	global_store_dwordx2 v[140:141], v[120:121], off
	v_lshlrev_b64 v[140:141], 3, v[124:125]
	s_cbranch_execz .LBB141_53
; %bb.51:
	v_mov_b64_e32 v[142:143], s[2:3]
	s_branch .LBB141_54
.LBB141_52:
	s_mov_b64 s[2:3], -1
	v_lshlrev_b64 v[140:141], 3, v[124:125]
.LBB141_53:
	v_lshl_add_u64 v[120:121], v[146:147], 0, v[140:141]
	flat_load_dwordx2 v[120:121], v[120:121]
	v_lshl_add_u64 v[142:143], v[138:139], 0, v[140:141]
	s_waitcnt vmcnt(0) lgkmcnt(0)
	v_fmac_f64_e32 v[118:119], s[12:13], v[120:121]
	global_store_dwordx2 v[142:143], v[118:119], off
	v_lshl_add_u64 v[118:119], v[122:123], 3, v[146:147]
	flat_load_dwordx2 v[118:119], v[118:119]
	s_waitcnt vmcnt(0) lgkmcnt(0)
	v_mul_f64 v[142:143], s[12:13], v[118:119]
.LBB141_54:
	;; [unrolled: 34-line block ×15, first 2 shown]
	v_add_f64 v[64:65], v[64:65], v[66:67]
	v_lshl_add_u64 v[66:67], v[70:71], 3, v[138:139]
	global_store_dwordx2 v[66:67], v[64:65], off
	v_add_u32_e32 v66, 64, v170
	v_mad_i64_i32 v[64:65], s[2:3], v66, s5, 0
	v_lshl_add_u64 v[64:65], v[64:65], 3, s[0:1]
	v_mad_i64_i32 v[66:67], s[0:1], v66, s4, 0
	s_mov_b64 vcc, s[6:7]
	s_cbranch_vccz .LBB141_122
; %bb.120:
	v_add_f64 v[138:139], v[62:63], 0
	v_lshl_add_u64 v[130:131], v[130:131], 3, v[64:65]
	s_mov_b64 s[0:1], 0
	global_store_dwordx2 v[130:131], v[138:139], off
	v_lshl_add_u64 v[66:67], v[66:67], 3, s[14:15]
	s_cbranch_execz .LBB141_123
; %bb.121:
	v_mov_b64_e32 v[62:63], s[0:1]
	s_branch .LBB141_124
.LBB141_122:
	s_mov_b64 s[0:1], -1
	v_lshl_add_u64 v[66:67], v[66:67], 3, s[14:15]
.LBB141_123:
	v_lshl_add_u64 v[130:131], v[66:67], 0, v[134:135]
	flat_load_dwordx2 v[130:131], v[130:131]
	v_lshl_add_u64 v[134:135], v[64:65], 0, v[134:135]
	s_waitcnt vmcnt(0) lgkmcnt(0)
	v_fmac_f64_e32 v[62:63], s[12:13], v[130:131]
	global_store_dwordx2 v[134:135], v[62:63], off
	v_lshl_add_u64 v[62:63], v[128:129], 3, v[66:67]
	flat_load_dwordx2 v[62:63], v[62:63]
	s_waitcnt vmcnt(0) lgkmcnt(0)
	v_mul_f64 v[62:63], s[12:13], v[62:63]
.LBB141_124:
	v_add_f64 v[60:61], v[60:61], v[62:63]
	v_lshl_add_u64 v[62:63], v[128:129], 3, v[64:65]
	s_mov_b64 vcc, s[6:7]
	global_store_dwordx2 v[62:63], v[60:61], off
	s_cbranch_vccz .LBB141_127
; %bb.125:
	v_add_f64 v[60:61], v[58:59], 0
	v_lshl_add_u64 v[62:63], v[132:133], 3, v[64:65]
	s_mov_b64 s[0:1], 0
	global_store_dwordx2 v[62:63], v[60:61], off
	s_cbranch_execz .LBB141_128
; %bb.126:
	v_mov_b64_e32 v[58:59], s[0:1]
	s_branch .LBB141_129
.LBB141_127:
	s_mov_b64 s[0:1], -1
.LBB141_128:
	v_lshl_add_u64 v[60:61], v[66:67], 0, v[136:137]
	flat_load_dwordx2 v[60:61], v[60:61]
	v_lshl_add_u64 v[62:63], v[64:65], 0, v[136:137]
	s_waitcnt vmcnt(0) lgkmcnt(0)
	v_fmac_f64_e32 v[58:59], s[12:13], v[60:61]
	global_store_dwordx2 v[62:63], v[58:59], off
	v_lshl_add_u64 v[58:59], v[126:127], 3, v[66:67]
	flat_load_dwordx2 v[58:59], v[58:59]
	s_waitcnt vmcnt(0) lgkmcnt(0)
	v_mul_f64 v[58:59], s[12:13], v[58:59]
.LBB141_129:
	v_add_f64 v[56:57], v[56:57], v[58:59]
	v_lshl_add_u64 v[58:59], v[126:127], 3, v[64:65]
	s_mov_b64 vcc, s[6:7]
	global_store_dwordx2 v[58:59], v[56:57], off
	s_cbranch_vccz .LBB141_132
; %bb.130:
	v_add_f64 v[56:57], v[54:55], 0
	v_lshl_add_u64 v[58:59], v[124:125], 3, v[64:65]
	s_mov_b64 s[0:1], 0
	global_store_dwordx2 v[58:59], v[56:57], off
	s_cbranch_execz .LBB141_133
; %bb.131:
	v_mov_b64_e32 v[54:55], s[0:1]
	s_branch .LBB141_134
.LBB141_132:
	s_mov_b64 s[0:1], -1
.LBB141_133:
	v_lshl_add_u64 v[56:57], v[66:67], 0, v[140:141]
	flat_load_dwordx2 v[56:57], v[56:57]
	v_lshl_add_u64 v[58:59], v[64:65], 0, v[140:141]
	s_waitcnt vmcnt(0) lgkmcnt(0)
	v_fmac_f64_e32 v[54:55], s[12:13], v[56:57]
	global_store_dwordx2 v[58:59], v[54:55], off
	v_lshl_add_u64 v[54:55], v[122:123], 3, v[66:67]
	flat_load_dwordx2 v[54:55], v[54:55]
	s_waitcnt vmcnt(0) lgkmcnt(0)
	v_mul_f64 v[54:55], s[12:13], v[54:55]
.LBB141_134:
	;; [unrolled: 28-line block ×14, first 2 shown]
	v_add_f64 v[4:5], v[4:5], v[6:7]
	v_lshl_add_u64 v[6:7], v[74:75], 3, v[64:65]
	s_mov_b64 vcc, s[6:7]
	global_store_dwordx2 v[6:7], v[4:5], off
	s_cbranch_vccz .LBB141_197
; %bb.195:
	v_add_f64 v[4:5], v[2:3], 0
	v_lshl_add_u64 v[6:7], v[72:73], 3, v[64:65]
	s_mov_b64 s[0:1], 0
	global_store_dwordx2 v[6:7], v[4:5], off
	s_cbranch_execz .LBB141_198
; %bb.196:
	v_mov_b64_e32 v[2:3], s[0:1]
	v_add_f64 v[0:1], v[0:1], v[2:3]
	v_lshl_add_u64 v[2:3], v[70:71], 3, v[64:65]
	global_store_dwordx2 v[2:3], v[0:1], off
	s_endpgm
.LBB141_197:
	s_mov_b64 s[0:1], -1
.LBB141_198:
	v_lshl_add_u64 v[4:5], v[66:67], 0, v[68:69]
	flat_load_dwordx2 v[4:5], v[4:5]
	v_lshl_add_u64 v[6:7], v[64:65], 0, v[68:69]
	s_waitcnt vmcnt(0) lgkmcnt(0)
	v_fmac_f64_e32 v[2:3], s[12:13], v[4:5]
	global_store_dwordx2 v[6:7], v[2:3], off
	v_lshl_add_u64 v[2:3], v[70:71], 3, v[66:67]
	flat_load_dwordx2 v[2:3], v[2:3]
	s_waitcnt vmcnt(0) lgkmcnt(0)
	v_mul_f64 v[2:3], s[12:13], v[2:3]
	v_add_f64 v[0:1], v[0:1], v[2:3]
	v_lshl_add_u64 v[2:3], v[70:71], 3, v[64:65]
	global_store_dwordx2 v[2:3], v[0:1], off
	s_endpgm
	.section	.rodata,"a",@progbits
	.p2align	6, 0x0
	.amdhsa_kernel _ZN12_GLOBAL__N_120geam_min_plus_kernelIdddLi4ELi64ELi128ELi128ELi4ELi64ELi4ELi64ELi4ELc78ELc84ELb0ELb0ELb0EPKdKS2_KPdEEviiiT16_PT17_ilS8_ilS6_S8_ilPT18_ili26rocblas_geam_ex_operation_
		.amdhsa_group_segment_fixed_size 16384
		.amdhsa_private_segment_fixed_size 0
		.amdhsa_kernarg_size 136
		.amdhsa_user_sgpr_count 2
		.amdhsa_user_sgpr_dispatch_ptr 0
		.amdhsa_user_sgpr_queue_ptr 0
		.amdhsa_user_sgpr_kernarg_segment_ptr 1
		.amdhsa_user_sgpr_dispatch_id 0
		.amdhsa_user_sgpr_kernarg_preload_length 0
		.amdhsa_user_sgpr_kernarg_preload_offset 0
		.amdhsa_user_sgpr_private_segment_size 0
		.amdhsa_uses_dynamic_stack 0
		.amdhsa_enable_private_segment 0
		.amdhsa_system_sgpr_workgroup_id_x 1
		.amdhsa_system_sgpr_workgroup_id_y 0
		.amdhsa_system_sgpr_workgroup_id_z 1
		.amdhsa_system_sgpr_workgroup_info 0
		.amdhsa_system_vgpr_workitem_id 1
		.amdhsa_next_free_vgpr 252
		.amdhsa_next_free_sgpr 28
		.amdhsa_accum_offset 252
		.amdhsa_reserve_vcc 1
		.amdhsa_float_round_mode_32 0
		.amdhsa_float_round_mode_16_64 0
		.amdhsa_float_denorm_mode_32 3
		.amdhsa_float_denorm_mode_16_64 3
		.amdhsa_dx10_clamp 1
		.amdhsa_ieee_mode 1
		.amdhsa_fp16_overflow 0
		.amdhsa_tg_split 0
		.amdhsa_exception_fp_ieee_invalid_op 0
		.amdhsa_exception_fp_denorm_src 0
		.amdhsa_exception_fp_ieee_div_zero 0
		.amdhsa_exception_fp_ieee_overflow 0
		.amdhsa_exception_fp_ieee_underflow 0
		.amdhsa_exception_fp_ieee_inexact 0
		.amdhsa_exception_int_div_zero 0
	.end_amdhsa_kernel
	.section	.text._ZN12_GLOBAL__N_120geam_min_plus_kernelIdddLi4ELi64ELi128ELi128ELi4ELi64ELi4ELi64ELi4ELc78ELc84ELb0ELb0ELb0EPKdKS2_KPdEEviiiT16_PT17_ilS8_ilS6_S8_ilPT18_ili26rocblas_geam_ex_operation_,"axG",@progbits,_ZN12_GLOBAL__N_120geam_min_plus_kernelIdddLi4ELi64ELi128ELi128ELi4ELi64ELi4ELi64ELi4ELc78ELc84ELb0ELb0ELb0EPKdKS2_KPdEEviiiT16_PT17_ilS8_ilS6_S8_ilPT18_ili26rocblas_geam_ex_operation_,comdat
.Lfunc_end141:
	.size	_ZN12_GLOBAL__N_120geam_min_plus_kernelIdddLi4ELi64ELi128ELi128ELi4ELi64ELi4ELi64ELi4ELc78ELc84ELb0ELb0ELb0EPKdKS2_KPdEEviiiT16_PT17_ilS8_ilS6_S8_ilPT18_ili26rocblas_geam_ex_operation_, .Lfunc_end141-_ZN12_GLOBAL__N_120geam_min_plus_kernelIdddLi4ELi64ELi128ELi128ELi4ELi64ELi4ELi64ELi4ELc78ELc84ELb0ELb0ELb0EPKdKS2_KPdEEviiiT16_PT17_ilS8_ilS6_S8_ilPT18_ili26rocblas_geam_ex_operation_
                                        ; -- End function
	.section	.AMDGPU.csdata,"",@progbits
; Kernel info:
; codeLenInByte = 13096
; NumSgprs: 34
; NumVgprs: 252
; NumAgprs: 0
; TotalNumVgprs: 252
; ScratchSize: 0
; MemoryBound: 0
; FloatMode: 240
; IeeeMode: 1
; LDSByteSize: 16384 bytes/workgroup (compile time only)
; SGPRBlocks: 4
; VGPRBlocks: 31
; NumSGPRsForWavesPerEU: 34
; NumVGPRsForWavesPerEU: 252
; AccumOffset: 252
; Occupancy: 2
; WaveLimiterHint : 1
; COMPUTE_PGM_RSRC2:SCRATCH_EN: 0
; COMPUTE_PGM_RSRC2:USER_SGPR: 2
; COMPUTE_PGM_RSRC2:TRAP_HANDLER: 0
; COMPUTE_PGM_RSRC2:TGID_X_EN: 1
; COMPUTE_PGM_RSRC2:TGID_Y_EN: 0
; COMPUTE_PGM_RSRC2:TGID_Z_EN: 1
; COMPUTE_PGM_RSRC2:TIDIG_COMP_CNT: 1
; COMPUTE_PGM_RSRC3_GFX90A:ACCUM_OFFSET: 62
; COMPUTE_PGM_RSRC3_GFX90A:TG_SPLIT: 0
	.section	.text._ZN12_GLOBAL__N_120geam_min_plus_kernelIdddLi4ELi64ELi128ELi128ELi4ELi64ELi4ELi64ELi4ELc78ELc84ELb1ELb0ELb0EdKPKdKPdEEviiiT16_PT17_ilS8_ilS6_S8_ilPT18_ili26rocblas_geam_ex_operation_,"axG",@progbits,_ZN12_GLOBAL__N_120geam_min_plus_kernelIdddLi4ELi64ELi128ELi128ELi4ELi64ELi4ELi64ELi4ELc78ELc84ELb1ELb0ELb0EdKPKdKPdEEviiiT16_PT17_ilS8_ilS6_S8_ilPT18_ili26rocblas_geam_ex_operation_,comdat
	.globl	_ZN12_GLOBAL__N_120geam_min_plus_kernelIdddLi4ELi64ELi128ELi128ELi4ELi64ELi4ELi64ELi4ELc78ELc84ELb1ELb0ELb0EdKPKdKPdEEviiiT16_PT17_ilS8_ilS6_S8_ilPT18_ili26rocblas_geam_ex_operation_ ; -- Begin function _ZN12_GLOBAL__N_120geam_min_plus_kernelIdddLi4ELi64ELi128ELi128ELi4ELi64ELi4ELi64ELi4ELc78ELc84ELb1ELb0ELb0EdKPKdKPdEEviiiT16_PT17_ilS8_ilS6_S8_ilPT18_ili26rocblas_geam_ex_operation_
	.p2align	8
	.type	_ZN12_GLOBAL__N_120geam_min_plus_kernelIdddLi4ELi64ELi128ELi128ELi4ELi64ELi4ELi64ELi4ELc78ELc84ELb1ELb0ELb0EdKPKdKPdEEviiiT16_PT17_ilS8_ilS6_S8_ilPT18_ili26rocblas_geam_ex_operation_,@function
_ZN12_GLOBAL__N_120geam_min_plus_kernelIdddLi4ELi64ELi128ELi128ELi4ELi64ELi4ELi64ELi4ELc78ELc84ELb1ELb0ELb0EdKPKdKPdEEviiiT16_PT17_ilS8_ilS6_S8_ilPT18_ili26rocblas_geam_ex_operation_: ; @_ZN12_GLOBAL__N_120geam_min_plus_kernelIdddLi4ELi64ELi128ELi128ELi4ELi64ELi4ELi64ELi4ELc78ELc84ELb1ELb0ELb0EdKPKdKPdEEviiiT16_PT17_ilS8_ilS6_S8_ilPT18_ili26rocblas_geam_ex_operation_
; %bb.0:
	s_load_dwordx4 s[4:7], s[0:1], 0x10
	s_load_dwordx4 s[8:11], s[0:1], 0x28
	s_mov_b32 s18, s3
	s_mov_b64 s[14:15], 0
	s_waitcnt lgkmcnt(0)
	v_cmp_eq_f64_e64 s[12:13], s[4:5], 0
	s_and_b64 vcc, exec, s[12:13]
	s_cbranch_vccnz .LBB142_2
; %bb.1:
	s_mov_b32 s19, 0
	s_lshl_b64 s[4:5], s[18:19], 3
	s_add_u32 s4, s6, s4
	s_addc_u32 s5, s7, s5
	s_load_dwordx2 s[4:5], s[4:5], 0x0
	s_lshl_b64 s[6:7], s[8:9], 3
	s_waitcnt lgkmcnt(0)
	s_add_u32 s14, s4, s6
	s_addc_u32 s15, s5, s7
.LBB142_2:
	s_load_dwordx4 s[4:7], s[0:1], 0x40
	s_load_dwordx2 s[20:21], s[0:1], 0x50
	s_andn2_b64 vcc, exec, s[12:13]
	s_cbranch_vccnz .LBB142_4
; %bb.3:
	s_mov_b32 s19, 0
	s_mov_b64 s[16:17], 0
	s_cbranch_execz .LBB142_5
	s_branch .LBB142_6
.LBB142_4:
                                        ; implicit-def: $sgpr16_sgpr17
.LBB142_5:
	s_mov_b32 s19, 0
	s_lshl_b64 s[8:9], s[18:19], 3
	s_add_u32 s8, s10, s8
	s_addc_u32 s9, s11, s9
	s_load_dwordx2 s[8:9], s[8:9], 0x0
	s_waitcnt lgkmcnt(0)
	s_lshl_b64 s[4:5], s[4:5], 3
	s_add_u32 s16, s8, s4
	s_addc_u32 s17, s9, s5
.LBB142_6:
	s_load_dwordx4 s[8:11], s[0:1], 0x60
	s_waitcnt lgkmcnt(0)
	v_cmp_eq_f64_e64 s[4:5], s[6:7], 0
	s_and_b64 s[4:5], exec, s[4:5]
	s_mov_b64 s[12:13], 0
	s_mov_b64 vcc, s[4:5]
	s_cbranch_vccnz .LBB142_8
; %bb.7:
	s_lshl_b64 s[12:13], s[18:19], 3
	s_add_u32 s12, s20, s12
	s_addc_u32 s13, s21, s13
	s_load_dwordx2 s[12:13], s[12:13], 0x0
	s_lshl_b64 s[8:9], s[8:9], 3
	s_waitcnt lgkmcnt(0)
	s_add_u32 s12, s12, s8
	s_addc_u32 s13, s13, s9
.LBB142_8:
	s_load_dword s20, s[0:1], 0x20
	s_load_dword s21, s[0:1], 0x38
	;; [unrolled: 1-line block ×3, first 2 shown]
	s_lshl_b64 s[8:9], s[18:19], 3
	v_and_b32_e32 v140, 0x3ff, v0
	s_waitcnt lgkmcnt(0)
	s_ashr_i32 s18, s20, 31
	s_ashr_i32 s19, s21, 31
	s_add_u32 s8, s10, s8
	s_addc_u32 s9, s11, s9
	s_add_i32 s3, s3, -1
	s_ashr_i32 s10, s3, 31
	s_lshr_b32 s10, s10, 25
	s_add_i32 s3, s3, s10
	s_ashr_i32 s3, s3, 7
	s_add_i32 s10, s3, 1
	v_cvt_f32_u32_e32 v1, s10
	s_not_b32 s3, s3
	v_bfe_u32 v141, v0, 10, 10
	v_lshl_add_u32 v0, v141, 2, v140
	v_rcp_iflag_f32_e32 v1, v1
	v_and_b32_e32 v148, 63, v0
	v_lshrrev_b32_e32 v142, 6, v0
	v_add_u32_e32 v143, 4, v142
	v_mul_f32_e32 v1, 0x4f7ffffe, v1
	v_cvt_u32_f32_e32 v1, v1
	v_lshlrev_b32_e32 v152, 5, v141
	v_mov_b64_e32 v[126:127], 0
	v_mov_b64_e32 v[124:125], 0
	v_readfirstlane_b32 s11, v1
	s_mul_i32 s3, s3, s11
	s_mul_hi_u32 s3, s11, s3
	s_add_i32 s11, s11, s3
	s_mul_hi_u32 s3, s2, s11
	s_mul_i32 s11, s3, s10
	s_sub_i32 s11, s2, s11
	s_add_i32 s22, s3, 1
	s_sub_i32 s23, s11, s10
	s_cmp_ge_u32 s11, s10
	s_cselect_b32 s3, s22, s3
	s_cselect_b32 s11, s23, s11
	s_add_i32 s22, s3, 1
	s_cmp_ge_u32 s11, s10
	s_cselect_b32 s3, s22, s3
	s_mul_i32 s10, s3, s10
	s_sub_i32 s2, s2, s10
	s_lshl_b32 s10, s2, 7
	s_lshl_b32 s11, s3, 7
	v_or_b32_e32 v128, s10, v148
	v_or_b32_e32 v130, s11, v148
	v_mad_i64_i32 v[0:1], s[2:3], s20, v142, 0
	v_ashrrev_i32_e32 v129, 31, v128
	v_mad_i64_i32 v[4:5], s[2:3], s21, v142, 0
	v_ashrrev_i32_e32 v131, 31, v130
	v_lshl_add_u64 v[0:1], v[0:1], 3, s[14:15]
	v_lshlrev_b64 v[2:3], 3, v[128:129]
	v_lshl_add_u64 v[4:5], v[4:5], 3, s[16:17]
	v_lshlrev_b64 v[6:7], 3, v[130:131]
	v_lshl_add_u64 v[0:1], v[0:1], 0, v[2:3]
	v_lshl_add_u64 v[4:5], v[4:5], 0, v[6:7]
	flat_load_dwordx2 v[8:9], v[4:5]
	flat_load_dwordx2 v[10:11], v[4:5] offset:512
	flat_load_dwordx2 v[12:13], v[0:1]
	flat_load_dwordx2 v[14:15], v[0:1] offset:512
	v_mad_i64_i32 v[0:1], s[2:3], s20, v143, 0
	v_mad_i64_i32 v[4:5], s[2:3], s21, v143, 0
	v_lshl_add_u64 v[0:1], v[0:1], 3, s[14:15]
	v_lshl_add_u64 v[4:5], v[4:5], 3, s[16:17]
	;; [unrolled: 1-line block ×4, first 2 shown]
	flat_load_dwordx2 v[132:133], v[4:5]
	flat_load_dwordx2 v[134:135], v[4:5] offset:512
	flat_load_dwordx2 v[136:137], v[0:1]
	flat_load_dwordx2 v[138:139], v[0:1] offset:512
	s_load_dwordx2 s[2:3], s[8:9], 0x0
	v_lshlrev_b32_e32 v0, 3, v142
	v_lshl_add_u32 v146, v148, 5, v0
	s_mov_b32 s22, 0
	v_mov_b64_e32 v[122:123], 0
	v_mov_b64_e32 v[120:121], 0
	;; [unrolled: 1-line block ×38, first 2 shown]
	v_lshlrev_b32_e32 v144, 5, v140
	v_add_u32_e32 v145, 0x2000, v152
	v_or_b32_e32 v147, 0x2000, v146
	v_mov_b64_e32 v[46:47], 0
	v_mov_b64_e32 v[44:45], 0
	;; [unrolled: 1-line block ×9, first 2 shown]
	s_waitcnt vmcnt(0) lgkmcnt(0)
	ds_write2st64_b64 v146, v[8:9], v[10:11] offset0:16 offset1:20
	ds_write2st64_b64 v146, v[12:13], v[14:15] offset1:4
	v_mov_b64_e32 v[28:29], 0
	v_mov_b64_e32 v[26:27], 0
	;; [unrolled: 1-line block ×15, first 2 shown]
	s_waitcnt lgkmcnt(0)
	s_barrier
.LBB142_9:                              ; =>This Inner Loop Header: Depth=1
	v_add_u32_e32 v149, s22, v144
	v_add_u32_e32 v150, s22, v145
	ds_read2_b64 v[154:157], v149 offset1:16
	ds_read2_b64 v[158:161], v149 offset0:32 offset1:48
	ds_read2_b64 v[162:165], v149 offset0:64 offset1:80
	;; [unrolled: 1-line block ×7, first 2 shown]
	ds_read2st64_b64 v[186:189], v150 offset1:4
	v_add_u32_e32 v149, 0x800, v149
	ds_read2_b64 v[190:193], v149 offset1:16
	ds_read2_b64 v[194:197], v149 offset0:32 offset1:48
	ds_read2_b64 v[198:201], v149 offset0:64 offset1:80
	;; [unrolled: 1-line block ×7, first 2 shown]
	s_waitcnt lgkmcnt(14)
	v_max_f64 v[150:151], v[154:155], v[154:155]
	v_max_f64 v[154:155], v[156:157], v[156:157]
	v_max_f64 v[156:157], v[158:159], v[158:159]
	v_max_f64 v[158:159], v[160:161], v[160:161]
	v_max_f64 v[160:161], v[162:163], v[162:163]
	v_max_f64 v[162:163], v[164:165], v[164:165]
	s_waitcnt lgkmcnt(13)
	v_max_f64 v[164:165], v[166:167], v[166:167]
	v_max_f64 v[166:167], v[168:169], v[168:169]
	s_waitcnt lgkmcnt(12)
	v_max_f64 v[168:169], v[170:171], v[170:171]
	v_max_f64 v[170:171], v[172:173], v[172:173]
	;; [unrolled: 3-line block ×14, first 2 shown]
	v_min_f64 v[220:221], v[150:151], v[184:185]
	v_min_f64 v[222:223], v[154:155], v[184:185]
	;; [unrolled: 1-line block ×32, first 2 shown]
	s_add_i32 s22, s22, 8
	v_add_f64 v[62:63], v[150:151], v[62:63]
	v_add_f64 v[60:61], v[154:155], v[60:61]
	;; [unrolled: 1-line block ×16, first 2 shown]
	v_min_f64 v[150:151], v[188:189], v[184:185]
	v_min_f64 v[154:155], v[190:191], v[184:185]
	;; [unrolled: 1-line block ×32, first 2 shown]
	s_cmp_eq_u32 s22, 32
	v_add_f64 v[126:127], v[220:221], v[126:127]
	v_add_f64 v[124:125], v[222:223], v[124:125]
	;; [unrolled: 1-line block ×48, first 2 shown]
	s_cbranch_scc0 .LBB142_9
; %bb.10:
	s_load_dword s22, s[0:1], 0x8
	v_lshlrev_b32_e32 v148, 5, v148
	v_lshl_add_u32 v151, v142, 3, v148
	ds_write2st64_b64 v151, v[136:137], v[138:139] offset0:8 offset1:12
	ds_write2st64_b64 v151, v[132:133], v[134:135] offset0:24 offset1:28
	s_waitcnt lgkmcnt(0)
	s_cmp_gt_i32 s22, 8
	s_barrier
	s_cbranch_scc1 .LBB142_12
; %bb.11:
	v_add_u32_e32 v148, 0x1000, v144
	v_add_u32_e32 v149, 0x3000, v152
	s_cbranch_execz .LBB142_13
	s_branch .LBB142_19
.LBB142_12:
                                        ; implicit-def: $vgpr148
                                        ; implicit-def: $vgpr149
.LBB142_13:
	v_or_b32_e32 v150, 0x1000, v151
	v_or_b32_e32 v151, 0x3000, v151
	s_add_i32 s8, s22, -8
	v_lshl_add_u64 v[128:129], v[128:129], 3, s[14:15]
	v_lshl_add_u64 v[130:131], v[130:131], 3, s[16:17]
	v_add_u32_e32 v148, 0x1000, v144
	v_add_u32_e32 v149, 0x3000, v152
	s_mov_b32 s9, 8
	s_mov_b32 s14, 0
.LBB142_14:                             ; =>This Loop Header: Depth=1
                                        ;     Child Loop BB142_15 Depth 2
                                        ;     Child Loop BB142_17 Depth 2
	v_add_u32_e32 v139, s9, v142
	v_mad_u64_u32 v[132:133], s[16:17], v139, s20, 0
	v_mad_u64_u32 v[136:137], s[16:17], v139, s21, 0
	v_mov_b32_e32 v134, v133
	v_mov_b32_e32 v138, v137
	v_mad_u64_u32 v[134:135], s[16:17], v139, s18, v[134:135]
	v_mad_u64_u32 v[138:139], s[16:17], v139, s19, v[138:139]
	v_mov_b32_e32 v133, v134
	v_mov_b32_e32 v137, v138
	v_lshl_add_u64 v[134:135], v[132:133], 3, v[128:129]
	v_lshl_add_u64 v[138:139], v[136:137], 3, v[130:131]
	flat_load_dwordx2 v[132:133], v[134:135]
	s_nop 0
	flat_load_dwordx2 v[134:135], v[134:135] offset:512
	s_nop 0
	flat_load_dwordx2 v[136:137], v[138:139]
	s_nop 0
	flat_load_dwordx2 v[138:139], v[138:139] offset:512
	s_mov_b32 s15, 0
.LBB142_15:                             ;   Parent Loop BB142_14 Depth=1
                                        ; =>  This Inner Loop Header: Depth=2
	v_add_u32_e32 v184, s15, v148
	v_add_u32_e32 v185, s15, v149
	ds_read2_b64 v[152:155], v184 offset1:16
	ds_read2_b64 v[156:159], v184 offset0:32 offset1:48
	ds_read2_b64 v[160:163], v184 offset0:64 offset1:80
	;; [unrolled: 1-line block ×7, first 2 shown]
	v_add_u32_e32 v216, 0x800, v184
	ds_read2st64_b64 v[184:187], v185 offset1:4
	ds_read2_b64 v[188:191], v216 offset1:16
	ds_read2_b64 v[192:195], v216 offset0:32 offset1:48
	ds_read2_b64 v[196:199], v216 offset0:64 offset1:80
	;; [unrolled: 1-line block ×7, first 2 shown]
	s_waitcnt lgkmcnt(0)
	v_max_f64 v[152:153], v[152:153], v[152:153]
	v_max_f64 v[154:155], v[154:155], v[154:155]
	;; [unrolled: 1-line block ×18, first 2 shown]
	v_min_f64 v[220:221], v[152:153], v[184:185]
	v_min_f64 v[222:223], v[154:155], v[184:185]
	v_min_f64 v[224:225], v[156:157], v[184:185]
	v_min_f64 v[226:227], v[158:159], v[184:185]
	v_min_f64 v[228:229], v[160:161], v[184:185]
	v_min_f64 v[230:231], v[162:163], v[184:185]
	v_min_f64 v[232:233], v[164:165], v[184:185]
	v_min_f64 v[234:235], v[166:167], v[184:185]
	v_min_f64 v[236:237], v[168:169], v[184:185]
	v_min_f64 v[238:239], v[170:171], v[184:185]
	v_min_f64 v[240:241], v[172:173], v[184:185]
	v_min_f64 v[242:243], v[174:175], v[184:185]
	v_min_f64 v[244:245], v[176:177], v[184:185]
	v_min_f64 v[246:247], v[178:179], v[184:185]
	v_min_f64 v[248:249], v[180:181], v[184:185]
	v_min_f64 v[250:251], v[182:183], v[184:185]
	v_max_f64 v[188:189], v[188:189], v[188:189]
	v_max_f64 v[190:191], v[190:191], v[190:191]
	;; [unrolled: 1-line block ×16, first 2 shown]
	v_min_f64 v[152:153], v[152:153], v[186:187]
	v_min_f64 v[154:155], v[154:155], v[186:187]
	v_min_f64 v[156:157], v[156:157], v[186:187]
	v_min_f64 v[158:159], v[158:159], v[186:187]
	v_min_f64 v[160:161], v[160:161], v[186:187]
	v_min_f64 v[162:163], v[162:163], v[186:187]
	v_min_f64 v[164:165], v[164:165], v[186:187]
	v_min_f64 v[166:167], v[166:167], v[186:187]
	v_min_f64 v[168:169], v[168:169], v[186:187]
	v_min_f64 v[170:171], v[170:171], v[186:187]
	v_min_f64 v[172:173], v[172:173], v[186:187]
	v_min_f64 v[174:175], v[174:175], v[186:187]
	v_min_f64 v[176:177], v[176:177], v[186:187]
	v_min_f64 v[178:179], v[178:179], v[186:187]
	v_min_f64 v[180:181], v[180:181], v[186:187]
	v_min_f64 v[182:183], v[182:183], v[186:187]
	s_add_i32 s15, s15, 8
	v_add_f64 v[126:127], v[220:221], v[126:127]
	v_add_f64 v[124:125], v[222:223], v[124:125]
	;; [unrolled: 1-line block ×15, first 2 shown]
	v_min_f64 v[220:221], v[188:189], v[184:185]
	v_min_f64 v[222:223], v[190:191], v[184:185]
	;; [unrolled: 1-line block ×16, first 2 shown]
	v_add_f64 v[62:63], v[152:153], v[62:63]
	v_add_f64 v[60:61], v[154:155], v[60:61]
	;; [unrolled: 1-line block ×16, first 2 shown]
	v_min_f64 v[152:153], v[188:189], v[186:187]
	v_min_f64 v[154:155], v[190:191], v[186:187]
	;; [unrolled: 1-line block ×16, first 2 shown]
	s_cmp_eq_u32 s15, 32
	v_add_f64 v[96:97], v[250:251], v[96:97]
	v_add_f64 v[94:95], v[220:221], v[94:95]
	;; [unrolled: 1-line block ×33, first 2 shown]
	s_cbranch_scc0 .LBB142_15
; %bb.16:                               ;   in Loop: Header=BB142_14 Depth=1
	s_waitcnt vmcnt(0)
	ds_write2st64_b64 v146, v[132:133], v[134:135] offset1:4
	ds_write2st64_b64 v147, v[136:137], v[138:139] offset1:4
	v_add_u32_e32 v139, s9, v143
	v_mad_u64_u32 v[132:133], s[16:17], v139, s20, 0
	v_mad_u64_u32 v[136:137], s[16:17], v139, s21, 0
	v_mov_b32_e32 v134, v133
	v_mov_b32_e32 v138, v137
	v_mad_u64_u32 v[134:135], s[16:17], v139, s18, v[134:135]
	v_mad_u64_u32 v[138:139], s[16:17], v139, s19, v[138:139]
	v_mov_b32_e32 v133, v134
	v_mov_b32_e32 v137, v138
	v_lshl_add_u64 v[134:135], v[132:133], 3, v[128:129]
	v_lshl_add_u64 v[138:139], v[136:137], 3, v[130:131]
	s_waitcnt lgkmcnt(0)
	s_barrier
	flat_load_dwordx2 v[132:133], v[134:135]
	s_nop 0
	flat_load_dwordx2 v[134:135], v[134:135] offset:512
	s_nop 0
	flat_load_dwordx2 v[136:137], v[138:139]
	s_nop 0
	flat_load_dwordx2 v[138:139], v[138:139] offset:512
	s_mov_b32 s15, 0
.LBB142_17:                             ;   Parent Loop BB142_14 Depth=1
                                        ; =>  This Inner Loop Header: Depth=2
	v_add_u32_e32 v184, s15, v144
	v_add_u32_e32 v185, s15, v145
	ds_read2_b64 v[152:155], v184 offset1:16
	ds_read2_b64 v[156:159], v184 offset0:32 offset1:48
	ds_read2_b64 v[160:163], v184 offset0:64 offset1:80
	;; [unrolled: 1-line block ×7, first 2 shown]
	v_add_u32_e32 v216, 0x800, v184
	ds_read2st64_b64 v[184:187], v185 offset1:4
	ds_read2_b64 v[188:191], v216 offset1:16
	ds_read2_b64 v[192:195], v216 offset0:32 offset1:48
	ds_read2_b64 v[196:199], v216 offset0:64 offset1:80
	;; [unrolled: 1-line block ×7, first 2 shown]
	s_waitcnt lgkmcnt(0)
	v_max_f64 v[152:153], v[152:153], v[152:153]
	v_max_f64 v[154:155], v[154:155], v[154:155]
	;; [unrolled: 1-line block ×18, first 2 shown]
	v_min_f64 v[220:221], v[152:153], v[184:185]
	v_min_f64 v[222:223], v[154:155], v[184:185]
	;; [unrolled: 1-line block ×16, first 2 shown]
	v_max_f64 v[188:189], v[188:189], v[188:189]
	v_max_f64 v[190:191], v[190:191], v[190:191]
	v_max_f64 v[192:193], v[192:193], v[192:193]
	v_max_f64 v[194:195], v[194:195], v[194:195]
	v_max_f64 v[196:197], v[196:197], v[196:197]
	v_max_f64 v[198:199], v[198:199], v[198:199]
	v_max_f64 v[200:201], v[200:201], v[200:201]
	v_max_f64 v[202:203], v[202:203], v[202:203]
	v_max_f64 v[204:205], v[204:205], v[204:205]
	v_max_f64 v[206:207], v[206:207], v[206:207]
	v_max_f64 v[208:209], v[208:209], v[208:209]
	v_max_f64 v[210:211], v[210:211], v[210:211]
	v_max_f64 v[212:213], v[212:213], v[212:213]
	v_max_f64 v[214:215], v[214:215], v[214:215]
	v_max_f64 v[216:217], v[216:217], v[216:217]
	v_max_f64 v[218:219], v[218:219], v[218:219]
	v_min_f64 v[152:153], v[152:153], v[186:187]
	v_min_f64 v[154:155], v[154:155], v[186:187]
	;; [unrolled: 1-line block ×16, first 2 shown]
	s_add_i32 s15, s15, 8
	v_add_f64 v[126:127], v[220:221], v[126:127]
	v_add_f64 v[124:125], v[222:223], v[124:125]
	;; [unrolled: 1-line block ×15, first 2 shown]
	v_min_f64 v[220:221], v[188:189], v[184:185]
	v_min_f64 v[222:223], v[190:191], v[184:185]
	v_min_f64 v[224:225], v[192:193], v[184:185]
	v_min_f64 v[226:227], v[194:195], v[184:185]
	v_min_f64 v[228:229], v[196:197], v[184:185]
	v_min_f64 v[230:231], v[198:199], v[184:185]
	v_min_f64 v[232:233], v[200:201], v[184:185]
	v_min_f64 v[234:235], v[202:203], v[184:185]
	v_min_f64 v[236:237], v[204:205], v[184:185]
	v_min_f64 v[238:239], v[206:207], v[184:185]
	v_min_f64 v[240:241], v[208:209], v[184:185]
	v_min_f64 v[242:243], v[210:211], v[184:185]
	v_min_f64 v[244:245], v[212:213], v[184:185]
	v_min_f64 v[246:247], v[214:215], v[184:185]
	v_min_f64 v[248:249], v[216:217], v[184:185]
	v_min_f64 v[184:185], v[218:219], v[184:185]
	v_add_f64 v[62:63], v[152:153], v[62:63]
	v_add_f64 v[60:61], v[154:155], v[60:61]
	;; [unrolled: 1-line block ×16, first 2 shown]
	v_min_f64 v[152:153], v[188:189], v[186:187]
	v_min_f64 v[154:155], v[190:191], v[186:187]
	;; [unrolled: 1-line block ×16, first 2 shown]
	s_cmp_eq_u32 s15, 32
	v_add_f64 v[96:97], v[250:251], v[96:97]
	v_add_f64 v[94:95], v[220:221], v[94:95]
	v_add_f64 v[92:93], v[222:223], v[92:93]
	v_add_f64 v[90:91], v[224:225], v[90:91]
	v_add_f64 v[88:89], v[226:227], v[88:89]
	v_add_f64 v[86:87], v[228:229], v[86:87]
	v_add_f64 v[84:85], v[230:231], v[84:85]
	v_add_f64 v[82:83], v[232:233], v[82:83]
	v_add_f64 v[80:81], v[234:235], v[80:81]
	v_add_f64 v[78:79], v[236:237], v[78:79]
	v_add_f64 v[76:77], v[238:239], v[76:77]
	v_add_f64 v[74:75], v[240:241], v[74:75]
	v_add_f64 v[72:73], v[242:243], v[72:73]
	v_add_f64 v[70:71], v[244:245], v[70:71]
	v_add_f64 v[68:69], v[246:247], v[68:69]
	v_add_f64 v[66:67], v[248:249], v[66:67]
	v_add_f64 v[64:65], v[184:185], v[64:65]
	v_add_f64 v[30:31], v[152:153], v[30:31]
	v_add_f64 v[28:29], v[154:155], v[28:29]
	v_add_f64 v[26:27], v[156:157], v[26:27]
	v_add_f64 v[24:25], v[158:159], v[24:25]
	v_add_f64 v[22:23], v[160:161], v[22:23]
	v_add_f64 v[20:21], v[162:163], v[20:21]
	v_add_f64 v[18:19], v[164:165], v[18:19]
	v_add_f64 v[16:17], v[166:167], v[16:17]
	v_add_f64 v[14:15], v[168:169], v[14:15]
	v_add_f64 v[12:13], v[170:171], v[12:13]
	v_add_f64 v[10:11], v[172:173], v[10:11]
	v_add_f64 v[8:9], v[174:175], v[8:9]
	v_add_f64 v[6:7], v[176:177], v[6:7]
	v_add_f64 v[4:5], v[178:179], v[4:5]
	v_add_f64 v[2:3], v[180:181], v[2:3]
	v_add_f64 v[0:1], v[182:183], v[0:1]
	s_cbranch_scc0 .LBB142_17
; %bb.18:                               ;   in Loop: Header=BB142_14 Depth=1
	s_add_i32 s9, s9, 8
	s_add_i32 s14, s14, 8
	s_cmp_ge_i32 s14, s8
	s_waitcnt vmcnt(0)
	ds_write2st64_b64 v150, v[132:133], v[134:135] offset1:4
	ds_write2st64_b64 v151, v[136:137], v[138:139] offset1:4
	s_waitcnt lgkmcnt(0)
	s_barrier
	s_cbranch_scc0 .LBB142_14
.LBB142_19:
	s_mov_b32 s8, 0
.LBB142_20:                             ; =>This Inner Loop Header: Depth=1
	v_add_u32_e32 v146, s8, v148
	v_add_u32_e32 v147, s8, v149
	ds_read2_b64 v[128:131], v146 offset1:16
	ds_read2_b64 v[132:135], v146 offset0:32 offset1:48
	ds_read2_b64 v[136:139], v146 offset0:64 offset1:80
	;; [unrolled: 1-line block ×7, first 2 shown]
	v_add_u32_e32 v146, 0x800, v146
	ds_read2st64_b64 v[166:169], v147 offset1:4
	ds_read2_b64 v[170:173], v146 offset1:16
	ds_read2_b64 v[174:177], v146 offset0:32 offset1:48
	ds_read2_b64 v[178:181], v146 offset0:64 offset1:80
	;; [unrolled: 1-line block ×7, first 2 shown]
	s_waitcnt lgkmcnt(14)
	v_max_f64 v[128:129], v[128:129], v[128:129]
	v_max_f64 v[130:131], v[130:131], v[130:131]
	;; [unrolled: 1-line block ×3, first 2 shown]
	s_waitcnt lgkmcnt(8)
	v_max_f64 v[146:147], v[166:167], v[166:167]
	v_max_f64 v[134:135], v[134:135], v[134:135]
	;; [unrolled: 1-line block ×15, first 2 shown]
	v_min_f64 v[168:169], v[128:129], v[146:147]
	v_min_f64 v[202:203], v[130:131], v[146:147]
	;; [unrolled: 1-line block ×16, first 2 shown]
	s_waitcnt lgkmcnt(7)
	v_max_f64 v[170:171], v[170:171], v[170:171]
	v_max_f64 v[172:173], v[172:173], v[172:173]
	s_waitcnt lgkmcnt(6)
	v_max_f64 v[174:175], v[174:175], v[174:175]
	v_max_f64 v[176:177], v[176:177], v[176:177]
	;; [unrolled: 3-line block ×8, first 2 shown]
	v_min_f64 v[128:129], v[128:129], v[166:167]
	v_min_f64 v[130:131], v[130:131], v[166:167]
	;; [unrolled: 1-line block ×16, first 2 shown]
	s_add_i32 s8, s8, 8
	v_add_f64 v[126:127], v[168:169], v[126:127]
	v_add_f64 v[124:125], v[202:203], v[124:125]
	;; [unrolled: 1-line block ×15, first 2 shown]
	v_min_f64 v[168:169], v[170:171], v[146:147]
	v_min_f64 v[202:203], v[172:173], v[146:147]
	;; [unrolled: 1-line block ×16, first 2 shown]
	v_add_f64 v[62:63], v[128:129], v[62:63]
	v_add_f64 v[60:61], v[130:131], v[60:61]
	;; [unrolled: 1-line block ×16, first 2 shown]
	v_min_f64 v[128:129], v[170:171], v[166:167]
	v_min_f64 v[130:131], v[172:173], v[166:167]
	;; [unrolled: 1-line block ×16, first 2 shown]
	s_cmp_eq_u32 s8, 32
	v_add_f64 v[96:97], v[230:231], v[96:97]
	v_add_f64 v[94:95], v[168:169], v[94:95]
	;; [unrolled: 1-line block ×33, first 2 shown]
	s_cbranch_scc0 .LBB142_20
; %bb.21:
	s_load_dwordx2 s[14:15], s[0:1], 0x78
	s_load_dword s8, s[0:1], 0x58
	s_load_dword s9, s[0:1], 0x70
	v_add_u32_e32 v130, s10, v140
	v_add_u32_e32 v170, s11, v141
	s_waitcnt lgkmcnt(0)
	s_lshl_b64 s[0:1], s[14:15], 3
	s_add_u32 s0, s2, s0
	s_addc_u32 s1, s3, s1
	v_add_u32_e32 v128, 4, v130
	v_mad_i64_i32 v[132:133], s[2:3], v170, s9, 0
	v_ashrrev_i32_e32 v131, 31, v130
	v_ashrrev_i32_e32 v129, 31, v128
	v_lshl_add_u64 v[138:139], v[132:133], 3, s[0:1]
	v_mad_i64_i32 v[132:133], s[2:3], v170, s8, 0
	s_mov_b64 vcc, s[4:5]
	s_cbranch_vccz .LBB142_24
; %bb.22:
	v_add_f64 v[134:135], v[126:127], 0
	v_lshl_add_u64 v[136:137], v[130:131], 3, v[138:139]
	s_mov_b64 s[2:3], 0
	global_store_dwordx2 v[136:137], v[134:135], off
	v_lshl_add_u64 v[146:147], v[132:133], 3, s[12:13]
	v_lshlrev_b64 v[134:135], 3, v[130:131]
	s_cbranch_execz .LBB142_25
; %bb.23:
	v_mov_b64_e32 v[136:137], s[2:3]
	s_branch .LBB142_26
.LBB142_24:
	s_mov_b64 s[2:3], -1
	v_lshl_add_u64 v[146:147], v[132:133], 3, s[12:13]
	v_lshlrev_b64 v[134:135], 3, v[130:131]
.LBB142_25:
	v_lshl_add_u64 v[132:133], v[146:147], 0, v[134:135]
	flat_load_dwordx2 v[132:133], v[132:133]
	v_lshl_add_u64 v[136:137], v[138:139], 0, v[134:135]
	s_waitcnt vmcnt(0) lgkmcnt(0)
	v_fmac_f64_e32 v[126:127], s[6:7], v[132:133]
	global_store_dwordx2 v[136:137], v[126:127], off
	v_lshl_add_u64 v[126:127], v[128:129], 3, v[146:147]
	flat_load_dwordx2 v[126:127], v[126:127]
	s_waitcnt vmcnt(0) lgkmcnt(0)
	v_mul_f64 v[136:137], v[126:127], s[6:7]
.LBB142_26:
	v_add_u32_e32 v132, 8, v130
	v_add_u32_e32 v126, 12, v130
	v_ashrrev_i32_e32 v133, 31, v132
	v_ashrrev_i32_e32 v127, 31, v126
	v_add_f64 v[124:125], v[124:125], v[136:137]
	v_lshl_add_u64 v[136:137], v[128:129], 3, v[138:139]
	s_mov_b64 vcc, s[4:5]
	global_store_dwordx2 v[136:137], v[124:125], off
	s_cbranch_vccz .LBB142_29
; %bb.27:
	v_add_f64 v[124:125], v[122:123], 0
	v_lshl_add_u64 v[136:137], v[132:133], 3, v[138:139]
	s_mov_b64 s[2:3], 0
	global_store_dwordx2 v[136:137], v[124:125], off
	v_lshlrev_b64 v[136:137], 3, v[132:133]
	s_cbranch_execz .LBB142_30
; %bb.28:
	v_mov_b64_e32 v[140:141], s[2:3]
	s_branch .LBB142_31
.LBB142_29:
	s_mov_b64 s[2:3], -1
	v_lshlrev_b64 v[136:137], 3, v[132:133]
.LBB142_30:
	v_lshl_add_u64 v[124:125], v[146:147], 0, v[136:137]
	flat_load_dwordx2 v[124:125], v[124:125]
	v_lshl_add_u64 v[140:141], v[138:139], 0, v[136:137]
	s_waitcnt vmcnt(0) lgkmcnt(0)
	v_fmac_f64_e32 v[122:123], s[6:7], v[124:125]
	global_store_dwordx2 v[140:141], v[122:123], off
	v_lshl_add_u64 v[122:123], v[126:127], 3, v[146:147]
	flat_load_dwordx2 v[122:123], v[122:123]
	s_waitcnt vmcnt(0) lgkmcnt(0)
	v_mul_f64 v[140:141], v[122:123], s[6:7]
.LBB142_31:
	v_add_u32_e32 v124, 16, v130
	v_add_u32_e32 v122, 20, v130
	v_ashrrev_i32_e32 v125, 31, v124
	v_ashrrev_i32_e32 v123, 31, v122
	v_add_f64 v[120:121], v[120:121], v[140:141]
	v_lshl_add_u64 v[140:141], v[126:127], 3, v[138:139]
	s_mov_b64 vcc, s[4:5]
	global_store_dwordx2 v[140:141], v[120:121], off
	s_cbranch_vccz .LBB142_34
; %bb.32:
	v_add_f64 v[120:121], v[118:119], 0
	v_lshl_add_u64 v[140:141], v[124:125], 3, v[138:139]
	s_mov_b64 s[2:3], 0
	global_store_dwordx2 v[140:141], v[120:121], off
	v_lshlrev_b64 v[140:141], 3, v[124:125]
	s_cbranch_execz .LBB142_35
; %bb.33:
	v_mov_b64_e32 v[142:143], s[2:3]
	s_branch .LBB142_36
.LBB142_34:
	s_mov_b64 s[2:3], -1
	v_lshlrev_b64 v[140:141], 3, v[124:125]
.LBB142_35:
	v_lshl_add_u64 v[120:121], v[146:147], 0, v[140:141]
	flat_load_dwordx2 v[120:121], v[120:121]
	v_lshl_add_u64 v[142:143], v[138:139], 0, v[140:141]
	s_waitcnt vmcnt(0) lgkmcnt(0)
	v_fmac_f64_e32 v[118:119], s[6:7], v[120:121]
	global_store_dwordx2 v[142:143], v[118:119], off
	v_lshl_add_u64 v[118:119], v[122:123], 3, v[146:147]
	flat_load_dwordx2 v[118:119], v[118:119]
	s_waitcnt vmcnt(0) lgkmcnt(0)
	v_mul_f64 v[142:143], v[118:119], s[6:7]
.LBB142_36:
	;; [unrolled: 34-line block ×15, first 2 shown]
	v_add_f64 v[64:65], v[64:65], v[66:67]
	v_lshl_add_u64 v[66:67], v[70:71], 3, v[138:139]
	global_store_dwordx2 v[66:67], v[64:65], off
	v_add_u32_e32 v66, 64, v170
	v_mad_i64_i32 v[64:65], s[2:3], v66, s9, 0
	v_lshl_add_u64 v[64:65], v[64:65], 3, s[0:1]
	v_mad_i64_i32 v[66:67], s[0:1], v66, s8, 0
	s_mov_b64 vcc, s[4:5]
	s_cbranch_vccz .LBB142_104
; %bb.102:
	v_add_f64 v[138:139], v[62:63], 0
	v_lshl_add_u64 v[130:131], v[130:131], 3, v[64:65]
	s_mov_b64 s[0:1], 0
	global_store_dwordx2 v[130:131], v[138:139], off
	v_lshl_add_u64 v[66:67], v[66:67], 3, s[12:13]
	s_cbranch_execz .LBB142_105
; %bb.103:
	v_mov_b64_e32 v[62:63], s[0:1]
	s_branch .LBB142_106
.LBB142_104:
	s_mov_b64 s[0:1], -1
	v_lshl_add_u64 v[66:67], v[66:67], 3, s[12:13]
.LBB142_105:
	v_lshl_add_u64 v[130:131], v[66:67], 0, v[134:135]
	flat_load_dwordx2 v[130:131], v[130:131]
	v_lshl_add_u64 v[134:135], v[64:65], 0, v[134:135]
	s_waitcnt vmcnt(0) lgkmcnt(0)
	v_fmac_f64_e32 v[62:63], s[6:7], v[130:131]
	global_store_dwordx2 v[134:135], v[62:63], off
	v_lshl_add_u64 v[62:63], v[128:129], 3, v[66:67]
	flat_load_dwordx2 v[62:63], v[62:63]
	s_waitcnt vmcnt(0) lgkmcnt(0)
	v_mul_f64 v[62:63], v[62:63], s[6:7]
.LBB142_106:
	v_add_f64 v[60:61], v[60:61], v[62:63]
	v_lshl_add_u64 v[62:63], v[128:129], 3, v[64:65]
	s_mov_b64 vcc, s[4:5]
	global_store_dwordx2 v[62:63], v[60:61], off
	s_cbranch_vccz .LBB142_109
; %bb.107:
	v_add_f64 v[60:61], v[58:59], 0
	v_lshl_add_u64 v[62:63], v[132:133], 3, v[64:65]
	s_mov_b64 s[0:1], 0
	global_store_dwordx2 v[62:63], v[60:61], off
	s_cbranch_execz .LBB142_110
; %bb.108:
	v_mov_b64_e32 v[58:59], s[0:1]
	s_branch .LBB142_111
.LBB142_109:
	s_mov_b64 s[0:1], -1
.LBB142_110:
	v_lshl_add_u64 v[60:61], v[66:67], 0, v[136:137]
	flat_load_dwordx2 v[60:61], v[60:61]
	v_lshl_add_u64 v[62:63], v[64:65], 0, v[136:137]
	s_waitcnt vmcnt(0) lgkmcnt(0)
	v_fmac_f64_e32 v[58:59], s[6:7], v[60:61]
	global_store_dwordx2 v[62:63], v[58:59], off
	v_lshl_add_u64 v[58:59], v[126:127], 3, v[66:67]
	flat_load_dwordx2 v[58:59], v[58:59]
	s_waitcnt vmcnt(0) lgkmcnt(0)
	v_mul_f64 v[58:59], v[58:59], s[6:7]
.LBB142_111:
	v_add_f64 v[56:57], v[56:57], v[58:59]
	v_lshl_add_u64 v[58:59], v[126:127], 3, v[64:65]
	s_mov_b64 vcc, s[4:5]
	global_store_dwordx2 v[58:59], v[56:57], off
	s_cbranch_vccz .LBB142_114
; %bb.112:
	v_add_f64 v[56:57], v[54:55], 0
	v_lshl_add_u64 v[58:59], v[124:125], 3, v[64:65]
	s_mov_b64 s[0:1], 0
	global_store_dwordx2 v[58:59], v[56:57], off
	s_cbranch_execz .LBB142_115
; %bb.113:
	v_mov_b64_e32 v[54:55], s[0:1]
	s_branch .LBB142_116
.LBB142_114:
	s_mov_b64 s[0:1], -1
.LBB142_115:
	v_lshl_add_u64 v[56:57], v[66:67], 0, v[140:141]
	flat_load_dwordx2 v[56:57], v[56:57]
	v_lshl_add_u64 v[58:59], v[64:65], 0, v[140:141]
	s_waitcnt vmcnt(0) lgkmcnt(0)
	v_fmac_f64_e32 v[54:55], s[6:7], v[56:57]
	global_store_dwordx2 v[58:59], v[54:55], off
	v_lshl_add_u64 v[54:55], v[122:123], 3, v[66:67]
	flat_load_dwordx2 v[54:55], v[54:55]
	s_waitcnt vmcnt(0) lgkmcnt(0)
	v_mul_f64 v[54:55], v[54:55], s[6:7]
.LBB142_116:
	v_add_f64 v[52:53], v[52:53], v[54:55]
	v_lshl_add_u64 v[54:55], v[122:123], 3, v[64:65]
	s_mov_b64 vcc, s[4:5]
	global_store_dwordx2 v[54:55], v[52:53], off
	s_cbranch_vccz .LBB142_119
; %bb.117:
	v_add_f64 v[52:53], v[50:51], 0
	v_lshl_add_u64 v[54:55], v[120:121], 3, v[64:65]
	s_mov_b64 s[0:1], 0
	global_store_dwordx2 v[54:55], v[52:53], off
	s_cbranch_execz .LBB142_120
; %bb.118:
	v_mov_b64_e32 v[50:51], s[0:1]
	s_branch .LBB142_121
.LBB142_119:
	s_mov_b64 s[0:1], -1
.LBB142_120:
	v_lshl_add_u64 v[52:53], v[66:67], 0, v[142:143]
	flat_load_dwordx2 v[52:53], v[52:53]
	v_lshl_add_u64 v[54:55], v[64:65], 0, v[142:143]
	s_waitcnt vmcnt(0) lgkmcnt(0)
	v_fmac_f64_e32 v[50:51], s[6:7], v[52:53]
	global_store_dwordx2 v[54:55], v[50:51], off
	v_lshl_add_u64 v[50:51], v[118:119], 3, v[66:67]
	flat_load_dwordx2 v[50:51], v[50:51]
	s_waitcnt vmcnt(0) lgkmcnt(0)
	v_mul_f64 v[50:51], v[50:51], s[6:7]
.LBB142_121:
	v_add_f64 v[48:49], v[48:49], v[50:51]
	v_lshl_add_u64 v[50:51], v[118:119], 3, v[64:65]
	s_mov_b64 vcc, s[4:5]
	global_store_dwordx2 v[50:51], v[48:49], off
	s_cbranch_vccz .LBB142_124
; %bb.122:
	v_add_f64 v[48:49], v[46:47], 0
	v_lshl_add_u64 v[50:51], v[116:117], 3, v[64:65]
	s_mov_b64 s[0:1], 0
	global_store_dwordx2 v[50:51], v[48:49], off
	s_cbranch_execz .LBB142_125
; %bb.123:
	v_mov_b64_e32 v[46:47], s[0:1]
	s_branch .LBB142_126
.LBB142_124:
	s_mov_b64 s[0:1], -1
.LBB142_125:
	v_lshl_add_u64 v[48:49], v[66:67], 0, v[144:145]
	flat_load_dwordx2 v[48:49], v[48:49]
	v_lshl_add_u64 v[50:51], v[64:65], 0, v[144:145]
	s_waitcnt vmcnt(0) lgkmcnt(0)
	v_fmac_f64_e32 v[46:47], s[6:7], v[48:49]
	global_store_dwordx2 v[50:51], v[46:47], off
	v_lshl_add_u64 v[46:47], v[114:115], 3, v[66:67]
	flat_load_dwordx2 v[46:47], v[46:47]
	s_waitcnt vmcnt(0) lgkmcnt(0)
	v_mul_f64 v[46:47], v[46:47], s[6:7]
.LBB142_126:
	v_add_f64 v[44:45], v[44:45], v[46:47]
	v_lshl_add_u64 v[46:47], v[114:115], 3, v[64:65]
	s_mov_b64 vcc, s[4:5]
	global_store_dwordx2 v[46:47], v[44:45], off
	s_cbranch_vccz .LBB142_129
; %bb.127:
	v_add_f64 v[44:45], v[42:43], 0
	v_lshl_add_u64 v[46:47], v[112:113], 3, v[64:65]
	s_mov_b64 s[0:1], 0
	global_store_dwordx2 v[46:47], v[44:45], off
	s_cbranch_execz .LBB142_130
; %bb.128:
	v_mov_b64_e32 v[42:43], s[0:1]
	s_branch .LBB142_131
.LBB142_129:
	s_mov_b64 s[0:1], -1
.LBB142_130:
	v_lshl_add_u64 v[44:45], v[66:67], 0, v[148:149]
	flat_load_dwordx2 v[44:45], v[44:45]
	v_lshl_add_u64 v[46:47], v[64:65], 0, v[148:149]
	s_waitcnt vmcnt(0) lgkmcnt(0)
	v_fmac_f64_e32 v[42:43], s[6:7], v[44:45]
	global_store_dwordx2 v[46:47], v[42:43], off
	v_lshl_add_u64 v[42:43], v[110:111], 3, v[66:67]
	flat_load_dwordx2 v[42:43], v[42:43]
	s_waitcnt vmcnt(0) lgkmcnt(0)
	v_mul_f64 v[42:43], v[42:43], s[6:7]
.LBB142_131:
	v_add_f64 v[40:41], v[40:41], v[42:43]
	v_lshl_add_u64 v[42:43], v[110:111], 3, v[64:65]
	s_mov_b64 vcc, s[4:5]
	global_store_dwordx2 v[42:43], v[40:41], off
	s_cbranch_vccz .LBB142_134
; %bb.132:
	v_add_f64 v[40:41], v[38:39], 0
	v_lshl_add_u64 v[42:43], v[108:109], 3, v[64:65]
	s_mov_b64 s[0:1], 0
	global_store_dwordx2 v[42:43], v[40:41], off
	s_cbranch_execz .LBB142_135
; %bb.133:
	v_mov_b64_e32 v[38:39], s[0:1]
	s_branch .LBB142_136
.LBB142_134:
	s_mov_b64 s[0:1], -1
.LBB142_135:
	v_lshl_add_u64 v[40:41], v[66:67], 0, v[150:151]
	flat_load_dwordx2 v[40:41], v[40:41]
	v_lshl_add_u64 v[42:43], v[64:65], 0, v[150:151]
	s_waitcnt vmcnt(0) lgkmcnt(0)
	v_fmac_f64_e32 v[38:39], s[6:7], v[40:41]
	global_store_dwordx2 v[42:43], v[38:39], off
	v_lshl_add_u64 v[38:39], v[106:107], 3, v[66:67]
	flat_load_dwordx2 v[38:39], v[38:39]
	s_waitcnt vmcnt(0) lgkmcnt(0)
	v_mul_f64 v[38:39], v[38:39], s[6:7]
.LBB142_136:
	v_add_f64 v[36:37], v[36:37], v[38:39]
	v_lshl_add_u64 v[38:39], v[106:107], 3, v[64:65]
	s_mov_b64 vcc, s[4:5]
	global_store_dwordx2 v[38:39], v[36:37], off
	s_cbranch_vccz .LBB142_139
; %bb.137:
	v_add_f64 v[36:37], v[34:35], 0
	v_lshl_add_u64 v[38:39], v[104:105], 3, v[64:65]
	s_mov_b64 s[0:1], 0
	global_store_dwordx2 v[38:39], v[36:37], off
	s_cbranch_execz .LBB142_140
; %bb.138:
	v_mov_b64_e32 v[34:35], s[0:1]
	s_branch .LBB142_141
.LBB142_139:
	s_mov_b64 s[0:1], -1
.LBB142_140:
	v_lshl_add_u64 v[36:37], v[66:67], 0, v[152:153]
	flat_load_dwordx2 v[36:37], v[36:37]
	v_lshl_add_u64 v[38:39], v[64:65], 0, v[152:153]
	s_waitcnt vmcnt(0) lgkmcnt(0)
	v_fmac_f64_e32 v[34:35], s[6:7], v[36:37]
	global_store_dwordx2 v[38:39], v[34:35], off
	v_lshl_add_u64 v[34:35], v[102:103], 3, v[66:67]
	flat_load_dwordx2 v[34:35], v[34:35]
	s_waitcnt vmcnt(0) lgkmcnt(0)
	v_mul_f64 v[34:35], v[34:35], s[6:7]
.LBB142_141:
	v_add_f64 v[32:33], v[32:33], v[34:35]
	v_lshl_add_u64 v[34:35], v[102:103], 3, v[64:65]
	s_mov_b64 vcc, s[4:5]
	global_store_dwordx2 v[34:35], v[32:33], off
	s_cbranch_vccz .LBB142_144
; %bb.142:
	v_add_f64 v[32:33], v[30:31], 0
	v_lshl_add_u64 v[34:35], v[100:101], 3, v[64:65]
	s_mov_b64 s[0:1], 0
	global_store_dwordx2 v[34:35], v[32:33], off
	s_cbranch_execz .LBB142_145
; %bb.143:
	v_mov_b64_e32 v[30:31], s[0:1]
	s_branch .LBB142_146
.LBB142_144:
	s_mov_b64 s[0:1], -1
.LBB142_145:
	v_lshl_add_u64 v[32:33], v[66:67], 0, v[154:155]
	flat_load_dwordx2 v[32:33], v[32:33]
	v_lshl_add_u64 v[34:35], v[64:65], 0, v[154:155]
	s_waitcnt vmcnt(0) lgkmcnt(0)
	v_fmac_f64_e32 v[30:31], s[6:7], v[32:33]
	global_store_dwordx2 v[34:35], v[30:31], off
	v_lshl_add_u64 v[30:31], v[98:99], 3, v[66:67]
	flat_load_dwordx2 v[30:31], v[30:31]
	s_waitcnt vmcnt(0) lgkmcnt(0)
	v_mul_f64 v[30:31], v[30:31], s[6:7]
.LBB142_146:
	v_add_f64 v[28:29], v[28:29], v[30:31]
	v_lshl_add_u64 v[30:31], v[98:99], 3, v[64:65]
	s_mov_b64 vcc, s[4:5]
	global_store_dwordx2 v[30:31], v[28:29], off
	s_cbranch_vccz .LBB142_149
; %bb.147:
	v_add_f64 v[28:29], v[26:27], 0
	v_lshl_add_u64 v[30:31], v[96:97], 3, v[64:65]
	s_mov_b64 s[0:1], 0
	global_store_dwordx2 v[30:31], v[28:29], off
	s_cbranch_execz .LBB142_150
; %bb.148:
	v_mov_b64_e32 v[26:27], s[0:1]
	s_branch .LBB142_151
.LBB142_149:
	s_mov_b64 s[0:1], -1
.LBB142_150:
	v_lshl_add_u64 v[28:29], v[66:67], 0, v[156:157]
	flat_load_dwordx2 v[28:29], v[28:29]
	v_lshl_add_u64 v[30:31], v[64:65], 0, v[156:157]
	s_waitcnt vmcnt(0) lgkmcnt(0)
	v_fmac_f64_e32 v[26:27], s[6:7], v[28:29]
	global_store_dwordx2 v[30:31], v[26:27], off
	v_lshl_add_u64 v[26:27], v[94:95], 3, v[66:67]
	flat_load_dwordx2 v[26:27], v[26:27]
	s_waitcnt vmcnt(0) lgkmcnt(0)
	v_mul_f64 v[26:27], v[26:27], s[6:7]
.LBB142_151:
	v_add_f64 v[24:25], v[24:25], v[26:27]
	v_lshl_add_u64 v[26:27], v[94:95], 3, v[64:65]
	s_mov_b64 vcc, s[4:5]
	global_store_dwordx2 v[26:27], v[24:25], off
	s_cbranch_vccz .LBB142_154
; %bb.152:
	v_add_f64 v[24:25], v[22:23], 0
	v_lshl_add_u64 v[26:27], v[92:93], 3, v[64:65]
	s_mov_b64 s[0:1], 0
	global_store_dwordx2 v[26:27], v[24:25], off
	s_cbranch_execz .LBB142_155
; %bb.153:
	v_mov_b64_e32 v[22:23], s[0:1]
	s_branch .LBB142_156
.LBB142_154:
	s_mov_b64 s[0:1], -1
.LBB142_155:
	v_lshl_add_u64 v[24:25], v[66:67], 0, v[158:159]
	flat_load_dwordx2 v[24:25], v[24:25]
	v_lshl_add_u64 v[26:27], v[64:65], 0, v[158:159]
	s_waitcnt vmcnt(0) lgkmcnt(0)
	v_fmac_f64_e32 v[22:23], s[6:7], v[24:25]
	global_store_dwordx2 v[26:27], v[22:23], off
	v_lshl_add_u64 v[22:23], v[90:91], 3, v[66:67]
	flat_load_dwordx2 v[22:23], v[22:23]
	s_waitcnt vmcnt(0) lgkmcnt(0)
	v_mul_f64 v[22:23], v[22:23], s[6:7]
.LBB142_156:
	v_add_f64 v[20:21], v[20:21], v[22:23]
	v_lshl_add_u64 v[22:23], v[90:91], 3, v[64:65]
	s_mov_b64 vcc, s[4:5]
	global_store_dwordx2 v[22:23], v[20:21], off
	s_cbranch_vccz .LBB142_159
; %bb.157:
	v_add_f64 v[20:21], v[18:19], 0
	v_lshl_add_u64 v[22:23], v[88:89], 3, v[64:65]
	s_mov_b64 s[0:1], 0
	global_store_dwordx2 v[22:23], v[20:21], off
	s_cbranch_execz .LBB142_160
; %bb.158:
	v_mov_b64_e32 v[18:19], s[0:1]
	s_branch .LBB142_161
.LBB142_159:
	s_mov_b64 s[0:1], -1
.LBB142_160:
	v_lshl_add_u64 v[20:21], v[66:67], 0, v[160:161]
	flat_load_dwordx2 v[20:21], v[20:21]
	v_lshl_add_u64 v[22:23], v[64:65], 0, v[160:161]
	s_waitcnt vmcnt(0) lgkmcnt(0)
	v_fmac_f64_e32 v[18:19], s[6:7], v[20:21]
	global_store_dwordx2 v[22:23], v[18:19], off
	v_lshl_add_u64 v[18:19], v[86:87], 3, v[66:67]
	flat_load_dwordx2 v[18:19], v[18:19]
	s_waitcnt vmcnt(0) lgkmcnt(0)
	v_mul_f64 v[18:19], v[18:19], s[6:7]
.LBB142_161:
	v_add_f64 v[16:17], v[16:17], v[18:19]
	v_lshl_add_u64 v[18:19], v[86:87], 3, v[64:65]
	s_mov_b64 vcc, s[4:5]
	global_store_dwordx2 v[18:19], v[16:17], off
	s_cbranch_vccz .LBB142_164
; %bb.162:
	v_add_f64 v[16:17], v[14:15], 0
	v_lshl_add_u64 v[18:19], v[84:85], 3, v[64:65]
	s_mov_b64 s[0:1], 0
	global_store_dwordx2 v[18:19], v[16:17], off
	s_cbranch_execz .LBB142_165
; %bb.163:
	v_mov_b64_e32 v[14:15], s[0:1]
	s_branch .LBB142_166
.LBB142_164:
	s_mov_b64 s[0:1], -1
.LBB142_165:
	v_lshl_add_u64 v[16:17], v[66:67], 0, v[162:163]
	flat_load_dwordx2 v[16:17], v[16:17]
	v_lshl_add_u64 v[18:19], v[64:65], 0, v[162:163]
	s_waitcnt vmcnt(0) lgkmcnt(0)
	v_fmac_f64_e32 v[14:15], s[6:7], v[16:17]
	global_store_dwordx2 v[18:19], v[14:15], off
	v_lshl_add_u64 v[14:15], v[82:83], 3, v[66:67]
	flat_load_dwordx2 v[14:15], v[14:15]
	s_waitcnt vmcnt(0) lgkmcnt(0)
	v_mul_f64 v[14:15], v[14:15], s[6:7]
.LBB142_166:
	v_add_f64 v[12:13], v[12:13], v[14:15]
	v_lshl_add_u64 v[14:15], v[82:83], 3, v[64:65]
	s_mov_b64 vcc, s[4:5]
	global_store_dwordx2 v[14:15], v[12:13], off
	s_cbranch_vccz .LBB142_169
; %bb.167:
	v_add_f64 v[12:13], v[10:11], 0
	v_lshl_add_u64 v[14:15], v[80:81], 3, v[64:65]
	s_mov_b64 s[0:1], 0
	global_store_dwordx2 v[14:15], v[12:13], off
	s_cbranch_execz .LBB142_170
; %bb.168:
	v_mov_b64_e32 v[10:11], s[0:1]
	s_branch .LBB142_171
.LBB142_169:
	s_mov_b64 s[0:1], -1
.LBB142_170:
	v_lshl_add_u64 v[12:13], v[66:67], 0, v[164:165]
	flat_load_dwordx2 v[12:13], v[12:13]
	v_lshl_add_u64 v[14:15], v[64:65], 0, v[164:165]
	s_waitcnt vmcnt(0) lgkmcnt(0)
	v_fmac_f64_e32 v[10:11], s[6:7], v[12:13]
	global_store_dwordx2 v[14:15], v[10:11], off
	v_lshl_add_u64 v[10:11], v[78:79], 3, v[66:67]
	flat_load_dwordx2 v[10:11], v[10:11]
	s_waitcnt vmcnt(0) lgkmcnt(0)
	v_mul_f64 v[10:11], v[10:11], s[6:7]
.LBB142_171:
	v_add_f64 v[8:9], v[8:9], v[10:11]
	v_lshl_add_u64 v[10:11], v[78:79], 3, v[64:65]
	s_mov_b64 vcc, s[4:5]
	global_store_dwordx2 v[10:11], v[8:9], off
	s_cbranch_vccz .LBB142_174
; %bb.172:
	v_add_f64 v[8:9], v[6:7], 0
	v_lshl_add_u64 v[10:11], v[76:77], 3, v[64:65]
	s_mov_b64 s[0:1], 0
	global_store_dwordx2 v[10:11], v[8:9], off
	s_cbranch_execz .LBB142_175
; %bb.173:
	v_mov_b64_e32 v[6:7], s[0:1]
	s_branch .LBB142_176
.LBB142_174:
	s_mov_b64 s[0:1], -1
.LBB142_175:
	v_lshl_add_u64 v[8:9], v[66:67], 0, v[166:167]
	flat_load_dwordx2 v[8:9], v[8:9]
	v_lshl_add_u64 v[10:11], v[64:65], 0, v[166:167]
	s_waitcnt vmcnt(0) lgkmcnt(0)
	v_fmac_f64_e32 v[6:7], s[6:7], v[8:9]
	global_store_dwordx2 v[10:11], v[6:7], off
	v_lshl_add_u64 v[6:7], v[74:75], 3, v[66:67]
	flat_load_dwordx2 v[6:7], v[6:7]
	s_waitcnt vmcnt(0) lgkmcnt(0)
	v_mul_f64 v[6:7], v[6:7], s[6:7]
.LBB142_176:
	v_add_f64 v[4:5], v[4:5], v[6:7]
	v_lshl_add_u64 v[6:7], v[74:75], 3, v[64:65]
	s_mov_b64 vcc, s[4:5]
	global_store_dwordx2 v[6:7], v[4:5], off
	s_cbranch_vccz .LBB142_179
; %bb.177:
	v_add_f64 v[4:5], v[2:3], 0
	v_lshl_add_u64 v[6:7], v[72:73], 3, v[64:65]
	s_mov_b64 s[0:1], 0
	global_store_dwordx2 v[6:7], v[4:5], off
	s_cbranch_execz .LBB142_180
; %bb.178:
	v_mov_b64_e32 v[2:3], s[0:1]
	v_add_f64 v[0:1], v[0:1], v[2:3]
	v_lshl_add_u64 v[2:3], v[70:71], 3, v[64:65]
	global_store_dwordx2 v[2:3], v[0:1], off
	s_endpgm
.LBB142_179:
	s_mov_b64 s[0:1], -1
.LBB142_180:
	v_lshl_add_u64 v[4:5], v[66:67], 0, v[68:69]
	flat_load_dwordx2 v[4:5], v[4:5]
	v_lshl_add_u64 v[6:7], v[64:65], 0, v[68:69]
	s_waitcnt vmcnt(0) lgkmcnt(0)
	v_fmac_f64_e32 v[2:3], s[6:7], v[4:5]
	global_store_dwordx2 v[6:7], v[2:3], off
	v_lshl_add_u64 v[2:3], v[70:71], 3, v[66:67]
	flat_load_dwordx2 v[2:3], v[2:3]
	s_waitcnt vmcnt(0) lgkmcnt(0)
	v_mul_f64 v[2:3], v[2:3], s[6:7]
	v_add_f64 v[0:1], v[0:1], v[2:3]
	v_lshl_add_u64 v[2:3], v[70:71], 3, v[64:65]
	global_store_dwordx2 v[2:3], v[0:1], off
	s_endpgm
	.section	.rodata,"a",@progbits
	.p2align	6, 0x0
	.amdhsa_kernel _ZN12_GLOBAL__N_120geam_min_plus_kernelIdddLi4ELi64ELi128ELi128ELi4ELi64ELi4ELi64ELi4ELc78ELc84ELb1ELb0ELb0EdKPKdKPdEEviiiT16_PT17_ilS8_ilS6_S8_ilPT18_ili26rocblas_geam_ex_operation_
		.amdhsa_group_segment_fixed_size 16384
		.amdhsa_private_segment_fixed_size 0
		.amdhsa_kernarg_size 136
		.amdhsa_user_sgpr_count 2
		.amdhsa_user_sgpr_dispatch_ptr 0
		.amdhsa_user_sgpr_queue_ptr 0
		.amdhsa_user_sgpr_kernarg_segment_ptr 1
		.amdhsa_user_sgpr_dispatch_id 0
		.amdhsa_user_sgpr_kernarg_preload_length 0
		.amdhsa_user_sgpr_kernarg_preload_offset 0
		.amdhsa_user_sgpr_private_segment_size 0
		.amdhsa_uses_dynamic_stack 0
		.amdhsa_enable_private_segment 0
		.amdhsa_system_sgpr_workgroup_id_x 1
		.amdhsa_system_sgpr_workgroup_id_y 0
		.amdhsa_system_sgpr_workgroup_id_z 1
		.amdhsa_system_sgpr_workgroup_info 0
		.amdhsa_system_vgpr_workitem_id 1
		.amdhsa_next_free_vgpr 252
		.amdhsa_next_free_sgpr 24
		.amdhsa_accum_offset 252
		.amdhsa_reserve_vcc 1
		.amdhsa_float_round_mode_32 0
		.amdhsa_float_round_mode_16_64 0
		.amdhsa_float_denorm_mode_32 3
		.amdhsa_float_denorm_mode_16_64 3
		.amdhsa_dx10_clamp 1
		.amdhsa_ieee_mode 1
		.amdhsa_fp16_overflow 0
		.amdhsa_tg_split 0
		.amdhsa_exception_fp_ieee_invalid_op 0
		.amdhsa_exception_fp_denorm_src 0
		.amdhsa_exception_fp_ieee_div_zero 0
		.amdhsa_exception_fp_ieee_overflow 0
		.amdhsa_exception_fp_ieee_underflow 0
		.amdhsa_exception_fp_ieee_inexact 0
		.amdhsa_exception_int_div_zero 0
	.end_amdhsa_kernel
	.section	.text._ZN12_GLOBAL__N_120geam_min_plus_kernelIdddLi4ELi64ELi128ELi128ELi4ELi64ELi4ELi64ELi4ELc78ELc84ELb1ELb0ELb0EdKPKdKPdEEviiiT16_PT17_ilS8_ilS6_S8_ilPT18_ili26rocblas_geam_ex_operation_,"axG",@progbits,_ZN12_GLOBAL__N_120geam_min_plus_kernelIdddLi4ELi64ELi128ELi128ELi4ELi64ELi4ELi64ELi4ELc78ELc84ELb1ELb0ELb0EdKPKdKPdEEviiiT16_PT17_ilS8_ilS6_S8_ilPT18_ili26rocblas_geam_ex_operation_,comdat
.Lfunc_end142:
	.size	_ZN12_GLOBAL__N_120geam_min_plus_kernelIdddLi4ELi64ELi128ELi128ELi4ELi64ELi4ELi64ELi4ELc78ELc84ELb1ELb0ELb0EdKPKdKPdEEviiiT16_PT17_ilS8_ilS6_S8_ilPT18_ili26rocblas_geam_ex_operation_, .Lfunc_end142-_ZN12_GLOBAL__N_120geam_min_plus_kernelIdddLi4ELi64ELi128ELi128ELi4ELi64ELi4ELi64ELi4ELc78ELc84ELb1ELb0ELb0EdKPKdKPdEEviiiT16_PT17_ilS8_ilS6_S8_ilPT18_ili26rocblas_geam_ex_operation_
                                        ; -- End function
	.section	.AMDGPU.csdata,"",@progbits
; Kernel info:
; codeLenInByte = 12696
; NumSgprs: 30
; NumVgprs: 252
; NumAgprs: 0
; TotalNumVgprs: 252
; ScratchSize: 0
; MemoryBound: 0
; FloatMode: 240
; IeeeMode: 1
; LDSByteSize: 16384 bytes/workgroup (compile time only)
; SGPRBlocks: 3
; VGPRBlocks: 31
; NumSGPRsForWavesPerEU: 30
; NumVGPRsForWavesPerEU: 252
; AccumOffset: 252
; Occupancy: 2
; WaveLimiterHint : 1
; COMPUTE_PGM_RSRC2:SCRATCH_EN: 0
; COMPUTE_PGM_RSRC2:USER_SGPR: 2
; COMPUTE_PGM_RSRC2:TRAP_HANDLER: 0
; COMPUTE_PGM_RSRC2:TGID_X_EN: 1
; COMPUTE_PGM_RSRC2:TGID_Y_EN: 0
; COMPUTE_PGM_RSRC2:TGID_Z_EN: 1
; COMPUTE_PGM_RSRC2:TIDIG_COMP_CNT: 1
; COMPUTE_PGM_RSRC3_GFX90A:ACCUM_OFFSET: 62
; COMPUTE_PGM_RSRC3_GFX90A:TG_SPLIT: 0
	.section	.text._ZN12_GLOBAL__N_120geam_min_plus_kernelIdddLi4ELi64ELi128ELi128ELi4ELi64ELi4ELi64ELi4ELc78ELc84ELb0ELb0ELb0EdKPKdKPdEEviiiT16_PT17_ilS8_ilS6_S8_ilPT18_ili26rocblas_geam_ex_operation_,"axG",@progbits,_ZN12_GLOBAL__N_120geam_min_plus_kernelIdddLi4ELi64ELi128ELi128ELi4ELi64ELi4ELi64ELi4ELc78ELc84ELb0ELb0ELb0EdKPKdKPdEEviiiT16_PT17_ilS8_ilS6_S8_ilPT18_ili26rocblas_geam_ex_operation_,comdat
	.globl	_ZN12_GLOBAL__N_120geam_min_plus_kernelIdddLi4ELi64ELi128ELi128ELi4ELi64ELi4ELi64ELi4ELc78ELc84ELb0ELb0ELb0EdKPKdKPdEEviiiT16_PT17_ilS8_ilS6_S8_ilPT18_ili26rocblas_geam_ex_operation_ ; -- Begin function _ZN12_GLOBAL__N_120geam_min_plus_kernelIdddLi4ELi64ELi128ELi128ELi4ELi64ELi4ELi64ELi4ELc78ELc84ELb0ELb0ELb0EdKPKdKPdEEviiiT16_PT17_ilS8_ilS6_S8_ilPT18_ili26rocblas_geam_ex_operation_
	.p2align	8
	.type	_ZN12_GLOBAL__N_120geam_min_plus_kernelIdddLi4ELi64ELi128ELi128ELi4ELi64ELi4ELi64ELi4ELc78ELc84ELb0ELb0ELb0EdKPKdKPdEEviiiT16_PT17_ilS8_ilS6_S8_ilPT18_ili26rocblas_geam_ex_operation_,@function
_ZN12_GLOBAL__N_120geam_min_plus_kernelIdddLi4ELi64ELi128ELi128ELi4ELi64ELi4ELi64ELi4ELc78ELc84ELb0ELb0ELb0EdKPKdKPdEEviiiT16_PT17_ilS8_ilS6_S8_ilPT18_ili26rocblas_geam_ex_operation_: ; @_ZN12_GLOBAL__N_120geam_min_plus_kernelIdddLi4ELi64ELi128ELi128ELi4ELi64ELi4ELi64ELi4ELc78ELc84ELb0ELb0ELb0EdKPKdKPdEEviiiT16_PT17_ilS8_ilS6_S8_ilPT18_ili26rocblas_geam_ex_operation_
; %bb.0:
	s_load_dwordx4 s[12:15], s[0:1], 0x10
	s_load_dwordx4 s[4:7], s[0:1], 0x28
	s_mov_b32 s24, s3
	s_mov_b64 s[20:21], 0
	s_waitcnt lgkmcnt(0)
	v_cmp_eq_f64_e64 s[16:17], s[12:13], 0
	s_and_b64 vcc, exec, s[16:17]
	s_cbranch_vccnz .LBB143_2
; %bb.1:
	s_mov_b32 s25, 0
	s_lshl_b64 s[8:9], s[24:25], 3
	s_add_u32 s8, s14, s8
	s_addc_u32 s9, s15, s9
	s_load_dwordx2 s[8:9], s[8:9], 0x0
	s_lshl_b64 s[4:5], s[4:5], 3
	s_waitcnt lgkmcnt(0)
	s_add_u32 s20, s8, s4
	s_addc_u32 s21, s9, s5
.LBB143_2:
	s_load_dwordx4 s[8:11], s[0:1], 0x40
	s_load_dwordx2 s[4:5], s[0:1], 0x50
	s_andn2_b64 vcc, exec, s[16:17]
	s_cbranch_vccnz .LBB143_4
; %bb.3:
	s_mov_b32 s25, 0
	s_mov_b64 s[22:23], 0
	s_cbranch_execz .LBB143_5
	s_branch .LBB143_6
.LBB143_4:
                                        ; implicit-def: $sgpr22_sgpr23
.LBB143_5:
	s_mov_b32 s25, 0
	s_lshl_b64 s[14:15], s[24:25], 3
	s_add_u32 s6, s6, s14
	s_addc_u32 s7, s7, s15
	s_load_dwordx2 s[6:7], s[6:7], 0x0
	s_waitcnt lgkmcnt(0)
	s_lshl_b64 s[8:9], s[8:9], 3
	s_add_u32 s22, s6, s8
	s_addc_u32 s23, s7, s9
.LBB143_6:
	s_load_dwordx4 s[16:19], s[0:1], 0x60
	s_waitcnt lgkmcnt(0)
	v_cmp_eq_f64_e64 s[6:7], s[10:11], 0
	s_and_b64 s[6:7], exec, s[6:7]
	v_cmp_neq_f64_e64 s[26:27], s[12:13], 0
	s_mov_b64 s[8:9], 0
	s_mov_b64 vcc, s[6:7]
	s_cbranch_vccnz .LBB143_8
; %bb.7:
	s_lshl_b64 s[8:9], s[24:25], 3
	s_add_u32 s4, s4, s8
	s_addc_u32 s5, s5, s9
	s_load_dwordx2 s[4:5], s[4:5], 0x0
	s_lshl_b64 s[8:9], s[16:17], 3
	s_waitcnt lgkmcnt(0)
	s_add_u32 s8, s4, s8
	s_addc_u32 s9, s5, s9
.LBB143_8:
	s_load_dword s28, s[0:1], 0x20
	s_load_dword s3, s[0:1], 0x0
	s_lshl_b64 s[4:5], s[24:25], 3
	v_and_b32_e32 v140, 0x3ff, v0
	v_bfe_u32 v141, v0, 10, 10
	s_waitcnt lgkmcnt(0)
	s_ashr_i32 s24, s28, 31
	s_add_u32 s4, s18, s4
	s_addc_u32 s5, s19, s5
	s_add_i32 s3, s3, -1
	s_ashr_i32 s14, s3, 31
	s_lshr_b32 s14, s14, 25
	s_add_i32 s3, s3, s14
	s_ashr_i32 s3, s3, 7
	s_add_i32 s16, s3, 1
	v_cvt_f32_u32_e32 v1, s16
	s_load_dwordx2 s[14:15], s[4:5], 0x0
	s_not_b32 s3, s3
	v_lshl_add_u32 v2, v141, 2, v140
	v_rcp_iflag_f32_e32 v0, v1
	v_and_b32_e32 v148, 63, v2
	v_cndmask_b32_e64 v1, 0, 1, s[26:27]
	v_lshrrev_b32_e32 v142, 6, v2
	v_mul_f32_e32 v0, 0x4f7ffffe, v0
	v_cvt_u32_f32_e32 v0, v0
	s_nop 0
	v_readfirstlane_b32 s4, v0
	s_mul_i32 s3, s3, s4
	s_mul_hi_u32 s3, s4, s3
	s_add_i32 s4, s4, s3
	s_mul_hi_u32 s3, s2, s4
	s_mul_i32 s4, s3, s16
	s_sub_i32 s4, s2, s4
	s_add_i32 s5, s3, 1
	s_sub_i32 s17, s4, s16
	s_cmp_ge_u32 s4, s16
	s_cselect_b32 s3, s5, s3
	s_cselect_b32 s4, s17, s4
	s_add_i32 s5, s3, 1
	s_cmp_ge_u32 s4, s16
	s_cselect_b32 s3, s5, s3
	s_mul_i32 s4, s3, s16
	s_sub_i32 s2, s2, s4
	s_lshl_b32 s16, s2, 7
	v_or_b32_e32 v128, s16, v148
	v_cmp_ne_u32_e64 s[4:5], 1, v1
	s_andn2_b64 vcc, exec, s[26:27]
	v_ashrrev_i32_e32 v129, 31, v128
	s_cbranch_vccnz .LBB143_10
; %bb.9:
	v_mad_i64_i32 v[0:1], s[18:19], s28, v142, 0
	v_lshl_add_u64 v[0:1], v[0:1], 3, s[20:21]
	v_lshl_add_u64 v[0:1], v[128:129], 3, v[0:1]
	flat_load_dwordx2 v[2:3], v[0:1]
	flat_load_dwordx2 v[4:5], v[0:1] offset:512
	s_waitcnt vmcnt(0) lgkmcnt(0)
	v_mul_f64 v[0:1], v[2:3], s[12:13]
	v_mul_f64 v[2:3], v[4:5], s[12:13]
	s_branch .LBB143_11
.LBB143_10:
	v_mov_b64_e32 v[0:1], 0
	v_mov_b64_e32 v[2:3], 0
.LBB143_11:
	s_load_dword s18, s[0:1], 0x38
	s_lshl_b32 s17, s3, 7
	v_or_b32_e32 v130, s17, v148
	s_and_b64 vcc, exec, s[4:5]
	v_ashrrev_i32_e32 v131, 31, v130
	s_waitcnt lgkmcnt(0)
	s_ashr_i32 s19, s18, 31
	s_cbranch_vccnz .LBB143_15
; %bb.12:
	v_mad_i64_i32 v[4:5], s[2:3], s18, v142, 0
	v_lshl_add_u64 v[4:5], v[4:5], 3, s[22:23]
	v_lshl_add_u64 v[4:5], v[130:131], 3, v[4:5]
	flat_load_dwordx2 v[6:7], v[4:5]
	flat_load_dwordx2 v[8:9], v[4:5] offset:512
	s_waitcnt vmcnt(0) lgkmcnt(0)
	v_mul_f64 v[4:5], v[6:7], s[12:13]
	v_mul_f64 v[6:7], v[8:9], s[12:13]
	s_and_b64 vcc, exec, s[4:5]
	v_add_u32_e32 v143, 4, v142
	s_cbranch_vccnz .LBB143_16
.LBB143_13:
	v_mad_i64_i32 v[8:9], s[2:3], s28, v143, 0
	v_lshl_add_u64 v[8:9], v[8:9], 3, s[20:21]
	v_lshl_add_u64 v[8:9], v[128:129], 3, v[8:9]
	flat_load_dwordx2 v[10:11], v[8:9]
	flat_load_dwordx2 v[12:13], v[8:9] offset:512
	s_waitcnt vmcnt(0) lgkmcnt(0)
	v_mul_f64 v[132:133], v[10:11], s[12:13]
	v_mul_f64 v[134:135], v[12:13], s[12:13]
	s_and_b64 vcc, exec, s[4:5]
	s_cbranch_vccnz .LBB143_17
.LBB143_14:
	v_mad_i64_i32 v[8:9], s[2:3], s18, v143, 0
	v_lshl_add_u64 v[8:9], v[8:9], 3, s[22:23]
	v_lshl_add_u64 v[8:9], v[130:131], 3, v[8:9]
	flat_load_dwordx2 v[10:11], v[8:9]
	flat_load_dwordx2 v[12:13], v[8:9] offset:512
	s_waitcnt vmcnt(0) lgkmcnt(0)
	v_mul_f64 v[136:137], v[10:11], s[12:13]
	v_mul_f64 v[138:139], v[12:13], s[12:13]
	s_branch .LBB143_18
.LBB143_15:
	v_mov_b64_e32 v[4:5], 0
	v_mov_b64_e32 v[6:7], 0
	s_and_b64 vcc, exec, s[4:5]
	v_add_u32_e32 v143, 4, v142
	s_cbranch_vccz .LBB143_13
.LBB143_16:
	v_mov_b64_e32 v[132:133], 0
	v_mov_b64_e32 v[134:135], 0
	s_and_b64 vcc, exec, s[4:5]
	s_cbranch_vccz .LBB143_14
.LBB143_17:
	v_mov_b64_e32 v[136:137], 0
	v_mov_b64_e32 v[138:139], 0
.LBB143_18:
	v_lshlrev_b32_e32 v8, 3, v142
	v_lshl_add_u32 v144, v148, 5, v8
	v_lshlrev_b32_e32 v152, 5, v141
	ds_write2st64_b64 v144, v[0:1], v[2:3] offset1:4
	v_or_b32_e32 v145, 0x2000, v144
	ds_write2st64_b64 v144, v[4:5], v[6:7] offset0:16 offset1:20
	v_lshlrev_b32_e32 v146, 5, v140
	v_add_u32_e32 v147, 0x2000, v152
	s_mov_b32 s2, 0
	v_mov_b64_e32 v[126:127], 0
	v_mov_b64_e32 v[124:125], 0
	;; [unrolled: 1-line block ×64, first 2 shown]
	s_waitcnt lgkmcnt(0)
	s_barrier
.LBB143_19:                             ; =>This Inner Loop Header: Depth=1
	v_add_u32_e32 v149, s2, v146
	v_add_u32_e32 v150, s2, v147
	ds_read2_b64 v[154:157], v149 offset1:16
	ds_read2_b64 v[158:161], v149 offset0:32 offset1:48
	ds_read2_b64 v[162:165], v149 offset0:64 offset1:80
	ds_read2_b64 v[166:169], v149 offset0:96 offset1:112
	ds_read2_b64 v[170:173], v149 offset0:128 offset1:144
	ds_read2_b64 v[174:177], v149 offset0:160 offset1:176
	ds_read2_b64 v[178:181], v149 offset0:192 offset1:208
	ds_read2_b64 v[182:185], v149 offset0:224 offset1:240
	ds_read2st64_b64 v[186:189], v150 offset1:4
	v_add_u32_e32 v149, 0x800, v149
	ds_read2_b64 v[190:193], v149 offset1:16
	ds_read2_b64 v[194:197], v149 offset0:32 offset1:48
	ds_read2_b64 v[198:201], v149 offset0:64 offset1:80
	;; [unrolled: 1-line block ×7, first 2 shown]
	s_waitcnt lgkmcnt(14)
	v_max_f64 v[150:151], v[154:155], v[154:155]
	v_max_f64 v[154:155], v[156:157], v[156:157]
	;; [unrolled: 1-line block ×6, first 2 shown]
	s_waitcnt lgkmcnt(13)
	v_max_f64 v[164:165], v[166:167], v[166:167]
	v_max_f64 v[166:167], v[168:169], v[168:169]
	s_waitcnt lgkmcnt(12)
	v_max_f64 v[168:169], v[170:171], v[170:171]
	v_max_f64 v[170:171], v[172:173], v[172:173]
	;; [unrolled: 3-line block ×14, first 2 shown]
	v_min_f64 v[220:221], v[150:151], v[184:185]
	v_min_f64 v[222:223], v[154:155], v[184:185]
	;; [unrolled: 1-line block ×32, first 2 shown]
	s_add_i32 s2, s2, 8
	v_add_f64 v[62:63], v[150:151], v[62:63]
	v_add_f64 v[60:61], v[154:155], v[60:61]
	;; [unrolled: 1-line block ×16, first 2 shown]
	v_min_f64 v[150:151], v[188:189], v[184:185]
	v_min_f64 v[154:155], v[190:191], v[184:185]
	;; [unrolled: 1-line block ×32, first 2 shown]
	s_cmp_eq_u32 s2, 32
	v_add_f64 v[126:127], v[220:221], v[126:127]
	v_add_f64 v[124:125], v[222:223], v[124:125]
	;; [unrolled: 1-line block ×48, first 2 shown]
	s_cbranch_scc0 .LBB143_19
; %bb.20:
	s_load_dword s25, s[0:1], 0x8
	v_lshlrev_b32_e32 v148, 5, v148
	v_lshl_add_u32 v151, v142, 3, v148
	ds_write2st64_b64 v151, v[132:133], v[134:135] offset0:8 offset1:12
	ds_write2st64_b64 v151, v[136:137], v[138:139] offset0:24 offset1:28
	s_waitcnt lgkmcnt(0)
	s_cmp_gt_i32 s25, 8
	s_barrier
	s_cbranch_scc1 .LBB143_22
; %bb.21:
	v_add_u32_e32 v148, 0x1000, v146
	v_add_u32_e32 v149, 0x3000, v152
	s_cbranch_execz .LBB143_23
	s_branch .LBB143_39
.LBB143_22:
                                        ; implicit-def: $vgpr148
                                        ; implicit-def: $vgpr149
.LBB143_23:
	v_or_b32_e32 v150, 0x1000, v151
	v_or_b32_e32 v151, 0x3000, v151
	s_add_i32 s2, s25, -8
	v_lshl_add_u64 v[128:129], v[128:129], 3, s[20:21]
	v_lshl_add_u64 v[130:131], v[130:131], 3, s[22:23]
	v_add_u32_e32 v148, 0x1000, v146
	v_add_u32_e32 v149, 0x3000, v152
	s_mov_b32 s3, 8
	s_mov_b32 s20, 0
.LBB143_24:                             ; =>This Loop Header: Depth=1
                                        ;     Child Loop BB143_30 Depth 2
                                        ;     Child Loop BB143_37 Depth 2
	s_and_b64 vcc, exec, s[4:5]
	v_add_u32_e32 v136, s3, v142
	s_cbranch_vccnz .LBB143_27
; %bb.25:                               ;   in Loop: Header=BB143_24 Depth=1
	v_mad_u64_u32 v[132:133], s[22:23], v136, s28, 0
	v_mov_b32_e32 v134, v133
	v_mad_u64_u32 v[134:135], s[22:23], v136, s24, v[134:135]
	v_mov_b32_e32 v133, v134
	v_lshl_add_u64 v[132:133], v[132:133], 3, v[128:129]
	flat_load_dwordx2 v[134:135], v[132:133]
	flat_load_dwordx2 v[138:139], v[132:133] offset:512
	s_waitcnt vmcnt(0) lgkmcnt(0)
	v_mul_f64 v[132:133], v[134:135], s[12:13]
	v_mul_f64 v[134:135], v[138:139], s[12:13]
	s_and_b64 vcc, exec, s[4:5]
	s_cbranch_vccnz .LBB143_28
.LBB143_26:                             ;   in Loop: Header=BB143_24 Depth=1
	v_mad_u64_u32 v[138:139], s[22:23], v136, s18, 0
	v_mov_b32_e32 v152, v139
	v_mad_u64_u32 v[136:137], s[22:23], v136, s19, v[152:153]
	v_mov_b32_e32 v139, v136
	v_lshl_add_u64 v[136:137], v[138:139], 3, v[130:131]
	flat_load_dwordx2 v[138:139], v[136:137]
	flat_load_dwordx2 v[152:153], v[136:137] offset:512
	s_waitcnt vmcnt(0) lgkmcnt(0)
	v_mul_f64 v[136:137], v[138:139], s[12:13]
	v_mul_f64 v[138:139], v[152:153], s[12:13]
	s_branch .LBB143_29
.LBB143_27:                             ;   in Loop: Header=BB143_24 Depth=1
	v_mov_b64_e32 v[132:133], 0
	v_mov_b64_e32 v[134:135], 0
	s_and_b64 vcc, exec, s[4:5]
	s_cbranch_vccz .LBB143_26
.LBB143_28:                             ;   in Loop: Header=BB143_24 Depth=1
	v_mov_b64_e32 v[136:137], 0
	v_mov_b64_e32 v[138:139], 0
.LBB143_29:                             ;   in Loop: Header=BB143_24 Depth=1
	s_mov_b32 s21, 0
.LBB143_30:                             ;   Parent Loop BB143_24 Depth=1
                                        ; =>  This Inner Loop Header: Depth=2
	v_add_u32_e32 v184, s21, v148
	v_add_u32_e32 v185, s21, v149
	ds_read2_b64 v[152:155], v184 offset1:16
	ds_read2_b64 v[156:159], v184 offset0:32 offset1:48
	ds_read2_b64 v[160:163], v184 offset0:64 offset1:80
	ds_read2_b64 v[164:167], v184 offset0:96 offset1:112
	ds_read2_b64 v[168:171], v184 offset0:128 offset1:144
	ds_read2_b64 v[172:175], v184 offset0:160 offset1:176
	ds_read2_b64 v[176:179], v184 offset0:192 offset1:208
	ds_read2_b64 v[180:183], v184 offset0:224 offset1:240
	v_add_u32_e32 v216, 0x800, v184
	ds_read2st64_b64 v[184:187], v185 offset1:4
	ds_read2_b64 v[188:191], v216 offset1:16
	ds_read2_b64 v[192:195], v216 offset0:32 offset1:48
	ds_read2_b64 v[196:199], v216 offset0:64 offset1:80
	;; [unrolled: 1-line block ×7, first 2 shown]
	s_waitcnt lgkmcnt(14)
	v_max_f64 v[152:153], v[152:153], v[152:153]
	v_max_f64 v[154:155], v[154:155], v[154:155]
	;; [unrolled: 1-line block ×3, first 2 shown]
	s_waitcnt lgkmcnt(8)
	v_max_f64 v[184:185], v[184:185], v[184:185]
	v_max_f64 v[158:159], v[158:159], v[158:159]
	;; [unrolled: 1-line block ×15, first 2 shown]
	v_min_f64 v[220:221], v[152:153], v[184:185]
	v_min_f64 v[222:223], v[154:155], v[184:185]
	;; [unrolled: 1-line block ×16, first 2 shown]
	s_waitcnt lgkmcnt(7)
	v_max_f64 v[188:189], v[188:189], v[188:189]
	v_max_f64 v[190:191], v[190:191], v[190:191]
	s_waitcnt lgkmcnt(6)
	v_max_f64 v[192:193], v[192:193], v[192:193]
	v_max_f64 v[194:195], v[194:195], v[194:195]
	;; [unrolled: 3-line block ×8, first 2 shown]
	v_min_f64 v[152:153], v[152:153], v[186:187]
	v_min_f64 v[154:155], v[154:155], v[186:187]
	;; [unrolled: 1-line block ×16, first 2 shown]
	s_add_i32 s21, s21, 8
	v_add_f64 v[126:127], v[220:221], v[126:127]
	v_add_f64 v[124:125], v[222:223], v[124:125]
	;; [unrolled: 1-line block ×15, first 2 shown]
	v_min_f64 v[220:221], v[188:189], v[184:185]
	v_min_f64 v[222:223], v[190:191], v[184:185]
	;; [unrolled: 1-line block ×16, first 2 shown]
	v_add_f64 v[62:63], v[152:153], v[62:63]
	v_add_f64 v[60:61], v[154:155], v[60:61]
	;; [unrolled: 1-line block ×16, first 2 shown]
	v_min_f64 v[152:153], v[188:189], v[186:187]
	v_min_f64 v[154:155], v[190:191], v[186:187]
	;; [unrolled: 1-line block ×16, first 2 shown]
	s_cmp_eq_u32 s21, 32
	v_add_f64 v[96:97], v[250:251], v[96:97]
	v_add_f64 v[94:95], v[220:221], v[94:95]
	;; [unrolled: 1-line block ×33, first 2 shown]
	s_cbranch_scc0 .LBB143_30
; %bb.31:                               ;   in Loop: Header=BB143_24 Depth=1
	ds_write2st64_b64 v144, v[132:133], v[134:135] offset1:4
	ds_write2st64_b64 v145, v[136:137], v[138:139] offset1:4
	s_and_b64 vcc, exec, s[4:5]
	v_add_u32_e32 v136, s3, v143
	s_waitcnt lgkmcnt(0)
	s_barrier
	s_cbranch_vccnz .LBB143_34
; %bb.32:                               ;   in Loop: Header=BB143_24 Depth=1
	v_mad_u64_u32 v[132:133], s[22:23], v136, s28, 0
	v_mov_b32_e32 v134, v133
	v_mad_u64_u32 v[134:135], s[22:23], v136, s24, v[134:135]
	v_mov_b32_e32 v133, v134
	v_lshl_add_u64 v[132:133], v[132:133], 3, v[128:129]
	flat_load_dwordx2 v[134:135], v[132:133]
	flat_load_dwordx2 v[138:139], v[132:133] offset:512
	s_waitcnt vmcnt(0) lgkmcnt(0)
	v_mul_f64 v[132:133], v[134:135], s[12:13]
	v_mul_f64 v[134:135], v[138:139], s[12:13]
	s_and_b64 vcc, exec, s[4:5]
	s_cbranch_vccnz .LBB143_35
.LBB143_33:                             ;   in Loop: Header=BB143_24 Depth=1
	v_mad_u64_u32 v[138:139], s[22:23], v136, s18, 0
	v_mov_b32_e32 v152, v139
	v_mad_u64_u32 v[136:137], s[22:23], v136, s19, v[152:153]
	v_mov_b32_e32 v139, v136
	v_lshl_add_u64 v[136:137], v[138:139], 3, v[130:131]
	flat_load_dwordx2 v[138:139], v[136:137]
	flat_load_dwordx2 v[152:153], v[136:137] offset:512
	s_waitcnt vmcnt(0) lgkmcnt(0)
	v_mul_f64 v[136:137], v[138:139], s[12:13]
	v_mul_f64 v[138:139], v[152:153], s[12:13]
	s_branch .LBB143_36
.LBB143_34:                             ;   in Loop: Header=BB143_24 Depth=1
	v_mov_b64_e32 v[132:133], 0
	v_mov_b64_e32 v[134:135], 0
	s_and_b64 vcc, exec, s[4:5]
	s_cbranch_vccz .LBB143_33
.LBB143_35:                             ;   in Loop: Header=BB143_24 Depth=1
	v_mov_b64_e32 v[136:137], 0
	v_mov_b64_e32 v[138:139], 0
.LBB143_36:                             ;   in Loop: Header=BB143_24 Depth=1
	s_mov_b32 s21, 0
.LBB143_37:                             ;   Parent Loop BB143_24 Depth=1
                                        ; =>  This Inner Loop Header: Depth=2
	v_add_u32_e32 v184, s21, v146
	v_add_u32_e32 v185, s21, v147
	ds_read2_b64 v[152:155], v184 offset1:16
	ds_read2_b64 v[156:159], v184 offset0:32 offset1:48
	ds_read2_b64 v[160:163], v184 offset0:64 offset1:80
	;; [unrolled: 1-line block ×7, first 2 shown]
	v_add_u32_e32 v216, 0x800, v184
	ds_read2st64_b64 v[184:187], v185 offset1:4
	ds_read2_b64 v[188:191], v216 offset1:16
	ds_read2_b64 v[192:195], v216 offset0:32 offset1:48
	ds_read2_b64 v[196:199], v216 offset0:64 offset1:80
	;; [unrolled: 1-line block ×7, first 2 shown]
	s_waitcnt lgkmcnt(14)
	v_max_f64 v[152:153], v[152:153], v[152:153]
	v_max_f64 v[154:155], v[154:155], v[154:155]
	;; [unrolled: 1-line block ×3, first 2 shown]
	s_waitcnt lgkmcnt(8)
	v_max_f64 v[184:185], v[184:185], v[184:185]
	v_max_f64 v[158:159], v[158:159], v[158:159]
	;; [unrolled: 1-line block ×15, first 2 shown]
	v_min_f64 v[220:221], v[152:153], v[184:185]
	v_min_f64 v[222:223], v[154:155], v[184:185]
	;; [unrolled: 1-line block ×16, first 2 shown]
	s_waitcnt lgkmcnt(7)
	v_max_f64 v[188:189], v[188:189], v[188:189]
	v_max_f64 v[190:191], v[190:191], v[190:191]
	s_waitcnt lgkmcnt(6)
	v_max_f64 v[192:193], v[192:193], v[192:193]
	v_max_f64 v[194:195], v[194:195], v[194:195]
	;; [unrolled: 3-line block ×8, first 2 shown]
	v_min_f64 v[152:153], v[152:153], v[186:187]
	v_min_f64 v[154:155], v[154:155], v[186:187]
	;; [unrolled: 1-line block ×16, first 2 shown]
	s_add_i32 s21, s21, 8
	v_add_f64 v[126:127], v[220:221], v[126:127]
	v_add_f64 v[124:125], v[222:223], v[124:125]
	;; [unrolled: 1-line block ×15, first 2 shown]
	v_min_f64 v[220:221], v[188:189], v[184:185]
	v_min_f64 v[222:223], v[190:191], v[184:185]
	;; [unrolled: 1-line block ×16, first 2 shown]
	v_add_f64 v[62:63], v[152:153], v[62:63]
	v_add_f64 v[60:61], v[154:155], v[60:61]
	;; [unrolled: 1-line block ×16, first 2 shown]
	v_min_f64 v[152:153], v[188:189], v[186:187]
	v_min_f64 v[154:155], v[190:191], v[186:187]
	;; [unrolled: 1-line block ×16, first 2 shown]
	s_cmp_eq_u32 s21, 32
	v_add_f64 v[96:97], v[250:251], v[96:97]
	v_add_f64 v[94:95], v[220:221], v[94:95]
	;; [unrolled: 1-line block ×33, first 2 shown]
	s_cbranch_scc0 .LBB143_37
; %bb.38:                               ;   in Loop: Header=BB143_24 Depth=1
	s_add_i32 s3, s3, 8
	s_add_i32 s20, s20, 8
	s_cmp_ge_i32 s20, s2
	ds_write2st64_b64 v150, v[132:133], v[134:135] offset1:4
	ds_write2st64_b64 v151, v[136:137], v[138:139] offset1:4
	s_waitcnt lgkmcnt(0)
	s_barrier
	s_cbranch_scc0 .LBB143_24
.LBB143_39:
	s_mov_b32 s2, 0
.LBB143_40:                             ; =>This Inner Loop Header: Depth=1
	v_add_u32_e32 v146, s2, v148
	v_add_u32_e32 v147, s2, v149
	ds_read2_b64 v[128:131], v146 offset1:16
	ds_read2_b64 v[132:135], v146 offset0:32 offset1:48
	ds_read2_b64 v[136:139], v146 offset0:64 offset1:80
	;; [unrolled: 1-line block ×7, first 2 shown]
	v_add_u32_e32 v146, 0x800, v146
	ds_read2st64_b64 v[166:169], v147 offset1:4
	ds_read2_b64 v[170:173], v146 offset1:16
	ds_read2_b64 v[174:177], v146 offset0:32 offset1:48
	ds_read2_b64 v[178:181], v146 offset0:64 offset1:80
	;; [unrolled: 1-line block ×7, first 2 shown]
	s_waitcnt lgkmcnt(14)
	v_max_f64 v[128:129], v[128:129], v[128:129]
	v_max_f64 v[130:131], v[130:131], v[130:131]
	;; [unrolled: 1-line block ×3, first 2 shown]
	s_waitcnt lgkmcnt(8)
	v_max_f64 v[146:147], v[166:167], v[166:167]
	v_max_f64 v[134:135], v[134:135], v[134:135]
	;; [unrolled: 1-line block ×15, first 2 shown]
	v_min_f64 v[168:169], v[128:129], v[146:147]
	v_min_f64 v[202:203], v[130:131], v[146:147]
	;; [unrolled: 1-line block ×16, first 2 shown]
	s_waitcnt lgkmcnt(7)
	v_max_f64 v[170:171], v[170:171], v[170:171]
	v_max_f64 v[172:173], v[172:173], v[172:173]
	s_waitcnt lgkmcnt(6)
	v_max_f64 v[174:175], v[174:175], v[174:175]
	v_max_f64 v[176:177], v[176:177], v[176:177]
	;; [unrolled: 3-line block ×8, first 2 shown]
	v_min_f64 v[128:129], v[128:129], v[166:167]
	v_min_f64 v[130:131], v[130:131], v[166:167]
	v_min_f64 v[132:133], v[132:133], v[166:167]
	v_min_f64 v[134:135], v[134:135], v[166:167]
	v_min_f64 v[136:137], v[136:137], v[166:167]
	v_min_f64 v[138:139], v[138:139], v[166:167]
	v_min_f64 v[142:143], v[142:143], v[166:167]
	v_min_f64 v[144:145], v[144:145], v[166:167]
	v_min_f64 v[150:151], v[150:151], v[166:167]
	v_min_f64 v[152:153], v[152:153], v[166:167]
	v_min_f64 v[154:155], v[154:155], v[166:167]
	v_min_f64 v[156:157], v[156:157], v[166:167]
	v_min_f64 v[158:159], v[158:159], v[166:167]
	v_min_f64 v[160:161], v[160:161], v[166:167]
	v_min_f64 v[162:163], v[162:163], v[166:167]
	v_min_f64 v[164:165], v[164:165], v[166:167]
	s_add_i32 s2, s2, 8
	v_add_f64 v[126:127], v[168:169], v[126:127]
	v_add_f64 v[124:125], v[202:203], v[124:125]
	v_add_f64 v[122:123], v[204:205], v[122:123]
	v_add_f64 v[120:121], v[206:207], v[120:121]
	v_add_f64 v[118:119], v[208:209], v[118:119]
	v_add_f64 v[116:117], v[210:211], v[116:117]
	v_add_f64 v[114:115], v[212:213], v[114:115]
	v_add_f64 v[112:113], v[214:215], v[112:113]
	v_add_f64 v[110:111], v[216:217], v[110:111]
	v_add_f64 v[108:109], v[218:219], v[108:109]
	v_add_f64 v[106:107], v[220:221], v[106:107]
	v_add_f64 v[104:105], v[222:223], v[104:105]
	v_add_f64 v[102:103], v[224:225], v[102:103]
	v_add_f64 v[100:101], v[226:227], v[100:101]
	v_add_f64 v[98:99], v[228:229], v[98:99]
	v_min_f64 v[168:169], v[170:171], v[146:147]
	v_min_f64 v[202:203], v[172:173], v[146:147]
	;; [unrolled: 1-line block ×16, first 2 shown]
	v_add_f64 v[62:63], v[128:129], v[62:63]
	v_add_f64 v[60:61], v[130:131], v[60:61]
	;; [unrolled: 1-line block ×16, first 2 shown]
	v_min_f64 v[128:129], v[170:171], v[166:167]
	v_min_f64 v[130:131], v[172:173], v[166:167]
	;; [unrolled: 1-line block ×16, first 2 shown]
	s_cmp_eq_u32 s2, 32
	v_add_f64 v[96:97], v[230:231], v[96:97]
	v_add_f64 v[94:95], v[168:169], v[94:95]
	;; [unrolled: 1-line block ×33, first 2 shown]
	s_cbranch_scc0 .LBB143_40
; %bb.41:
	s_load_dwordx2 s[2:3], s[0:1], 0x78
	s_load_dword s4, s[0:1], 0x58
	s_load_dword s5, s[0:1], 0x70
	v_add_u32_e32 v130, s16, v140
	v_add_u32_e32 v170, s17, v141
	s_waitcnt lgkmcnt(0)
	s_lshl_b64 s[0:1], s[2:3], 3
	s_add_u32 s0, s14, s0
	s_addc_u32 s1, s15, s1
	v_add_u32_e32 v128, 4, v130
	v_mad_i64_i32 v[132:133], s[2:3], v170, s5, 0
	v_ashrrev_i32_e32 v131, 31, v130
	v_ashrrev_i32_e32 v129, 31, v128
	v_lshl_add_u64 v[138:139], v[132:133], 3, s[0:1]
	v_mad_i64_i32 v[132:133], s[2:3], v170, s4, 0
	s_mov_b64 vcc, s[6:7]
	s_cbranch_vccz .LBB143_44
; %bb.42:
	v_add_f64 v[134:135], v[126:127], 0
	v_lshl_add_u64 v[136:137], v[130:131], 3, v[138:139]
	s_mov_b64 s[2:3], 0
	global_store_dwordx2 v[136:137], v[134:135], off
	v_lshl_add_u64 v[146:147], v[132:133], 3, s[8:9]
	v_lshlrev_b64 v[134:135], 3, v[130:131]
	s_cbranch_execz .LBB143_45
; %bb.43:
	v_mov_b64_e32 v[136:137], s[2:3]
	s_branch .LBB143_46
.LBB143_44:
	s_mov_b64 s[2:3], -1
	v_lshl_add_u64 v[146:147], v[132:133], 3, s[8:9]
	v_lshlrev_b64 v[134:135], 3, v[130:131]
.LBB143_45:
	v_lshl_add_u64 v[132:133], v[146:147], 0, v[134:135]
	flat_load_dwordx2 v[132:133], v[132:133]
	v_lshl_add_u64 v[136:137], v[138:139], 0, v[134:135]
	s_waitcnt vmcnt(0) lgkmcnt(0)
	v_fmac_f64_e32 v[126:127], s[10:11], v[132:133]
	global_store_dwordx2 v[136:137], v[126:127], off
	v_lshl_add_u64 v[126:127], v[128:129], 3, v[146:147]
	flat_load_dwordx2 v[126:127], v[126:127]
	s_waitcnt vmcnt(0) lgkmcnt(0)
	v_mul_f64 v[136:137], v[126:127], s[10:11]
.LBB143_46:
	v_add_u32_e32 v132, 8, v130
	v_add_u32_e32 v126, 12, v130
	v_ashrrev_i32_e32 v133, 31, v132
	v_ashrrev_i32_e32 v127, 31, v126
	v_add_f64 v[124:125], v[124:125], v[136:137]
	v_lshl_add_u64 v[136:137], v[128:129], 3, v[138:139]
	s_mov_b64 vcc, s[6:7]
	global_store_dwordx2 v[136:137], v[124:125], off
	s_cbranch_vccz .LBB143_49
; %bb.47:
	v_add_f64 v[124:125], v[122:123], 0
	v_lshl_add_u64 v[136:137], v[132:133], 3, v[138:139]
	s_mov_b64 s[2:3], 0
	global_store_dwordx2 v[136:137], v[124:125], off
	v_lshlrev_b64 v[136:137], 3, v[132:133]
	s_cbranch_execz .LBB143_50
; %bb.48:
	v_mov_b64_e32 v[140:141], s[2:3]
	s_branch .LBB143_51
.LBB143_49:
	s_mov_b64 s[2:3], -1
	v_lshlrev_b64 v[136:137], 3, v[132:133]
.LBB143_50:
	v_lshl_add_u64 v[124:125], v[146:147], 0, v[136:137]
	flat_load_dwordx2 v[124:125], v[124:125]
	v_lshl_add_u64 v[140:141], v[138:139], 0, v[136:137]
	s_waitcnt vmcnt(0) lgkmcnt(0)
	v_fmac_f64_e32 v[122:123], s[10:11], v[124:125]
	global_store_dwordx2 v[140:141], v[122:123], off
	v_lshl_add_u64 v[122:123], v[126:127], 3, v[146:147]
	flat_load_dwordx2 v[122:123], v[122:123]
	s_waitcnt vmcnt(0) lgkmcnt(0)
	v_mul_f64 v[140:141], v[122:123], s[10:11]
.LBB143_51:
	v_add_u32_e32 v124, 16, v130
	v_add_u32_e32 v122, 20, v130
	v_ashrrev_i32_e32 v125, 31, v124
	v_ashrrev_i32_e32 v123, 31, v122
	v_add_f64 v[120:121], v[120:121], v[140:141]
	v_lshl_add_u64 v[140:141], v[126:127], 3, v[138:139]
	s_mov_b64 vcc, s[6:7]
	global_store_dwordx2 v[140:141], v[120:121], off
	s_cbranch_vccz .LBB143_54
; %bb.52:
	v_add_f64 v[120:121], v[118:119], 0
	v_lshl_add_u64 v[140:141], v[124:125], 3, v[138:139]
	s_mov_b64 s[2:3], 0
	global_store_dwordx2 v[140:141], v[120:121], off
	v_lshlrev_b64 v[140:141], 3, v[124:125]
	s_cbranch_execz .LBB143_55
; %bb.53:
	v_mov_b64_e32 v[142:143], s[2:3]
	s_branch .LBB143_56
.LBB143_54:
	s_mov_b64 s[2:3], -1
	v_lshlrev_b64 v[140:141], 3, v[124:125]
.LBB143_55:
	v_lshl_add_u64 v[120:121], v[146:147], 0, v[140:141]
	flat_load_dwordx2 v[120:121], v[120:121]
	v_lshl_add_u64 v[142:143], v[138:139], 0, v[140:141]
	s_waitcnt vmcnt(0) lgkmcnt(0)
	v_fmac_f64_e32 v[118:119], s[10:11], v[120:121]
	global_store_dwordx2 v[142:143], v[118:119], off
	v_lshl_add_u64 v[118:119], v[122:123], 3, v[146:147]
	flat_load_dwordx2 v[118:119], v[118:119]
	s_waitcnt vmcnt(0) lgkmcnt(0)
	v_mul_f64 v[142:143], v[118:119], s[10:11]
.LBB143_56:
	v_add_u32_e32 v120, 24, v130
	v_add_u32_e32 v118, 28, v130
	v_ashrrev_i32_e32 v121, 31, v120
	v_ashrrev_i32_e32 v119, 31, v118
	v_add_f64 v[116:117], v[116:117], v[142:143]
	v_lshl_add_u64 v[142:143], v[122:123], 3, v[138:139]
	s_mov_b64 vcc, s[6:7]
	global_store_dwordx2 v[142:143], v[116:117], off
	s_cbranch_vccz .LBB143_59
; %bb.57:
	v_add_f64 v[116:117], v[114:115], 0
	v_lshl_add_u64 v[142:143], v[120:121], 3, v[138:139]
	s_mov_b64 s[2:3], 0
	global_store_dwordx2 v[142:143], v[116:117], off
	v_lshlrev_b64 v[142:143], 3, v[120:121]
	s_cbranch_execz .LBB143_60
; %bb.58:
	v_mov_b64_e32 v[144:145], s[2:3]
	s_branch .LBB143_61
.LBB143_59:
	s_mov_b64 s[2:3], -1
	v_lshlrev_b64 v[142:143], 3, v[120:121]
.LBB143_60:
	v_lshl_add_u64 v[116:117], v[146:147], 0, v[142:143]
	flat_load_dwordx2 v[116:117], v[116:117]
	v_lshl_add_u64 v[144:145], v[138:139], 0, v[142:143]
	s_waitcnt vmcnt(0) lgkmcnt(0)
	v_fmac_f64_e32 v[114:115], s[10:11], v[116:117]
	global_store_dwordx2 v[144:145], v[114:115], off
	v_lshl_add_u64 v[114:115], v[118:119], 3, v[146:147]
	flat_load_dwordx2 v[114:115], v[114:115]
	s_waitcnt vmcnt(0) lgkmcnt(0)
	v_mul_f64 v[144:145], v[114:115], s[10:11]
.LBB143_61:
	v_add_u32_e32 v116, 32, v130
	v_add_u32_e32 v114, 36, v130
	v_ashrrev_i32_e32 v117, 31, v116
	v_ashrrev_i32_e32 v115, 31, v114
	v_add_f64 v[112:113], v[112:113], v[144:145]
	v_lshl_add_u64 v[144:145], v[118:119], 3, v[138:139]
	s_mov_b64 vcc, s[6:7]
	global_store_dwordx2 v[144:145], v[112:113], off
	s_cbranch_vccz .LBB143_64
; %bb.62:
	v_add_f64 v[112:113], v[110:111], 0
	v_lshl_add_u64 v[144:145], v[116:117], 3, v[138:139]
	s_mov_b64 s[2:3], 0
	global_store_dwordx2 v[144:145], v[112:113], off
	v_lshlrev_b64 v[144:145], 3, v[116:117]
	s_cbranch_execz .LBB143_65
; %bb.63:
	v_mov_b64_e32 v[148:149], s[2:3]
	s_branch .LBB143_66
.LBB143_64:
	s_mov_b64 s[2:3], -1
	v_lshlrev_b64 v[144:145], 3, v[116:117]
.LBB143_65:
	v_lshl_add_u64 v[112:113], v[146:147], 0, v[144:145]
	flat_load_dwordx2 v[112:113], v[112:113]
	v_lshl_add_u64 v[148:149], v[138:139], 0, v[144:145]
	s_waitcnt vmcnt(0) lgkmcnt(0)
	v_fmac_f64_e32 v[110:111], s[10:11], v[112:113]
	global_store_dwordx2 v[148:149], v[110:111], off
	v_lshl_add_u64 v[110:111], v[114:115], 3, v[146:147]
	flat_load_dwordx2 v[110:111], v[110:111]
	s_waitcnt vmcnt(0) lgkmcnt(0)
	v_mul_f64 v[148:149], v[110:111], s[10:11]
.LBB143_66:
	v_add_u32_e32 v112, 40, v130
	v_add_u32_e32 v110, 44, v130
	v_ashrrev_i32_e32 v113, 31, v112
	v_ashrrev_i32_e32 v111, 31, v110
	v_add_f64 v[108:109], v[108:109], v[148:149]
	v_lshl_add_u64 v[148:149], v[114:115], 3, v[138:139]
	s_mov_b64 vcc, s[6:7]
	global_store_dwordx2 v[148:149], v[108:109], off
	s_cbranch_vccz .LBB143_69
; %bb.67:
	v_add_f64 v[108:109], v[106:107], 0
	v_lshl_add_u64 v[148:149], v[112:113], 3, v[138:139]
	s_mov_b64 s[2:3], 0
	global_store_dwordx2 v[148:149], v[108:109], off
	v_lshlrev_b64 v[148:149], 3, v[112:113]
	s_cbranch_execz .LBB143_70
; %bb.68:
	v_mov_b64_e32 v[150:151], s[2:3]
	s_branch .LBB143_71
.LBB143_69:
	s_mov_b64 s[2:3], -1
	v_lshlrev_b64 v[148:149], 3, v[112:113]
.LBB143_70:
	v_lshl_add_u64 v[108:109], v[146:147], 0, v[148:149]
	flat_load_dwordx2 v[108:109], v[108:109]
	v_lshl_add_u64 v[150:151], v[138:139], 0, v[148:149]
	s_waitcnt vmcnt(0) lgkmcnt(0)
	v_fmac_f64_e32 v[106:107], s[10:11], v[108:109]
	global_store_dwordx2 v[150:151], v[106:107], off
	v_lshl_add_u64 v[106:107], v[110:111], 3, v[146:147]
	flat_load_dwordx2 v[106:107], v[106:107]
	s_waitcnt vmcnt(0) lgkmcnt(0)
	v_mul_f64 v[150:151], v[106:107], s[10:11]
.LBB143_71:
	v_add_u32_e32 v108, 48, v130
	v_add_u32_e32 v106, 52, v130
	v_ashrrev_i32_e32 v109, 31, v108
	v_ashrrev_i32_e32 v107, 31, v106
	v_add_f64 v[104:105], v[104:105], v[150:151]
	v_lshl_add_u64 v[150:151], v[110:111], 3, v[138:139]
	s_mov_b64 vcc, s[6:7]
	global_store_dwordx2 v[150:151], v[104:105], off
	s_cbranch_vccz .LBB143_74
; %bb.72:
	v_add_f64 v[104:105], v[102:103], 0
	v_lshl_add_u64 v[150:151], v[108:109], 3, v[138:139]
	s_mov_b64 s[2:3], 0
	global_store_dwordx2 v[150:151], v[104:105], off
	v_lshlrev_b64 v[150:151], 3, v[108:109]
	s_cbranch_execz .LBB143_75
; %bb.73:
	v_mov_b64_e32 v[152:153], s[2:3]
	s_branch .LBB143_76
.LBB143_74:
	s_mov_b64 s[2:3], -1
	v_lshlrev_b64 v[150:151], 3, v[108:109]
.LBB143_75:
	v_lshl_add_u64 v[104:105], v[146:147], 0, v[150:151]
	flat_load_dwordx2 v[104:105], v[104:105]
	v_lshl_add_u64 v[152:153], v[138:139], 0, v[150:151]
	s_waitcnt vmcnt(0) lgkmcnt(0)
	v_fmac_f64_e32 v[102:103], s[10:11], v[104:105]
	global_store_dwordx2 v[152:153], v[102:103], off
	v_lshl_add_u64 v[102:103], v[106:107], 3, v[146:147]
	flat_load_dwordx2 v[102:103], v[102:103]
	s_waitcnt vmcnt(0) lgkmcnt(0)
	v_mul_f64 v[152:153], v[102:103], s[10:11]
.LBB143_76:
	v_add_u32_e32 v104, 56, v130
	v_add_u32_e32 v102, 60, v130
	v_ashrrev_i32_e32 v105, 31, v104
	v_ashrrev_i32_e32 v103, 31, v102
	v_add_f64 v[100:101], v[100:101], v[152:153]
	v_lshl_add_u64 v[152:153], v[106:107], 3, v[138:139]
	s_mov_b64 vcc, s[6:7]
	global_store_dwordx2 v[152:153], v[100:101], off
	s_cbranch_vccz .LBB143_79
; %bb.77:
	v_add_f64 v[100:101], v[98:99], 0
	v_lshl_add_u64 v[152:153], v[104:105], 3, v[138:139]
	s_mov_b64 s[2:3], 0
	global_store_dwordx2 v[152:153], v[100:101], off
	v_lshlrev_b64 v[152:153], 3, v[104:105]
	s_cbranch_execz .LBB143_80
; %bb.78:
	v_mov_b64_e32 v[154:155], s[2:3]
	s_branch .LBB143_81
.LBB143_79:
	s_mov_b64 s[2:3], -1
	v_lshlrev_b64 v[152:153], 3, v[104:105]
.LBB143_80:
	v_lshl_add_u64 v[100:101], v[146:147], 0, v[152:153]
	flat_load_dwordx2 v[100:101], v[100:101]
	v_lshl_add_u64 v[154:155], v[138:139], 0, v[152:153]
	s_waitcnt vmcnt(0) lgkmcnt(0)
	v_fmac_f64_e32 v[98:99], s[10:11], v[100:101]
	global_store_dwordx2 v[154:155], v[98:99], off
	v_lshl_add_u64 v[98:99], v[102:103], 3, v[146:147]
	flat_load_dwordx2 v[98:99], v[98:99]
	s_waitcnt vmcnt(0) lgkmcnt(0)
	v_mul_f64 v[154:155], v[98:99], s[10:11]
.LBB143_81:
	v_add_u32_e32 v100, 64, v130
	v_add_u32_e32 v98, 0x44, v130
	v_ashrrev_i32_e32 v101, 31, v100
	v_ashrrev_i32_e32 v99, 31, v98
	v_add_f64 v[96:97], v[96:97], v[154:155]
	v_lshl_add_u64 v[154:155], v[102:103], 3, v[138:139]
	s_mov_b64 vcc, s[6:7]
	global_store_dwordx2 v[154:155], v[96:97], off
	s_cbranch_vccz .LBB143_84
; %bb.82:
	v_add_f64 v[96:97], v[94:95], 0
	v_lshl_add_u64 v[154:155], v[100:101], 3, v[138:139]
	s_mov_b64 s[2:3], 0
	global_store_dwordx2 v[154:155], v[96:97], off
	v_lshlrev_b64 v[154:155], 3, v[100:101]
	s_cbranch_execz .LBB143_85
; %bb.83:
	v_mov_b64_e32 v[156:157], s[2:3]
	s_branch .LBB143_86
.LBB143_84:
	s_mov_b64 s[2:3], -1
	v_lshlrev_b64 v[154:155], 3, v[100:101]
.LBB143_85:
	v_lshl_add_u64 v[96:97], v[146:147], 0, v[154:155]
	flat_load_dwordx2 v[96:97], v[96:97]
	v_lshl_add_u64 v[156:157], v[138:139], 0, v[154:155]
	s_waitcnt vmcnt(0) lgkmcnt(0)
	v_fmac_f64_e32 v[94:95], s[10:11], v[96:97]
	global_store_dwordx2 v[156:157], v[94:95], off
	v_lshl_add_u64 v[94:95], v[98:99], 3, v[146:147]
	flat_load_dwordx2 v[94:95], v[94:95]
	s_waitcnt vmcnt(0) lgkmcnt(0)
	v_mul_f64 v[156:157], v[94:95], s[10:11]
.LBB143_86:
	v_add_u32_e32 v96, 0x48, v130
	v_add_u32_e32 v94, 0x4c, v130
	v_ashrrev_i32_e32 v97, 31, v96
	v_ashrrev_i32_e32 v95, 31, v94
	v_add_f64 v[92:93], v[92:93], v[156:157]
	v_lshl_add_u64 v[156:157], v[98:99], 3, v[138:139]
	s_mov_b64 vcc, s[6:7]
	global_store_dwordx2 v[156:157], v[92:93], off
	s_cbranch_vccz .LBB143_89
; %bb.87:
	v_add_f64 v[92:93], v[90:91], 0
	v_lshl_add_u64 v[156:157], v[96:97], 3, v[138:139]
	s_mov_b64 s[2:3], 0
	global_store_dwordx2 v[156:157], v[92:93], off
	v_lshlrev_b64 v[156:157], 3, v[96:97]
	s_cbranch_execz .LBB143_90
; %bb.88:
	v_mov_b64_e32 v[158:159], s[2:3]
	s_branch .LBB143_91
.LBB143_89:
	s_mov_b64 s[2:3], -1
	v_lshlrev_b64 v[156:157], 3, v[96:97]
.LBB143_90:
	v_lshl_add_u64 v[92:93], v[146:147], 0, v[156:157]
	flat_load_dwordx2 v[92:93], v[92:93]
	v_lshl_add_u64 v[158:159], v[138:139], 0, v[156:157]
	s_waitcnt vmcnt(0) lgkmcnt(0)
	v_fmac_f64_e32 v[90:91], s[10:11], v[92:93]
	global_store_dwordx2 v[158:159], v[90:91], off
	v_lshl_add_u64 v[90:91], v[94:95], 3, v[146:147]
	flat_load_dwordx2 v[90:91], v[90:91]
	s_waitcnt vmcnt(0) lgkmcnt(0)
	v_mul_f64 v[158:159], v[90:91], s[10:11]
.LBB143_91:
	v_add_u32_e32 v92, 0x50, v130
	v_add_u32_e32 v90, 0x54, v130
	v_ashrrev_i32_e32 v93, 31, v92
	v_ashrrev_i32_e32 v91, 31, v90
	v_add_f64 v[88:89], v[88:89], v[158:159]
	v_lshl_add_u64 v[158:159], v[94:95], 3, v[138:139]
	s_mov_b64 vcc, s[6:7]
	global_store_dwordx2 v[158:159], v[88:89], off
	s_cbranch_vccz .LBB143_94
; %bb.92:
	v_add_f64 v[88:89], v[86:87], 0
	v_lshl_add_u64 v[158:159], v[92:93], 3, v[138:139]
	s_mov_b64 s[2:3], 0
	global_store_dwordx2 v[158:159], v[88:89], off
	v_lshlrev_b64 v[158:159], 3, v[92:93]
	s_cbranch_execz .LBB143_95
; %bb.93:
	v_mov_b64_e32 v[160:161], s[2:3]
	s_branch .LBB143_96
.LBB143_94:
	s_mov_b64 s[2:3], -1
	v_lshlrev_b64 v[158:159], 3, v[92:93]
.LBB143_95:
	v_lshl_add_u64 v[88:89], v[146:147], 0, v[158:159]
	flat_load_dwordx2 v[88:89], v[88:89]
	v_lshl_add_u64 v[160:161], v[138:139], 0, v[158:159]
	s_waitcnt vmcnt(0) lgkmcnt(0)
	v_fmac_f64_e32 v[86:87], s[10:11], v[88:89]
	global_store_dwordx2 v[160:161], v[86:87], off
	v_lshl_add_u64 v[86:87], v[90:91], 3, v[146:147]
	flat_load_dwordx2 v[86:87], v[86:87]
	s_waitcnt vmcnt(0) lgkmcnt(0)
	v_mul_f64 v[160:161], v[86:87], s[10:11]
.LBB143_96:
	v_add_u32_e32 v88, 0x58, v130
	v_add_u32_e32 v86, 0x5c, v130
	v_ashrrev_i32_e32 v89, 31, v88
	v_ashrrev_i32_e32 v87, 31, v86
	v_add_f64 v[84:85], v[84:85], v[160:161]
	v_lshl_add_u64 v[160:161], v[90:91], 3, v[138:139]
	s_mov_b64 vcc, s[6:7]
	global_store_dwordx2 v[160:161], v[84:85], off
	s_cbranch_vccz .LBB143_99
; %bb.97:
	v_add_f64 v[84:85], v[82:83], 0
	v_lshl_add_u64 v[160:161], v[88:89], 3, v[138:139]
	s_mov_b64 s[2:3], 0
	global_store_dwordx2 v[160:161], v[84:85], off
	v_lshlrev_b64 v[160:161], 3, v[88:89]
	s_cbranch_execz .LBB143_100
; %bb.98:
	v_mov_b64_e32 v[162:163], s[2:3]
	s_branch .LBB143_101
.LBB143_99:
	s_mov_b64 s[2:3], -1
	v_lshlrev_b64 v[160:161], 3, v[88:89]
.LBB143_100:
	v_lshl_add_u64 v[84:85], v[146:147], 0, v[160:161]
	flat_load_dwordx2 v[84:85], v[84:85]
	v_lshl_add_u64 v[162:163], v[138:139], 0, v[160:161]
	s_waitcnt vmcnt(0) lgkmcnt(0)
	v_fmac_f64_e32 v[82:83], s[10:11], v[84:85]
	global_store_dwordx2 v[162:163], v[82:83], off
	v_lshl_add_u64 v[82:83], v[86:87], 3, v[146:147]
	flat_load_dwordx2 v[82:83], v[82:83]
	s_waitcnt vmcnt(0) lgkmcnt(0)
	v_mul_f64 v[162:163], v[82:83], s[10:11]
.LBB143_101:
	v_add_u32_e32 v84, 0x60, v130
	v_add_u32_e32 v82, 0x64, v130
	v_ashrrev_i32_e32 v85, 31, v84
	v_ashrrev_i32_e32 v83, 31, v82
	v_add_f64 v[80:81], v[80:81], v[162:163]
	v_lshl_add_u64 v[162:163], v[86:87], 3, v[138:139]
	s_mov_b64 vcc, s[6:7]
	global_store_dwordx2 v[162:163], v[80:81], off
	s_cbranch_vccz .LBB143_104
; %bb.102:
	v_add_f64 v[80:81], v[78:79], 0
	v_lshl_add_u64 v[162:163], v[84:85], 3, v[138:139]
	s_mov_b64 s[2:3], 0
	global_store_dwordx2 v[162:163], v[80:81], off
	v_lshlrev_b64 v[162:163], 3, v[84:85]
	s_cbranch_execz .LBB143_105
; %bb.103:
	v_mov_b64_e32 v[164:165], s[2:3]
	s_branch .LBB143_106
.LBB143_104:
	s_mov_b64 s[2:3], -1
	v_lshlrev_b64 v[162:163], 3, v[84:85]
.LBB143_105:
	v_lshl_add_u64 v[80:81], v[146:147], 0, v[162:163]
	flat_load_dwordx2 v[80:81], v[80:81]
	v_lshl_add_u64 v[164:165], v[138:139], 0, v[162:163]
	s_waitcnt vmcnt(0) lgkmcnt(0)
	v_fmac_f64_e32 v[78:79], s[10:11], v[80:81]
	global_store_dwordx2 v[164:165], v[78:79], off
	v_lshl_add_u64 v[78:79], v[82:83], 3, v[146:147]
	flat_load_dwordx2 v[78:79], v[78:79]
	s_waitcnt vmcnt(0) lgkmcnt(0)
	v_mul_f64 v[164:165], v[78:79], s[10:11]
.LBB143_106:
	v_add_u32_e32 v80, 0x68, v130
	v_add_u32_e32 v78, 0x6c, v130
	v_ashrrev_i32_e32 v81, 31, v80
	v_ashrrev_i32_e32 v79, 31, v78
	v_add_f64 v[76:77], v[76:77], v[164:165]
	v_lshl_add_u64 v[164:165], v[82:83], 3, v[138:139]
	s_mov_b64 vcc, s[6:7]
	global_store_dwordx2 v[164:165], v[76:77], off
	s_cbranch_vccz .LBB143_109
; %bb.107:
	v_add_f64 v[76:77], v[74:75], 0
	v_lshl_add_u64 v[164:165], v[80:81], 3, v[138:139]
	s_mov_b64 s[2:3], 0
	global_store_dwordx2 v[164:165], v[76:77], off
	v_lshlrev_b64 v[164:165], 3, v[80:81]
	s_cbranch_execz .LBB143_110
; %bb.108:
	v_mov_b64_e32 v[166:167], s[2:3]
	s_branch .LBB143_111
.LBB143_109:
	s_mov_b64 s[2:3], -1
	v_lshlrev_b64 v[164:165], 3, v[80:81]
.LBB143_110:
	v_lshl_add_u64 v[76:77], v[146:147], 0, v[164:165]
	flat_load_dwordx2 v[76:77], v[76:77]
	v_lshl_add_u64 v[166:167], v[138:139], 0, v[164:165]
	s_waitcnt vmcnt(0) lgkmcnt(0)
	v_fmac_f64_e32 v[74:75], s[10:11], v[76:77]
	global_store_dwordx2 v[166:167], v[74:75], off
	v_lshl_add_u64 v[74:75], v[78:79], 3, v[146:147]
	flat_load_dwordx2 v[74:75], v[74:75]
	s_waitcnt vmcnt(0) lgkmcnt(0)
	v_mul_f64 v[166:167], v[74:75], s[10:11]
.LBB143_111:
	v_add_u32_e32 v76, 0x70, v130
	v_add_u32_e32 v74, 0x74, v130
	v_ashrrev_i32_e32 v77, 31, v76
	v_ashrrev_i32_e32 v75, 31, v74
	v_add_f64 v[72:73], v[72:73], v[166:167]
	v_lshl_add_u64 v[166:167], v[78:79], 3, v[138:139]
	s_mov_b64 vcc, s[6:7]
	global_store_dwordx2 v[166:167], v[72:73], off
	s_cbranch_vccz .LBB143_114
; %bb.112:
	v_add_f64 v[72:73], v[70:71], 0
	v_lshl_add_u64 v[166:167], v[76:77], 3, v[138:139]
	s_mov_b64 s[2:3], 0
	global_store_dwordx2 v[166:167], v[72:73], off
	v_lshlrev_b64 v[166:167], 3, v[76:77]
	s_cbranch_execz .LBB143_115
; %bb.113:
	v_mov_b64_e32 v[168:169], s[2:3]
	s_branch .LBB143_116
.LBB143_114:
	s_mov_b64 s[2:3], -1
	v_lshlrev_b64 v[166:167], 3, v[76:77]
.LBB143_115:
	v_lshl_add_u64 v[72:73], v[146:147], 0, v[166:167]
	flat_load_dwordx2 v[72:73], v[72:73]
	v_lshl_add_u64 v[168:169], v[138:139], 0, v[166:167]
	s_waitcnt vmcnt(0) lgkmcnt(0)
	v_fmac_f64_e32 v[70:71], s[10:11], v[72:73]
	global_store_dwordx2 v[168:169], v[70:71], off
	v_lshl_add_u64 v[70:71], v[74:75], 3, v[146:147]
	flat_load_dwordx2 v[70:71], v[70:71]
	s_waitcnt vmcnt(0) lgkmcnt(0)
	v_mul_f64 v[168:169], v[70:71], s[10:11]
.LBB143_116:
	v_add_u32_e32 v72, 0x78, v130
	v_add_u32_e32 v70, 0x7c, v130
	v_ashrrev_i32_e32 v73, 31, v72
	v_ashrrev_i32_e32 v71, 31, v70
	v_add_f64 v[68:69], v[68:69], v[168:169]
	v_lshl_add_u64 v[168:169], v[74:75], 3, v[138:139]
	s_mov_b64 vcc, s[6:7]
	global_store_dwordx2 v[168:169], v[68:69], off
	s_cbranch_vccz .LBB143_119
; %bb.117:
	v_add_f64 v[68:69], v[66:67], 0
	v_lshl_add_u64 v[168:169], v[72:73], 3, v[138:139]
	s_mov_b64 s[2:3], 0
	global_store_dwordx2 v[168:169], v[68:69], off
	v_lshlrev_b64 v[68:69], 3, v[72:73]
	s_cbranch_execz .LBB143_120
; %bb.118:
	v_mov_b64_e32 v[66:67], s[2:3]
	s_branch .LBB143_121
.LBB143_119:
	s_mov_b64 s[2:3], -1
	v_lshlrev_b64 v[68:69], 3, v[72:73]
.LBB143_120:
	v_lshl_add_u64 v[168:169], v[146:147], 0, v[68:69]
	flat_load_dwordx2 v[168:169], v[168:169]
	v_lshl_add_u64 v[172:173], v[138:139], 0, v[68:69]
	s_waitcnt vmcnt(0) lgkmcnt(0)
	v_fmac_f64_e32 v[66:67], s[10:11], v[168:169]
	global_store_dwordx2 v[172:173], v[66:67], off
	v_lshl_add_u64 v[66:67], v[70:71], 3, v[146:147]
	flat_load_dwordx2 v[66:67], v[66:67]
	s_waitcnt vmcnt(0) lgkmcnt(0)
	v_mul_f64 v[66:67], v[66:67], s[10:11]
.LBB143_121:
	v_add_f64 v[64:65], v[64:65], v[66:67]
	v_lshl_add_u64 v[66:67], v[70:71], 3, v[138:139]
	global_store_dwordx2 v[66:67], v[64:65], off
	v_add_u32_e32 v66, 64, v170
	v_mad_i64_i32 v[64:65], s[2:3], v66, s5, 0
	v_lshl_add_u64 v[64:65], v[64:65], 3, s[0:1]
	v_mad_i64_i32 v[66:67], s[0:1], v66, s4, 0
	s_mov_b64 vcc, s[6:7]
	s_cbranch_vccz .LBB143_124
; %bb.122:
	v_add_f64 v[138:139], v[62:63], 0
	v_lshl_add_u64 v[130:131], v[130:131], 3, v[64:65]
	s_mov_b64 s[0:1], 0
	global_store_dwordx2 v[130:131], v[138:139], off
	v_lshl_add_u64 v[66:67], v[66:67], 3, s[8:9]
	s_cbranch_execz .LBB143_125
; %bb.123:
	v_mov_b64_e32 v[62:63], s[0:1]
	s_branch .LBB143_126
.LBB143_124:
	s_mov_b64 s[0:1], -1
	v_lshl_add_u64 v[66:67], v[66:67], 3, s[8:9]
.LBB143_125:
	v_lshl_add_u64 v[130:131], v[66:67], 0, v[134:135]
	flat_load_dwordx2 v[130:131], v[130:131]
	v_lshl_add_u64 v[134:135], v[64:65], 0, v[134:135]
	s_waitcnt vmcnt(0) lgkmcnt(0)
	v_fmac_f64_e32 v[62:63], s[10:11], v[130:131]
	global_store_dwordx2 v[134:135], v[62:63], off
	v_lshl_add_u64 v[62:63], v[128:129], 3, v[66:67]
	flat_load_dwordx2 v[62:63], v[62:63]
	s_waitcnt vmcnt(0) lgkmcnt(0)
	v_mul_f64 v[62:63], v[62:63], s[10:11]
.LBB143_126:
	v_add_f64 v[60:61], v[60:61], v[62:63]
	v_lshl_add_u64 v[62:63], v[128:129], 3, v[64:65]
	s_mov_b64 vcc, s[6:7]
	global_store_dwordx2 v[62:63], v[60:61], off
	s_cbranch_vccz .LBB143_129
; %bb.127:
	v_add_f64 v[60:61], v[58:59], 0
	v_lshl_add_u64 v[62:63], v[132:133], 3, v[64:65]
	s_mov_b64 s[0:1], 0
	global_store_dwordx2 v[62:63], v[60:61], off
	s_cbranch_execz .LBB143_130
; %bb.128:
	v_mov_b64_e32 v[58:59], s[0:1]
	s_branch .LBB143_131
.LBB143_129:
	s_mov_b64 s[0:1], -1
.LBB143_130:
	v_lshl_add_u64 v[60:61], v[66:67], 0, v[136:137]
	flat_load_dwordx2 v[60:61], v[60:61]
	v_lshl_add_u64 v[62:63], v[64:65], 0, v[136:137]
	s_waitcnt vmcnt(0) lgkmcnt(0)
	v_fmac_f64_e32 v[58:59], s[10:11], v[60:61]
	global_store_dwordx2 v[62:63], v[58:59], off
	v_lshl_add_u64 v[58:59], v[126:127], 3, v[66:67]
	flat_load_dwordx2 v[58:59], v[58:59]
	s_waitcnt vmcnt(0) lgkmcnt(0)
	v_mul_f64 v[58:59], v[58:59], s[10:11]
.LBB143_131:
	v_add_f64 v[56:57], v[56:57], v[58:59]
	v_lshl_add_u64 v[58:59], v[126:127], 3, v[64:65]
	s_mov_b64 vcc, s[6:7]
	global_store_dwordx2 v[58:59], v[56:57], off
	s_cbranch_vccz .LBB143_134
; %bb.132:
	v_add_f64 v[56:57], v[54:55], 0
	v_lshl_add_u64 v[58:59], v[124:125], 3, v[64:65]
	s_mov_b64 s[0:1], 0
	global_store_dwordx2 v[58:59], v[56:57], off
	s_cbranch_execz .LBB143_135
; %bb.133:
	v_mov_b64_e32 v[54:55], s[0:1]
	s_branch .LBB143_136
.LBB143_134:
	s_mov_b64 s[0:1], -1
.LBB143_135:
	v_lshl_add_u64 v[56:57], v[66:67], 0, v[140:141]
	flat_load_dwordx2 v[56:57], v[56:57]
	v_lshl_add_u64 v[58:59], v[64:65], 0, v[140:141]
	s_waitcnt vmcnt(0) lgkmcnt(0)
	v_fmac_f64_e32 v[54:55], s[10:11], v[56:57]
	global_store_dwordx2 v[58:59], v[54:55], off
	v_lshl_add_u64 v[54:55], v[122:123], 3, v[66:67]
	flat_load_dwordx2 v[54:55], v[54:55]
	s_waitcnt vmcnt(0) lgkmcnt(0)
	v_mul_f64 v[54:55], v[54:55], s[10:11]
.LBB143_136:
	;; [unrolled: 28-line block ×14, first 2 shown]
	v_add_f64 v[4:5], v[4:5], v[6:7]
	v_lshl_add_u64 v[6:7], v[74:75], 3, v[64:65]
	s_mov_b64 vcc, s[6:7]
	global_store_dwordx2 v[6:7], v[4:5], off
	s_cbranch_vccz .LBB143_199
; %bb.197:
	v_add_f64 v[4:5], v[2:3], 0
	v_lshl_add_u64 v[6:7], v[72:73], 3, v[64:65]
	s_mov_b64 s[0:1], 0
	global_store_dwordx2 v[6:7], v[4:5], off
	s_cbranch_execz .LBB143_200
; %bb.198:
	v_mov_b64_e32 v[2:3], s[0:1]
	v_add_f64 v[0:1], v[0:1], v[2:3]
	v_lshl_add_u64 v[2:3], v[70:71], 3, v[64:65]
	global_store_dwordx2 v[2:3], v[0:1], off
	s_endpgm
.LBB143_199:
	s_mov_b64 s[0:1], -1
.LBB143_200:
	v_lshl_add_u64 v[4:5], v[66:67], 0, v[68:69]
	flat_load_dwordx2 v[4:5], v[4:5]
	v_lshl_add_u64 v[6:7], v[64:65], 0, v[68:69]
	s_waitcnt vmcnt(0) lgkmcnt(0)
	v_fmac_f64_e32 v[2:3], s[10:11], v[4:5]
	global_store_dwordx2 v[6:7], v[2:3], off
	v_lshl_add_u64 v[2:3], v[70:71], 3, v[66:67]
	flat_load_dwordx2 v[2:3], v[2:3]
	s_waitcnt vmcnt(0) lgkmcnt(0)
	v_mul_f64 v[2:3], v[2:3], s[10:11]
	v_add_f64 v[0:1], v[0:1], v[2:3]
	v_lshl_add_u64 v[2:3], v[70:71], 3, v[64:65]
	global_store_dwordx2 v[2:3], v[0:1], off
	s_endpgm
	.section	.rodata,"a",@progbits
	.p2align	6, 0x0
	.amdhsa_kernel _ZN12_GLOBAL__N_120geam_min_plus_kernelIdddLi4ELi64ELi128ELi128ELi4ELi64ELi4ELi64ELi4ELc78ELc84ELb0ELb0ELb0EdKPKdKPdEEviiiT16_PT17_ilS8_ilS6_S8_ilPT18_ili26rocblas_geam_ex_operation_
		.amdhsa_group_segment_fixed_size 16384
		.amdhsa_private_segment_fixed_size 0
		.amdhsa_kernarg_size 136
		.amdhsa_user_sgpr_count 2
		.amdhsa_user_sgpr_dispatch_ptr 0
		.amdhsa_user_sgpr_queue_ptr 0
		.amdhsa_user_sgpr_kernarg_segment_ptr 1
		.amdhsa_user_sgpr_dispatch_id 0
		.amdhsa_user_sgpr_kernarg_preload_length 0
		.amdhsa_user_sgpr_kernarg_preload_offset 0
		.amdhsa_user_sgpr_private_segment_size 0
		.amdhsa_uses_dynamic_stack 0
		.amdhsa_enable_private_segment 0
		.amdhsa_system_sgpr_workgroup_id_x 1
		.amdhsa_system_sgpr_workgroup_id_y 0
		.amdhsa_system_sgpr_workgroup_id_z 1
		.amdhsa_system_sgpr_workgroup_info 0
		.amdhsa_system_vgpr_workitem_id 1
		.amdhsa_next_free_vgpr 252
		.amdhsa_next_free_sgpr 29
		.amdhsa_accum_offset 252
		.amdhsa_reserve_vcc 1
		.amdhsa_float_round_mode_32 0
		.amdhsa_float_round_mode_16_64 0
		.amdhsa_float_denorm_mode_32 3
		.amdhsa_float_denorm_mode_16_64 3
		.amdhsa_dx10_clamp 1
		.amdhsa_ieee_mode 1
		.amdhsa_fp16_overflow 0
		.amdhsa_tg_split 0
		.amdhsa_exception_fp_ieee_invalid_op 0
		.amdhsa_exception_fp_denorm_src 0
		.amdhsa_exception_fp_ieee_div_zero 0
		.amdhsa_exception_fp_ieee_overflow 0
		.amdhsa_exception_fp_ieee_underflow 0
		.amdhsa_exception_fp_ieee_inexact 0
		.amdhsa_exception_int_div_zero 0
	.end_amdhsa_kernel
	.section	.text._ZN12_GLOBAL__N_120geam_min_plus_kernelIdddLi4ELi64ELi128ELi128ELi4ELi64ELi4ELi64ELi4ELc78ELc84ELb0ELb0ELb0EdKPKdKPdEEviiiT16_PT17_ilS8_ilS6_S8_ilPT18_ili26rocblas_geam_ex_operation_,"axG",@progbits,_ZN12_GLOBAL__N_120geam_min_plus_kernelIdddLi4ELi64ELi128ELi128ELi4ELi64ELi4ELi64ELi4ELc78ELc84ELb0ELb0ELb0EdKPKdKPdEEviiiT16_PT17_ilS8_ilS6_S8_ilPT18_ili26rocblas_geam_ex_operation_,comdat
.Lfunc_end143:
	.size	_ZN12_GLOBAL__N_120geam_min_plus_kernelIdddLi4ELi64ELi128ELi128ELi4ELi64ELi4ELi64ELi4ELc78ELc84ELb0ELb0ELb0EdKPKdKPdEEviiiT16_PT17_ilS8_ilS6_S8_ilPT18_ili26rocblas_geam_ex_operation_, .Lfunc_end143-_ZN12_GLOBAL__N_120geam_min_plus_kernelIdddLi4ELi64ELi128ELi128ELi4ELi64ELi4ELi64ELi4ELc78ELc84ELb0ELb0ELb0EdKPKdKPdEEviiiT16_PT17_ilS8_ilS6_S8_ilPT18_ili26rocblas_geam_ex_operation_
                                        ; -- End function
	.section	.AMDGPU.csdata,"",@progbits
; Kernel info:
; codeLenInByte = 13088
; NumSgprs: 35
; NumVgprs: 252
; NumAgprs: 0
; TotalNumVgprs: 252
; ScratchSize: 0
; MemoryBound: 0
; FloatMode: 240
; IeeeMode: 1
; LDSByteSize: 16384 bytes/workgroup (compile time only)
; SGPRBlocks: 4
; VGPRBlocks: 31
; NumSGPRsForWavesPerEU: 35
; NumVGPRsForWavesPerEU: 252
; AccumOffset: 252
; Occupancy: 2
; WaveLimiterHint : 1
; COMPUTE_PGM_RSRC2:SCRATCH_EN: 0
; COMPUTE_PGM_RSRC2:USER_SGPR: 2
; COMPUTE_PGM_RSRC2:TRAP_HANDLER: 0
; COMPUTE_PGM_RSRC2:TGID_X_EN: 1
; COMPUTE_PGM_RSRC2:TGID_Y_EN: 0
; COMPUTE_PGM_RSRC2:TGID_Z_EN: 1
; COMPUTE_PGM_RSRC2:TIDIG_COMP_CNT: 1
; COMPUTE_PGM_RSRC3_GFX90A:ACCUM_OFFSET: 62
; COMPUTE_PGM_RSRC3_GFX90A:TG_SPLIT: 0
	.section	.text._ZN12_GLOBAL__N_120geam_min_plus_kernelIdddLi4ELi64ELi128ELi128ELi4ELi64ELi4ELi64ELi4ELc78ELc84ELb0ELb1ELb0EPKdKS2_KPdEEviiiT16_PT17_ilS8_ilS6_S8_ilPT18_ili26rocblas_geam_ex_operation_,"axG",@progbits,_ZN12_GLOBAL__N_120geam_min_plus_kernelIdddLi4ELi64ELi128ELi128ELi4ELi64ELi4ELi64ELi4ELc78ELc84ELb0ELb1ELb0EPKdKS2_KPdEEviiiT16_PT17_ilS8_ilS6_S8_ilPT18_ili26rocblas_geam_ex_operation_,comdat
	.globl	_ZN12_GLOBAL__N_120geam_min_plus_kernelIdddLi4ELi64ELi128ELi128ELi4ELi64ELi4ELi64ELi4ELc78ELc84ELb0ELb1ELb0EPKdKS2_KPdEEviiiT16_PT17_ilS8_ilS6_S8_ilPT18_ili26rocblas_geam_ex_operation_ ; -- Begin function _ZN12_GLOBAL__N_120geam_min_plus_kernelIdddLi4ELi64ELi128ELi128ELi4ELi64ELi4ELi64ELi4ELc78ELc84ELb0ELb1ELb0EPKdKS2_KPdEEviiiT16_PT17_ilS8_ilS6_S8_ilPT18_ili26rocblas_geam_ex_operation_
	.p2align	8
	.type	_ZN12_GLOBAL__N_120geam_min_plus_kernelIdddLi4ELi64ELi128ELi128ELi4ELi64ELi4ELi64ELi4ELc78ELc84ELb0ELb1ELb0EPKdKS2_KPdEEviiiT16_PT17_ilS8_ilS6_S8_ilPT18_ili26rocblas_geam_ex_operation_,@function
_ZN12_GLOBAL__N_120geam_min_plus_kernelIdddLi4ELi64ELi128ELi128ELi4ELi64ELi4ELi64ELi4ELc78ELc84ELb0ELb1ELb0EPKdKS2_KPdEEviiiT16_PT17_ilS8_ilS6_S8_ilPT18_ili26rocblas_geam_ex_operation_: ; @_ZN12_GLOBAL__N_120geam_min_plus_kernelIdddLi4ELi64ELi128ELi128ELi4ELi64ELi4ELi64ELi4ELc78ELc84ELb0ELb1ELb0EPKdKS2_KPdEEviiiT16_PT17_ilS8_ilS6_S8_ilPT18_ili26rocblas_geam_ex_operation_
; %bb.0:
	s_load_dwordx4 s[12:15], s[0:1], 0x10
	s_load_dwordx4 s[4:7], s[0:1], 0x28
	s_mov_b32 s8, s3
	s_mov_b32 s9, 0
	s_lshl_b64 s[22:23], s[8:9], 3
	s_waitcnt lgkmcnt(0)
	s_add_u32 s18, s12, s22
	s_load_dwordx4 s[8:11], s[0:1], 0x40
	s_addc_u32 s19, s13, s23
	s_load_dwordx2 s[16:17], s[18:19], 0x0
	s_load_dwordx2 s[12:13], s[0:1], 0x50
	s_mov_b64 s[18:19], 0
	s_waitcnt lgkmcnt(0)
	s_add_u32 s10, s10, s22
	v_cmp_eq_f64_e64 s[20:21], s[16:17], 0
	s_addc_u32 s11, s11, s23
	v_cmp_neq_f64_e64 s[24:25], s[16:17], 0
	s_and_b64 vcc, exec, s[20:21]
	s_mov_b64 s[20:21], 0
	s_cbranch_vccnz .LBB144_2
; %bb.1:
	s_add_u32 s14, s14, s22
	s_addc_u32 s15, s15, s23
	s_load_dwordx2 s[14:15], s[14:15], 0x0
	s_lshl_b64 s[4:5], s[4:5], 3
	s_waitcnt lgkmcnt(0)
	s_add_u32 s20, s14, s4
	s_addc_u32 s21, s15, s5
.LBB144_2:
	s_load_dwordx2 s[70:71], s[10:11], 0x0
	s_andn2_b64 vcc, exec, s[24:25]
	s_cbranch_vccnz .LBB144_4
; %bb.3:
	s_add_u32 s4, s6, s22
	s_addc_u32 s5, s7, s23
	s_load_dwordx2 s[4:5], s[4:5], 0x0
	s_lshl_b64 s[6:7], s[8:9], 3
	s_waitcnt lgkmcnt(0)
	s_add_u32 s18, s4, s6
	s_addc_u32 s19, s5, s7
.LBB144_4:
	s_load_dwordx4 s[4:7], s[0:1], 0x60
	s_waitcnt lgkmcnt(0)
	v_cmp_eq_f64_e64 s[8:9], s[70:71], 0
	s_mov_b64 s[76:77], 0
	v_cmp_neq_f64_e64 s[10:11], s[70:71], 0
	s_and_b64 vcc, exec, s[8:9]
	s_cbranch_vccnz .LBB144_6
; %bb.5:
	s_add_u32 s8, s12, s22
	s_addc_u32 s9, s13, s23
	s_load_dwordx2 s[8:9], s[8:9], 0x0
	s_lshl_b64 s[4:5], s[4:5], 3
	s_waitcnt lgkmcnt(0)
	s_add_u32 s76, s8, s4
	s_addc_u32 s77, s9, s5
.LBB144_6:
	s_load_dwordx4 s[72:75], s[0:1], 0x0
	s_load_dword s26, s[0:1], 0x20
	s_add_u32 s4, s6, s22
	s_addc_u32 s5, s7, s23
	v_and_b32_e32 v142, 0x3ff, v0
	s_waitcnt lgkmcnt(0)
	s_add_i32 s3, s72, -1
	s_ashr_i32 s6, s3, 31
	s_lshr_b32 s6, s6, 25
	s_add_i32 s3, s3, s6
	s_ashr_i32 s3, s3, 7
	s_add_i32 s6, s3, 1
	v_cvt_f32_u32_e32 v1, s6
	v_bfe_u32 v143, v0, 10, 10
	s_load_dwordx2 s[12:13], s[4:5], 0x0
	s_not_b32 s3, s3
	v_rcp_iflag_f32_e32 v0, v1
	v_lshl_add_u32 v1, v143, 2, v142
	v_lshrrev_b32_e32 v144, 6, v1
	v_and_b32_e32 v141, 63, v1
	v_mul_f32_e32 v0, 0x4f7ffffe, v0
	v_cvt_u32_f32_e32 v0, v0
	v_cmp_le_i32_e32 vcc, s74, v144
	v_cmp_eq_f64_e64 s[14:15], s[16:17], 0
	v_readfirstlane_b32 s4, v0
	s_mul_i32 s3, s3, s4
	s_mul_hi_u32 s3, s4, s3
	s_add_i32 s4, s4, s3
	s_mul_hi_u32 s3, s2, s4
	s_mul_i32 s4, s3, s6
	s_sub_i32 s4, s2, s4
	s_add_i32 s5, s3, 1
	s_sub_i32 s7, s4, s6
	s_cmp_ge_u32 s4, s6
	s_cselect_b32 s3, s5, s3
	s_cselect_b32 s4, s7, s4
	s_add_i32 s5, s3, 1
	s_cmp_ge_u32 s4, s6
	s_cselect_b32 s8, s5, s3
	s_mul_i32 s3, s8, s6
	s_sub_i32 s2, s2, s3
	s_add_i32 s27, s74, -1
	s_lshl_b32 s24, s2, 7
	v_min_i32_e32 v8, s27, v144
	v_or_b32_e32 v128, s24, v141
	v_mad_i64_i32 v[2:3], s[2:3], s26, v8, 0
	v_cmp_le_i32_e64 s[2:3], s72, v128
	s_or_b64 s[4:5], s[2:3], vcc
	v_mov_b64_e32 v[0:1], 0
	s_or_b64 s[4:5], s[14:15], s[4:5]
	v_lshl_add_u64 v[6:7], v[2:3], 3, s[20:21]
	s_xor_b64 s[6:7], s[4:5], -1
	v_ashrrev_i32_e32 v129, 31, v128
	v_mov_b64_e32 v[2:3], v[0:1]
	s_and_saveexec_b64 s[4:5], s[6:7]
	s_cbranch_execz .LBB144_8
; %bb.7:
	v_lshl_add_u64 v[2:3], v[128:129], 3, v[6:7]
	flat_load_dwordx2 v[2:3], v[2:3]
	s_waitcnt vmcnt(0) lgkmcnt(0)
	v_mul_f64 v[2:3], s[16:17], v[2:3]
.LBB144_8:
	s_or_b64 exec, exec, s[4:5]
	v_or_b32_e32 v4, 64, v128
	v_cmp_le_i32_e64 s[4:5], s72, v4
	s_or_b64 s[6:7], s[4:5], vcc
	s_or_b64 s[6:7], s[14:15], s[6:7]
	s_xor_b64 s[22:23], s[6:7], -1
	v_mov_b64_e32 v[4:5], v[0:1]
	s_and_saveexec_b64 s[6:7], s[22:23]
	s_cbranch_execz .LBB144_10
; %bb.9:
	v_lshl_add_u64 v[4:5], v[128:129], 3, v[6:7]
	flat_load_dwordx2 v[4:5], v[4:5] offset:512
	s_waitcnt vmcnt(0) lgkmcnt(0)
	v_mul_f64 v[4:5], s[16:17], v[4:5]
.LBB144_10:
	s_or_b64 exec, exec, s[6:7]
	s_load_dword s28, s[0:1], 0x38
	s_lshl_b32 s25, s8, 7
	v_or_b32_e32 v130, s25, v141
	v_cmp_le_i32_e64 s[6:7], s73, v130
	v_ashrrev_i32_e32 v131, 31, v130
	s_waitcnt lgkmcnt(0)
	v_mad_i64_i32 v[6:7], s[8:9], s28, v8, 0
	s_or_b64 s[8:9], s[6:7], vcc
	s_or_b64 s[8:9], s[14:15], s[8:9]
	v_lshl_add_u64 v[8:9], v[6:7], 3, s[18:19]
	s_xor_b64 s[22:23], s[8:9], -1
	s_and_saveexec_b64 s[8:9], s[22:23]
	s_cbranch_execz .LBB144_12
; %bb.11:
	v_lshl_add_u64 v[0:1], v[130:131], 3, v[8:9]
	flat_load_dwordx2 v[0:1], v[0:1]
	s_waitcnt vmcnt(0) lgkmcnt(0)
	v_mul_f64 v[0:1], s[16:17], v[0:1]
.LBB144_12:
	s_or_b64 exec, exec, s[8:9]
	v_or_b32_e32 v6, 64, v130
	v_cmp_le_i32_e64 s[8:9], s73, v6
	s_or_b64 s[22:23], s[8:9], vcc
	s_or_b64 s[22:23], s[14:15], s[22:23]
	v_mov_b64_e32 v[132:133], 0
	s_xor_b64 s[30:31], s[22:23], -1
	v_mov_b64_e32 v[6:7], v[132:133]
	s_and_saveexec_b64 s[22:23], s[30:31]
	s_cbranch_execz .LBB144_14
; %bb.13:
	v_lshl_add_u64 v[6:7], v[130:131], 3, v[8:9]
	flat_load_dwordx2 v[6:7], v[6:7] offset:512
	s_waitcnt vmcnt(0) lgkmcnt(0)
	v_mul_f64 v[6:7], s[16:17], v[6:7]
.LBB144_14:
	s_or_b64 exec, exec, s[22:23]
	v_add_u32_e32 v8, 4, v144
	v_min_i32_e32 v10, s27, v8
	v_cmp_le_i32_e32 vcc, s74, v8
	v_mad_i64_i32 v[8:9], s[22:23], s26, v10, 0
	s_or_b64 s[22:23], s[2:3], vcc
	s_or_b64 s[22:23], s[14:15], s[22:23]
	v_lshl_add_u64 v[8:9], v[8:9], 3, s[20:21]
	s_xor_b64 s[30:31], s[22:23], -1
	s_and_saveexec_b64 s[22:23], s[30:31]
	s_cbranch_execz .LBB144_16
; %bb.15:
	v_lshl_add_u64 v[12:13], v[128:129], 3, v[8:9]
	flat_load_dwordx2 v[12:13], v[12:13]
	s_waitcnt vmcnt(0) lgkmcnt(0)
	v_mul_f64 v[132:133], s[16:17], v[12:13]
.LBB144_16:
	s_or_b64 exec, exec, s[22:23]
	s_or_b64 s[22:23], s[4:5], vcc
	s_or_b64 s[22:23], s[14:15], s[22:23]
	v_mov_b64_e32 v[134:135], 0
	s_xor_b64 s[30:31], s[22:23], -1
	v_mov_b64_e32 v[136:137], v[134:135]
	s_and_saveexec_b64 s[22:23], s[30:31]
	s_cbranch_execz .LBB144_18
; %bb.17:
	v_lshl_add_u64 v[8:9], v[128:129], 3, v[8:9]
	flat_load_dwordx2 v[8:9], v[8:9] offset:512
	s_waitcnt vmcnt(0) lgkmcnt(0)
	v_mul_f64 v[136:137], s[16:17], v[8:9]
.LBB144_18:
	s_or_b64 exec, exec, s[22:23]
	v_mad_i64_i32 v[8:9], s[22:23], s28, v10, 0
	s_or_b64 s[22:23], s[6:7], vcc
	s_or_b64 s[22:23], s[14:15], s[22:23]
	v_lshl_add_u64 v[8:9], v[8:9], 3, s[18:19]
	s_xor_b64 s[30:31], s[22:23], -1
	s_and_saveexec_b64 s[22:23], s[30:31]
	s_cbranch_execz .LBB144_20
; %bb.19:
	v_lshl_add_u64 v[10:11], v[130:131], 3, v[8:9]
	flat_load_dwordx2 v[10:11], v[10:11]
	s_waitcnt vmcnt(0) lgkmcnt(0)
	v_mul_f64 v[134:135], s[16:17], v[10:11]
.LBB144_20:
	s_or_b64 exec, exec, s[22:23]
	s_or_b64 s[22:23], s[8:9], vcc
	s_or_b64 s[22:23], s[14:15], s[22:23]
	v_mov_b64_e32 v[126:127], 0
	s_xor_b64 s[30:31], s[22:23], -1
	v_mov_b64_e32 v[138:139], v[126:127]
	s_and_saveexec_b64 s[22:23], s[30:31]
	s_cbranch_execz .LBB144_22
; %bb.21:
	v_lshl_add_u64 v[8:9], v[130:131], 3, v[8:9]
	flat_load_dwordx2 v[8:9], v[8:9] offset:512
	s_waitcnt vmcnt(0) lgkmcnt(0)
	v_mul_f64 v[138:139], s[16:17], v[8:9]
.LBB144_22:
	s_or_b64 exec, exec, s[22:23]
	v_lshlrev_b32_e32 v8, 3, v144
	v_lshl_add_u32 v145, v141, 5, v8
	v_lshlrev_b32_e32 v140, 5, v143
	ds_write2st64_b64 v145, v[2:3], v[4:5] offset1:4
	v_or_b32_e32 v146, 0x2000, v145
	ds_write2st64_b64 v145, v[0:1], v[6:7] offset0:16 offset1:20
	v_lshlrev_b32_e32 v147, 5, v142
	v_add_u32_e32 v148, 0x2000, v140
	s_mov_b32 s22, 0
	v_mov_b64_e32 v[124:125], v[126:127]
	v_mov_b64_e32 v[122:123], v[126:127]
	;; [unrolled: 1-line block ×63, first 2 shown]
	s_waitcnt lgkmcnt(0)
	s_barrier
.LBB144_23:                             ; =>This Inner Loop Header: Depth=1
	v_add_u32_e32 v149, s22, v147
	v_add_u32_e32 v182, s22, v148
	ds_read2_b64 v[150:153], v149 offset1:16
	ds_read2_b64 v[154:157], v149 offset0:32 offset1:48
	ds_read2_b64 v[158:161], v149 offset0:64 offset1:80
	;; [unrolled: 1-line block ×7, first 2 shown]
	ds_read2st64_b64 v[182:185], v182 offset1:4
	v_add_u32_e32 v149, 0x800, v149
	ds_read2_b64 v[186:189], v149 offset1:16
	ds_read2_b64 v[190:193], v149 offset0:32 offset1:48
	ds_read2_b64 v[194:197], v149 offset0:64 offset1:80
	;; [unrolled: 1-line block ×7, first 2 shown]
	s_waitcnt lgkmcnt(14)
	v_max_f64 v[150:151], v[150:151], v[150:151]
	v_max_f64 v[152:153], v[152:153], v[152:153]
	;; [unrolled: 1-line block ×6, first 2 shown]
	s_waitcnt lgkmcnt(13)
	v_max_f64 v[162:163], v[162:163], v[162:163]
	v_max_f64 v[164:165], v[164:165], v[164:165]
	s_waitcnt lgkmcnt(12)
	v_max_f64 v[166:167], v[166:167], v[166:167]
	v_max_f64 v[168:169], v[168:169], v[168:169]
	;; [unrolled: 3-line block ×14, first 2 shown]
	v_min_f64 v[218:219], v[150:151], v[182:183]
	v_min_f64 v[220:221], v[152:153], v[182:183]
	;; [unrolled: 1-line block ×32, first 2 shown]
	s_add_i32 s22, s22, 8
	v_add_f64 v[62:63], v[150:151], v[62:63]
	v_add_f64 v[60:61], v[152:153], v[60:61]
	;; [unrolled: 1-line block ×16, first 2 shown]
	v_min_f64 v[150:151], v[186:187], v[182:183]
	v_min_f64 v[152:153], v[188:189], v[182:183]
	;; [unrolled: 1-line block ×32, first 2 shown]
	s_cmp_eq_u32 s22, 32
	v_add_f64 v[126:127], v[218:219], v[126:127]
	v_add_f64 v[124:125], v[220:221], v[124:125]
	;; [unrolled: 1-line block ×48, first 2 shown]
	s_cbranch_scc0 .LBB144_23
; %bb.24:
	v_lshlrev_b32_e32 v141, 5, v141
	v_lshl_add_u32 v141, v144, 3, v141
	s_cmp_gt_i32 s74, 8
	ds_write2st64_b64 v141, v[132:133], v[136:137] offset0:8 offset1:12
	ds_write2st64_b64 v141, v[134:135], v[138:139] offset0:24 offset1:28
	s_waitcnt lgkmcnt(0)
	s_barrier
	s_cbranch_scc1 .LBB144_26
; %bb.25:
	v_add_u32_e32 v149, 0x1000, v147
	v_add_u32_e32 v150, 0x3000, v140
	s_cbranch_execz .LBB144_27
	s_branch .LBB144_49
.LBB144_26:
                                        ; implicit-def: $vgpr149
                                        ; implicit-def: $vgpr150
.LBB144_27:
	v_or_b32_e32 v151, 0x1000, v141
	v_or_b32_e32 v152, 0x3000, v141
	s_add_i32 s29, s74, -8
	v_add_u32_e32 v149, 0x1000, v147
	v_add_u32_e32 v150, 0x3000, v140
	s_mov_b32 s30, 8
	s_mov_b32 s31, 0
.LBB144_28:                             ; =>This Loop Header: Depth=1
                                        ;     Child Loop BB144_37 Depth 2
                                        ;     Child Loop BB144_47 Depth 2
	v_add_u32_e32 v132, s30, v144
	v_min_i32_e32 v138, s27, v132
	v_cmp_le_i32_e32 vcc, s74, v132
	v_mad_i64_i32 v[132:133], s[22:23], v138, s26, 0
	s_or_b64 s[22:23], s[2:3], vcc
	v_lshl_add_u64 v[134:135], v[132:133], 3, s[20:21]
	s_or_b64 s[22:23], s[14:15], s[22:23]
	v_mov_b64_e32 v[132:133], 0
	s_xor_b64 s[34:35], s[22:23], -1
	v_lshl_add_u64 v[136:137], v[128:129], 3, v[134:135]
	v_mov_b64_e32 v[134:135], v[132:133]
	s_and_saveexec_b64 s[22:23], s[34:35]
	s_cbranch_execz .LBB144_30
; %bb.29:                               ;   in Loop: Header=BB144_28 Depth=1
	flat_load_dwordx2 v[134:135], v[136:137]
	s_waitcnt vmcnt(0) lgkmcnt(0)
	v_mul_f64 v[134:135], s[16:17], v[134:135]
.LBB144_30:                             ;   in Loop: Header=BB144_28 Depth=1
	s_or_b64 exec, exec, s[22:23]
	s_or_b64 s[22:23], s[4:5], vcc
	s_or_b64 s[22:23], s[14:15], s[22:23]
	s_xor_b64 s[34:35], s[22:23], -1
	s_and_saveexec_b64 s[22:23], s[34:35]
	s_cbranch_execz .LBB144_32
; %bb.31:                               ;   in Loop: Header=BB144_28 Depth=1
	flat_load_dwordx2 v[132:133], v[136:137] offset:512
	s_waitcnt vmcnt(0) lgkmcnt(0)
	v_mul_f64 v[132:133], s[16:17], v[132:133]
.LBB144_32:                             ;   in Loop: Header=BB144_28 Depth=1
	s_or_b64 exec, exec, s[22:23]
	v_mad_i64_i32 v[136:137], s[22:23], v138, s28, 0
	s_or_b64 s[22:23], s[6:7], vcc
	v_lshl_add_u64 v[138:139], v[136:137], 3, s[18:19]
	s_or_b64 s[22:23], s[14:15], s[22:23]
	v_mov_b64_e32 v[136:137], 0
	s_xor_b64 s[34:35], s[22:23], -1
	v_lshl_add_u64 v[140:141], v[130:131], 3, v[138:139]
	v_mov_b64_e32 v[138:139], v[136:137]
	s_and_saveexec_b64 s[22:23], s[34:35]
	s_cbranch_execz .LBB144_34
; %bb.33:                               ;   in Loop: Header=BB144_28 Depth=1
	flat_load_dwordx2 v[138:139], v[140:141]
	s_waitcnt vmcnt(0) lgkmcnt(0)
	v_mul_f64 v[138:139], s[16:17], v[138:139]
.LBB144_34:                             ;   in Loop: Header=BB144_28 Depth=1
	s_or_b64 exec, exec, s[22:23]
	s_or_b64 s[22:23], s[8:9], vcc
	s_or_b64 s[22:23], s[14:15], s[22:23]
	s_xor_b64 s[34:35], s[22:23], -1
	s_and_saveexec_b64 s[22:23], s[34:35]
	s_cbranch_execz .LBB144_36
; %bb.35:                               ;   in Loop: Header=BB144_28 Depth=1
	flat_load_dwordx2 v[136:137], v[140:141] offset:512
	s_waitcnt vmcnt(0) lgkmcnt(0)
	v_mul_f64 v[136:137], s[16:17], v[136:137]
.LBB144_36:                             ;   in Loop: Header=BB144_28 Depth=1
	s_or_b64 exec, exec, s[22:23]
	s_mov_b32 s22, 0
.LBB144_37:                             ;   Parent Loop BB144_28 Depth=1
                                        ; =>  This Inner Loop Header: Depth=2
	v_add_u32_e32 v140, s22, v149
	v_add_u32_e32 v141, s22, v150
	ds_read2_b64 v[154:157], v140 offset1:16
	ds_read2_b64 v[158:161], v140 offset0:32 offset1:48
	ds_read2_b64 v[162:165], v140 offset0:64 offset1:80
	ds_read2_b64 v[166:169], v140 offset0:96 offset1:112
	ds_read2_b64 v[170:173], v140 offset0:128 offset1:144
	ds_read2_b64 v[174:177], v140 offset0:160 offset1:176
	ds_read2_b64 v[178:181], v140 offset0:192 offset1:208
	ds_read2_b64 v[182:185], v140 offset0:224 offset1:240
	v_add_u32_e32 v140, 0x800, v140
	ds_read2st64_b64 v[186:189], v141 offset1:4
	ds_read2_b64 v[190:193], v140 offset1:16
	ds_read2_b64 v[194:197], v140 offset0:32 offset1:48
	ds_read2_b64 v[198:201], v140 offset0:64 offset1:80
	;; [unrolled: 1-line block ×7, first 2 shown]
	s_waitcnt lgkmcnt(14)
	v_max_f64 v[154:155], v[154:155], v[154:155]
	v_max_f64 v[156:157], v[156:157], v[156:157]
	v_max_f64 v[158:159], v[158:159], v[158:159]
	s_waitcnt lgkmcnt(8)
	v_max_f64 v[140:141], v[186:187], v[186:187]
	v_max_f64 v[160:161], v[160:161], v[160:161]
	;; [unrolled: 1-line block ×15, first 2 shown]
	v_min_f64 v[188:189], v[154:155], v[140:141]
	v_min_f64 v[222:223], v[156:157], v[140:141]
	;; [unrolled: 1-line block ×16, first 2 shown]
	s_waitcnt lgkmcnt(7)
	v_max_f64 v[190:191], v[190:191], v[190:191]
	v_max_f64 v[192:193], v[192:193], v[192:193]
	s_waitcnt lgkmcnt(6)
	v_max_f64 v[194:195], v[194:195], v[194:195]
	v_max_f64 v[196:197], v[196:197], v[196:197]
	;; [unrolled: 3-line block ×8, first 2 shown]
	v_min_f64 v[154:155], v[154:155], v[186:187]
	v_min_f64 v[156:157], v[156:157], v[186:187]
	;; [unrolled: 1-line block ×16, first 2 shown]
	s_add_i32 s22, s22, 8
	v_add_f64 v[126:127], v[188:189], v[126:127]
	v_add_f64 v[124:125], v[222:223], v[124:125]
	;; [unrolled: 1-line block ×15, first 2 shown]
	v_min_f64 v[188:189], v[190:191], v[140:141]
	v_min_f64 v[222:223], v[192:193], v[140:141]
	;; [unrolled: 1-line block ×16, first 2 shown]
	v_add_f64 v[62:63], v[154:155], v[62:63]
	v_add_f64 v[60:61], v[156:157], v[60:61]
	;; [unrolled: 1-line block ×16, first 2 shown]
	v_min_f64 v[154:155], v[190:191], v[186:187]
	v_min_f64 v[156:157], v[192:193], v[186:187]
	;; [unrolled: 1-line block ×16, first 2 shown]
	s_cmp_eq_u32 s22, 32
	v_add_f64 v[96:97], v[250:251], v[96:97]
	v_add_f64 v[94:95], v[188:189], v[94:95]
	;; [unrolled: 1-line block ×33, first 2 shown]
	s_cbranch_scc0 .LBB144_37
; %bb.38:                               ;   in Loop: Header=BB144_28 Depth=1
	ds_write2st64_b64 v145, v[134:135], v[132:133] offset1:4
	ds_write2st64_b64 v146, v[138:139], v[136:137] offset1:4
	v_add3_u32 v132, v144, s30, 4
	v_min_i32_e32 v138, s27, v132
	v_cmp_le_i32_e32 vcc, s74, v132
	v_mad_i64_i32 v[132:133], s[22:23], v138, s26, 0
	s_or_b64 s[22:23], s[2:3], vcc
	v_lshl_add_u64 v[134:135], v[132:133], 3, s[20:21]
	s_or_b64 s[22:23], s[14:15], s[22:23]
	v_mov_b64_e32 v[132:133], 0
	s_xor_b64 s[34:35], s[22:23], -1
	v_lshl_add_u64 v[136:137], v[128:129], 3, v[134:135]
	v_mov_b64_e32 v[134:135], v[132:133]
	s_waitcnt lgkmcnt(0)
	s_barrier
	s_and_saveexec_b64 s[22:23], s[34:35]
	s_cbranch_execz .LBB144_40
; %bb.39:                               ;   in Loop: Header=BB144_28 Depth=1
	flat_load_dwordx2 v[134:135], v[136:137]
	s_waitcnt vmcnt(0) lgkmcnt(0)
	v_mul_f64 v[134:135], s[16:17], v[134:135]
.LBB144_40:                             ;   in Loop: Header=BB144_28 Depth=1
	s_or_b64 exec, exec, s[22:23]
	s_or_b64 s[22:23], s[4:5], vcc
	s_or_b64 s[22:23], s[14:15], s[22:23]
	s_xor_b64 s[34:35], s[22:23], -1
	s_and_saveexec_b64 s[22:23], s[34:35]
	s_cbranch_execz .LBB144_42
; %bb.41:                               ;   in Loop: Header=BB144_28 Depth=1
	flat_load_dwordx2 v[132:133], v[136:137] offset:512
	s_waitcnt vmcnt(0) lgkmcnt(0)
	v_mul_f64 v[132:133], s[16:17], v[132:133]
.LBB144_42:                             ;   in Loop: Header=BB144_28 Depth=1
	s_or_b64 exec, exec, s[22:23]
	v_mad_i64_i32 v[136:137], s[22:23], v138, s28, 0
	s_or_b64 s[22:23], s[6:7], vcc
	v_lshl_add_u64 v[138:139], v[136:137], 3, s[18:19]
	s_or_b64 s[22:23], s[14:15], s[22:23]
	v_mov_b64_e32 v[136:137], 0
	s_xor_b64 s[34:35], s[22:23], -1
	v_lshl_add_u64 v[140:141], v[130:131], 3, v[138:139]
	v_mov_b64_e32 v[138:139], v[136:137]
	s_and_saveexec_b64 s[22:23], s[34:35]
	s_cbranch_execz .LBB144_44
; %bb.43:                               ;   in Loop: Header=BB144_28 Depth=1
	flat_load_dwordx2 v[138:139], v[140:141]
	s_waitcnt vmcnt(0) lgkmcnt(0)
	v_mul_f64 v[138:139], s[16:17], v[138:139]
.LBB144_44:                             ;   in Loop: Header=BB144_28 Depth=1
	s_or_b64 exec, exec, s[22:23]
	s_or_b64 s[22:23], s[8:9], vcc
	s_or_b64 s[22:23], s[14:15], s[22:23]
	s_xor_b64 s[34:35], s[22:23], -1
	s_and_saveexec_b64 s[22:23], s[34:35]
	s_cbranch_execz .LBB144_46
; %bb.45:                               ;   in Loop: Header=BB144_28 Depth=1
	flat_load_dwordx2 v[136:137], v[140:141] offset:512
	s_waitcnt vmcnt(0) lgkmcnt(0)
	v_mul_f64 v[136:137], s[16:17], v[136:137]
.LBB144_46:                             ;   in Loop: Header=BB144_28 Depth=1
	s_or_b64 exec, exec, s[22:23]
	s_mov_b32 s22, 0
.LBB144_47:                             ;   Parent Loop BB144_28 Depth=1
                                        ; =>  This Inner Loop Header: Depth=2
	v_add_u32_e32 v140, s22, v147
	v_add_u32_e32 v141, s22, v148
	ds_read2_b64 v[154:157], v140 offset1:16
	ds_read2_b64 v[158:161], v140 offset0:32 offset1:48
	ds_read2_b64 v[162:165], v140 offset0:64 offset1:80
	;; [unrolled: 1-line block ×7, first 2 shown]
	v_add_u32_e32 v140, 0x800, v140
	ds_read2st64_b64 v[186:189], v141 offset1:4
	ds_read2_b64 v[190:193], v140 offset1:16
	ds_read2_b64 v[194:197], v140 offset0:32 offset1:48
	ds_read2_b64 v[198:201], v140 offset0:64 offset1:80
	;; [unrolled: 1-line block ×7, first 2 shown]
	s_waitcnt lgkmcnt(14)
	v_max_f64 v[154:155], v[154:155], v[154:155]
	v_max_f64 v[156:157], v[156:157], v[156:157]
	;; [unrolled: 1-line block ×3, first 2 shown]
	s_waitcnt lgkmcnt(8)
	v_max_f64 v[140:141], v[186:187], v[186:187]
	v_max_f64 v[160:161], v[160:161], v[160:161]
	v_max_f64 v[162:163], v[162:163], v[162:163]
	v_max_f64 v[164:165], v[164:165], v[164:165]
	v_max_f64 v[166:167], v[166:167], v[166:167]
	v_max_f64 v[168:169], v[168:169], v[168:169]
	v_max_f64 v[170:171], v[170:171], v[170:171]
	v_max_f64 v[172:173], v[172:173], v[172:173]
	v_max_f64 v[174:175], v[174:175], v[174:175]
	v_max_f64 v[176:177], v[176:177], v[176:177]
	v_max_f64 v[178:179], v[178:179], v[178:179]
	v_max_f64 v[180:181], v[180:181], v[180:181]
	v_max_f64 v[182:183], v[182:183], v[182:183]
	v_max_f64 v[184:185], v[184:185], v[184:185]
	v_max_f64 v[186:187], v[188:189], v[188:189]
	v_min_f64 v[188:189], v[154:155], v[140:141]
	v_min_f64 v[222:223], v[156:157], v[140:141]
	;; [unrolled: 1-line block ×16, first 2 shown]
	s_waitcnt lgkmcnt(7)
	v_max_f64 v[190:191], v[190:191], v[190:191]
	v_max_f64 v[192:193], v[192:193], v[192:193]
	s_waitcnt lgkmcnt(6)
	v_max_f64 v[194:195], v[194:195], v[194:195]
	v_max_f64 v[196:197], v[196:197], v[196:197]
	;; [unrolled: 3-line block ×8, first 2 shown]
	v_min_f64 v[154:155], v[154:155], v[186:187]
	v_min_f64 v[156:157], v[156:157], v[186:187]
	;; [unrolled: 1-line block ×16, first 2 shown]
	s_add_i32 s22, s22, 8
	v_add_f64 v[126:127], v[188:189], v[126:127]
	v_add_f64 v[124:125], v[222:223], v[124:125]
	;; [unrolled: 1-line block ×15, first 2 shown]
	v_min_f64 v[188:189], v[190:191], v[140:141]
	v_min_f64 v[222:223], v[192:193], v[140:141]
	;; [unrolled: 1-line block ×16, first 2 shown]
	v_add_f64 v[62:63], v[154:155], v[62:63]
	v_add_f64 v[60:61], v[156:157], v[60:61]
	;; [unrolled: 1-line block ×16, first 2 shown]
	v_min_f64 v[154:155], v[190:191], v[186:187]
	v_min_f64 v[156:157], v[192:193], v[186:187]
	;; [unrolled: 1-line block ×16, first 2 shown]
	s_cmp_eq_u32 s22, 32
	v_add_f64 v[96:97], v[250:251], v[96:97]
	v_add_f64 v[94:95], v[188:189], v[94:95]
	v_add_f64 v[92:93], v[222:223], v[92:93]
	v_add_f64 v[90:91], v[224:225], v[90:91]
	v_add_f64 v[88:89], v[226:227], v[88:89]
	v_add_f64 v[86:87], v[228:229], v[86:87]
	v_add_f64 v[84:85], v[230:231], v[84:85]
	v_add_f64 v[82:83], v[232:233], v[82:83]
	v_add_f64 v[80:81], v[234:235], v[80:81]
	v_add_f64 v[78:79], v[236:237], v[78:79]
	v_add_f64 v[76:77], v[238:239], v[76:77]
	v_add_f64 v[74:75], v[240:241], v[74:75]
	v_add_f64 v[72:73], v[242:243], v[72:73]
	v_add_f64 v[70:71], v[244:245], v[70:71]
	v_add_f64 v[68:69], v[246:247], v[68:69]
	v_add_f64 v[66:67], v[248:249], v[66:67]
	v_add_f64 v[64:65], v[140:141], v[64:65]
	v_add_f64 v[30:31], v[154:155], v[30:31]
	v_add_f64 v[28:29], v[156:157], v[28:29]
	v_add_f64 v[26:27], v[158:159], v[26:27]
	v_add_f64 v[24:25], v[160:161], v[24:25]
	v_add_f64 v[22:23], v[162:163], v[22:23]
	v_add_f64 v[20:21], v[164:165], v[20:21]
	v_add_f64 v[18:19], v[166:167], v[18:19]
	v_add_f64 v[16:17], v[168:169], v[16:17]
	v_add_f64 v[14:15], v[170:171], v[14:15]
	v_add_f64 v[12:13], v[172:173], v[12:13]
	v_add_f64 v[10:11], v[174:175], v[10:11]
	v_add_f64 v[8:9], v[176:177], v[8:9]
	v_add_f64 v[6:7], v[178:179], v[6:7]
	v_add_f64 v[4:5], v[180:181], v[4:5]
	v_add_f64 v[2:3], v[182:183], v[2:3]
	v_add_f64 v[0:1], v[184:185], v[0:1]
	s_cbranch_scc0 .LBB144_47
; %bb.48:                               ;   in Loop: Header=BB144_28 Depth=1
	s_add_i32 s30, s30, 8
	s_add_i32 s31, s31, 8
	s_cmp_ge_i32 s31, s29
	ds_write2st64_b64 v151, v[134:135], v[132:133] offset1:4
	ds_write2st64_b64 v152, v[138:139], v[136:137] offset1:4
	s_waitcnt lgkmcnt(0)
	s_barrier
	s_cbranch_scc0 .LBB144_28
.LBB144_49:
	s_mov_b32 s2, 0
.LBB144_50:                             ; =>This Inner Loop Header: Depth=1
	v_add_u32_e32 v140, s2, v149
	v_add_u32_e32 v141, s2, v150
	ds_read2_b64 v[128:131], v140 offset1:16
	ds_read2_b64 v[132:135], v140 offset0:32 offset1:48
	ds_read2_b64 v[136:139], v140 offset0:64 offset1:80
	;; [unrolled: 1-line block ×7, first 2 shown]
	v_add_u32_e32 v140, 0x800, v140
	ds_read2st64_b64 v[168:171], v141 offset1:4
	ds_read2_b64 v[172:175], v140 offset1:16
	ds_read2_b64 v[176:179], v140 offset0:32 offset1:48
	ds_read2_b64 v[180:183], v140 offset0:64 offset1:80
	;; [unrolled: 1-line block ×7, first 2 shown]
	s_waitcnt lgkmcnt(14)
	v_max_f64 v[128:129], v[128:129], v[128:129]
	v_max_f64 v[130:131], v[130:131], v[130:131]
	;; [unrolled: 1-line block ×3, first 2 shown]
	s_waitcnt lgkmcnt(8)
	v_max_f64 v[140:141], v[168:169], v[168:169]
	v_max_f64 v[134:135], v[134:135], v[134:135]
	v_max_f64 v[136:137], v[136:137], v[136:137]
	v_max_f64 v[138:139], v[138:139], v[138:139]
	v_max_f64 v[144:145], v[144:145], v[144:145]
	v_max_f64 v[146:147], v[146:147], v[146:147]
	v_max_f64 v[152:153], v[152:153], v[152:153]
	v_max_f64 v[154:155], v[154:155], v[154:155]
	v_max_f64 v[156:157], v[156:157], v[156:157]
	v_max_f64 v[158:159], v[158:159], v[158:159]
	v_max_f64 v[160:161], v[160:161], v[160:161]
	v_max_f64 v[162:163], v[162:163], v[162:163]
	v_max_f64 v[164:165], v[164:165], v[164:165]
	v_max_f64 v[166:167], v[166:167], v[166:167]
	v_max_f64 v[168:169], v[170:171], v[170:171]
	v_min_f64 v[170:171], v[128:129], v[140:141]
	v_min_f64 v[204:205], v[130:131], v[140:141]
	;; [unrolled: 1-line block ×16, first 2 shown]
	s_waitcnt lgkmcnt(7)
	v_max_f64 v[172:173], v[172:173], v[172:173]
	v_max_f64 v[174:175], v[174:175], v[174:175]
	s_waitcnt lgkmcnt(6)
	v_max_f64 v[176:177], v[176:177], v[176:177]
	v_max_f64 v[178:179], v[178:179], v[178:179]
	s_waitcnt lgkmcnt(5)
	v_max_f64 v[180:181], v[180:181], v[180:181]
	v_max_f64 v[182:183], v[182:183], v[182:183]
	s_waitcnt lgkmcnt(4)
	v_max_f64 v[184:185], v[184:185], v[184:185]
	v_max_f64 v[186:187], v[186:187], v[186:187]
	s_waitcnt lgkmcnt(3)
	v_max_f64 v[188:189], v[188:189], v[188:189]
	v_max_f64 v[190:191], v[190:191], v[190:191]
	s_waitcnt lgkmcnt(2)
	v_max_f64 v[192:193], v[192:193], v[192:193]
	v_max_f64 v[194:195], v[194:195], v[194:195]
	s_waitcnt lgkmcnt(1)
	v_max_f64 v[196:197], v[196:197], v[196:197]
	v_max_f64 v[198:199], v[198:199], v[198:199]
	s_waitcnt lgkmcnt(0)
	v_max_f64 v[200:201], v[200:201], v[200:201]
	v_max_f64 v[202:203], v[202:203], v[202:203]
	v_min_f64 v[128:129], v[128:129], v[168:169]
	v_min_f64 v[130:131], v[130:131], v[168:169]
	;; [unrolled: 1-line block ×16, first 2 shown]
	s_add_i32 s2, s2, 8
	v_add_f64 v[126:127], v[170:171], v[126:127]
	v_add_f64 v[124:125], v[204:205], v[124:125]
	;; [unrolled: 1-line block ×15, first 2 shown]
	v_min_f64 v[170:171], v[172:173], v[140:141]
	v_min_f64 v[204:205], v[174:175], v[140:141]
	;; [unrolled: 1-line block ×16, first 2 shown]
	v_add_f64 v[62:63], v[128:129], v[62:63]
	v_add_f64 v[60:61], v[130:131], v[60:61]
	;; [unrolled: 1-line block ×16, first 2 shown]
	v_min_f64 v[128:129], v[172:173], v[168:169]
	v_min_f64 v[130:131], v[174:175], v[168:169]
	;; [unrolled: 1-line block ×16, first 2 shown]
	s_cmp_eq_u32 s2, 32
	v_add_f64 v[96:97], v[232:233], v[96:97]
	v_add_f64 v[94:95], v[170:171], v[94:95]
	;; [unrolled: 1-line block ×33, first 2 shown]
	s_cbranch_scc0 .LBB144_50
; %bb.51:
	s_load_dwordx2 s[2:3], s[0:1], 0x78
	s_load_dword s78, s[0:1], 0x58
	s_load_dword s33, s[0:1], 0x70
	v_add_u32_e32 v136, s25, v143
	v_add_u32_e32 v128, s24, v142
	s_waitcnt lgkmcnt(0)
	s_lshl_b64 s[0:1], s[2:3], 3
	s_add_u32 s74, s12, s0
	s_addc_u32 s75, s13, s1
	v_mad_i64_i32 v[130:131], s[0:1], v136, s78, 0
	v_cmp_gt_i32_e64 s[24:25], s73, v136
	v_lshl_add_u64 v[132:133], v[130:131], 3, s[76:77]
	v_mad_i64_i32 v[130:131], s[0:1], v136, s33, 0
	v_cmp_gt_i32_e64 s[2:3], s72, v128
	v_cndmask_b32_e64 v134, 0, 1, s[10:11]
	v_lshl_add_u64 v[130:131], v[130:131], 3, s[74:75]
	s_and_b64 s[6:7], s[24:25], s[2:3]
	v_ashrrev_i32_e32 v129, 31, v128
	v_cmp_ne_u32_e64 s[0:1], 1, v134
	s_and_saveexec_b64 s[4:5], s[6:7]
	s_cbranch_execz .LBB144_56
; %bb.52:
	s_and_b64 vcc, exec, s[0:1]
	s_cbranch_vccnz .LBB144_54
; %bb.53:
	v_lshl_add_u64 v[134:135], v[128:129], 3, v[132:133]
	flat_load_dwordx2 v[134:135], v[134:135]
	s_waitcnt vmcnt(0) lgkmcnt(0)
	v_mul_f64 v[134:135], s[70:71], v[134:135]
	s_branch .LBB144_55
.LBB144_54:
	v_mov_b64_e32 v[134:135], 0
.LBB144_55:
	v_add_f64 v[126:127], v[126:127], v[134:135]
	v_lshl_add_u64 v[134:135], v[128:129], 3, v[130:131]
	global_store_dwordx2 v[134:135], v[126:127], off
.LBB144_56:
	s_or_b64 exec, exec, s[4:5]
	v_add_u32_e32 v126, 4, v128
	v_cmp_gt_i32_e64 s[4:5], s72, v126
	s_and_b64 s[8:9], s[24:25], s[4:5]
	v_ashrrev_i32_e32 v127, 31, v126
	s_and_saveexec_b64 s[6:7], s[8:9]
	s_cbranch_execz .LBB144_61
; %bb.57:
	s_and_b64 vcc, exec, s[0:1]
	s_cbranch_vccnz .LBB144_59
; %bb.58:
	v_lshl_add_u64 v[134:135], v[126:127], 3, v[132:133]
	flat_load_dwordx2 v[134:135], v[134:135]
	s_waitcnt vmcnt(0) lgkmcnt(0)
	v_mul_f64 v[134:135], s[70:71], v[134:135]
	s_branch .LBB144_60
.LBB144_59:
	v_mov_b64_e32 v[134:135], 0
.LBB144_60:
	v_add_f64 v[124:125], v[124:125], v[134:135]
	v_lshl_add_u64 v[134:135], v[126:127], 3, v[130:131]
	global_store_dwordx2 v[134:135], v[124:125], off
.LBB144_61:
	s_or_b64 exec, exec, s[6:7]
	v_add_u32_e32 v124, 8, v128
	v_cmp_gt_i32_e64 s[6:7], s72, v124
	s_and_b64 s[10:11], s[24:25], s[6:7]
	v_ashrrev_i32_e32 v125, 31, v124
	;; [unrolled: 23-line block ×31, first 2 shown]
	s_and_saveexec_b64 s[24:25], s[80:81]
	s_cbranch_execz .LBB144_211
; %bb.207:
	s_and_b64 vcc, exec, s[0:1]
	s_cbranch_vccnz .LBB144_209
; %bb.208:
	v_lshl_add_u64 v[132:133], v[66:67], 3, v[132:133]
	flat_load_dwordx2 v[132:133], v[132:133]
	s_waitcnt vmcnt(0) lgkmcnt(0)
	v_mul_f64 v[132:133], s[70:71], v[132:133]
	s_branch .LBB144_210
.LBB144_209:
	v_mov_b64_e32 v[132:133], 0
.LBB144_210:
	v_add_f64 v[64:65], v[64:65], v[132:133]
	v_lshl_add_u64 v[130:131], v[66:67], 3, v[130:131]
	global_store_dwordx2 v[130:131], v[64:65], off
.LBB144_211:
	s_or_b64 exec, exec, s[24:25]
	v_add_u32_e32 v132, 64, v136
	v_cmp_gt_i32_e64 s[24:25], s73, v132
	v_mad_i64_i32 v[64:65], s[72:73], v132, s78, 0
	v_lshl_add_u64 v[130:131], v[64:65], 3, s[76:77]
	v_mad_i64_i32 v[64:65], s[72:73], v132, s33, 0
	v_lshl_add_u64 v[64:65], v[64:65], 3, s[74:75]
	s_and_b64 s[2:3], s[24:25], s[2:3]
	s_and_saveexec_b64 s[72:73], s[2:3]
	s_xor_b64 s[2:3], exec, s[72:73]
	s_cbranch_execnz .LBB144_244
; %bb.212:
	s_or_b64 exec, exec, s[2:3]
	s_and_b64 s[4:5], s[24:25], s[4:5]
	s_and_saveexec_b64 s[2:3], s[4:5]
	s_cbranch_execnz .LBB144_248
.LBB144_213:
	s_or_b64 exec, exec, s[2:3]
	s_and_b64 s[4:5], s[24:25], s[6:7]
	s_and_saveexec_b64 s[2:3], s[4:5]
	s_cbranch_execnz .LBB144_252
.LBB144_214:
	s_or_b64 exec, exec, s[2:3]
	s_and_b64 s[4:5], s[24:25], s[8:9]
	s_and_saveexec_b64 s[2:3], s[4:5]
	s_cbranch_execnz .LBB144_256
.LBB144_215:
	s_or_b64 exec, exec, s[2:3]
	s_and_b64 s[4:5], s[24:25], s[10:11]
	s_and_saveexec_b64 s[2:3], s[4:5]
	s_cbranch_execnz .LBB144_260
.LBB144_216:
	s_or_b64 exec, exec, s[2:3]
	s_and_b64 s[4:5], s[24:25], s[12:13]
	s_and_saveexec_b64 s[2:3], s[4:5]
	s_cbranch_execnz .LBB144_264
.LBB144_217:
	s_or_b64 exec, exec, s[2:3]
	s_and_b64 s[4:5], s[24:25], s[14:15]
	s_and_saveexec_b64 s[2:3], s[4:5]
	s_cbranch_execnz .LBB144_268
.LBB144_218:
	s_or_b64 exec, exec, s[2:3]
	s_and_b64 s[4:5], s[24:25], s[16:17]
	s_and_saveexec_b64 s[2:3], s[4:5]
	s_cbranch_execnz .LBB144_272
.LBB144_219:
	s_or_b64 exec, exec, s[2:3]
	s_and_b64 s[4:5], s[24:25], s[18:19]
	s_and_saveexec_b64 s[2:3], s[4:5]
	s_cbranch_execnz .LBB144_276
.LBB144_220:
	s_or_b64 exec, exec, s[2:3]
	s_and_b64 s[4:5], s[24:25], s[20:21]
	s_and_saveexec_b64 s[2:3], s[4:5]
	s_cbranch_execnz .LBB144_280
.LBB144_221:
	s_or_b64 exec, exec, s[2:3]
	s_and_b64 s[4:5], s[24:25], s[22:23]
	s_and_saveexec_b64 s[2:3], s[4:5]
	s_cbranch_execnz .LBB144_284
.LBB144_222:
	s_or_b64 exec, exec, s[2:3]
	s_and_b64 s[4:5], s[24:25], s[26:27]
	s_and_saveexec_b64 s[2:3], s[4:5]
	s_cbranch_execnz .LBB144_288
.LBB144_223:
	s_or_b64 exec, exec, s[2:3]
	s_and_b64 s[4:5], s[24:25], s[28:29]
	s_and_saveexec_b64 s[2:3], s[4:5]
	s_cbranch_execnz .LBB144_292
.LBB144_224:
	s_or_b64 exec, exec, s[2:3]
	s_and_b64 s[4:5], s[24:25], s[30:31]
	s_and_saveexec_b64 s[2:3], s[4:5]
	s_cbranch_execnz .LBB144_296
.LBB144_225:
	s_or_b64 exec, exec, s[2:3]
	s_and_b64 s[4:5], s[24:25], s[34:35]
	s_and_saveexec_b64 s[2:3], s[4:5]
	s_cbranch_execnz .LBB144_300
.LBB144_226:
	s_or_b64 exec, exec, s[2:3]
	s_and_b64 s[4:5], s[24:25], s[36:37]
	s_and_saveexec_b64 s[2:3], s[4:5]
	s_cbranch_execnz .LBB144_304
.LBB144_227:
	s_or_b64 exec, exec, s[2:3]
	s_and_b64 s[4:5], s[24:25], s[38:39]
	s_and_saveexec_b64 s[2:3], s[4:5]
	s_cbranch_execnz .LBB144_308
.LBB144_228:
	s_or_b64 exec, exec, s[2:3]
	s_and_b64 s[4:5], s[24:25], s[40:41]
	s_and_saveexec_b64 s[2:3], s[4:5]
	s_cbranch_execnz .LBB144_312
.LBB144_229:
	s_or_b64 exec, exec, s[2:3]
	s_and_b64 s[4:5], s[24:25], s[42:43]
	s_and_saveexec_b64 s[2:3], s[4:5]
	s_cbranch_execnz .LBB144_316
.LBB144_230:
	s_or_b64 exec, exec, s[2:3]
	s_and_b64 s[4:5], s[24:25], s[44:45]
	s_and_saveexec_b64 s[2:3], s[4:5]
	s_cbranch_execnz .LBB144_320
.LBB144_231:
	s_or_b64 exec, exec, s[2:3]
	s_and_b64 s[4:5], s[24:25], s[46:47]
	s_and_saveexec_b64 s[2:3], s[4:5]
	s_cbranch_execnz .LBB144_324
.LBB144_232:
	s_or_b64 exec, exec, s[2:3]
	s_and_b64 s[4:5], s[24:25], s[48:49]
	s_and_saveexec_b64 s[2:3], s[4:5]
	s_cbranch_execnz .LBB144_328
.LBB144_233:
	s_or_b64 exec, exec, s[2:3]
	s_and_b64 s[4:5], s[24:25], s[50:51]
	s_and_saveexec_b64 s[2:3], s[4:5]
	s_cbranch_execnz .LBB144_332
.LBB144_234:
	s_or_b64 exec, exec, s[2:3]
	s_and_b64 s[4:5], s[24:25], s[52:53]
	s_and_saveexec_b64 s[2:3], s[4:5]
	s_cbranch_execnz .LBB144_336
.LBB144_235:
	s_or_b64 exec, exec, s[2:3]
	s_and_b64 s[4:5], s[24:25], s[54:55]
	s_and_saveexec_b64 s[2:3], s[4:5]
	s_cbranch_execnz .LBB144_340
.LBB144_236:
	s_or_b64 exec, exec, s[2:3]
	s_and_b64 s[4:5], s[24:25], s[56:57]
	s_and_saveexec_b64 s[2:3], s[4:5]
	s_cbranch_execnz .LBB144_344
.LBB144_237:
	s_or_b64 exec, exec, s[2:3]
	s_and_b64 s[4:5], s[24:25], s[58:59]
	s_and_saveexec_b64 s[2:3], s[4:5]
	s_cbranch_execnz .LBB144_348
.LBB144_238:
	s_or_b64 exec, exec, s[2:3]
	s_and_b64 s[4:5], s[24:25], s[60:61]
	s_and_saveexec_b64 s[2:3], s[4:5]
	s_cbranch_execnz .LBB144_352
.LBB144_239:
	s_or_b64 exec, exec, s[2:3]
	s_and_b64 s[4:5], s[24:25], s[62:63]
	s_and_saveexec_b64 s[2:3], s[4:5]
	s_cbranch_execnz .LBB144_356
.LBB144_240:
	s_or_b64 exec, exec, s[2:3]
	s_and_b64 s[4:5], s[24:25], s[64:65]
	s_and_saveexec_b64 s[2:3], s[4:5]
	s_cbranch_execnz .LBB144_360
.LBB144_241:
	s_or_b64 exec, exec, s[2:3]
	s_and_b64 s[4:5], s[24:25], s[66:67]
	s_and_saveexec_b64 s[2:3], s[4:5]
	s_cbranch_execnz .LBB144_364
.LBB144_242:
	s_or_b64 exec, exec, s[2:3]
	s_and_b64 s[2:3], s[24:25], s[68:69]
	s_and_saveexec_b64 s[4:5], s[2:3]
	s_cbranch_execnz .LBB144_368
.LBB144_243:
	s_endpgm
.LBB144_244:
	s_and_b64 vcc, exec, s[0:1]
	s_cbranch_vccnz .LBB144_246
; %bb.245:
	v_lshl_add_u64 v[132:133], v[128:129], 3, v[130:131]
	flat_load_dwordx2 v[132:133], v[132:133]
	s_waitcnt vmcnt(0) lgkmcnt(0)
	v_mul_f64 v[132:133], s[70:71], v[132:133]
	s_branch .LBB144_247
.LBB144_246:
	v_mov_b64_e32 v[132:133], 0
.LBB144_247:
	v_add_f64 v[62:63], v[62:63], v[132:133]
	v_lshl_add_u64 v[128:129], v[128:129], 3, v[64:65]
	global_store_dwordx2 v[128:129], v[62:63], off
	s_or_b64 exec, exec, s[2:3]
	s_and_b64 s[4:5], s[24:25], s[4:5]
	s_and_saveexec_b64 s[2:3], s[4:5]
	s_cbranch_execz .LBB144_213
.LBB144_248:
	s_and_b64 vcc, exec, s[0:1]
	s_cbranch_vccnz .LBB144_250
; %bb.249:
	v_lshl_add_u64 v[62:63], v[126:127], 3, v[130:131]
	flat_load_dwordx2 v[62:63], v[62:63]
	s_waitcnt vmcnt(0) lgkmcnt(0)
	v_mul_f64 v[62:63], s[70:71], v[62:63]
	s_branch .LBB144_251
.LBB144_250:
	v_mov_b64_e32 v[62:63], 0
.LBB144_251:
	v_add_f64 v[60:61], v[60:61], v[62:63]
	v_lshl_add_u64 v[62:63], v[126:127], 3, v[64:65]
	global_store_dwordx2 v[62:63], v[60:61], off
	s_or_b64 exec, exec, s[2:3]
	s_and_b64 s[4:5], s[24:25], s[6:7]
	s_and_saveexec_b64 s[2:3], s[4:5]
	s_cbranch_execz .LBB144_214
.LBB144_252:
	s_and_b64 vcc, exec, s[0:1]
	s_cbranch_vccnz .LBB144_254
; %bb.253:
	v_lshl_add_u64 v[60:61], v[124:125], 3, v[130:131]
	flat_load_dwordx2 v[60:61], v[60:61]
	s_waitcnt vmcnt(0) lgkmcnt(0)
	v_mul_f64 v[60:61], s[70:71], v[60:61]
	s_branch .LBB144_255
.LBB144_254:
	v_mov_b64_e32 v[60:61], 0
.LBB144_255:
	v_add_f64 v[58:59], v[58:59], v[60:61]
	v_lshl_add_u64 v[60:61], v[124:125], 3, v[64:65]
	global_store_dwordx2 v[60:61], v[58:59], off
	s_or_b64 exec, exec, s[2:3]
	s_and_b64 s[4:5], s[24:25], s[8:9]
	s_and_saveexec_b64 s[2:3], s[4:5]
	s_cbranch_execz .LBB144_215
.LBB144_256:
	s_and_b64 vcc, exec, s[0:1]
	s_cbranch_vccnz .LBB144_258
; %bb.257:
	v_lshl_add_u64 v[58:59], v[122:123], 3, v[130:131]
	flat_load_dwordx2 v[58:59], v[58:59]
	s_waitcnt vmcnt(0) lgkmcnt(0)
	v_mul_f64 v[58:59], s[70:71], v[58:59]
	s_branch .LBB144_259
.LBB144_258:
	v_mov_b64_e32 v[58:59], 0
.LBB144_259:
	v_add_f64 v[56:57], v[56:57], v[58:59]
	v_lshl_add_u64 v[58:59], v[122:123], 3, v[64:65]
	global_store_dwordx2 v[58:59], v[56:57], off
	s_or_b64 exec, exec, s[2:3]
	s_and_b64 s[4:5], s[24:25], s[10:11]
	s_and_saveexec_b64 s[2:3], s[4:5]
	s_cbranch_execz .LBB144_216
.LBB144_260:
	s_and_b64 vcc, exec, s[0:1]
	s_cbranch_vccnz .LBB144_262
; %bb.261:
	v_lshl_add_u64 v[56:57], v[120:121], 3, v[130:131]
	flat_load_dwordx2 v[56:57], v[56:57]
	s_waitcnt vmcnt(0) lgkmcnt(0)
	v_mul_f64 v[56:57], s[70:71], v[56:57]
	s_branch .LBB144_263
.LBB144_262:
	v_mov_b64_e32 v[56:57], 0
.LBB144_263:
	v_add_f64 v[54:55], v[54:55], v[56:57]
	v_lshl_add_u64 v[56:57], v[120:121], 3, v[64:65]
	global_store_dwordx2 v[56:57], v[54:55], off
	s_or_b64 exec, exec, s[2:3]
	s_and_b64 s[4:5], s[24:25], s[12:13]
	s_and_saveexec_b64 s[2:3], s[4:5]
	s_cbranch_execz .LBB144_217
.LBB144_264:
	s_and_b64 vcc, exec, s[0:1]
	s_cbranch_vccnz .LBB144_266
; %bb.265:
	v_lshl_add_u64 v[54:55], v[118:119], 3, v[130:131]
	flat_load_dwordx2 v[54:55], v[54:55]
	s_waitcnt vmcnt(0) lgkmcnt(0)
	v_mul_f64 v[54:55], s[70:71], v[54:55]
	s_branch .LBB144_267
.LBB144_266:
	v_mov_b64_e32 v[54:55], 0
.LBB144_267:
	v_add_f64 v[52:53], v[52:53], v[54:55]
	v_lshl_add_u64 v[54:55], v[118:119], 3, v[64:65]
	global_store_dwordx2 v[54:55], v[52:53], off
	s_or_b64 exec, exec, s[2:3]
	s_and_b64 s[4:5], s[24:25], s[14:15]
	s_and_saveexec_b64 s[2:3], s[4:5]
	s_cbranch_execz .LBB144_218
.LBB144_268:
	s_and_b64 vcc, exec, s[0:1]
	s_cbranch_vccnz .LBB144_270
; %bb.269:
	v_lshl_add_u64 v[52:53], v[116:117], 3, v[130:131]
	flat_load_dwordx2 v[52:53], v[52:53]
	s_waitcnt vmcnt(0) lgkmcnt(0)
	v_mul_f64 v[52:53], s[70:71], v[52:53]
	s_branch .LBB144_271
.LBB144_270:
	v_mov_b64_e32 v[52:53], 0
.LBB144_271:
	v_add_f64 v[50:51], v[50:51], v[52:53]
	v_lshl_add_u64 v[52:53], v[116:117], 3, v[64:65]
	global_store_dwordx2 v[52:53], v[50:51], off
	s_or_b64 exec, exec, s[2:3]
	s_and_b64 s[4:5], s[24:25], s[16:17]
	s_and_saveexec_b64 s[2:3], s[4:5]
	s_cbranch_execz .LBB144_219
.LBB144_272:
	s_and_b64 vcc, exec, s[0:1]
	s_cbranch_vccnz .LBB144_274
; %bb.273:
	v_lshl_add_u64 v[50:51], v[114:115], 3, v[130:131]
	flat_load_dwordx2 v[50:51], v[50:51]
	s_waitcnt vmcnt(0) lgkmcnt(0)
	v_mul_f64 v[50:51], s[70:71], v[50:51]
	s_branch .LBB144_275
.LBB144_274:
	v_mov_b64_e32 v[50:51], 0
.LBB144_275:
	v_add_f64 v[48:49], v[48:49], v[50:51]
	v_lshl_add_u64 v[50:51], v[114:115], 3, v[64:65]
	global_store_dwordx2 v[50:51], v[48:49], off
	s_or_b64 exec, exec, s[2:3]
	s_and_b64 s[4:5], s[24:25], s[18:19]
	s_and_saveexec_b64 s[2:3], s[4:5]
	s_cbranch_execz .LBB144_220
.LBB144_276:
	s_and_b64 vcc, exec, s[0:1]
	s_cbranch_vccnz .LBB144_278
; %bb.277:
	v_lshl_add_u64 v[48:49], v[112:113], 3, v[130:131]
	flat_load_dwordx2 v[48:49], v[48:49]
	s_waitcnt vmcnt(0) lgkmcnt(0)
	v_mul_f64 v[48:49], s[70:71], v[48:49]
	s_branch .LBB144_279
.LBB144_278:
	v_mov_b64_e32 v[48:49], 0
.LBB144_279:
	v_add_f64 v[46:47], v[46:47], v[48:49]
	v_lshl_add_u64 v[48:49], v[112:113], 3, v[64:65]
	global_store_dwordx2 v[48:49], v[46:47], off
	s_or_b64 exec, exec, s[2:3]
	s_and_b64 s[4:5], s[24:25], s[20:21]
	s_and_saveexec_b64 s[2:3], s[4:5]
	s_cbranch_execz .LBB144_221
.LBB144_280:
	s_and_b64 vcc, exec, s[0:1]
	s_cbranch_vccnz .LBB144_282
; %bb.281:
	v_lshl_add_u64 v[46:47], v[110:111], 3, v[130:131]
	flat_load_dwordx2 v[46:47], v[46:47]
	s_waitcnt vmcnt(0) lgkmcnt(0)
	v_mul_f64 v[46:47], s[70:71], v[46:47]
	s_branch .LBB144_283
.LBB144_282:
	v_mov_b64_e32 v[46:47], 0
.LBB144_283:
	v_add_f64 v[44:45], v[44:45], v[46:47]
	v_lshl_add_u64 v[46:47], v[110:111], 3, v[64:65]
	global_store_dwordx2 v[46:47], v[44:45], off
	s_or_b64 exec, exec, s[2:3]
	s_and_b64 s[4:5], s[24:25], s[22:23]
	s_and_saveexec_b64 s[2:3], s[4:5]
	s_cbranch_execz .LBB144_222
.LBB144_284:
	s_and_b64 vcc, exec, s[0:1]
	s_cbranch_vccnz .LBB144_286
; %bb.285:
	v_lshl_add_u64 v[44:45], v[108:109], 3, v[130:131]
	flat_load_dwordx2 v[44:45], v[44:45]
	s_waitcnt vmcnt(0) lgkmcnt(0)
	v_mul_f64 v[44:45], s[70:71], v[44:45]
	s_branch .LBB144_287
.LBB144_286:
	v_mov_b64_e32 v[44:45], 0
.LBB144_287:
	v_add_f64 v[42:43], v[42:43], v[44:45]
	v_lshl_add_u64 v[44:45], v[108:109], 3, v[64:65]
	global_store_dwordx2 v[44:45], v[42:43], off
	s_or_b64 exec, exec, s[2:3]
	s_and_b64 s[4:5], s[24:25], s[26:27]
	s_and_saveexec_b64 s[2:3], s[4:5]
	s_cbranch_execz .LBB144_223
.LBB144_288:
	s_and_b64 vcc, exec, s[0:1]
	s_cbranch_vccnz .LBB144_290
; %bb.289:
	v_lshl_add_u64 v[42:43], v[106:107], 3, v[130:131]
	flat_load_dwordx2 v[42:43], v[42:43]
	s_waitcnt vmcnt(0) lgkmcnt(0)
	v_mul_f64 v[42:43], s[70:71], v[42:43]
	s_branch .LBB144_291
.LBB144_290:
	v_mov_b64_e32 v[42:43], 0
.LBB144_291:
	v_add_f64 v[40:41], v[40:41], v[42:43]
	v_lshl_add_u64 v[42:43], v[106:107], 3, v[64:65]
	global_store_dwordx2 v[42:43], v[40:41], off
	s_or_b64 exec, exec, s[2:3]
	s_and_b64 s[4:5], s[24:25], s[28:29]
	s_and_saveexec_b64 s[2:3], s[4:5]
	s_cbranch_execz .LBB144_224
.LBB144_292:
	s_and_b64 vcc, exec, s[0:1]
	s_cbranch_vccnz .LBB144_294
; %bb.293:
	v_lshl_add_u64 v[40:41], v[104:105], 3, v[130:131]
	flat_load_dwordx2 v[40:41], v[40:41]
	s_waitcnt vmcnt(0) lgkmcnt(0)
	v_mul_f64 v[40:41], s[70:71], v[40:41]
	s_branch .LBB144_295
.LBB144_294:
	v_mov_b64_e32 v[40:41], 0
.LBB144_295:
	v_add_f64 v[38:39], v[38:39], v[40:41]
	v_lshl_add_u64 v[40:41], v[104:105], 3, v[64:65]
	global_store_dwordx2 v[40:41], v[38:39], off
	s_or_b64 exec, exec, s[2:3]
	s_and_b64 s[4:5], s[24:25], s[30:31]
	s_and_saveexec_b64 s[2:3], s[4:5]
	s_cbranch_execz .LBB144_225
.LBB144_296:
	s_and_b64 vcc, exec, s[0:1]
	s_cbranch_vccnz .LBB144_298
; %bb.297:
	v_lshl_add_u64 v[38:39], v[102:103], 3, v[130:131]
	flat_load_dwordx2 v[38:39], v[38:39]
	s_waitcnt vmcnt(0) lgkmcnt(0)
	v_mul_f64 v[38:39], s[70:71], v[38:39]
	s_branch .LBB144_299
.LBB144_298:
	v_mov_b64_e32 v[38:39], 0
.LBB144_299:
	v_add_f64 v[36:37], v[36:37], v[38:39]
	v_lshl_add_u64 v[38:39], v[102:103], 3, v[64:65]
	global_store_dwordx2 v[38:39], v[36:37], off
	s_or_b64 exec, exec, s[2:3]
	s_and_b64 s[4:5], s[24:25], s[34:35]
	s_and_saveexec_b64 s[2:3], s[4:5]
	s_cbranch_execz .LBB144_226
.LBB144_300:
	s_and_b64 vcc, exec, s[0:1]
	s_cbranch_vccnz .LBB144_302
; %bb.301:
	v_lshl_add_u64 v[36:37], v[100:101], 3, v[130:131]
	flat_load_dwordx2 v[36:37], v[36:37]
	s_waitcnt vmcnt(0) lgkmcnt(0)
	v_mul_f64 v[36:37], s[70:71], v[36:37]
	s_branch .LBB144_303
.LBB144_302:
	v_mov_b64_e32 v[36:37], 0
.LBB144_303:
	v_add_f64 v[34:35], v[34:35], v[36:37]
	v_lshl_add_u64 v[36:37], v[100:101], 3, v[64:65]
	global_store_dwordx2 v[36:37], v[34:35], off
	s_or_b64 exec, exec, s[2:3]
	s_and_b64 s[4:5], s[24:25], s[36:37]
	s_and_saveexec_b64 s[2:3], s[4:5]
	s_cbranch_execz .LBB144_227
.LBB144_304:
	s_and_b64 vcc, exec, s[0:1]
	s_cbranch_vccnz .LBB144_306
; %bb.305:
	v_lshl_add_u64 v[34:35], v[98:99], 3, v[130:131]
	flat_load_dwordx2 v[34:35], v[34:35]
	s_waitcnt vmcnt(0) lgkmcnt(0)
	v_mul_f64 v[34:35], s[70:71], v[34:35]
	s_branch .LBB144_307
.LBB144_306:
	v_mov_b64_e32 v[34:35], 0
.LBB144_307:
	v_add_f64 v[32:33], v[32:33], v[34:35]
	v_lshl_add_u64 v[34:35], v[98:99], 3, v[64:65]
	global_store_dwordx2 v[34:35], v[32:33], off
	s_or_b64 exec, exec, s[2:3]
	s_and_b64 s[4:5], s[24:25], s[38:39]
	s_and_saveexec_b64 s[2:3], s[4:5]
	s_cbranch_execz .LBB144_228
.LBB144_308:
	s_and_b64 vcc, exec, s[0:1]
	s_cbranch_vccnz .LBB144_310
; %bb.309:
	v_lshl_add_u64 v[32:33], v[96:97], 3, v[130:131]
	flat_load_dwordx2 v[32:33], v[32:33]
	s_waitcnt vmcnt(0) lgkmcnt(0)
	v_mul_f64 v[32:33], s[70:71], v[32:33]
	s_branch .LBB144_311
.LBB144_310:
	v_mov_b64_e32 v[32:33], 0
.LBB144_311:
	v_add_f64 v[30:31], v[30:31], v[32:33]
	v_lshl_add_u64 v[32:33], v[96:97], 3, v[64:65]
	global_store_dwordx2 v[32:33], v[30:31], off
	s_or_b64 exec, exec, s[2:3]
	s_and_b64 s[4:5], s[24:25], s[40:41]
	s_and_saveexec_b64 s[2:3], s[4:5]
	s_cbranch_execz .LBB144_229
.LBB144_312:
	s_and_b64 vcc, exec, s[0:1]
	s_cbranch_vccnz .LBB144_314
; %bb.313:
	v_lshl_add_u64 v[30:31], v[94:95], 3, v[130:131]
	flat_load_dwordx2 v[30:31], v[30:31]
	s_waitcnt vmcnt(0) lgkmcnt(0)
	v_mul_f64 v[30:31], s[70:71], v[30:31]
	s_branch .LBB144_315
.LBB144_314:
	v_mov_b64_e32 v[30:31], 0
.LBB144_315:
	v_add_f64 v[28:29], v[28:29], v[30:31]
	v_lshl_add_u64 v[30:31], v[94:95], 3, v[64:65]
	global_store_dwordx2 v[30:31], v[28:29], off
	s_or_b64 exec, exec, s[2:3]
	s_and_b64 s[4:5], s[24:25], s[42:43]
	s_and_saveexec_b64 s[2:3], s[4:5]
	s_cbranch_execz .LBB144_230
.LBB144_316:
	s_and_b64 vcc, exec, s[0:1]
	s_cbranch_vccnz .LBB144_318
; %bb.317:
	v_lshl_add_u64 v[28:29], v[92:93], 3, v[130:131]
	flat_load_dwordx2 v[28:29], v[28:29]
	s_waitcnt vmcnt(0) lgkmcnt(0)
	v_mul_f64 v[28:29], s[70:71], v[28:29]
	s_branch .LBB144_319
.LBB144_318:
	v_mov_b64_e32 v[28:29], 0
.LBB144_319:
	v_add_f64 v[26:27], v[26:27], v[28:29]
	v_lshl_add_u64 v[28:29], v[92:93], 3, v[64:65]
	global_store_dwordx2 v[28:29], v[26:27], off
	s_or_b64 exec, exec, s[2:3]
	s_and_b64 s[4:5], s[24:25], s[44:45]
	s_and_saveexec_b64 s[2:3], s[4:5]
	s_cbranch_execz .LBB144_231
.LBB144_320:
	s_and_b64 vcc, exec, s[0:1]
	s_cbranch_vccnz .LBB144_322
; %bb.321:
	v_lshl_add_u64 v[26:27], v[90:91], 3, v[130:131]
	flat_load_dwordx2 v[26:27], v[26:27]
	s_waitcnt vmcnt(0) lgkmcnt(0)
	v_mul_f64 v[26:27], s[70:71], v[26:27]
	s_branch .LBB144_323
.LBB144_322:
	v_mov_b64_e32 v[26:27], 0
.LBB144_323:
	v_add_f64 v[24:25], v[24:25], v[26:27]
	v_lshl_add_u64 v[26:27], v[90:91], 3, v[64:65]
	global_store_dwordx2 v[26:27], v[24:25], off
	s_or_b64 exec, exec, s[2:3]
	s_and_b64 s[4:5], s[24:25], s[46:47]
	s_and_saveexec_b64 s[2:3], s[4:5]
	s_cbranch_execz .LBB144_232
.LBB144_324:
	s_and_b64 vcc, exec, s[0:1]
	s_cbranch_vccnz .LBB144_326
; %bb.325:
	v_lshl_add_u64 v[24:25], v[88:89], 3, v[130:131]
	flat_load_dwordx2 v[24:25], v[24:25]
	s_waitcnt vmcnt(0) lgkmcnt(0)
	v_mul_f64 v[24:25], s[70:71], v[24:25]
	s_branch .LBB144_327
.LBB144_326:
	v_mov_b64_e32 v[24:25], 0
.LBB144_327:
	v_add_f64 v[22:23], v[22:23], v[24:25]
	v_lshl_add_u64 v[24:25], v[88:89], 3, v[64:65]
	global_store_dwordx2 v[24:25], v[22:23], off
	s_or_b64 exec, exec, s[2:3]
	s_and_b64 s[4:5], s[24:25], s[48:49]
	s_and_saveexec_b64 s[2:3], s[4:5]
	s_cbranch_execz .LBB144_233
.LBB144_328:
	s_and_b64 vcc, exec, s[0:1]
	s_cbranch_vccnz .LBB144_330
; %bb.329:
	v_lshl_add_u64 v[22:23], v[86:87], 3, v[130:131]
	flat_load_dwordx2 v[22:23], v[22:23]
	s_waitcnt vmcnt(0) lgkmcnt(0)
	v_mul_f64 v[22:23], s[70:71], v[22:23]
	s_branch .LBB144_331
.LBB144_330:
	v_mov_b64_e32 v[22:23], 0
.LBB144_331:
	v_add_f64 v[20:21], v[20:21], v[22:23]
	v_lshl_add_u64 v[22:23], v[86:87], 3, v[64:65]
	global_store_dwordx2 v[22:23], v[20:21], off
	s_or_b64 exec, exec, s[2:3]
	s_and_b64 s[4:5], s[24:25], s[50:51]
	s_and_saveexec_b64 s[2:3], s[4:5]
	s_cbranch_execz .LBB144_234
.LBB144_332:
	s_and_b64 vcc, exec, s[0:1]
	s_cbranch_vccnz .LBB144_334
; %bb.333:
	v_lshl_add_u64 v[20:21], v[84:85], 3, v[130:131]
	flat_load_dwordx2 v[20:21], v[20:21]
	s_waitcnt vmcnt(0) lgkmcnt(0)
	v_mul_f64 v[20:21], s[70:71], v[20:21]
	s_branch .LBB144_335
.LBB144_334:
	v_mov_b64_e32 v[20:21], 0
.LBB144_335:
	v_add_f64 v[18:19], v[18:19], v[20:21]
	v_lshl_add_u64 v[20:21], v[84:85], 3, v[64:65]
	global_store_dwordx2 v[20:21], v[18:19], off
	s_or_b64 exec, exec, s[2:3]
	s_and_b64 s[4:5], s[24:25], s[52:53]
	s_and_saveexec_b64 s[2:3], s[4:5]
	s_cbranch_execz .LBB144_235
.LBB144_336:
	s_and_b64 vcc, exec, s[0:1]
	s_cbranch_vccnz .LBB144_338
; %bb.337:
	v_lshl_add_u64 v[18:19], v[82:83], 3, v[130:131]
	flat_load_dwordx2 v[18:19], v[18:19]
	s_waitcnt vmcnt(0) lgkmcnt(0)
	v_mul_f64 v[18:19], s[70:71], v[18:19]
	s_branch .LBB144_339
.LBB144_338:
	v_mov_b64_e32 v[18:19], 0
.LBB144_339:
	v_add_f64 v[16:17], v[16:17], v[18:19]
	v_lshl_add_u64 v[18:19], v[82:83], 3, v[64:65]
	global_store_dwordx2 v[18:19], v[16:17], off
	s_or_b64 exec, exec, s[2:3]
	s_and_b64 s[4:5], s[24:25], s[54:55]
	s_and_saveexec_b64 s[2:3], s[4:5]
	s_cbranch_execz .LBB144_236
.LBB144_340:
	s_and_b64 vcc, exec, s[0:1]
	s_cbranch_vccnz .LBB144_342
; %bb.341:
	v_lshl_add_u64 v[16:17], v[80:81], 3, v[130:131]
	flat_load_dwordx2 v[16:17], v[16:17]
	s_waitcnt vmcnt(0) lgkmcnt(0)
	v_mul_f64 v[16:17], s[70:71], v[16:17]
	s_branch .LBB144_343
.LBB144_342:
	v_mov_b64_e32 v[16:17], 0
.LBB144_343:
	v_add_f64 v[14:15], v[14:15], v[16:17]
	v_lshl_add_u64 v[16:17], v[80:81], 3, v[64:65]
	global_store_dwordx2 v[16:17], v[14:15], off
	s_or_b64 exec, exec, s[2:3]
	s_and_b64 s[4:5], s[24:25], s[56:57]
	s_and_saveexec_b64 s[2:3], s[4:5]
	s_cbranch_execz .LBB144_237
.LBB144_344:
	s_and_b64 vcc, exec, s[0:1]
	s_cbranch_vccnz .LBB144_346
; %bb.345:
	v_lshl_add_u64 v[14:15], v[78:79], 3, v[130:131]
	flat_load_dwordx2 v[14:15], v[14:15]
	s_waitcnt vmcnt(0) lgkmcnt(0)
	v_mul_f64 v[14:15], s[70:71], v[14:15]
	s_branch .LBB144_347
.LBB144_346:
	v_mov_b64_e32 v[14:15], 0
.LBB144_347:
	v_add_f64 v[12:13], v[12:13], v[14:15]
	v_lshl_add_u64 v[14:15], v[78:79], 3, v[64:65]
	global_store_dwordx2 v[14:15], v[12:13], off
	s_or_b64 exec, exec, s[2:3]
	s_and_b64 s[4:5], s[24:25], s[58:59]
	s_and_saveexec_b64 s[2:3], s[4:5]
	s_cbranch_execz .LBB144_238
.LBB144_348:
	s_and_b64 vcc, exec, s[0:1]
	s_cbranch_vccnz .LBB144_350
; %bb.349:
	v_lshl_add_u64 v[12:13], v[76:77], 3, v[130:131]
	flat_load_dwordx2 v[12:13], v[12:13]
	s_waitcnt vmcnt(0) lgkmcnt(0)
	v_mul_f64 v[12:13], s[70:71], v[12:13]
	s_branch .LBB144_351
.LBB144_350:
	v_mov_b64_e32 v[12:13], 0
.LBB144_351:
	v_add_f64 v[10:11], v[10:11], v[12:13]
	v_lshl_add_u64 v[12:13], v[76:77], 3, v[64:65]
	global_store_dwordx2 v[12:13], v[10:11], off
	s_or_b64 exec, exec, s[2:3]
	s_and_b64 s[4:5], s[24:25], s[60:61]
	s_and_saveexec_b64 s[2:3], s[4:5]
	s_cbranch_execz .LBB144_239
.LBB144_352:
	s_and_b64 vcc, exec, s[0:1]
	s_cbranch_vccnz .LBB144_354
; %bb.353:
	v_lshl_add_u64 v[10:11], v[74:75], 3, v[130:131]
	flat_load_dwordx2 v[10:11], v[10:11]
	s_waitcnt vmcnt(0) lgkmcnt(0)
	v_mul_f64 v[10:11], s[70:71], v[10:11]
	s_branch .LBB144_355
.LBB144_354:
	v_mov_b64_e32 v[10:11], 0
.LBB144_355:
	v_add_f64 v[8:9], v[8:9], v[10:11]
	v_lshl_add_u64 v[10:11], v[74:75], 3, v[64:65]
	global_store_dwordx2 v[10:11], v[8:9], off
	s_or_b64 exec, exec, s[2:3]
	s_and_b64 s[4:5], s[24:25], s[62:63]
	s_and_saveexec_b64 s[2:3], s[4:5]
	s_cbranch_execz .LBB144_240
.LBB144_356:
	s_and_b64 vcc, exec, s[0:1]
	s_cbranch_vccnz .LBB144_358
; %bb.357:
	v_lshl_add_u64 v[8:9], v[72:73], 3, v[130:131]
	flat_load_dwordx2 v[8:9], v[8:9]
	s_waitcnt vmcnt(0) lgkmcnt(0)
	v_mul_f64 v[8:9], s[70:71], v[8:9]
	s_branch .LBB144_359
.LBB144_358:
	v_mov_b64_e32 v[8:9], 0
.LBB144_359:
	v_add_f64 v[6:7], v[6:7], v[8:9]
	v_lshl_add_u64 v[8:9], v[72:73], 3, v[64:65]
	global_store_dwordx2 v[8:9], v[6:7], off
	s_or_b64 exec, exec, s[2:3]
	s_and_b64 s[4:5], s[24:25], s[64:65]
	s_and_saveexec_b64 s[2:3], s[4:5]
	s_cbranch_execz .LBB144_241
.LBB144_360:
	s_and_b64 vcc, exec, s[0:1]
	s_cbranch_vccnz .LBB144_362
; %bb.361:
	v_lshl_add_u64 v[6:7], v[70:71], 3, v[130:131]
	flat_load_dwordx2 v[6:7], v[6:7]
	s_waitcnt vmcnt(0) lgkmcnt(0)
	v_mul_f64 v[6:7], s[70:71], v[6:7]
	s_branch .LBB144_363
.LBB144_362:
	v_mov_b64_e32 v[6:7], 0
.LBB144_363:
	v_add_f64 v[4:5], v[4:5], v[6:7]
	v_lshl_add_u64 v[6:7], v[70:71], 3, v[64:65]
	global_store_dwordx2 v[6:7], v[4:5], off
	s_or_b64 exec, exec, s[2:3]
	s_and_b64 s[4:5], s[24:25], s[66:67]
	s_and_saveexec_b64 s[2:3], s[4:5]
	s_cbranch_execz .LBB144_242
.LBB144_364:
	s_and_b64 vcc, exec, s[0:1]
	s_cbranch_vccnz .LBB144_366
; %bb.365:
	v_lshl_add_u64 v[4:5], v[68:69], 3, v[130:131]
	flat_load_dwordx2 v[4:5], v[4:5]
	s_waitcnt vmcnt(0) lgkmcnt(0)
	v_mul_f64 v[4:5], s[70:71], v[4:5]
	s_branch .LBB144_367
.LBB144_366:
	v_mov_b64_e32 v[4:5], 0
.LBB144_367:
	v_add_f64 v[2:3], v[2:3], v[4:5]
	v_lshl_add_u64 v[4:5], v[68:69], 3, v[64:65]
	global_store_dwordx2 v[4:5], v[2:3], off
	s_or_b64 exec, exec, s[2:3]
	s_and_b64 s[2:3], s[24:25], s[68:69]
	s_and_saveexec_b64 s[4:5], s[2:3]
	s_cbranch_execz .LBB144_243
.LBB144_368:
	s_and_b64 vcc, exec, s[0:1]
	s_cbranch_vccnz .LBB144_370
; %bb.369:
	v_lshl_add_u64 v[2:3], v[66:67], 3, v[130:131]
	flat_load_dwordx2 v[2:3], v[2:3]
	s_waitcnt vmcnt(0) lgkmcnt(0)
	v_mul_f64 v[2:3], s[70:71], v[2:3]
	v_add_f64 v[0:1], v[0:1], v[2:3]
	v_lshl_add_u64 v[2:3], v[66:67], 3, v[64:65]
	global_store_dwordx2 v[2:3], v[0:1], off
	s_endpgm
.LBB144_370:
	v_mov_b64_e32 v[2:3], 0
	v_add_f64 v[0:1], v[0:1], v[2:3]
	v_lshl_add_u64 v[2:3], v[66:67], 3, v[64:65]
	global_store_dwordx2 v[2:3], v[0:1], off
	s_endpgm
	.section	.rodata,"a",@progbits
	.p2align	6, 0x0
	.amdhsa_kernel _ZN12_GLOBAL__N_120geam_min_plus_kernelIdddLi4ELi64ELi128ELi128ELi4ELi64ELi4ELi64ELi4ELc78ELc84ELb0ELb1ELb0EPKdKS2_KPdEEviiiT16_PT17_ilS8_ilS6_S8_ilPT18_ili26rocblas_geam_ex_operation_
		.amdhsa_group_segment_fixed_size 16384
		.amdhsa_private_segment_fixed_size 0
		.amdhsa_kernarg_size 136
		.amdhsa_user_sgpr_count 2
		.amdhsa_user_sgpr_dispatch_ptr 0
		.amdhsa_user_sgpr_queue_ptr 0
		.amdhsa_user_sgpr_kernarg_segment_ptr 1
		.amdhsa_user_sgpr_dispatch_id 0
		.amdhsa_user_sgpr_kernarg_preload_length 0
		.amdhsa_user_sgpr_kernarg_preload_offset 0
		.amdhsa_user_sgpr_private_segment_size 0
		.amdhsa_uses_dynamic_stack 0
		.amdhsa_enable_private_segment 0
		.amdhsa_system_sgpr_workgroup_id_x 1
		.amdhsa_system_sgpr_workgroup_id_y 0
		.amdhsa_system_sgpr_workgroup_id_z 1
		.amdhsa_system_sgpr_workgroup_info 0
		.amdhsa_system_vgpr_workitem_id 1
		.amdhsa_next_free_vgpr 252
		.amdhsa_next_free_sgpr 82
		.amdhsa_accum_offset 252
		.amdhsa_reserve_vcc 1
		.amdhsa_float_round_mode_32 0
		.amdhsa_float_round_mode_16_64 0
		.amdhsa_float_denorm_mode_32 3
		.amdhsa_float_denorm_mode_16_64 3
		.amdhsa_dx10_clamp 1
		.amdhsa_ieee_mode 1
		.amdhsa_fp16_overflow 0
		.amdhsa_tg_split 0
		.amdhsa_exception_fp_ieee_invalid_op 0
		.amdhsa_exception_fp_denorm_src 0
		.amdhsa_exception_fp_ieee_div_zero 0
		.amdhsa_exception_fp_ieee_overflow 0
		.amdhsa_exception_fp_ieee_underflow 0
		.amdhsa_exception_fp_ieee_inexact 0
		.amdhsa_exception_int_div_zero 0
	.end_amdhsa_kernel
	.section	.text._ZN12_GLOBAL__N_120geam_min_plus_kernelIdddLi4ELi64ELi128ELi128ELi4ELi64ELi4ELi64ELi4ELc78ELc84ELb0ELb1ELb0EPKdKS2_KPdEEviiiT16_PT17_ilS8_ilS6_S8_ilPT18_ili26rocblas_geam_ex_operation_,"axG",@progbits,_ZN12_GLOBAL__N_120geam_min_plus_kernelIdddLi4ELi64ELi128ELi128ELi4ELi64ELi4ELi64ELi4ELc78ELc84ELb0ELb1ELb0EPKdKS2_KPdEEviiiT16_PT17_ilS8_ilS6_S8_ilPT18_ili26rocblas_geam_ex_operation_,comdat
.Lfunc_end144:
	.size	_ZN12_GLOBAL__N_120geam_min_plus_kernelIdddLi4ELi64ELi128ELi128ELi4ELi64ELi4ELi64ELi4ELc78ELc84ELb0ELb1ELb0EPKdKS2_KPdEEviiiT16_PT17_ilS8_ilS6_S8_ilPT18_ili26rocblas_geam_ex_operation_, .Lfunc_end144-_ZN12_GLOBAL__N_120geam_min_plus_kernelIdddLi4ELi64ELi128ELi128ELi4ELi64ELi4ELi64ELi4ELc78ELc84ELb0ELb1ELb0EPKdKS2_KPdEEviiiT16_PT17_ilS8_ilS6_S8_ilPT18_ili26rocblas_geam_ex_operation_
                                        ; -- End function
	.section	.AMDGPU.csdata,"",@progbits
; Kernel info:
; codeLenInByte = 14720
; NumSgprs: 88
; NumVgprs: 252
; NumAgprs: 0
; TotalNumVgprs: 252
; ScratchSize: 0
; MemoryBound: 0
; FloatMode: 240
; IeeeMode: 1
; LDSByteSize: 16384 bytes/workgroup (compile time only)
; SGPRBlocks: 10
; VGPRBlocks: 31
; NumSGPRsForWavesPerEU: 88
; NumVGPRsForWavesPerEU: 252
; AccumOffset: 252
; Occupancy: 2
; WaveLimiterHint : 1
; COMPUTE_PGM_RSRC2:SCRATCH_EN: 0
; COMPUTE_PGM_RSRC2:USER_SGPR: 2
; COMPUTE_PGM_RSRC2:TRAP_HANDLER: 0
; COMPUTE_PGM_RSRC2:TGID_X_EN: 1
; COMPUTE_PGM_RSRC2:TGID_Y_EN: 0
; COMPUTE_PGM_RSRC2:TGID_Z_EN: 1
; COMPUTE_PGM_RSRC2:TIDIG_COMP_CNT: 1
; COMPUTE_PGM_RSRC3_GFX90A:ACCUM_OFFSET: 62
; COMPUTE_PGM_RSRC3_GFX90A:TG_SPLIT: 0
	.section	.text._ZN12_GLOBAL__N_120geam_min_plus_kernelIdddLi4ELi64ELi128ELi128ELi4ELi64ELi4ELi64ELi4ELc78ELc84ELb1ELb1ELb0EdKPKdKPdEEviiiT16_PT17_ilS8_ilS6_S8_ilPT18_ili26rocblas_geam_ex_operation_,"axG",@progbits,_ZN12_GLOBAL__N_120geam_min_plus_kernelIdddLi4ELi64ELi128ELi128ELi4ELi64ELi4ELi64ELi4ELc78ELc84ELb1ELb1ELb0EdKPKdKPdEEviiiT16_PT17_ilS8_ilS6_S8_ilPT18_ili26rocblas_geam_ex_operation_,comdat
	.globl	_ZN12_GLOBAL__N_120geam_min_plus_kernelIdddLi4ELi64ELi128ELi128ELi4ELi64ELi4ELi64ELi4ELc78ELc84ELb1ELb1ELb0EdKPKdKPdEEviiiT16_PT17_ilS8_ilS6_S8_ilPT18_ili26rocblas_geam_ex_operation_ ; -- Begin function _ZN12_GLOBAL__N_120geam_min_plus_kernelIdddLi4ELi64ELi128ELi128ELi4ELi64ELi4ELi64ELi4ELc78ELc84ELb1ELb1ELb0EdKPKdKPdEEviiiT16_PT17_ilS8_ilS6_S8_ilPT18_ili26rocblas_geam_ex_operation_
	.p2align	8
	.type	_ZN12_GLOBAL__N_120geam_min_plus_kernelIdddLi4ELi64ELi128ELi128ELi4ELi64ELi4ELi64ELi4ELc78ELc84ELb1ELb1ELb0EdKPKdKPdEEviiiT16_PT17_ilS8_ilS6_S8_ilPT18_ili26rocblas_geam_ex_operation_,@function
_ZN12_GLOBAL__N_120geam_min_plus_kernelIdddLi4ELi64ELi128ELi128ELi4ELi64ELi4ELi64ELi4ELc78ELc84ELb1ELb1ELb0EdKPKdKPdEEviiiT16_PT17_ilS8_ilS6_S8_ilPT18_ili26rocblas_geam_ex_operation_: ; @_ZN12_GLOBAL__N_120geam_min_plus_kernelIdddLi4ELi64ELi128ELi128ELi4ELi64ELi4ELi64ELi4ELc78ELc84ELb1ELb1ELb0EdKPKdKPdEEviiiT16_PT17_ilS8_ilS6_S8_ilPT18_ili26rocblas_geam_ex_operation_
; %bb.0:
	s_load_dwordx4 s[8:11], s[0:1], 0x10
	s_load_dwordx4 s[4:7], s[0:1], 0x28
	s_mov_b32 s12, s3
	s_mov_b64 s[14:15], 0
	s_waitcnt lgkmcnt(0)
	v_cmp_eq_f64_e64 s[16:17], s[8:9], 0
	s_and_b64 vcc, exec, s[16:17]
	s_cbranch_vccnz .LBB145_2
; %bb.1:
	s_mov_b32 s13, 0
	s_lshl_b64 s[8:9], s[12:13], 3
	s_add_u32 s8, s10, s8
	s_addc_u32 s9, s11, s9
	s_load_dwordx2 s[8:9], s[8:9], 0x0
	s_lshl_b64 s[4:5], s[4:5], 3
	s_waitcnt lgkmcnt(0)
	s_add_u32 s14, s8, s4
	s_addc_u32 s15, s9, s5
.LBB145_2:
	s_load_dwordx4 s[68:71], s[0:1], 0x40
	s_load_dwordx2 s[8:9], s[0:1], 0x50
	s_andn2_b64 vcc, exec, s[16:17]
	s_cbranch_vccnz .LBB145_4
; %bb.3:
	s_mov_b32 s13, 0
	s_mov_b64 s[16:17], 0
	s_cbranch_execz .LBB145_5
	s_branch .LBB145_6
.LBB145_4:
                                        ; implicit-def: $sgpr16_sgpr17
.LBB145_5:
	s_mov_b32 s13, 0
	s_lshl_b64 s[4:5], s[12:13], 3
	s_add_u32 s4, s6, s4
	s_addc_u32 s5, s7, s5
	s_load_dwordx2 s[4:5], s[4:5], 0x0
	s_waitcnt lgkmcnt(0)
	s_lshl_b64 s[6:7], s[68:69], 3
	s_add_u32 s16, s4, s6
	s_addc_u32 s17, s5, s7
.LBB145_6:
	s_load_dwordx4 s[4:7], s[0:1], 0x60
	s_waitcnt lgkmcnt(0)
	v_cmp_eq_f64_e64 s[18:19], s[70:71], 0
	s_mov_b64 s[76:77], 0
	v_cmp_neq_f64_e64 s[10:11], s[70:71], 0
	s_and_b64 vcc, exec, s[18:19]
	s_cbranch_vccnz .LBB145_8
; %bb.7:
	s_lshl_b64 s[18:19], s[12:13], 3
	s_add_u32 s8, s8, s18
	s_addc_u32 s9, s9, s19
	s_load_dwordx2 s[8:9], s[8:9], 0x0
	s_lshl_b64 s[4:5], s[4:5], 3
	s_waitcnt lgkmcnt(0)
	s_add_u32 s76, s8, s4
	s_addc_u32 s77, s9, s5
.LBB145_8:
	s_load_dwordx4 s[72:75], s[0:1], 0x0
	s_load_dword s22, s[0:1], 0x20
	s_lshl_b64 s[4:5], s[12:13], 3
	s_add_u32 s4, s6, s4
	s_addc_u32 s5, s7, s5
	s_waitcnt lgkmcnt(0)
	s_add_i32 s3, s72, -1
	s_ashr_i32 s6, s3, 31
	s_lshr_b32 s6, s6, 25
	s_add_i32 s3, s3, s6
	s_ashr_i32 s3, s3, 7
	s_add_i32 s6, s3, 1
	v_cvt_f32_u32_e32 v1, s6
	s_load_dwordx2 s[12:13], s[4:5], 0x0
	s_not_b32 s3, s3
	v_and_b32_e32 v142, 0x3ff, v0
	v_rcp_iflag_f32_e32 v1, v1
	v_bfe_u32 v143, v0, 10, 10
	v_lshl_add_u32 v0, v143, 2, v142
	v_and_b32_e32 v141, 63, v0
	v_mul_f32_e32 v1, 0x4f7ffffe, v1
	v_cvt_u32_f32_e32 v1, v1
	v_lshrrev_b32_e32 v144, 6, v0
	v_cmp_le_i32_e32 vcc, s74, v144
	v_readfirstlane_b32 s4, v1
	s_mul_i32 s3, s3, s4
	s_mul_hi_u32 s3, s4, s3
	s_add_i32 s4, s4, s3
	s_mul_hi_u32 s3, s2, s4
	s_mul_i32 s4, s3, s6
	s_sub_i32 s4, s2, s4
	s_add_i32 s5, s3, 1
	s_sub_i32 s7, s4, s6
	s_cmp_ge_u32 s4, s6
	s_cselect_b32 s3, s5, s3
	s_cselect_b32 s4, s7, s4
	s_add_i32 s5, s3, 1
	s_cmp_ge_u32 s4, s6
	s_cselect_b32 s8, s5, s3
	s_mul_i32 s3, s8, s6
	s_sub_i32 s2, s2, s3
	s_lshl_b32 s20, s2, 7
	v_or_b32_e32 v128, s20, v141
	v_mad_i64_i32 v[0:1], s[2:3], s22, v144, 0
	v_cmp_le_i32_e64 s[2:3], s72, v128
	v_lshl_add_u64 v[4:5], v[0:1], 3, s[14:15]
	s_or_b64 s[4:5], s[2:3], vcc
	v_mov_b64_e32 v[0:1], 0
	s_xor_b64 s[6:7], s[4:5], -1
	v_ashrrev_i32_e32 v129, 31, v128
	v_mov_b64_e32 v[2:3], v[0:1]
	s_and_saveexec_b64 s[4:5], s[6:7]
	s_cbranch_execz .LBB145_10
; %bb.9:
	v_lshl_add_u64 v[2:3], v[128:129], 3, v[4:5]
	flat_load_dwordx2 v[2:3], v[2:3]
.LBB145_10:
	s_or_b64 exec, exec, s[4:5]
	v_or_b32_e32 v6, 64, v128
	v_cmp_le_i32_e64 s[4:5], s72, v6
	s_or_b64 s[6:7], s[4:5], vcc
	s_ashr_i32 s23, s22, 31
	s_xor_b64 s[18:19], s[6:7], -1
	s_and_saveexec_b64 s[6:7], s[18:19]
	s_cbranch_execz .LBB145_12
; %bb.11:
	v_lshl_add_u64 v[0:1], v[128:129], 3, v[4:5]
	flat_load_dwordx2 v[0:1], v[0:1] offset:512
.LBB145_12:
	s_or_b64 exec, exec, s[6:7]
	s_load_dword s24, s[0:1], 0x38
	s_lshl_b32 s21, s8, 7
	v_or_b32_e32 v130, s21, v141
	v_cmp_le_i32_e64 s[6:7], s73, v130
	v_ashrrev_i32_e32 v131, 31, v130
	s_waitcnt lgkmcnt(0)
	v_mad_i64_i32 v[4:5], s[8:9], s24, v144, 0
	v_lshl_add_u64 v[8:9], v[4:5], 3, s[16:17]
	s_or_b64 s[8:9], s[6:7], vcc
	v_mov_b64_e32 v[4:5], 0
	s_xor_b64 s[18:19], s[8:9], -1
	v_mov_b64_e32 v[6:7], v[4:5]
	s_and_saveexec_b64 s[8:9], s[18:19]
	s_cbranch_execz .LBB145_14
; %bb.13:
	v_lshl_add_u64 v[6:7], v[130:131], 3, v[8:9]
	flat_load_dwordx2 v[6:7], v[6:7]
.LBB145_14:
	s_or_b64 exec, exec, s[8:9]
	v_or_b32_e32 v10, 64, v130
	v_cmp_le_i32_e64 s[8:9], s73, v10
	s_or_b64 s[18:19], s[8:9], vcc
	s_ashr_i32 s25, s24, 31
	s_xor_b64 s[26:27], s[18:19], -1
	s_and_saveexec_b64 s[18:19], s[26:27]
	s_cbranch_execz .LBB145_16
; %bb.15:
	v_lshl_add_u64 v[4:5], v[130:131], 3, v[8:9]
	flat_load_dwordx2 v[4:5], v[4:5] offset:512
.LBB145_16:
	s_or_b64 exec, exec, s[18:19]
	v_add_u32_e32 v10, 4, v144
	v_cmp_le_i32_e32 vcc, s74, v10
	v_mad_i64_i32 v[8:9], s[18:19], s22, v10, 0
	s_or_b64 s[18:19], s[2:3], vcc
	v_mov_b64_e32 v[132:133], 0
	v_lshl_add_u64 v[8:9], v[8:9], 3, s[14:15]
	s_xor_b64 s[26:27], s[18:19], -1
	v_mov_b64_e32 v[134:135], v[132:133]
	s_and_saveexec_b64 s[18:19], s[26:27]
	s_cbranch_execz .LBB145_18
; %bb.17:
	v_lshl_add_u64 v[12:13], v[128:129], 3, v[8:9]
	flat_load_dwordx2 v[134:135], v[12:13]
.LBB145_18:
	s_or_b64 exec, exec, s[18:19]
	s_or_b64 s[18:19], s[4:5], vcc
	s_xor_b64 s[26:27], s[18:19], -1
	s_and_saveexec_b64 s[18:19], s[26:27]
	s_cbranch_execz .LBB145_20
; %bb.19:
	v_lshl_add_u64 v[8:9], v[128:129], 3, v[8:9]
	flat_load_dwordx2 v[132:133], v[8:9] offset:512
.LBB145_20:
	s_or_b64 exec, exec, s[18:19]
	v_mad_i64_i32 v[8:9], s[18:19], s24, v10, 0
	s_or_b64 s[18:19], s[6:7], vcc
	v_mov_b64_e32 v[136:137], 0
	v_lshl_add_u64 v[8:9], v[8:9], 3, s[16:17]
	s_xor_b64 s[26:27], s[18:19], -1
	v_mov_b64_e32 v[138:139], v[136:137]
	s_and_saveexec_b64 s[18:19], s[26:27]
	s_cbranch_execz .LBB145_22
; %bb.21:
	v_lshl_add_u64 v[10:11], v[130:131], 3, v[8:9]
	flat_load_dwordx2 v[138:139], v[10:11]
.LBB145_22:
	s_or_b64 exec, exec, s[18:19]
	s_or_b64 s[18:19], s[8:9], vcc
	s_xor_b64 s[26:27], s[18:19], -1
	s_and_saveexec_b64 s[18:19], s[26:27]
	s_cbranch_execz .LBB145_24
; %bb.23:
	v_lshl_add_u64 v[8:9], v[130:131], 3, v[8:9]
	flat_load_dwordx2 v[136:137], v[8:9] offset:512
.LBB145_24:
	s_or_b64 exec, exec, s[18:19]
	v_lshlrev_b32_e32 v8, 3, v144
	v_lshl_add_u32 v145, v141, 5, v8
	v_lshlrev_b32_e32 v140, 5, v143
	v_mov_b64_e32 v[126:127], 0
	s_waitcnt vmcnt(0)
	ds_write2st64_b64 v145, v[2:3], v[0:1] offset1:4
	v_or_b32_e32 v146, 0x2000, v145
	s_waitcnt lgkmcnt(0)
	ds_write2st64_b64 v145, v[6:7], v[4:5] offset0:16 offset1:20
	v_lshlrev_b32_e32 v147, 5, v142
	v_add_u32_e32 v148, 0x2000, v140
	s_mov_b32 s18, 0
	v_mov_b64_e32 v[124:125], v[126:127]
	v_mov_b64_e32 v[122:123], v[126:127]
	;; [unrolled: 1-line block ×63, first 2 shown]
	s_waitcnt lgkmcnt(0)
	s_barrier
.LBB145_25:                             ; =>This Inner Loop Header: Depth=1
	v_add_u32_e32 v149, s18, v147
	v_add_u32_e32 v182, s18, v148
	ds_read2_b64 v[150:153], v149 offset1:16
	ds_read2_b64 v[154:157], v149 offset0:32 offset1:48
	ds_read2_b64 v[158:161], v149 offset0:64 offset1:80
	;; [unrolled: 1-line block ×7, first 2 shown]
	ds_read2st64_b64 v[182:185], v182 offset1:4
	v_add_u32_e32 v149, 0x800, v149
	ds_read2_b64 v[186:189], v149 offset1:16
	ds_read2_b64 v[190:193], v149 offset0:32 offset1:48
	ds_read2_b64 v[194:197], v149 offset0:64 offset1:80
	;; [unrolled: 1-line block ×7, first 2 shown]
	s_waitcnt lgkmcnt(14)
	v_max_f64 v[150:151], v[150:151], v[150:151]
	v_max_f64 v[152:153], v[152:153], v[152:153]
	;; [unrolled: 1-line block ×6, first 2 shown]
	s_waitcnt lgkmcnt(13)
	v_max_f64 v[162:163], v[162:163], v[162:163]
	v_max_f64 v[164:165], v[164:165], v[164:165]
	s_waitcnt lgkmcnt(12)
	v_max_f64 v[166:167], v[166:167], v[166:167]
	v_max_f64 v[168:169], v[168:169], v[168:169]
	;; [unrolled: 3-line block ×14, first 2 shown]
	v_min_f64 v[218:219], v[150:151], v[182:183]
	v_min_f64 v[220:221], v[152:153], v[182:183]
	;; [unrolled: 1-line block ×32, first 2 shown]
	s_add_i32 s18, s18, 8
	v_add_f64 v[62:63], v[150:151], v[62:63]
	v_add_f64 v[60:61], v[152:153], v[60:61]
	v_add_f64 v[58:59], v[154:155], v[58:59]
	v_add_f64 v[56:57], v[156:157], v[56:57]
	v_add_f64 v[54:55], v[158:159], v[54:55]
	v_add_f64 v[52:53], v[160:161], v[52:53]
	v_add_f64 v[50:51], v[162:163], v[50:51]
	v_add_f64 v[48:49], v[164:165], v[48:49]
	v_add_f64 v[46:47], v[166:167], v[46:47]
	v_add_f64 v[44:45], v[168:169], v[44:45]
	v_add_f64 v[42:43], v[170:171], v[42:43]
	v_add_f64 v[40:41], v[172:173], v[40:41]
	v_add_f64 v[38:39], v[174:175], v[38:39]
	v_add_f64 v[36:37], v[176:177], v[36:37]
	v_add_f64 v[34:35], v[178:179], v[34:35]
	v_add_f64 v[32:33], v[180:181], v[32:33]
	v_min_f64 v[150:151], v[186:187], v[182:183]
	v_min_f64 v[152:153], v[188:189], v[182:183]
	;; [unrolled: 1-line block ×32, first 2 shown]
	s_cmp_eq_u32 s18, 32
	v_add_f64 v[126:127], v[218:219], v[126:127]
	v_add_f64 v[124:125], v[220:221], v[124:125]
	;; [unrolled: 1-line block ×48, first 2 shown]
	s_cbranch_scc0 .LBB145_25
; %bb.26:
	v_lshlrev_b32_e32 v141, 5, v141
	v_lshl_add_u32 v141, v144, 3, v141
	s_cmp_gt_i32 s74, 8
	ds_write2st64_b64 v141, v[134:135], v[132:133] offset0:8 offset1:12
	ds_write2st64_b64 v141, v[138:139], v[136:137] offset0:24 offset1:28
	s_waitcnt lgkmcnt(0)
	s_barrier
	s_cbranch_scc1 .LBB145_28
; %bb.27:
	v_add_u32_e32 v149, 0x1000, v147
	v_add_u32_e32 v150, 0x3000, v140
	s_cbranch_execz .LBB145_29
	s_branch .LBB145_51
.LBB145_28:
                                        ; implicit-def: $vgpr149
                                        ; implicit-def: $vgpr150
.LBB145_29:
	v_or_b32_e32 v151, 0x1000, v141
	v_or_b32_e32 v152, 0x3000, v141
	s_add_i32 s26, s74, -8
	v_add_u32_e32 v149, 0x1000, v147
	v_add_u32_e32 v150, 0x3000, v140
	s_mov_b32 s27, 8
	s_mov_b32 s28, 0
.LBB145_30:                             ; =>This Loop Header: Depth=1
                                        ;     Child Loop BB145_39 Depth 2
                                        ;     Child Loop BB145_49 Depth 2
	v_add_u32_e32 v138, s27, v144
	v_mad_u64_u32 v[132:133], s[18:19], v138, s22, 0
	v_mov_b32_e32 v134, v133
	v_mad_u64_u32 v[134:135], s[18:19], v138, s23, v[134:135]
	v_cmp_le_i32_e32 vcc, s74, v138
	v_mov_b32_e32 v133, v134
	v_lshl_add_u64 v[134:135], v[132:133], 3, s[14:15]
	s_or_b64 s[18:19], s[2:3], vcc
	v_mov_b64_e32 v[132:133], 0
	s_xor_b64 s[30:31], s[18:19], -1
	v_lshl_add_u64 v[136:137], v[128:129], 3, v[134:135]
	v_mov_b64_e32 v[134:135], v[132:133]
	s_and_saveexec_b64 s[18:19], s[30:31]
	s_cbranch_execz .LBB145_32
; %bb.31:                               ;   in Loop: Header=BB145_30 Depth=1
	flat_load_dwordx2 v[134:135], v[136:137]
.LBB145_32:                             ;   in Loop: Header=BB145_30 Depth=1
	s_or_b64 exec, exec, s[18:19]
	s_or_b64 s[18:19], s[4:5], vcc
	s_xor_b64 s[30:31], s[18:19], -1
	s_and_saveexec_b64 s[18:19], s[30:31]
	s_cbranch_execz .LBB145_34
; %bb.33:                               ;   in Loop: Header=BB145_30 Depth=1
	flat_load_dwordx2 v[132:133], v[136:137] offset:512
.LBB145_34:                             ;   in Loop: Header=BB145_30 Depth=1
	s_or_b64 exec, exec, s[18:19]
	v_mad_u64_u32 v[136:137], s[18:19], v138, s24, 0
	v_mov_b32_e32 v140, v137
	v_mad_u64_u32 v[138:139], s[18:19], v138, s25, v[140:141]
	v_mov_b32_e32 v137, v138
	v_lshl_add_u64 v[138:139], v[136:137], 3, s[16:17]
	s_or_b64 s[18:19], s[6:7], vcc
	v_mov_b64_e32 v[136:137], 0
	s_xor_b64 s[30:31], s[18:19], -1
	v_lshl_add_u64 v[140:141], v[130:131], 3, v[138:139]
	v_mov_b64_e32 v[138:139], v[136:137]
	s_and_saveexec_b64 s[18:19], s[30:31]
	s_cbranch_execz .LBB145_36
; %bb.35:                               ;   in Loop: Header=BB145_30 Depth=1
	flat_load_dwordx2 v[138:139], v[140:141]
.LBB145_36:                             ;   in Loop: Header=BB145_30 Depth=1
	s_or_b64 exec, exec, s[18:19]
	s_or_b64 s[18:19], s[8:9], vcc
	s_xor_b64 s[30:31], s[18:19], -1
	s_and_saveexec_b64 s[18:19], s[30:31]
	s_cbranch_execz .LBB145_38
; %bb.37:                               ;   in Loop: Header=BB145_30 Depth=1
	flat_load_dwordx2 v[136:137], v[140:141] offset:512
.LBB145_38:                             ;   in Loop: Header=BB145_30 Depth=1
	s_or_b64 exec, exec, s[18:19]
	s_mov_b32 s18, 0
.LBB145_39:                             ;   Parent Loop BB145_30 Depth=1
                                        ; =>  This Inner Loop Header: Depth=2
	v_add_u32_e32 v140, s18, v149
	v_add_u32_e32 v141, s18, v150
	ds_read2_b64 v[154:157], v140 offset1:16
	ds_read2_b64 v[158:161], v140 offset0:32 offset1:48
	ds_read2_b64 v[162:165], v140 offset0:64 offset1:80
	;; [unrolled: 1-line block ×7, first 2 shown]
	v_add_u32_e32 v140, 0x800, v140
	ds_read2st64_b64 v[186:189], v141 offset1:4
	ds_read2_b64 v[190:193], v140 offset1:16
	ds_read2_b64 v[194:197], v140 offset0:32 offset1:48
	ds_read2_b64 v[198:201], v140 offset0:64 offset1:80
	;; [unrolled: 1-line block ×7, first 2 shown]
	s_waitcnt lgkmcnt(0)
	v_max_f64 v[154:155], v[154:155], v[154:155]
	v_max_f64 v[156:157], v[156:157], v[156:157]
	;; [unrolled: 1-line block ×18, first 2 shown]
	v_min_f64 v[188:189], v[154:155], v[140:141]
	v_min_f64 v[222:223], v[156:157], v[140:141]
	v_min_f64 v[224:225], v[158:159], v[140:141]
	v_min_f64 v[226:227], v[160:161], v[140:141]
	v_min_f64 v[228:229], v[162:163], v[140:141]
	v_min_f64 v[230:231], v[164:165], v[140:141]
	v_min_f64 v[232:233], v[166:167], v[140:141]
	v_min_f64 v[234:235], v[168:169], v[140:141]
	v_min_f64 v[236:237], v[170:171], v[140:141]
	v_min_f64 v[238:239], v[172:173], v[140:141]
	v_min_f64 v[240:241], v[174:175], v[140:141]
	v_min_f64 v[242:243], v[176:177], v[140:141]
	v_min_f64 v[244:245], v[178:179], v[140:141]
	v_min_f64 v[246:247], v[180:181], v[140:141]
	v_min_f64 v[248:249], v[182:183], v[140:141]
	v_min_f64 v[250:251], v[184:185], v[140:141]
	v_max_f64 v[190:191], v[190:191], v[190:191]
	v_max_f64 v[192:193], v[192:193], v[192:193]
	;; [unrolled: 1-line block ×16, first 2 shown]
	v_min_f64 v[154:155], v[154:155], v[186:187]
	v_min_f64 v[156:157], v[156:157], v[186:187]
	;; [unrolled: 1-line block ×16, first 2 shown]
	s_add_i32 s18, s18, 8
	v_add_f64 v[126:127], v[188:189], v[126:127]
	v_add_f64 v[124:125], v[222:223], v[124:125]
	;; [unrolled: 1-line block ×15, first 2 shown]
	v_min_f64 v[188:189], v[190:191], v[140:141]
	v_min_f64 v[222:223], v[192:193], v[140:141]
	;; [unrolled: 1-line block ×16, first 2 shown]
	v_add_f64 v[62:63], v[154:155], v[62:63]
	v_add_f64 v[60:61], v[156:157], v[60:61]
	;; [unrolled: 1-line block ×16, first 2 shown]
	v_min_f64 v[154:155], v[190:191], v[186:187]
	v_min_f64 v[156:157], v[192:193], v[186:187]
	;; [unrolled: 1-line block ×16, first 2 shown]
	s_cmp_eq_u32 s18, 32
	v_add_f64 v[96:97], v[250:251], v[96:97]
	v_add_f64 v[94:95], v[188:189], v[94:95]
	;; [unrolled: 1-line block ×33, first 2 shown]
	s_cbranch_scc0 .LBB145_39
; %bb.40:                               ;   in Loop: Header=BB145_30 Depth=1
	s_waitcnt vmcnt(0)
	ds_write2st64_b64 v145, v[134:135], v[132:133] offset1:4
	ds_write2st64_b64 v146, v[138:139], v[136:137] offset1:4
	v_add3_u32 v138, v144, s27, 4
	v_mad_u64_u32 v[132:133], s[18:19], v138, s22, 0
	v_mov_b32_e32 v134, v133
	v_mad_u64_u32 v[134:135], s[18:19], v138, s23, v[134:135]
	v_cmp_le_i32_e32 vcc, s74, v138
	v_mov_b32_e32 v133, v134
	v_lshl_add_u64 v[134:135], v[132:133], 3, s[14:15]
	s_or_b64 s[18:19], s[2:3], vcc
	v_mov_b64_e32 v[132:133], 0
	s_xor_b64 s[30:31], s[18:19], -1
	v_lshl_add_u64 v[136:137], v[128:129], 3, v[134:135]
	v_mov_b64_e32 v[134:135], v[132:133]
	s_waitcnt lgkmcnt(0)
	s_barrier
	s_and_saveexec_b64 s[18:19], s[30:31]
	s_cbranch_execz .LBB145_42
; %bb.41:                               ;   in Loop: Header=BB145_30 Depth=1
	flat_load_dwordx2 v[134:135], v[136:137]
.LBB145_42:                             ;   in Loop: Header=BB145_30 Depth=1
	s_or_b64 exec, exec, s[18:19]
	s_or_b64 s[18:19], s[4:5], vcc
	s_xor_b64 s[30:31], s[18:19], -1
	s_and_saveexec_b64 s[18:19], s[30:31]
	s_cbranch_execz .LBB145_44
; %bb.43:                               ;   in Loop: Header=BB145_30 Depth=1
	flat_load_dwordx2 v[132:133], v[136:137] offset:512
.LBB145_44:                             ;   in Loop: Header=BB145_30 Depth=1
	s_or_b64 exec, exec, s[18:19]
	v_mad_u64_u32 v[136:137], s[18:19], v138, s24, 0
	v_mov_b32_e32 v140, v137
	v_mad_u64_u32 v[138:139], s[18:19], v138, s25, v[140:141]
	v_mov_b32_e32 v137, v138
	v_lshl_add_u64 v[138:139], v[136:137], 3, s[16:17]
	s_or_b64 s[18:19], s[6:7], vcc
	v_mov_b64_e32 v[136:137], 0
	s_xor_b64 s[30:31], s[18:19], -1
	v_lshl_add_u64 v[140:141], v[130:131], 3, v[138:139]
	v_mov_b64_e32 v[138:139], v[136:137]
	s_and_saveexec_b64 s[18:19], s[30:31]
	s_cbranch_execz .LBB145_46
; %bb.45:                               ;   in Loop: Header=BB145_30 Depth=1
	flat_load_dwordx2 v[138:139], v[140:141]
.LBB145_46:                             ;   in Loop: Header=BB145_30 Depth=1
	s_or_b64 exec, exec, s[18:19]
	s_or_b64 s[18:19], s[8:9], vcc
	s_xor_b64 s[30:31], s[18:19], -1
	s_and_saveexec_b64 s[18:19], s[30:31]
	s_cbranch_execz .LBB145_48
; %bb.47:                               ;   in Loop: Header=BB145_30 Depth=1
	flat_load_dwordx2 v[136:137], v[140:141] offset:512
.LBB145_48:                             ;   in Loop: Header=BB145_30 Depth=1
	s_or_b64 exec, exec, s[18:19]
	s_mov_b32 s18, 0
.LBB145_49:                             ;   Parent Loop BB145_30 Depth=1
                                        ; =>  This Inner Loop Header: Depth=2
	v_add_u32_e32 v140, s18, v147
	v_add_u32_e32 v141, s18, v148
	ds_read2_b64 v[154:157], v140 offset1:16
	ds_read2_b64 v[158:161], v140 offset0:32 offset1:48
	ds_read2_b64 v[162:165], v140 offset0:64 offset1:80
	;; [unrolled: 1-line block ×7, first 2 shown]
	v_add_u32_e32 v140, 0x800, v140
	ds_read2st64_b64 v[186:189], v141 offset1:4
	ds_read2_b64 v[190:193], v140 offset1:16
	ds_read2_b64 v[194:197], v140 offset0:32 offset1:48
	ds_read2_b64 v[198:201], v140 offset0:64 offset1:80
	;; [unrolled: 1-line block ×7, first 2 shown]
	s_waitcnt lgkmcnt(0)
	v_max_f64 v[154:155], v[154:155], v[154:155]
	v_max_f64 v[156:157], v[156:157], v[156:157]
	;; [unrolled: 1-line block ×18, first 2 shown]
	v_min_f64 v[188:189], v[154:155], v[140:141]
	v_min_f64 v[222:223], v[156:157], v[140:141]
	v_min_f64 v[224:225], v[158:159], v[140:141]
	v_min_f64 v[226:227], v[160:161], v[140:141]
	v_min_f64 v[228:229], v[162:163], v[140:141]
	v_min_f64 v[230:231], v[164:165], v[140:141]
	v_min_f64 v[232:233], v[166:167], v[140:141]
	v_min_f64 v[234:235], v[168:169], v[140:141]
	v_min_f64 v[236:237], v[170:171], v[140:141]
	v_min_f64 v[238:239], v[172:173], v[140:141]
	v_min_f64 v[240:241], v[174:175], v[140:141]
	v_min_f64 v[242:243], v[176:177], v[140:141]
	v_min_f64 v[244:245], v[178:179], v[140:141]
	v_min_f64 v[246:247], v[180:181], v[140:141]
	v_min_f64 v[248:249], v[182:183], v[140:141]
	v_min_f64 v[250:251], v[184:185], v[140:141]
	v_max_f64 v[190:191], v[190:191], v[190:191]
	v_max_f64 v[192:193], v[192:193], v[192:193]
	;; [unrolled: 1-line block ×16, first 2 shown]
	v_min_f64 v[154:155], v[154:155], v[186:187]
	v_min_f64 v[156:157], v[156:157], v[186:187]
	;; [unrolled: 1-line block ×16, first 2 shown]
	s_add_i32 s18, s18, 8
	v_add_f64 v[126:127], v[188:189], v[126:127]
	v_add_f64 v[124:125], v[222:223], v[124:125]
	;; [unrolled: 1-line block ×15, first 2 shown]
	v_min_f64 v[188:189], v[190:191], v[140:141]
	v_min_f64 v[222:223], v[192:193], v[140:141]
	;; [unrolled: 1-line block ×16, first 2 shown]
	v_add_f64 v[62:63], v[154:155], v[62:63]
	v_add_f64 v[60:61], v[156:157], v[60:61]
	;; [unrolled: 1-line block ×16, first 2 shown]
	v_min_f64 v[154:155], v[190:191], v[186:187]
	v_min_f64 v[156:157], v[192:193], v[186:187]
	;; [unrolled: 1-line block ×16, first 2 shown]
	s_cmp_eq_u32 s18, 32
	v_add_f64 v[96:97], v[250:251], v[96:97]
	v_add_f64 v[94:95], v[188:189], v[94:95]
	v_add_f64 v[92:93], v[222:223], v[92:93]
	v_add_f64 v[90:91], v[224:225], v[90:91]
	v_add_f64 v[88:89], v[226:227], v[88:89]
	v_add_f64 v[86:87], v[228:229], v[86:87]
	v_add_f64 v[84:85], v[230:231], v[84:85]
	v_add_f64 v[82:83], v[232:233], v[82:83]
	v_add_f64 v[80:81], v[234:235], v[80:81]
	v_add_f64 v[78:79], v[236:237], v[78:79]
	v_add_f64 v[76:77], v[238:239], v[76:77]
	v_add_f64 v[74:75], v[240:241], v[74:75]
	v_add_f64 v[72:73], v[242:243], v[72:73]
	v_add_f64 v[70:71], v[244:245], v[70:71]
	v_add_f64 v[68:69], v[246:247], v[68:69]
	v_add_f64 v[66:67], v[248:249], v[66:67]
	v_add_f64 v[64:65], v[140:141], v[64:65]
	v_add_f64 v[30:31], v[154:155], v[30:31]
	v_add_f64 v[28:29], v[156:157], v[28:29]
	v_add_f64 v[26:27], v[158:159], v[26:27]
	v_add_f64 v[24:25], v[160:161], v[24:25]
	v_add_f64 v[22:23], v[162:163], v[22:23]
	v_add_f64 v[20:21], v[164:165], v[20:21]
	v_add_f64 v[18:19], v[166:167], v[18:19]
	v_add_f64 v[16:17], v[168:169], v[16:17]
	v_add_f64 v[14:15], v[170:171], v[14:15]
	v_add_f64 v[12:13], v[172:173], v[12:13]
	v_add_f64 v[10:11], v[174:175], v[10:11]
	v_add_f64 v[8:9], v[176:177], v[8:9]
	v_add_f64 v[6:7], v[178:179], v[6:7]
	v_add_f64 v[4:5], v[180:181], v[4:5]
	v_add_f64 v[2:3], v[182:183], v[2:3]
	v_add_f64 v[0:1], v[184:185], v[0:1]
	s_cbranch_scc0 .LBB145_49
; %bb.50:                               ;   in Loop: Header=BB145_30 Depth=1
	s_add_i32 s27, s27, 8
	s_add_i32 s28, s28, 8
	s_cmp_ge_i32 s28, s26
	s_waitcnt vmcnt(0)
	ds_write2st64_b64 v151, v[134:135], v[132:133] offset1:4
	ds_write2st64_b64 v152, v[138:139], v[136:137] offset1:4
	s_waitcnt lgkmcnt(0)
	s_barrier
	s_cbranch_scc0 .LBB145_30
.LBB145_51:
	s_mov_b32 s2, 0
.LBB145_52:                             ; =>This Inner Loop Header: Depth=1
	v_add_u32_e32 v140, s2, v149
	v_add_u32_e32 v141, s2, v150
	ds_read2_b64 v[128:131], v140 offset1:16
	ds_read2_b64 v[132:135], v140 offset0:32 offset1:48
	ds_read2_b64 v[136:139], v140 offset0:64 offset1:80
	;; [unrolled: 1-line block ×7, first 2 shown]
	v_add_u32_e32 v140, 0x800, v140
	ds_read2st64_b64 v[168:171], v141 offset1:4
	ds_read2_b64 v[172:175], v140 offset1:16
	ds_read2_b64 v[176:179], v140 offset0:32 offset1:48
	ds_read2_b64 v[180:183], v140 offset0:64 offset1:80
	;; [unrolled: 1-line block ×7, first 2 shown]
	s_waitcnt lgkmcnt(14)
	v_max_f64 v[128:129], v[128:129], v[128:129]
	v_max_f64 v[130:131], v[130:131], v[130:131]
	;; [unrolled: 1-line block ×3, first 2 shown]
	s_waitcnt lgkmcnt(8)
	v_max_f64 v[140:141], v[168:169], v[168:169]
	v_max_f64 v[134:135], v[134:135], v[134:135]
	;; [unrolled: 1-line block ×15, first 2 shown]
	v_min_f64 v[170:171], v[128:129], v[140:141]
	v_min_f64 v[204:205], v[130:131], v[140:141]
	;; [unrolled: 1-line block ×16, first 2 shown]
	s_waitcnt lgkmcnt(7)
	v_max_f64 v[172:173], v[172:173], v[172:173]
	v_max_f64 v[174:175], v[174:175], v[174:175]
	s_waitcnt lgkmcnt(6)
	v_max_f64 v[176:177], v[176:177], v[176:177]
	v_max_f64 v[178:179], v[178:179], v[178:179]
	;; [unrolled: 3-line block ×8, first 2 shown]
	v_min_f64 v[128:129], v[128:129], v[168:169]
	v_min_f64 v[130:131], v[130:131], v[168:169]
	;; [unrolled: 1-line block ×16, first 2 shown]
	s_add_i32 s2, s2, 8
	v_add_f64 v[126:127], v[170:171], v[126:127]
	v_add_f64 v[124:125], v[204:205], v[124:125]
	;; [unrolled: 1-line block ×15, first 2 shown]
	v_min_f64 v[170:171], v[172:173], v[140:141]
	v_min_f64 v[204:205], v[174:175], v[140:141]
	;; [unrolled: 1-line block ×16, first 2 shown]
	v_add_f64 v[62:63], v[128:129], v[62:63]
	v_add_f64 v[60:61], v[130:131], v[60:61]
	;; [unrolled: 1-line block ×16, first 2 shown]
	v_min_f64 v[128:129], v[172:173], v[168:169]
	v_min_f64 v[130:131], v[174:175], v[168:169]
	;; [unrolled: 1-line block ×16, first 2 shown]
	s_cmp_eq_u32 s2, 32
	v_add_f64 v[96:97], v[232:233], v[96:97]
	v_add_f64 v[94:95], v[170:171], v[94:95]
	;; [unrolled: 1-line block ×33, first 2 shown]
	s_cbranch_scc0 .LBB145_52
; %bb.53:
	s_load_dwordx2 s[2:3], s[0:1], 0x78
	s_load_dword s78, s[0:1], 0x58
	s_load_dword s33, s[0:1], 0x70
	v_add_u32_e32 v136, s21, v143
	v_add_u32_e32 v128, s20, v142
	s_waitcnt lgkmcnt(0)
	s_lshl_b64 s[0:1], s[2:3], 3
	s_add_u32 s74, s12, s0
	s_addc_u32 s75, s13, s1
	v_mad_i64_i32 v[130:131], s[0:1], v136, s78, 0
	v_cmp_gt_i32_e64 s[24:25], s73, v136
	v_lshl_add_u64 v[132:133], v[130:131], 3, s[76:77]
	v_mad_i64_i32 v[130:131], s[0:1], v136, s33, 0
	v_cmp_gt_i32_e64 s[2:3], s72, v128
	v_cndmask_b32_e64 v134, 0, 1, s[10:11]
	v_lshl_add_u64 v[130:131], v[130:131], 3, s[74:75]
	s_and_b64 s[6:7], s[24:25], s[2:3]
	v_ashrrev_i32_e32 v129, 31, v128
	v_cmp_ne_u32_e64 s[0:1], 1, v134
	s_and_saveexec_b64 s[4:5], s[6:7]
	s_cbranch_execz .LBB145_58
; %bb.54:
	s_and_b64 vcc, exec, s[0:1]
	s_cbranch_vccnz .LBB145_56
; %bb.55:
	v_lshl_add_u64 v[134:135], v[128:129], 3, v[132:133]
	flat_load_dwordx2 v[134:135], v[134:135]
	s_waitcnt vmcnt(0) lgkmcnt(0)
	v_mul_f64 v[134:135], v[134:135], s[70:71]
	s_branch .LBB145_57
.LBB145_56:
	v_mov_b64_e32 v[134:135], 0
.LBB145_57:
	v_add_f64 v[126:127], v[126:127], v[134:135]
	v_lshl_add_u64 v[134:135], v[128:129], 3, v[130:131]
	global_store_dwordx2 v[134:135], v[126:127], off
.LBB145_58:
	s_or_b64 exec, exec, s[4:5]
	v_add_u32_e32 v126, 4, v128
	v_cmp_gt_i32_e64 s[4:5], s72, v126
	s_and_b64 s[8:9], s[24:25], s[4:5]
	v_ashrrev_i32_e32 v127, 31, v126
	s_and_saveexec_b64 s[6:7], s[8:9]
	s_cbranch_execz .LBB145_63
; %bb.59:
	s_and_b64 vcc, exec, s[0:1]
	s_cbranch_vccnz .LBB145_61
; %bb.60:
	v_lshl_add_u64 v[134:135], v[126:127], 3, v[132:133]
	flat_load_dwordx2 v[134:135], v[134:135]
	s_waitcnt vmcnt(0) lgkmcnt(0)
	v_mul_f64 v[134:135], v[134:135], s[70:71]
	s_branch .LBB145_62
.LBB145_61:
	v_mov_b64_e32 v[134:135], 0
.LBB145_62:
	v_add_f64 v[124:125], v[124:125], v[134:135]
	v_lshl_add_u64 v[134:135], v[126:127], 3, v[130:131]
	global_store_dwordx2 v[134:135], v[124:125], off
.LBB145_63:
	s_or_b64 exec, exec, s[6:7]
	v_add_u32_e32 v124, 8, v128
	v_cmp_gt_i32_e64 s[6:7], s72, v124
	s_and_b64 s[10:11], s[24:25], s[6:7]
	v_ashrrev_i32_e32 v125, 31, v124
	s_and_saveexec_b64 s[8:9], s[10:11]
	s_cbranch_execz .LBB145_68
; %bb.64:
	s_and_b64 vcc, exec, s[0:1]
	s_cbranch_vccnz .LBB145_66
; %bb.65:
	v_lshl_add_u64 v[134:135], v[124:125], 3, v[132:133]
	flat_load_dwordx2 v[134:135], v[134:135]
	s_waitcnt vmcnt(0) lgkmcnt(0)
	v_mul_f64 v[134:135], v[134:135], s[70:71]
	s_branch .LBB145_67
.LBB145_66:
	v_mov_b64_e32 v[134:135], 0
.LBB145_67:
	v_add_f64 v[122:123], v[122:123], v[134:135]
	v_lshl_add_u64 v[134:135], v[124:125], 3, v[130:131]
	global_store_dwordx2 v[134:135], v[122:123], off
.LBB145_68:
	s_or_b64 exec, exec, s[8:9]
	v_add_u32_e32 v122, 12, v128
	v_cmp_gt_i32_e64 s[8:9], s72, v122
	s_and_b64 s[12:13], s[24:25], s[8:9]
	v_ashrrev_i32_e32 v123, 31, v122
	s_and_saveexec_b64 s[10:11], s[12:13]
	s_cbranch_execz .LBB145_73
; %bb.69:
	s_and_b64 vcc, exec, s[0:1]
	s_cbranch_vccnz .LBB145_71
; %bb.70:
	v_lshl_add_u64 v[134:135], v[122:123], 3, v[132:133]
	flat_load_dwordx2 v[134:135], v[134:135]
	s_waitcnt vmcnt(0) lgkmcnt(0)
	v_mul_f64 v[134:135], v[134:135], s[70:71]
	s_branch .LBB145_72
.LBB145_71:
	v_mov_b64_e32 v[134:135], 0
.LBB145_72:
	v_add_f64 v[120:121], v[120:121], v[134:135]
	v_lshl_add_u64 v[134:135], v[122:123], 3, v[130:131]
	global_store_dwordx2 v[134:135], v[120:121], off
.LBB145_73:
	s_or_b64 exec, exec, s[10:11]
	v_add_u32_e32 v120, 16, v128
	v_cmp_gt_i32_e64 s[10:11], s72, v120
	s_and_b64 s[14:15], s[24:25], s[10:11]
	v_ashrrev_i32_e32 v121, 31, v120
	s_and_saveexec_b64 s[12:13], s[14:15]
	s_cbranch_execz .LBB145_78
; %bb.74:
	s_and_b64 vcc, exec, s[0:1]
	s_cbranch_vccnz .LBB145_76
; %bb.75:
	v_lshl_add_u64 v[134:135], v[120:121], 3, v[132:133]
	flat_load_dwordx2 v[134:135], v[134:135]
	s_waitcnt vmcnt(0) lgkmcnt(0)
	v_mul_f64 v[134:135], v[134:135], s[70:71]
	s_branch .LBB145_77
.LBB145_76:
	v_mov_b64_e32 v[134:135], 0
.LBB145_77:
	v_add_f64 v[118:119], v[118:119], v[134:135]
	v_lshl_add_u64 v[134:135], v[120:121], 3, v[130:131]
	global_store_dwordx2 v[134:135], v[118:119], off
.LBB145_78:
	s_or_b64 exec, exec, s[12:13]
	v_add_u32_e32 v118, 20, v128
	v_cmp_gt_i32_e64 s[12:13], s72, v118
	s_and_b64 s[16:17], s[24:25], s[12:13]
	v_ashrrev_i32_e32 v119, 31, v118
	s_and_saveexec_b64 s[14:15], s[16:17]
	s_cbranch_execz .LBB145_83
; %bb.79:
	s_and_b64 vcc, exec, s[0:1]
	s_cbranch_vccnz .LBB145_81
; %bb.80:
	v_lshl_add_u64 v[134:135], v[118:119], 3, v[132:133]
	flat_load_dwordx2 v[134:135], v[134:135]
	s_waitcnt vmcnt(0) lgkmcnt(0)
	v_mul_f64 v[134:135], v[134:135], s[70:71]
	s_branch .LBB145_82
.LBB145_81:
	v_mov_b64_e32 v[134:135], 0
.LBB145_82:
	v_add_f64 v[116:117], v[116:117], v[134:135]
	v_lshl_add_u64 v[134:135], v[118:119], 3, v[130:131]
	global_store_dwordx2 v[134:135], v[116:117], off
.LBB145_83:
	s_or_b64 exec, exec, s[14:15]
	v_add_u32_e32 v116, 24, v128
	v_cmp_gt_i32_e64 s[14:15], s72, v116
	s_and_b64 s[18:19], s[24:25], s[14:15]
	v_ashrrev_i32_e32 v117, 31, v116
	s_and_saveexec_b64 s[16:17], s[18:19]
	s_cbranch_execz .LBB145_88
; %bb.84:
	s_and_b64 vcc, exec, s[0:1]
	s_cbranch_vccnz .LBB145_86
; %bb.85:
	v_lshl_add_u64 v[134:135], v[116:117], 3, v[132:133]
	flat_load_dwordx2 v[134:135], v[134:135]
	s_waitcnt vmcnt(0) lgkmcnt(0)
	v_mul_f64 v[134:135], v[134:135], s[70:71]
	s_branch .LBB145_87
.LBB145_86:
	v_mov_b64_e32 v[134:135], 0
.LBB145_87:
	v_add_f64 v[114:115], v[114:115], v[134:135]
	v_lshl_add_u64 v[134:135], v[116:117], 3, v[130:131]
	global_store_dwordx2 v[134:135], v[114:115], off
.LBB145_88:
	s_or_b64 exec, exec, s[16:17]
	v_add_u32_e32 v114, 28, v128
	v_cmp_gt_i32_e64 s[16:17], s72, v114
	s_and_b64 s[20:21], s[24:25], s[16:17]
	v_ashrrev_i32_e32 v115, 31, v114
	s_and_saveexec_b64 s[18:19], s[20:21]
	s_cbranch_execz .LBB145_93
; %bb.89:
	s_and_b64 vcc, exec, s[0:1]
	s_cbranch_vccnz .LBB145_91
; %bb.90:
	v_lshl_add_u64 v[134:135], v[114:115], 3, v[132:133]
	flat_load_dwordx2 v[134:135], v[134:135]
	s_waitcnt vmcnt(0) lgkmcnt(0)
	v_mul_f64 v[134:135], v[134:135], s[70:71]
	s_branch .LBB145_92
.LBB145_91:
	v_mov_b64_e32 v[134:135], 0
.LBB145_92:
	v_add_f64 v[112:113], v[112:113], v[134:135]
	v_lshl_add_u64 v[134:135], v[114:115], 3, v[130:131]
	global_store_dwordx2 v[134:135], v[112:113], off
.LBB145_93:
	s_or_b64 exec, exec, s[18:19]
	v_add_u32_e32 v112, 32, v128
	v_cmp_gt_i32_e64 s[18:19], s72, v112
	s_and_b64 s[22:23], s[24:25], s[18:19]
	v_ashrrev_i32_e32 v113, 31, v112
	s_and_saveexec_b64 s[20:21], s[22:23]
	s_cbranch_execz .LBB145_98
; %bb.94:
	s_and_b64 vcc, exec, s[0:1]
	s_cbranch_vccnz .LBB145_96
; %bb.95:
	v_lshl_add_u64 v[134:135], v[112:113], 3, v[132:133]
	flat_load_dwordx2 v[134:135], v[134:135]
	s_waitcnt vmcnt(0) lgkmcnt(0)
	v_mul_f64 v[134:135], v[134:135], s[70:71]
	s_branch .LBB145_97
.LBB145_96:
	v_mov_b64_e32 v[134:135], 0
.LBB145_97:
	v_add_f64 v[110:111], v[110:111], v[134:135]
	v_lshl_add_u64 v[134:135], v[112:113], 3, v[130:131]
	global_store_dwordx2 v[134:135], v[110:111], off
.LBB145_98:
	s_or_b64 exec, exec, s[20:21]
	v_add_u32_e32 v110, 36, v128
	v_cmp_gt_i32_e64 s[20:21], s72, v110
	s_and_b64 s[26:27], s[24:25], s[20:21]
	v_ashrrev_i32_e32 v111, 31, v110
	s_and_saveexec_b64 s[22:23], s[26:27]
	s_cbranch_execz .LBB145_103
; %bb.99:
	s_and_b64 vcc, exec, s[0:1]
	s_cbranch_vccnz .LBB145_101
; %bb.100:
	v_lshl_add_u64 v[134:135], v[110:111], 3, v[132:133]
	flat_load_dwordx2 v[134:135], v[134:135]
	s_waitcnt vmcnt(0) lgkmcnt(0)
	v_mul_f64 v[134:135], v[134:135], s[70:71]
	s_branch .LBB145_102
.LBB145_101:
	v_mov_b64_e32 v[134:135], 0
.LBB145_102:
	v_add_f64 v[108:109], v[108:109], v[134:135]
	v_lshl_add_u64 v[134:135], v[110:111], 3, v[130:131]
	global_store_dwordx2 v[134:135], v[108:109], off
.LBB145_103:
	s_or_b64 exec, exec, s[22:23]
	v_add_u32_e32 v108, 40, v128
	v_cmp_gt_i32_e64 s[22:23], s72, v108
	s_and_b64 s[28:29], s[24:25], s[22:23]
	v_ashrrev_i32_e32 v109, 31, v108
	s_and_saveexec_b64 s[26:27], s[28:29]
	s_cbranch_execz .LBB145_108
; %bb.104:
	s_and_b64 vcc, exec, s[0:1]
	s_cbranch_vccnz .LBB145_106
; %bb.105:
	v_lshl_add_u64 v[134:135], v[108:109], 3, v[132:133]
	flat_load_dwordx2 v[134:135], v[134:135]
	s_waitcnt vmcnt(0) lgkmcnt(0)
	v_mul_f64 v[134:135], v[134:135], s[70:71]
	s_branch .LBB145_107
.LBB145_106:
	v_mov_b64_e32 v[134:135], 0
.LBB145_107:
	v_add_f64 v[106:107], v[106:107], v[134:135]
	v_lshl_add_u64 v[134:135], v[108:109], 3, v[130:131]
	global_store_dwordx2 v[134:135], v[106:107], off
.LBB145_108:
	s_or_b64 exec, exec, s[26:27]
	v_add_u32_e32 v106, 44, v128
	v_cmp_gt_i32_e64 s[26:27], s72, v106
	s_and_b64 s[30:31], s[24:25], s[26:27]
	v_ashrrev_i32_e32 v107, 31, v106
	s_and_saveexec_b64 s[28:29], s[30:31]
	s_cbranch_execz .LBB145_113
; %bb.109:
	s_and_b64 vcc, exec, s[0:1]
	s_cbranch_vccnz .LBB145_111
; %bb.110:
	v_lshl_add_u64 v[134:135], v[106:107], 3, v[132:133]
	flat_load_dwordx2 v[134:135], v[134:135]
	s_waitcnt vmcnt(0) lgkmcnt(0)
	v_mul_f64 v[134:135], v[134:135], s[70:71]
	s_branch .LBB145_112
.LBB145_111:
	v_mov_b64_e32 v[134:135], 0
.LBB145_112:
	v_add_f64 v[104:105], v[104:105], v[134:135]
	v_lshl_add_u64 v[134:135], v[106:107], 3, v[130:131]
	global_store_dwordx2 v[134:135], v[104:105], off
.LBB145_113:
	s_or_b64 exec, exec, s[28:29]
	v_add_u32_e32 v104, 48, v128
	v_cmp_gt_i32_e64 s[28:29], s72, v104
	s_and_b64 s[34:35], s[24:25], s[28:29]
	v_ashrrev_i32_e32 v105, 31, v104
	s_and_saveexec_b64 s[30:31], s[34:35]
	s_cbranch_execz .LBB145_118
; %bb.114:
	s_and_b64 vcc, exec, s[0:1]
	s_cbranch_vccnz .LBB145_116
; %bb.115:
	v_lshl_add_u64 v[134:135], v[104:105], 3, v[132:133]
	flat_load_dwordx2 v[134:135], v[134:135]
	s_waitcnt vmcnt(0) lgkmcnt(0)
	v_mul_f64 v[134:135], v[134:135], s[70:71]
	s_branch .LBB145_117
.LBB145_116:
	v_mov_b64_e32 v[134:135], 0
.LBB145_117:
	v_add_f64 v[102:103], v[102:103], v[134:135]
	v_lshl_add_u64 v[134:135], v[104:105], 3, v[130:131]
	global_store_dwordx2 v[134:135], v[102:103], off
.LBB145_118:
	s_or_b64 exec, exec, s[30:31]
	v_add_u32_e32 v102, 52, v128
	v_cmp_gt_i32_e64 s[30:31], s72, v102
	s_and_b64 s[36:37], s[24:25], s[30:31]
	v_ashrrev_i32_e32 v103, 31, v102
	s_and_saveexec_b64 s[34:35], s[36:37]
	s_cbranch_execz .LBB145_123
; %bb.119:
	s_and_b64 vcc, exec, s[0:1]
	s_cbranch_vccnz .LBB145_121
; %bb.120:
	v_lshl_add_u64 v[134:135], v[102:103], 3, v[132:133]
	flat_load_dwordx2 v[134:135], v[134:135]
	s_waitcnt vmcnt(0) lgkmcnt(0)
	v_mul_f64 v[134:135], v[134:135], s[70:71]
	s_branch .LBB145_122
.LBB145_121:
	v_mov_b64_e32 v[134:135], 0
.LBB145_122:
	v_add_f64 v[100:101], v[100:101], v[134:135]
	v_lshl_add_u64 v[134:135], v[102:103], 3, v[130:131]
	global_store_dwordx2 v[134:135], v[100:101], off
.LBB145_123:
	s_or_b64 exec, exec, s[34:35]
	v_add_u32_e32 v100, 56, v128
	v_cmp_gt_i32_e64 s[34:35], s72, v100
	s_and_b64 s[38:39], s[24:25], s[34:35]
	v_ashrrev_i32_e32 v101, 31, v100
	s_and_saveexec_b64 s[36:37], s[38:39]
	s_cbranch_execz .LBB145_128
; %bb.124:
	s_and_b64 vcc, exec, s[0:1]
	s_cbranch_vccnz .LBB145_126
; %bb.125:
	v_lshl_add_u64 v[134:135], v[100:101], 3, v[132:133]
	flat_load_dwordx2 v[134:135], v[134:135]
	s_waitcnt vmcnt(0) lgkmcnt(0)
	v_mul_f64 v[134:135], v[134:135], s[70:71]
	s_branch .LBB145_127
.LBB145_126:
	v_mov_b64_e32 v[134:135], 0
.LBB145_127:
	v_add_f64 v[98:99], v[98:99], v[134:135]
	v_lshl_add_u64 v[134:135], v[100:101], 3, v[130:131]
	global_store_dwordx2 v[134:135], v[98:99], off
.LBB145_128:
	s_or_b64 exec, exec, s[36:37]
	v_add_u32_e32 v98, 60, v128
	v_cmp_gt_i32_e64 s[36:37], s72, v98
	s_and_b64 s[40:41], s[24:25], s[36:37]
	v_ashrrev_i32_e32 v99, 31, v98
	s_and_saveexec_b64 s[38:39], s[40:41]
	s_cbranch_execz .LBB145_133
; %bb.129:
	s_and_b64 vcc, exec, s[0:1]
	s_cbranch_vccnz .LBB145_131
; %bb.130:
	v_lshl_add_u64 v[134:135], v[98:99], 3, v[132:133]
	flat_load_dwordx2 v[134:135], v[134:135]
	s_waitcnt vmcnt(0) lgkmcnt(0)
	v_mul_f64 v[134:135], v[134:135], s[70:71]
	s_branch .LBB145_132
.LBB145_131:
	v_mov_b64_e32 v[134:135], 0
.LBB145_132:
	v_add_f64 v[96:97], v[96:97], v[134:135]
	v_lshl_add_u64 v[134:135], v[98:99], 3, v[130:131]
	global_store_dwordx2 v[134:135], v[96:97], off
.LBB145_133:
	s_or_b64 exec, exec, s[38:39]
	v_add_u32_e32 v96, 64, v128
	v_cmp_gt_i32_e64 s[38:39], s72, v96
	s_and_b64 s[42:43], s[24:25], s[38:39]
	v_ashrrev_i32_e32 v97, 31, v96
	s_and_saveexec_b64 s[40:41], s[42:43]
	s_cbranch_execz .LBB145_138
; %bb.134:
	s_and_b64 vcc, exec, s[0:1]
	s_cbranch_vccnz .LBB145_136
; %bb.135:
	v_lshl_add_u64 v[134:135], v[96:97], 3, v[132:133]
	flat_load_dwordx2 v[134:135], v[134:135]
	s_waitcnt vmcnt(0) lgkmcnt(0)
	v_mul_f64 v[134:135], v[134:135], s[70:71]
	s_branch .LBB145_137
.LBB145_136:
	v_mov_b64_e32 v[134:135], 0
.LBB145_137:
	v_add_f64 v[94:95], v[94:95], v[134:135]
	v_lshl_add_u64 v[134:135], v[96:97], 3, v[130:131]
	global_store_dwordx2 v[134:135], v[94:95], off
.LBB145_138:
	s_or_b64 exec, exec, s[40:41]
	v_add_u32_e32 v94, 0x44, v128
	v_cmp_gt_i32_e64 s[40:41], s72, v94
	s_and_b64 s[44:45], s[24:25], s[40:41]
	v_ashrrev_i32_e32 v95, 31, v94
	s_and_saveexec_b64 s[42:43], s[44:45]
	s_cbranch_execz .LBB145_143
; %bb.139:
	s_and_b64 vcc, exec, s[0:1]
	s_cbranch_vccnz .LBB145_141
; %bb.140:
	v_lshl_add_u64 v[134:135], v[94:95], 3, v[132:133]
	flat_load_dwordx2 v[134:135], v[134:135]
	s_waitcnt vmcnt(0) lgkmcnt(0)
	v_mul_f64 v[134:135], v[134:135], s[70:71]
	s_branch .LBB145_142
.LBB145_141:
	v_mov_b64_e32 v[134:135], 0
.LBB145_142:
	v_add_f64 v[92:93], v[92:93], v[134:135]
	v_lshl_add_u64 v[134:135], v[94:95], 3, v[130:131]
	global_store_dwordx2 v[134:135], v[92:93], off
.LBB145_143:
	s_or_b64 exec, exec, s[42:43]
	v_add_u32_e32 v92, 0x48, v128
	v_cmp_gt_i32_e64 s[42:43], s72, v92
	s_and_b64 s[46:47], s[24:25], s[42:43]
	v_ashrrev_i32_e32 v93, 31, v92
	s_and_saveexec_b64 s[44:45], s[46:47]
	s_cbranch_execz .LBB145_148
; %bb.144:
	s_and_b64 vcc, exec, s[0:1]
	s_cbranch_vccnz .LBB145_146
; %bb.145:
	v_lshl_add_u64 v[134:135], v[92:93], 3, v[132:133]
	flat_load_dwordx2 v[134:135], v[134:135]
	s_waitcnt vmcnt(0) lgkmcnt(0)
	v_mul_f64 v[134:135], v[134:135], s[70:71]
	s_branch .LBB145_147
.LBB145_146:
	v_mov_b64_e32 v[134:135], 0
.LBB145_147:
	v_add_f64 v[90:91], v[90:91], v[134:135]
	v_lshl_add_u64 v[134:135], v[92:93], 3, v[130:131]
	global_store_dwordx2 v[134:135], v[90:91], off
.LBB145_148:
	s_or_b64 exec, exec, s[44:45]
	v_add_u32_e32 v90, 0x4c, v128
	v_cmp_gt_i32_e64 s[44:45], s72, v90
	s_and_b64 s[48:49], s[24:25], s[44:45]
	v_ashrrev_i32_e32 v91, 31, v90
	s_and_saveexec_b64 s[46:47], s[48:49]
	s_cbranch_execz .LBB145_153
; %bb.149:
	s_and_b64 vcc, exec, s[0:1]
	s_cbranch_vccnz .LBB145_151
; %bb.150:
	v_lshl_add_u64 v[134:135], v[90:91], 3, v[132:133]
	flat_load_dwordx2 v[134:135], v[134:135]
	s_waitcnt vmcnt(0) lgkmcnt(0)
	v_mul_f64 v[134:135], v[134:135], s[70:71]
	s_branch .LBB145_152
.LBB145_151:
	v_mov_b64_e32 v[134:135], 0
.LBB145_152:
	v_add_f64 v[88:89], v[88:89], v[134:135]
	v_lshl_add_u64 v[134:135], v[90:91], 3, v[130:131]
	global_store_dwordx2 v[134:135], v[88:89], off
.LBB145_153:
	s_or_b64 exec, exec, s[46:47]
	v_add_u32_e32 v88, 0x50, v128
	v_cmp_gt_i32_e64 s[46:47], s72, v88
	s_and_b64 s[50:51], s[24:25], s[46:47]
	v_ashrrev_i32_e32 v89, 31, v88
	s_and_saveexec_b64 s[48:49], s[50:51]
	s_cbranch_execz .LBB145_158
; %bb.154:
	s_and_b64 vcc, exec, s[0:1]
	s_cbranch_vccnz .LBB145_156
; %bb.155:
	v_lshl_add_u64 v[134:135], v[88:89], 3, v[132:133]
	flat_load_dwordx2 v[134:135], v[134:135]
	s_waitcnt vmcnt(0) lgkmcnt(0)
	v_mul_f64 v[134:135], v[134:135], s[70:71]
	s_branch .LBB145_157
.LBB145_156:
	v_mov_b64_e32 v[134:135], 0
.LBB145_157:
	v_add_f64 v[86:87], v[86:87], v[134:135]
	v_lshl_add_u64 v[134:135], v[88:89], 3, v[130:131]
	global_store_dwordx2 v[134:135], v[86:87], off
.LBB145_158:
	s_or_b64 exec, exec, s[48:49]
	v_add_u32_e32 v86, 0x54, v128
	v_cmp_gt_i32_e64 s[48:49], s72, v86
	s_and_b64 s[52:53], s[24:25], s[48:49]
	v_ashrrev_i32_e32 v87, 31, v86
	s_and_saveexec_b64 s[50:51], s[52:53]
	s_cbranch_execz .LBB145_163
; %bb.159:
	s_and_b64 vcc, exec, s[0:1]
	s_cbranch_vccnz .LBB145_161
; %bb.160:
	v_lshl_add_u64 v[134:135], v[86:87], 3, v[132:133]
	flat_load_dwordx2 v[134:135], v[134:135]
	s_waitcnt vmcnt(0) lgkmcnt(0)
	v_mul_f64 v[134:135], v[134:135], s[70:71]
	s_branch .LBB145_162
.LBB145_161:
	v_mov_b64_e32 v[134:135], 0
.LBB145_162:
	v_add_f64 v[84:85], v[84:85], v[134:135]
	v_lshl_add_u64 v[134:135], v[86:87], 3, v[130:131]
	global_store_dwordx2 v[134:135], v[84:85], off
.LBB145_163:
	s_or_b64 exec, exec, s[50:51]
	v_add_u32_e32 v84, 0x58, v128
	v_cmp_gt_i32_e64 s[50:51], s72, v84
	s_and_b64 s[54:55], s[24:25], s[50:51]
	v_ashrrev_i32_e32 v85, 31, v84
	s_and_saveexec_b64 s[52:53], s[54:55]
	s_cbranch_execz .LBB145_168
; %bb.164:
	s_and_b64 vcc, exec, s[0:1]
	s_cbranch_vccnz .LBB145_166
; %bb.165:
	v_lshl_add_u64 v[134:135], v[84:85], 3, v[132:133]
	flat_load_dwordx2 v[134:135], v[134:135]
	s_waitcnt vmcnt(0) lgkmcnt(0)
	v_mul_f64 v[134:135], v[134:135], s[70:71]
	s_branch .LBB145_167
.LBB145_166:
	v_mov_b64_e32 v[134:135], 0
.LBB145_167:
	v_add_f64 v[82:83], v[82:83], v[134:135]
	v_lshl_add_u64 v[134:135], v[84:85], 3, v[130:131]
	global_store_dwordx2 v[134:135], v[82:83], off
.LBB145_168:
	s_or_b64 exec, exec, s[52:53]
	v_add_u32_e32 v82, 0x5c, v128
	v_cmp_gt_i32_e64 s[52:53], s72, v82
	s_and_b64 s[56:57], s[24:25], s[52:53]
	v_ashrrev_i32_e32 v83, 31, v82
	s_and_saveexec_b64 s[54:55], s[56:57]
	s_cbranch_execz .LBB145_173
; %bb.169:
	s_and_b64 vcc, exec, s[0:1]
	s_cbranch_vccnz .LBB145_171
; %bb.170:
	v_lshl_add_u64 v[134:135], v[82:83], 3, v[132:133]
	flat_load_dwordx2 v[134:135], v[134:135]
	s_waitcnt vmcnt(0) lgkmcnt(0)
	v_mul_f64 v[134:135], v[134:135], s[70:71]
	s_branch .LBB145_172
.LBB145_171:
	v_mov_b64_e32 v[134:135], 0
.LBB145_172:
	v_add_f64 v[80:81], v[80:81], v[134:135]
	v_lshl_add_u64 v[134:135], v[82:83], 3, v[130:131]
	global_store_dwordx2 v[134:135], v[80:81], off
.LBB145_173:
	s_or_b64 exec, exec, s[54:55]
	v_add_u32_e32 v80, 0x60, v128
	v_cmp_gt_i32_e64 s[54:55], s72, v80
	s_and_b64 s[58:59], s[24:25], s[54:55]
	v_ashrrev_i32_e32 v81, 31, v80
	s_and_saveexec_b64 s[56:57], s[58:59]
	s_cbranch_execz .LBB145_178
; %bb.174:
	s_and_b64 vcc, exec, s[0:1]
	s_cbranch_vccnz .LBB145_176
; %bb.175:
	v_lshl_add_u64 v[134:135], v[80:81], 3, v[132:133]
	flat_load_dwordx2 v[134:135], v[134:135]
	s_waitcnt vmcnt(0) lgkmcnt(0)
	v_mul_f64 v[134:135], v[134:135], s[70:71]
	s_branch .LBB145_177
.LBB145_176:
	v_mov_b64_e32 v[134:135], 0
.LBB145_177:
	v_add_f64 v[78:79], v[78:79], v[134:135]
	v_lshl_add_u64 v[134:135], v[80:81], 3, v[130:131]
	global_store_dwordx2 v[134:135], v[78:79], off
.LBB145_178:
	s_or_b64 exec, exec, s[56:57]
	v_add_u32_e32 v78, 0x64, v128
	v_cmp_gt_i32_e64 s[56:57], s72, v78
	s_and_b64 s[60:61], s[24:25], s[56:57]
	v_ashrrev_i32_e32 v79, 31, v78
	s_and_saveexec_b64 s[58:59], s[60:61]
	s_cbranch_execz .LBB145_183
; %bb.179:
	s_and_b64 vcc, exec, s[0:1]
	s_cbranch_vccnz .LBB145_181
; %bb.180:
	v_lshl_add_u64 v[134:135], v[78:79], 3, v[132:133]
	flat_load_dwordx2 v[134:135], v[134:135]
	s_waitcnt vmcnt(0) lgkmcnt(0)
	v_mul_f64 v[134:135], v[134:135], s[70:71]
	s_branch .LBB145_182
.LBB145_181:
	v_mov_b64_e32 v[134:135], 0
.LBB145_182:
	v_add_f64 v[76:77], v[76:77], v[134:135]
	v_lshl_add_u64 v[134:135], v[78:79], 3, v[130:131]
	global_store_dwordx2 v[134:135], v[76:77], off
.LBB145_183:
	s_or_b64 exec, exec, s[58:59]
	v_add_u32_e32 v76, 0x68, v128
	v_cmp_gt_i32_e64 s[58:59], s72, v76
	s_and_b64 s[62:63], s[24:25], s[58:59]
	v_ashrrev_i32_e32 v77, 31, v76
	s_and_saveexec_b64 s[60:61], s[62:63]
	s_cbranch_execz .LBB145_188
; %bb.184:
	s_and_b64 vcc, exec, s[0:1]
	s_cbranch_vccnz .LBB145_186
; %bb.185:
	v_lshl_add_u64 v[134:135], v[76:77], 3, v[132:133]
	flat_load_dwordx2 v[134:135], v[134:135]
	s_waitcnt vmcnt(0) lgkmcnt(0)
	v_mul_f64 v[134:135], v[134:135], s[70:71]
	s_branch .LBB145_187
.LBB145_186:
	v_mov_b64_e32 v[134:135], 0
.LBB145_187:
	v_add_f64 v[74:75], v[74:75], v[134:135]
	v_lshl_add_u64 v[134:135], v[76:77], 3, v[130:131]
	global_store_dwordx2 v[134:135], v[74:75], off
.LBB145_188:
	s_or_b64 exec, exec, s[60:61]
	v_add_u32_e32 v74, 0x6c, v128
	v_cmp_gt_i32_e64 s[60:61], s72, v74
	s_and_b64 s[64:65], s[24:25], s[60:61]
	v_ashrrev_i32_e32 v75, 31, v74
	s_and_saveexec_b64 s[62:63], s[64:65]
	s_cbranch_execz .LBB145_193
; %bb.189:
	s_and_b64 vcc, exec, s[0:1]
	s_cbranch_vccnz .LBB145_191
; %bb.190:
	v_lshl_add_u64 v[134:135], v[74:75], 3, v[132:133]
	flat_load_dwordx2 v[134:135], v[134:135]
	s_waitcnt vmcnt(0) lgkmcnt(0)
	v_mul_f64 v[134:135], v[134:135], s[70:71]
	s_branch .LBB145_192
.LBB145_191:
	v_mov_b64_e32 v[134:135], 0
.LBB145_192:
	v_add_f64 v[72:73], v[72:73], v[134:135]
	v_lshl_add_u64 v[134:135], v[74:75], 3, v[130:131]
	global_store_dwordx2 v[134:135], v[72:73], off
.LBB145_193:
	s_or_b64 exec, exec, s[62:63]
	v_add_u32_e32 v72, 0x70, v128
	v_cmp_gt_i32_e64 s[62:63], s72, v72
	s_and_b64 s[66:67], s[24:25], s[62:63]
	v_ashrrev_i32_e32 v73, 31, v72
	s_and_saveexec_b64 s[64:65], s[66:67]
	s_cbranch_execz .LBB145_198
; %bb.194:
	s_and_b64 vcc, exec, s[0:1]
	s_cbranch_vccnz .LBB145_196
; %bb.195:
	v_lshl_add_u64 v[134:135], v[72:73], 3, v[132:133]
	flat_load_dwordx2 v[134:135], v[134:135]
	s_waitcnt vmcnt(0) lgkmcnt(0)
	v_mul_f64 v[134:135], v[134:135], s[70:71]
	s_branch .LBB145_197
.LBB145_196:
	v_mov_b64_e32 v[134:135], 0
.LBB145_197:
	v_add_f64 v[70:71], v[70:71], v[134:135]
	v_lshl_add_u64 v[134:135], v[72:73], 3, v[130:131]
	global_store_dwordx2 v[134:135], v[70:71], off
.LBB145_198:
	s_or_b64 exec, exec, s[64:65]
	v_add_u32_e32 v70, 0x74, v128
	v_cmp_gt_i32_e64 s[64:65], s72, v70
	s_and_b64 s[68:69], s[24:25], s[64:65]
	v_ashrrev_i32_e32 v71, 31, v70
	s_and_saveexec_b64 s[66:67], s[68:69]
	s_cbranch_execz .LBB145_203
; %bb.199:
	s_and_b64 vcc, exec, s[0:1]
	s_cbranch_vccnz .LBB145_201
; %bb.200:
	v_lshl_add_u64 v[134:135], v[70:71], 3, v[132:133]
	flat_load_dwordx2 v[134:135], v[134:135]
	s_waitcnt vmcnt(0) lgkmcnt(0)
	v_mul_f64 v[134:135], v[134:135], s[70:71]
	s_branch .LBB145_202
.LBB145_201:
	v_mov_b64_e32 v[134:135], 0
.LBB145_202:
	v_add_f64 v[68:69], v[68:69], v[134:135]
	v_lshl_add_u64 v[134:135], v[70:71], 3, v[130:131]
	global_store_dwordx2 v[134:135], v[68:69], off
.LBB145_203:
	s_or_b64 exec, exec, s[66:67]
	v_add_u32_e32 v68, 0x78, v128
	v_cmp_gt_i32_e64 s[66:67], s72, v68
	s_and_b64 s[80:81], s[24:25], s[66:67]
	v_ashrrev_i32_e32 v69, 31, v68
	s_and_saveexec_b64 s[68:69], s[80:81]
	s_cbranch_execz .LBB145_208
; %bb.204:
	s_and_b64 vcc, exec, s[0:1]
	s_cbranch_vccnz .LBB145_206
; %bb.205:
	v_lshl_add_u64 v[134:135], v[68:69], 3, v[132:133]
	flat_load_dwordx2 v[134:135], v[134:135]
	s_waitcnt vmcnt(0) lgkmcnt(0)
	v_mul_f64 v[134:135], v[134:135], s[70:71]
	s_branch .LBB145_207
.LBB145_206:
	v_mov_b64_e32 v[134:135], 0
.LBB145_207:
	v_add_f64 v[66:67], v[66:67], v[134:135]
	v_lshl_add_u64 v[134:135], v[68:69], 3, v[130:131]
	global_store_dwordx2 v[134:135], v[66:67], off
.LBB145_208:
	s_or_b64 exec, exec, s[68:69]
	v_add_u32_e32 v66, 0x7c, v128
	v_cmp_gt_i32_e64 s[68:69], s72, v66
	s_and_b64 s[80:81], s[24:25], s[68:69]
	v_ashrrev_i32_e32 v67, 31, v66
	s_and_saveexec_b64 s[24:25], s[80:81]
	s_cbranch_execz .LBB145_213
; %bb.209:
	s_and_b64 vcc, exec, s[0:1]
	s_cbranch_vccnz .LBB145_211
; %bb.210:
	v_lshl_add_u64 v[132:133], v[66:67], 3, v[132:133]
	flat_load_dwordx2 v[132:133], v[132:133]
	s_waitcnt vmcnt(0) lgkmcnt(0)
	v_mul_f64 v[132:133], v[132:133], s[70:71]
	s_branch .LBB145_212
.LBB145_211:
	v_mov_b64_e32 v[132:133], 0
.LBB145_212:
	v_add_f64 v[64:65], v[64:65], v[132:133]
	v_lshl_add_u64 v[130:131], v[66:67], 3, v[130:131]
	global_store_dwordx2 v[130:131], v[64:65], off
.LBB145_213:
	s_or_b64 exec, exec, s[24:25]
	v_add_u32_e32 v132, 64, v136
	v_cmp_gt_i32_e64 s[24:25], s73, v132
	v_mad_i64_i32 v[64:65], s[72:73], v132, s78, 0
	v_lshl_add_u64 v[130:131], v[64:65], 3, s[76:77]
	v_mad_i64_i32 v[64:65], s[72:73], v132, s33, 0
	v_lshl_add_u64 v[64:65], v[64:65], 3, s[74:75]
	s_and_b64 s[2:3], s[24:25], s[2:3]
	s_and_saveexec_b64 s[72:73], s[2:3]
	s_xor_b64 s[2:3], exec, s[72:73]
	s_cbranch_execnz .LBB145_246
; %bb.214:
	s_or_b64 exec, exec, s[2:3]
	s_and_b64 s[4:5], s[24:25], s[4:5]
	s_and_saveexec_b64 s[2:3], s[4:5]
	s_cbranch_execnz .LBB145_250
.LBB145_215:
	s_or_b64 exec, exec, s[2:3]
	s_and_b64 s[4:5], s[24:25], s[6:7]
	s_and_saveexec_b64 s[2:3], s[4:5]
	s_cbranch_execnz .LBB145_254
.LBB145_216:
	s_or_b64 exec, exec, s[2:3]
	s_and_b64 s[4:5], s[24:25], s[8:9]
	s_and_saveexec_b64 s[2:3], s[4:5]
	s_cbranch_execnz .LBB145_258
.LBB145_217:
	s_or_b64 exec, exec, s[2:3]
	s_and_b64 s[4:5], s[24:25], s[10:11]
	s_and_saveexec_b64 s[2:3], s[4:5]
	s_cbranch_execnz .LBB145_262
.LBB145_218:
	s_or_b64 exec, exec, s[2:3]
	s_and_b64 s[4:5], s[24:25], s[12:13]
	s_and_saveexec_b64 s[2:3], s[4:5]
	s_cbranch_execnz .LBB145_266
.LBB145_219:
	s_or_b64 exec, exec, s[2:3]
	s_and_b64 s[4:5], s[24:25], s[14:15]
	s_and_saveexec_b64 s[2:3], s[4:5]
	s_cbranch_execnz .LBB145_270
.LBB145_220:
	s_or_b64 exec, exec, s[2:3]
	s_and_b64 s[4:5], s[24:25], s[16:17]
	s_and_saveexec_b64 s[2:3], s[4:5]
	s_cbranch_execnz .LBB145_274
.LBB145_221:
	s_or_b64 exec, exec, s[2:3]
	s_and_b64 s[4:5], s[24:25], s[18:19]
	s_and_saveexec_b64 s[2:3], s[4:5]
	s_cbranch_execnz .LBB145_278
.LBB145_222:
	s_or_b64 exec, exec, s[2:3]
	s_and_b64 s[4:5], s[24:25], s[20:21]
	s_and_saveexec_b64 s[2:3], s[4:5]
	s_cbranch_execnz .LBB145_282
.LBB145_223:
	s_or_b64 exec, exec, s[2:3]
	s_and_b64 s[4:5], s[24:25], s[22:23]
	s_and_saveexec_b64 s[2:3], s[4:5]
	s_cbranch_execnz .LBB145_286
.LBB145_224:
	s_or_b64 exec, exec, s[2:3]
	s_and_b64 s[4:5], s[24:25], s[26:27]
	s_and_saveexec_b64 s[2:3], s[4:5]
	s_cbranch_execnz .LBB145_290
.LBB145_225:
	s_or_b64 exec, exec, s[2:3]
	s_and_b64 s[4:5], s[24:25], s[28:29]
	s_and_saveexec_b64 s[2:3], s[4:5]
	s_cbranch_execnz .LBB145_294
.LBB145_226:
	s_or_b64 exec, exec, s[2:3]
	s_and_b64 s[4:5], s[24:25], s[30:31]
	s_and_saveexec_b64 s[2:3], s[4:5]
	s_cbranch_execnz .LBB145_298
.LBB145_227:
	s_or_b64 exec, exec, s[2:3]
	s_and_b64 s[4:5], s[24:25], s[34:35]
	s_and_saveexec_b64 s[2:3], s[4:5]
	s_cbranch_execnz .LBB145_302
.LBB145_228:
	s_or_b64 exec, exec, s[2:3]
	s_and_b64 s[4:5], s[24:25], s[36:37]
	s_and_saveexec_b64 s[2:3], s[4:5]
	s_cbranch_execnz .LBB145_306
.LBB145_229:
	s_or_b64 exec, exec, s[2:3]
	s_and_b64 s[4:5], s[24:25], s[38:39]
	s_and_saveexec_b64 s[2:3], s[4:5]
	s_cbranch_execnz .LBB145_310
.LBB145_230:
	s_or_b64 exec, exec, s[2:3]
	s_and_b64 s[4:5], s[24:25], s[40:41]
	s_and_saveexec_b64 s[2:3], s[4:5]
	s_cbranch_execnz .LBB145_314
.LBB145_231:
	s_or_b64 exec, exec, s[2:3]
	s_and_b64 s[4:5], s[24:25], s[42:43]
	s_and_saveexec_b64 s[2:3], s[4:5]
	s_cbranch_execnz .LBB145_318
.LBB145_232:
	s_or_b64 exec, exec, s[2:3]
	s_and_b64 s[4:5], s[24:25], s[44:45]
	s_and_saveexec_b64 s[2:3], s[4:5]
	s_cbranch_execnz .LBB145_322
.LBB145_233:
	s_or_b64 exec, exec, s[2:3]
	s_and_b64 s[4:5], s[24:25], s[46:47]
	s_and_saveexec_b64 s[2:3], s[4:5]
	s_cbranch_execnz .LBB145_326
.LBB145_234:
	s_or_b64 exec, exec, s[2:3]
	s_and_b64 s[4:5], s[24:25], s[48:49]
	s_and_saveexec_b64 s[2:3], s[4:5]
	s_cbranch_execnz .LBB145_330
.LBB145_235:
	s_or_b64 exec, exec, s[2:3]
	s_and_b64 s[4:5], s[24:25], s[50:51]
	s_and_saveexec_b64 s[2:3], s[4:5]
	s_cbranch_execnz .LBB145_334
.LBB145_236:
	s_or_b64 exec, exec, s[2:3]
	s_and_b64 s[4:5], s[24:25], s[52:53]
	s_and_saveexec_b64 s[2:3], s[4:5]
	s_cbranch_execnz .LBB145_338
.LBB145_237:
	s_or_b64 exec, exec, s[2:3]
	s_and_b64 s[4:5], s[24:25], s[54:55]
	s_and_saveexec_b64 s[2:3], s[4:5]
	s_cbranch_execnz .LBB145_342
.LBB145_238:
	s_or_b64 exec, exec, s[2:3]
	s_and_b64 s[4:5], s[24:25], s[56:57]
	s_and_saveexec_b64 s[2:3], s[4:5]
	s_cbranch_execnz .LBB145_346
.LBB145_239:
	s_or_b64 exec, exec, s[2:3]
	s_and_b64 s[4:5], s[24:25], s[58:59]
	s_and_saveexec_b64 s[2:3], s[4:5]
	s_cbranch_execnz .LBB145_350
.LBB145_240:
	s_or_b64 exec, exec, s[2:3]
	s_and_b64 s[4:5], s[24:25], s[60:61]
	s_and_saveexec_b64 s[2:3], s[4:5]
	s_cbranch_execnz .LBB145_354
.LBB145_241:
	s_or_b64 exec, exec, s[2:3]
	s_and_b64 s[4:5], s[24:25], s[62:63]
	s_and_saveexec_b64 s[2:3], s[4:5]
	s_cbranch_execnz .LBB145_358
.LBB145_242:
	s_or_b64 exec, exec, s[2:3]
	s_and_b64 s[4:5], s[24:25], s[64:65]
	s_and_saveexec_b64 s[2:3], s[4:5]
	s_cbranch_execnz .LBB145_362
.LBB145_243:
	s_or_b64 exec, exec, s[2:3]
	s_and_b64 s[4:5], s[24:25], s[66:67]
	s_and_saveexec_b64 s[2:3], s[4:5]
	s_cbranch_execnz .LBB145_366
.LBB145_244:
	s_or_b64 exec, exec, s[2:3]
	s_and_b64 s[2:3], s[24:25], s[68:69]
	s_and_saveexec_b64 s[4:5], s[2:3]
	s_cbranch_execnz .LBB145_370
.LBB145_245:
	s_endpgm
.LBB145_246:
	s_and_b64 vcc, exec, s[0:1]
	s_cbranch_vccnz .LBB145_248
; %bb.247:
	v_lshl_add_u64 v[132:133], v[128:129], 3, v[130:131]
	flat_load_dwordx2 v[132:133], v[132:133]
	s_waitcnt vmcnt(0) lgkmcnt(0)
	v_mul_f64 v[132:133], v[132:133], s[70:71]
	s_branch .LBB145_249
.LBB145_248:
	v_mov_b64_e32 v[132:133], 0
.LBB145_249:
	v_add_f64 v[62:63], v[62:63], v[132:133]
	v_lshl_add_u64 v[128:129], v[128:129], 3, v[64:65]
	global_store_dwordx2 v[128:129], v[62:63], off
	s_or_b64 exec, exec, s[2:3]
	s_and_b64 s[4:5], s[24:25], s[4:5]
	s_and_saveexec_b64 s[2:3], s[4:5]
	s_cbranch_execz .LBB145_215
.LBB145_250:
	s_and_b64 vcc, exec, s[0:1]
	s_cbranch_vccnz .LBB145_252
; %bb.251:
	v_lshl_add_u64 v[62:63], v[126:127], 3, v[130:131]
	flat_load_dwordx2 v[62:63], v[62:63]
	s_waitcnt vmcnt(0) lgkmcnt(0)
	v_mul_f64 v[62:63], v[62:63], s[70:71]
	s_branch .LBB145_253
.LBB145_252:
	v_mov_b64_e32 v[62:63], 0
.LBB145_253:
	v_add_f64 v[60:61], v[60:61], v[62:63]
	v_lshl_add_u64 v[62:63], v[126:127], 3, v[64:65]
	global_store_dwordx2 v[62:63], v[60:61], off
	s_or_b64 exec, exec, s[2:3]
	s_and_b64 s[4:5], s[24:25], s[6:7]
	s_and_saveexec_b64 s[2:3], s[4:5]
	s_cbranch_execz .LBB145_216
.LBB145_254:
	s_and_b64 vcc, exec, s[0:1]
	s_cbranch_vccnz .LBB145_256
; %bb.255:
	v_lshl_add_u64 v[60:61], v[124:125], 3, v[130:131]
	flat_load_dwordx2 v[60:61], v[60:61]
	s_waitcnt vmcnt(0) lgkmcnt(0)
	v_mul_f64 v[60:61], v[60:61], s[70:71]
	s_branch .LBB145_257
.LBB145_256:
	v_mov_b64_e32 v[60:61], 0
.LBB145_257:
	v_add_f64 v[58:59], v[58:59], v[60:61]
	v_lshl_add_u64 v[60:61], v[124:125], 3, v[64:65]
	global_store_dwordx2 v[60:61], v[58:59], off
	s_or_b64 exec, exec, s[2:3]
	s_and_b64 s[4:5], s[24:25], s[8:9]
	s_and_saveexec_b64 s[2:3], s[4:5]
	s_cbranch_execz .LBB145_217
.LBB145_258:
	s_and_b64 vcc, exec, s[0:1]
	s_cbranch_vccnz .LBB145_260
; %bb.259:
	v_lshl_add_u64 v[58:59], v[122:123], 3, v[130:131]
	flat_load_dwordx2 v[58:59], v[58:59]
	s_waitcnt vmcnt(0) lgkmcnt(0)
	v_mul_f64 v[58:59], v[58:59], s[70:71]
	s_branch .LBB145_261
.LBB145_260:
	v_mov_b64_e32 v[58:59], 0
.LBB145_261:
	v_add_f64 v[56:57], v[56:57], v[58:59]
	v_lshl_add_u64 v[58:59], v[122:123], 3, v[64:65]
	global_store_dwordx2 v[58:59], v[56:57], off
	s_or_b64 exec, exec, s[2:3]
	s_and_b64 s[4:5], s[24:25], s[10:11]
	s_and_saveexec_b64 s[2:3], s[4:5]
	s_cbranch_execz .LBB145_218
.LBB145_262:
	s_and_b64 vcc, exec, s[0:1]
	s_cbranch_vccnz .LBB145_264
; %bb.263:
	v_lshl_add_u64 v[56:57], v[120:121], 3, v[130:131]
	flat_load_dwordx2 v[56:57], v[56:57]
	s_waitcnt vmcnt(0) lgkmcnt(0)
	v_mul_f64 v[56:57], v[56:57], s[70:71]
	s_branch .LBB145_265
.LBB145_264:
	v_mov_b64_e32 v[56:57], 0
.LBB145_265:
	v_add_f64 v[54:55], v[54:55], v[56:57]
	v_lshl_add_u64 v[56:57], v[120:121], 3, v[64:65]
	global_store_dwordx2 v[56:57], v[54:55], off
	s_or_b64 exec, exec, s[2:3]
	s_and_b64 s[4:5], s[24:25], s[12:13]
	s_and_saveexec_b64 s[2:3], s[4:5]
	s_cbranch_execz .LBB145_219
.LBB145_266:
	s_and_b64 vcc, exec, s[0:1]
	s_cbranch_vccnz .LBB145_268
; %bb.267:
	v_lshl_add_u64 v[54:55], v[118:119], 3, v[130:131]
	flat_load_dwordx2 v[54:55], v[54:55]
	s_waitcnt vmcnt(0) lgkmcnt(0)
	v_mul_f64 v[54:55], v[54:55], s[70:71]
	s_branch .LBB145_269
.LBB145_268:
	v_mov_b64_e32 v[54:55], 0
.LBB145_269:
	v_add_f64 v[52:53], v[52:53], v[54:55]
	v_lshl_add_u64 v[54:55], v[118:119], 3, v[64:65]
	global_store_dwordx2 v[54:55], v[52:53], off
	s_or_b64 exec, exec, s[2:3]
	s_and_b64 s[4:5], s[24:25], s[14:15]
	s_and_saveexec_b64 s[2:3], s[4:5]
	s_cbranch_execz .LBB145_220
.LBB145_270:
	s_and_b64 vcc, exec, s[0:1]
	s_cbranch_vccnz .LBB145_272
; %bb.271:
	v_lshl_add_u64 v[52:53], v[116:117], 3, v[130:131]
	flat_load_dwordx2 v[52:53], v[52:53]
	s_waitcnt vmcnt(0) lgkmcnt(0)
	v_mul_f64 v[52:53], v[52:53], s[70:71]
	s_branch .LBB145_273
.LBB145_272:
	v_mov_b64_e32 v[52:53], 0
.LBB145_273:
	v_add_f64 v[50:51], v[50:51], v[52:53]
	v_lshl_add_u64 v[52:53], v[116:117], 3, v[64:65]
	global_store_dwordx2 v[52:53], v[50:51], off
	s_or_b64 exec, exec, s[2:3]
	s_and_b64 s[4:5], s[24:25], s[16:17]
	s_and_saveexec_b64 s[2:3], s[4:5]
	s_cbranch_execz .LBB145_221
.LBB145_274:
	s_and_b64 vcc, exec, s[0:1]
	s_cbranch_vccnz .LBB145_276
; %bb.275:
	v_lshl_add_u64 v[50:51], v[114:115], 3, v[130:131]
	flat_load_dwordx2 v[50:51], v[50:51]
	s_waitcnt vmcnt(0) lgkmcnt(0)
	v_mul_f64 v[50:51], v[50:51], s[70:71]
	s_branch .LBB145_277
.LBB145_276:
	v_mov_b64_e32 v[50:51], 0
.LBB145_277:
	v_add_f64 v[48:49], v[48:49], v[50:51]
	v_lshl_add_u64 v[50:51], v[114:115], 3, v[64:65]
	global_store_dwordx2 v[50:51], v[48:49], off
	s_or_b64 exec, exec, s[2:3]
	s_and_b64 s[4:5], s[24:25], s[18:19]
	s_and_saveexec_b64 s[2:3], s[4:5]
	s_cbranch_execz .LBB145_222
.LBB145_278:
	s_and_b64 vcc, exec, s[0:1]
	s_cbranch_vccnz .LBB145_280
; %bb.279:
	v_lshl_add_u64 v[48:49], v[112:113], 3, v[130:131]
	flat_load_dwordx2 v[48:49], v[48:49]
	s_waitcnt vmcnt(0) lgkmcnt(0)
	v_mul_f64 v[48:49], v[48:49], s[70:71]
	s_branch .LBB145_281
.LBB145_280:
	v_mov_b64_e32 v[48:49], 0
.LBB145_281:
	v_add_f64 v[46:47], v[46:47], v[48:49]
	v_lshl_add_u64 v[48:49], v[112:113], 3, v[64:65]
	global_store_dwordx2 v[48:49], v[46:47], off
	s_or_b64 exec, exec, s[2:3]
	s_and_b64 s[4:5], s[24:25], s[20:21]
	s_and_saveexec_b64 s[2:3], s[4:5]
	s_cbranch_execz .LBB145_223
.LBB145_282:
	s_and_b64 vcc, exec, s[0:1]
	s_cbranch_vccnz .LBB145_284
; %bb.283:
	v_lshl_add_u64 v[46:47], v[110:111], 3, v[130:131]
	flat_load_dwordx2 v[46:47], v[46:47]
	s_waitcnt vmcnt(0) lgkmcnt(0)
	v_mul_f64 v[46:47], v[46:47], s[70:71]
	s_branch .LBB145_285
.LBB145_284:
	v_mov_b64_e32 v[46:47], 0
.LBB145_285:
	v_add_f64 v[44:45], v[44:45], v[46:47]
	v_lshl_add_u64 v[46:47], v[110:111], 3, v[64:65]
	global_store_dwordx2 v[46:47], v[44:45], off
	s_or_b64 exec, exec, s[2:3]
	s_and_b64 s[4:5], s[24:25], s[22:23]
	s_and_saveexec_b64 s[2:3], s[4:5]
	s_cbranch_execz .LBB145_224
.LBB145_286:
	s_and_b64 vcc, exec, s[0:1]
	s_cbranch_vccnz .LBB145_288
; %bb.287:
	v_lshl_add_u64 v[44:45], v[108:109], 3, v[130:131]
	flat_load_dwordx2 v[44:45], v[44:45]
	s_waitcnt vmcnt(0) lgkmcnt(0)
	v_mul_f64 v[44:45], v[44:45], s[70:71]
	s_branch .LBB145_289
.LBB145_288:
	v_mov_b64_e32 v[44:45], 0
.LBB145_289:
	v_add_f64 v[42:43], v[42:43], v[44:45]
	v_lshl_add_u64 v[44:45], v[108:109], 3, v[64:65]
	global_store_dwordx2 v[44:45], v[42:43], off
	s_or_b64 exec, exec, s[2:3]
	s_and_b64 s[4:5], s[24:25], s[26:27]
	s_and_saveexec_b64 s[2:3], s[4:5]
	s_cbranch_execz .LBB145_225
.LBB145_290:
	s_and_b64 vcc, exec, s[0:1]
	s_cbranch_vccnz .LBB145_292
; %bb.291:
	v_lshl_add_u64 v[42:43], v[106:107], 3, v[130:131]
	flat_load_dwordx2 v[42:43], v[42:43]
	s_waitcnt vmcnt(0) lgkmcnt(0)
	v_mul_f64 v[42:43], v[42:43], s[70:71]
	s_branch .LBB145_293
.LBB145_292:
	v_mov_b64_e32 v[42:43], 0
.LBB145_293:
	v_add_f64 v[40:41], v[40:41], v[42:43]
	v_lshl_add_u64 v[42:43], v[106:107], 3, v[64:65]
	global_store_dwordx2 v[42:43], v[40:41], off
	s_or_b64 exec, exec, s[2:3]
	s_and_b64 s[4:5], s[24:25], s[28:29]
	s_and_saveexec_b64 s[2:3], s[4:5]
	s_cbranch_execz .LBB145_226
.LBB145_294:
	s_and_b64 vcc, exec, s[0:1]
	s_cbranch_vccnz .LBB145_296
; %bb.295:
	v_lshl_add_u64 v[40:41], v[104:105], 3, v[130:131]
	flat_load_dwordx2 v[40:41], v[40:41]
	s_waitcnt vmcnt(0) lgkmcnt(0)
	v_mul_f64 v[40:41], v[40:41], s[70:71]
	s_branch .LBB145_297
.LBB145_296:
	v_mov_b64_e32 v[40:41], 0
.LBB145_297:
	v_add_f64 v[38:39], v[38:39], v[40:41]
	v_lshl_add_u64 v[40:41], v[104:105], 3, v[64:65]
	global_store_dwordx2 v[40:41], v[38:39], off
	s_or_b64 exec, exec, s[2:3]
	s_and_b64 s[4:5], s[24:25], s[30:31]
	s_and_saveexec_b64 s[2:3], s[4:5]
	s_cbranch_execz .LBB145_227
.LBB145_298:
	s_and_b64 vcc, exec, s[0:1]
	s_cbranch_vccnz .LBB145_300
; %bb.299:
	v_lshl_add_u64 v[38:39], v[102:103], 3, v[130:131]
	flat_load_dwordx2 v[38:39], v[38:39]
	s_waitcnt vmcnt(0) lgkmcnt(0)
	v_mul_f64 v[38:39], v[38:39], s[70:71]
	s_branch .LBB145_301
.LBB145_300:
	v_mov_b64_e32 v[38:39], 0
.LBB145_301:
	v_add_f64 v[36:37], v[36:37], v[38:39]
	v_lshl_add_u64 v[38:39], v[102:103], 3, v[64:65]
	global_store_dwordx2 v[38:39], v[36:37], off
	s_or_b64 exec, exec, s[2:3]
	s_and_b64 s[4:5], s[24:25], s[34:35]
	s_and_saveexec_b64 s[2:3], s[4:5]
	s_cbranch_execz .LBB145_228
.LBB145_302:
	s_and_b64 vcc, exec, s[0:1]
	s_cbranch_vccnz .LBB145_304
; %bb.303:
	v_lshl_add_u64 v[36:37], v[100:101], 3, v[130:131]
	flat_load_dwordx2 v[36:37], v[36:37]
	s_waitcnt vmcnt(0) lgkmcnt(0)
	v_mul_f64 v[36:37], v[36:37], s[70:71]
	s_branch .LBB145_305
.LBB145_304:
	v_mov_b64_e32 v[36:37], 0
.LBB145_305:
	v_add_f64 v[34:35], v[34:35], v[36:37]
	v_lshl_add_u64 v[36:37], v[100:101], 3, v[64:65]
	global_store_dwordx2 v[36:37], v[34:35], off
	s_or_b64 exec, exec, s[2:3]
	s_and_b64 s[4:5], s[24:25], s[36:37]
	s_and_saveexec_b64 s[2:3], s[4:5]
	s_cbranch_execz .LBB145_229
.LBB145_306:
	s_and_b64 vcc, exec, s[0:1]
	s_cbranch_vccnz .LBB145_308
; %bb.307:
	v_lshl_add_u64 v[34:35], v[98:99], 3, v[130:131]
	flat_load_dwordx2 v[34:35], v[34:35]
	s_waitcnt vmcnt(0) lgkmcnt(0)
	v_mul_f64 v[34:35], v[34:35], s[70:71]
	s_branch .LBB145_309
.LBB145_308:
	v_mov_b64_e32 v[34:35], 0
.LBB145_309:
	v_add_f64 v[32:33], v[32:33], v[34:35]
	v_lshl_add_u64 v[34:35], v[98:99], 3, v[64:65]
	global_store_dwordx2 v[34:35], v[32:33], off
	s_or_b64 exec, exec, s[2:3]
	s_and_b64 s[4:5], s[24:25], s[38:39]
	s_and_saveexec_b64 s[2:3], s[4:5]
	s_cbranch_execz .LBB145_230
.LBB145_310:
	s_and_b64 vcc, exec, s[0:1]
	s_cbranch_vccnz .LBB145_312
; %bb.311:
	v_lshl_add_u64 v[32:33], v[96:97], 3, v[130:131]
	flat_load_dwordx2 v[32:33], v[32:33]
	s_waitcnt vmcnt(0) lgkmcnt(0)
	v_mul_f64 v[32:33], v[32:33], s[70:71]
	s_branch .LBB145_313
.LBB145_312:
	v_mov_b64_e32 v[32:33], 0
.LBB145_313:
	v_add_f64 v[30:31], v[30:31], v[32:33]
	v_lshl_add_u64 v[32:33], v[96:97], 3, v[64:65]
	global_store_dwordx2 v[32:33], v[30:31], off
	s_or_b64 exec, exec, s[2:3]
	s_and_b64 s[4:5], s[24:25], s[40:41]
	s_and_saveexec_b64 s[2:3], s[4:5]
	s_cbranch_execz .LBB145_231
.LBB145_314:
	s_and_b64 vcc, exec, s[0:1]
	s_cbranch_vccnz .LBB145_316
; %bb.315:
	v_lshl_add_u64 v[30:31], v[94:95], 3, v[130:131]
	flat_load_dwordx2 v[30:31], v[30:31]
	s_waitcnt vmcnt(0) lgkmcnt(0)
	v_mul_f64 v[30:31], v[30:31], s[70:71]
	s_branch .LBB145_317
.LBB145_316:
	v_mov_b64_e32 v[30:31], 0
.LBB145_317:
	v_add_f64 v[28:29], v[28:29], v[30:31]
	v_lshl_add_u64 v[30:31], v[94:95], 3, v[64:65]
	global_store_dwordx2 v[30:31], v[28:29], off
	s_or_b64 exec, exec, s[2:3]
	s_and_b64 s[4:5], s[24:25], s[42:43]
	s_and_saveexec_b64 s[2:3], s[4:5]
	s_cbranch_execz .LBB145_232
.LBB145_318:
	s_and_b64 vcc, exec, s[0:1]
	s_cbranch_vccnz .LBB145_320
; %bb.319:
	v_lshl_add_u64 v[28:29], v[92:93], 3, v[130:131]
	flat_load_dwordx2 v[28:29], v[28:29]
	s_waitcnt vmcnt(0) lgkmcnt(0)
	v_mul_f64 v[28:29], v[28:29], s[70:71]
	s_branch .LBB145_321
.LBB145_320:
	v_mov_b64_e32 v[28:29], 0
.LBB145_321:
	v_add_f64 v[26:27], v[26:27], v[28:29]
	v_lshl_add_u64 v[28:29], v[92:93], 3, v[64:65]
	global_store_dwordx2 v[28:29], v[26:27], off
	s_or_b64 exec, exec, s[2:3]
	s_and_b64 s[4:5], s[24:25], s[44:45]
	s_and_saveexec_b64 s[2:3], s[4:5]
	s_cbranch_execz .LBB145_233
.LBB145_322:
	s_and_b64 vcc, exec, s[0:1]
	s_cbranch_vccnz .LBB145_324
; %bb.323:
	v_lshl_add_u64 v[26:27], v[90:91], 3, v[130:131]
	flat_load_dwordx2 v[26:27], v[26:27]
	s_waitcnt vmcnt(0) lgkmcnt(0)
	v_mul_f64 v[26:27], v[26:27], s[70:71]
	s_branch .LBB145_325
.LBB145_324:
	v_mov_b64_e32 v[26:27], 0
.LBB145_325:
	v_add_f64 v[24:25], v[24:25], v[26:27]
	v_lshl_add_u64 v[26:27], v[90:91], 3, v[64:65]
	global_store_dwordx2 v[26:27], v[24:25], off
	s_or_b64 exec, exec, s[2:3]
	s_and_b64 s[4:5], s[24:25], s[46:47]
	s_and_saveexec_b64 s[2:3], s[4:5]
	s_cbranch_execz .LBB145_234
.LBB145_326:
	s_and_b64 vcc, exec, s[0:1]
	s_cbranch_vccnz .LBB145_328
; %bb.327:
	v_lshl_add_u64 v[24:25], v[88:89], 3, v[130:131]
	flat_load_dwordx2 v[24:25], v[24:25]
	s_waitcnt vmcnt(0) lgkmcnt(0)
	v_mul_f64 v[24:25], v[24:25], s[70:71]
	s_branch .LBB145_329
.LBB145_328:
	v_mov_b64_e32 v[24:25], 0
.LBB145_329:
	v_add_f64 v[22:23], v[22:23], v[24:25]
	v_lshl_add_u64 v[24:25], v[88:89], 3, v[64:65]
	global_store_dwordx2 v[24:25], v[22:23], off
	s_or_b64 exec, exec, s[2:3]
	s_and_b64 s[4:5], s[24:25], s[48:49]
	s_and_saveexec_b64 s[2:3], s[4:5]
	s_cbranch_execz .LBB145_235
.LBB145_330:
	s_and_b64 vcc, exec, s[0:1]
	s_cbranch_vccnz .LBB145_332
; %bb.331:
	v_lshl_add_u64 v[22:23], v[86:87], 3, v[130:131]
	flat_load_dwordx2 v[22:23], v[22:23]
	s_waitcnt vmcnt(0) lgkmcnt(0)
	v_mul_f64 v[22:23], v[22:23], s[70:71]
	s_branch .LBB145_333
.LBB145_332:
	v_mov_b64_e32 v[22:23], 0
.LBB145_333:
	v_add_f64 v[20:21], v[20:21], v[22:23]
	v_lshl_add_u64 v[22:23], v[86:87], 3, v[64:65]
	global_store_dwordx2 v[22:23], v[20:21], off
	s_or_b64 exec, exec, s[2:3]
	s_and_b64 s[4:5], s[24:25], s[50:51]
	s_and_saveexec_b64 s[2:3], s[4:5]
	s_cbranch_execz .LBB145_236
.LBB145_334:
	s_and_b64 vcc, exec, s[0:1]
	s_cbranch_vccnz .LBB145_336
; %bb.335:
	v_lshl_add_u64 v[20:21], v[84:85], 3, v[130:131]
	flat_load_dwordx2 v[20:21], v[20:21]
	s_waitcnt vmcnt(0) lgkmcnt(0)
	v_mul_f64 v[20:21], v[20:21], s[70:71]
	s_branch .LBB145_337
.LBB145_336:
	v_mov_b64_e32 v[20:21], 0
.LBB145_337:
	v_add_f64 v[18:19], v[18:19], v[20:21]
	v_lshl_add_u64 v[20:21], v[84:85], 3, v[64:65]
	global_store_dwordx2 v[20:21], v[18:19], off
	s_or_b64 exec, exec, s[2:3]
	s_and_b64 s[4:5], s[24:25], s[52:53]
	s_and_saveexec_b64 s[2:3], s[4:5]
	s_cbranch_execz .LBB145_237
.LBB145_338:
	s_and_b64 vcc, exec, s[0:1]
	s_cbranch_vccnz .LBB145_340
; %bb.339:
	v_lshl_add_u64 v[18:19], v[82:83], 3, v[130:131]
	flat_load_dwordx2 v[18:19], v[18:19]
	s_waitcnt vmcnt(0) lgkmcnt(0)
	v_mul_f64 v[18:19], v[18:19], s[70:71]
	s_branch .LBB145_341
.LBB145_340:
	v_mov_b64_e32 v[18:19], 0
.LBB145_341:
	v_add_f64 v[16:17], v[16:17], v[18:19]
	v_lshl_add_u64 v[18:19], v[82:83], 3, v[64:65]
	global_store_dwordx2 v[18:19], v[16:17], off
	s_or_b64 exec, exec, s[2:3]
	s_and_b64 s[4:5], s[24:25], s[54:55]
	s_and_saveexec_b64 s[2:3], s[4:5]
	s_cbranch_execz .LBB145_238
.LBB145_342:
	s_and_b64 vcc, exec, s[0:1]
	s_cbranch_vccnz .LBB145_344
; %bb.343:
	v_lshl_add_u64 v[16:17], v[80:81], 3, v[130:131]
	flat_load_dwordx2 v[16:17], v[16:17]
	s_waitcnt vmcnt(0) lgkmcnt(0)
	v_mul_f64 v[16:17], v[16:17], s[70:71]
	s_branch .LBB145_345
.LBB145_344:
	v_mov_b64_e32 v[16:17], 0
.LBB145_345:
	v_add_f64 v[14:15], v[14:15], v[16:17]
	v_lshl_add_u64 v[16:17], v[80:81], 3, v[64:65]
	global_store_dwordx2 v[16:17], v[14:15], off
	s_or_b64 exec, exec, s[2:3]
	s_and_b64 s[4:5], s[24:25], s[56:57]
	s_and_saveexec_b64 s[2:3], s[4:5]
	s_cbranch_execz .LBB145_239
.LBB145_346:
	s_and_b64 vcc, exec, s[0:1]
	s_cbranch_vccnz .LBB145_348
; %bb.347:
	v_lshl_add_u64 v[14:15], v[78:79], 3, v[130:131]
	flat_load_dwordx2 v[14:15], v[14:15]
	s_waitcnt vmcnt(0) lgkmcnt(0)
	v_mul_f64 v[14:15], v[14:15], s[70:71]
	s_branch .LBB145_349
.LBB145_348:
	v_mov_b64_e32 v[14:15], 0
.LBB145_349:
	v_add_f64 v[12:13], v[12:13], v[14:15]
	v_lshl_add_u64 v[14:15], v[78:79], 3, v[64:65]
	global_store_dwordx2 v[14:15], v[12:13], off
	s_or_b64 exec, exec, s[2:3]
	s_and_b64 s[4:5], s[24:25], s[58:59]
	s_and_saveexec_b64 s[2:3], s[4:5]
	s_cbranch_execz .LBB145_240
.LBB145_350:
	s_and_b64 vcc, exec, s[0:1]
	s_cbranch_vccnz .LBB145_352
; %bb.351:
	v_lshl_add_u64 v[12:13], v[76:77], 3, v[130:131]
	flat_load_dwordx2 v[12:13], v[12:13]
	s_waitcnt vmcnt(0) lgkmcnt(0)
	v_mul_f64 v[12:13], v[12:13], s[70:71]
	s_branch .LBB145_353
.LBB145_352:
	v_mov_b64_e32 v[12:13], 0
.LBB145_353:
	v_add_f64 v[10:11], v[10:11], v[12:13]
	v_lshl_add_u64 v[12:13], v[76:77], 3, v[64:65]
	global_store_dwordx2 v[12:13], v[10:11], off
	s_or_b64 exec, exec, s[2:3]
	s_and_b64 s[4:5], s[24:25], s[60:61]
	s_and_saveexec_b64 s[2:3], s[4:5]
	s_cbranch_execz .LBB145_241
.LBB145_354:
	s_and_b64 vcc, exec, s[0:1]
	s_cbranch_vccnz .LBB145_356
; %bb.355:
	v_lshl_add_u64 v[10:11], v[74:75], 3, v[130:131]
	flat_load_dwordx2 v[10:11], v[10:11]
	s_waitcnt vmcnt(0) lgkmcnt(0)
	v_mul_f64 v[10:11], v[10:11], s[70:71]
	s_branch .LBB145_357
.LBB145_356:
	v_mov_b64_e32 v[10:11], 0
.LBB145_357:
	v_add_f64 v[8:9], v[8:9], v[10:11]
	v_lshl_add_u64 v[10:11], v[74:75], 3, v[64:65]
	global_store_dwordx2 v[10:11], v[8:9], off
	s_or_b64 exec, exec, s[2:3]
	s_and_b64 s[4:5], s[24:25], s[62:63]
	s_and_saveexec_b64 s[2:3], s[4:5]
	s_cbranch_execz .LBB145_242
.LBB145_358:
	s_and_b64 vcc, exec, s[0:1]
	s_cbranch_vccnz .LBB145_360
; %bb.359:
	v_lshl_add_u64 v[8:9], v[72:73], 3, v[130:131]
	flat_load_dwordx2 v[8:9], v[8:9]
	s_waitcnt vmcnt(0) lgkmcnt(0)
	v_mul_f64 v[8:9], v[8:9], s[70:71]
	s_branch .LBB145_361
.LBB145_360:
	v_mov_b64_e32 v[8:9], 0
.LBB145_361:
	v_add_f64 v[6:7], v[6:7], v[8:9]
	v_lshl_add_u64 v[8:9], v[72:73], 3, v[64:65]
	global_store_dwordx2 v[8:9], v[6:7], off
	s_or_b64 exec, exec, s[2:3]
	s_and_b64 s[4:5], s[24:25], s[64:65]
	s_and_saveexec_b64 s[2:3], s[4:5]
	s_cbranch_execz .LBB145_243
.LBB145_362:
	s_and_b64 vcc, exec, s[0:1]
	s_cbranch_vccnz .LBB145_364
; %bb.363:
	v_lshl_add_u64 v[6:7], v[70:71], 3, v[130:131]
	flat_load_dwordx2 v[6:7], v[6:7]
	s_waitcnt vmcnt(0) lgkmcnt(0)
	v_mul_f64 v[6:7], v[6:7], s[70:71]
	s_branch .LBB145_365
.LBB145_364:
	v_mov_b64_e32 v[6:7], 0
.LBB145_365:
	v_add_f64 v[4:5], v[4:5], v[6:7]
	v_lshl_add_u64 v[6:7], v[70:71], 3, v[64:65]
	global_store_dwordx2 v[6:7], v[4:5], off
	s_or_b64 exec, exec, s[2:3]
	s_and_b64 s[4:5], s[24:25], s[66:67]
	s_and_saveexec_b64 s[2:3], s[4:5]
	s_cbranch_execz .LBB145_244
.LBB145_366:
	s_and_b64 vcc, exec, s[0:1]
	s_cbranch_vccnz .LBB145_368
; %bb.367:
	v_lshl_add_u64 v[4:5], v[68:69], 3, v[130:131]
	flat_load_dwordx2 v[4:5], v[4:5]
	s_waitcnt vmcnt(0) lgkmcnt(0)
	v_mul_f64 v[4:5], v[4:5], s[70:71]
	s_branch .LBB145_369
.LBB145_368:
	v_mov_b64_e32 v[4:5], 0
.LBB145_369:
	v_add_f64 v[2:3], v[2:3], v[4:5]
	v_lshl_add_u64 v[4:5], v[68:69], 3, v[64:65]
	global_store_dwordx2 v[4:5], v[2:3], off
	s_or_b64 exec, exec, s[2:3]
	s_and_b64 s[2:3], s[24:25], s[68:69]
	s_and_saveexec_b64 s[4:5], s[2:3]
	s_cbranch_execz .LBB145_245
.LBB145_370:
	s_and_b64 vcc, exec, s[0:1]
	s_cbranch_vccnz .LBB145_372
; %bb.371:
	v_lshl_add_u64 v[2:3], v[66:67], 3, v[130:131]
	flat_load_dwordx2 v[2:3], v[2:3]
	s_waitcnt vmcnt(0) lgkmcnt(0)
	v_mul_f64 v[2:3], v[2:3], s[70:71]
	v_add_f64 v[0:1], v[0:1], v[2:3]
	v_lshl_add_u64 v[2:3], v[66:67], 3, v[64:65]
	global_store_dwordx2 v[2:3], v[0:1], off
	s_endpgm
.LBB145_372:
	v_mov_b64_e32 v[2:3], 0
	v_add_f64 v[0:1], v[0:1], v[2:3]
	v_lshl_add_u64 v[2:3], v[66:67], 3, v[64:65]
	global_store_dwordx2 v[2:3], v[0:1], off
	s_endpgm
	.section	.rodata,"a",@progbits
	.p2align	6, 0x0
	.amdhsa_kernel _ZN12_GLOBAL__N_120geam_min_plus_kernelIdddLi4ELi64ELi128ELi128ELi4ELi64ELi4ELi64ELi4ELc78ELc84ELb1ELb1ELb0EdKPKdKPdEEviiiT16_PT17_ilS8_ilS6_S8_ilPT18_ili26rocblas_geam_ex_operation_
		.amdhsa_group_segment_fixed_size 16384
		.amdhsa_private_segment_fixed_size 0
		.amdhsa_kernarg_size 136
		.amdhsa_user_sgpr_count 2
		.amdhsa_user_sgpr_dispatch_ptr 0
		.amdhsa_user_sgpr_queue_ptr 0
		.amdhsa_user_sgpr_kernarg_segment_ptr 1
		.amdhsa_user_sgpr_dispatch_id 0
		.amdhsa_user_sgpr_kernarg_preload_length 0
		.amdhsa_user_sgpr_kernarg_preload_offset 0
		.amdhsa_user_sgpr_private_segment_size 0
		.amdhsa_uses_dynamic_stack 0
		.amdhsa_enable_private_segment 0
		.amdhsa_system_sgpr_workgroup_id_x 1
		.amdhsa_system_sgpr_workgroup_id_y 0
		.amdhsa_system_sgpr_workgroup_id_z 1
		.amdhsa_system_sgpr_workgroup_info 0
		.amdhsa_system_vgpr_workitem_id 1
		.amdhsa_next_free_vgpr 252
		.amdhsa_next_free_sgpr 82
		.amdhsa_accum_offset 252
		.amdhsa_reserve_vcc 1
		.amdhsa_float_round_mode_32 0
		.amdhsa_float_round_mode_16_64 0
		.amdhsa_float_denorm_mode_32 3
		.amdhsa_float_denorm_mode_16_64 3
		.amdhsa_dx10_clamp 1
		.amdhsa_ieee_mode 1
		.amdhsa_fp16_overflow 0
		.amdhsa_tg_split 0
		.amdhsa_exception_fp_ieee_invalid_op 0
		.amdhsa_exception_fp_denorm_src 0
		.amdhsa_exception_fp_ieee_div_zero 0
		.amdhsa_exception_fp_ieee_overflow 0
		.amdhsa_exception_fp_ieee_underflow 0
		.amdhsa_exception_fp_ieee_inexact 0
		.amdhsa_exception_int_div_zero 0
	.end_amdhsa_kernel
	.section	.text._ZN12_GLOBAL__N_120geam_min_plus_kernelIdddLi4ELi64ELi128ELi128ELi4ELi64ELi4ELi64ELi4ELc78ELc84ELb1ELb1ELb0EdKPKdKPdEEviiiT16_PT17_ilS8_ilS6_S8_ilPT18_ili26rocblas_geam_ex_operation_,"axG",@progbits,_ZN12_GLOBAL__N_120geam_min_plus_kernelIdddLi4ELi64ELi128ELi128ELi4ELi64ELi4ELi64ELi4ELc78ELc84ELb1ELb1ELb0EdKPKdKPdEEviiiT16_PT17_ilS8_ilS6_S8_ilPT18_ili26rocblas_geam_ex_operation_,comdat
.Lfunc_end145:
	.size	_ZN12_GLOBAL__N_120geam_min_plus_kernelIdddLi4ELi64ELi128ELi128ELi4ELi64ELi4ELi64ELi4ELc78ELc84ELb1ELb1ELb0EdKPKdKPdEEviiiT16_PT17_ilS8_ilS6_S8_ilPT18_ili26rocblas_geam_ex_operation_, .Lfunc_end145-_ZN12_GLOBAL__N_120geam_min_plus_kernelIdddLi4ELi64ELi128ELi128ELi4ELi64ELi4ELi64ELi4ELc78ELc84ELb1ELb1ELb0EdKPKdKPdEEviiiT16_PT17_ilS8_ilS6_S8_ilPT18_ili26rocblas_geam_ex_operation_
                                        ; -- End function
	.section	.AMDGPU.csdata,"",@progbits
; Kernel info:
; codeLenInByte = 14436
; NumSgprs: 88
; NumVgprs: 252
; NumAgprs: 0
; TotalNumVgprs: 252
; ScratchSize: 0
; MemoryBound: 0
; FloatMode: 240
; IeeeMode: 1
; LDSByteSize: 16384 bytes/workgroup (compile time only)
; SGPRBlocks: 10
; VGPRBlocks: 31
; NumSGPRsForWavesPerEU: 88
; NumVGPRsForWavesPerEU: 252
; AccumOffset: 252
; Occupancy: 2
; WaveLimiterHint : 1
; COMPUTE_PGM_RSRC2:SCRATCH_EN: 0
; COMPUTE_PGM_RSRC2:USER_SGPR: 2
; COMPUTE_PGM_RSRC2:TRAP_HANDLER: 0
; COMPUTE_PGM_RSRC2:TGID_X_EN: 1
; COMPUTE_PGM_RSRC2:TGID_Y_EN: 0
; COMPUTE_PGM_RSRC2:TGID_Z_EN: 1
; COMPUTE_PGM_RSRC2:TIDIG_COMP_CNT: 1
; COMPUTE_PGM_RSRC3_GFX90A:ACCUM_OFFSET: 62
; COMPUTE_PGM_RSRC3_GFX90A:TG_SPLIT: 0
	.section	.text._ZN12_GLOBAL__N_120geam_min_plus_kernelIdddLi4ELi64ELi128ELi128ELi4ELi64ELi4ELi64ELi4ELc78ELc84ELb0ELb1ELb0EdKPKdKPdEEviiiT16_PT17_ilS8_ilS6_S8_ilPT18_ili26rocblas_geam_ex_operation_,"axG",@progbits,_ZN12_GLOBAL__N_120geam_min_plus_kernelIdddLi4ELi64ELi128ELi128ELi4ELi64ELi4ELi64ELi4ELc78ELc84ELb0ELb1ELb0EdKPKdKPdEEviiiT16_PT17_ilS8_ilS6_S8_ilPT18_ili26rocblas_geam_ex_operation_,comdat
	.globl	_ZN12_GLOBAL__N_120geam_min_plus_kernelIdddLi4ELi64ELi128ELi128ELi4ELi64ELi4ELi64ELi4ELc78ELc84ELb0ELb1ELb0EdKPKdKPdEEviiiT16_PT17_ilS8_ilS6_S8_ilPT18_ili26rocblas_geam_ex_operation_ ; -- Begin function _ZN12_GLOBAL__N_120geam_min_plus_kernelIdddLi4ELi64ELi128ELi128ELi4ELi64ELi4ELi64ELi4ELc78ELc84ELb0ELb1ELb0EdKPKdKPdEEviiiT16_PT17_ilS8_ilS6_S8_ilPT18_ili26rocblas_geam_ex_operation_
	.p2align	8
	.type	_ZN12_GLOBAL__N_120geam_min_plus_kernelIdddLi4ELi64ELi128ELi128ELi4ELi64ELi4ELi64ELi4ELc78ELc84ELb0ELb1ELb0EdKPKdKPdEEviiiT16_PT17_ilS8_ilS6_S8_ilPT18_ili26rocblas_geam_ex_operation_,@function
_ZN12_GLOBAL__N_120geam_min_plus_kernelIdddLi4ELi64ELi128ELi128ELi4ELi64ELi4ELi64ELi4ELc78ELc84ELb0ELb1ELb0EdKPKdKPdEEviiiT16_PT17_ilS8_ilS6_S8_ilPT18_ili26rocblas_geam_ex_operation_: ; @_ZN12_GLOBAL__N_120geam_min_plus_kernelIdddLi4ELi64ELi128ELi128ELi4ELi64ELi4ELi64ELi4ELc78ELc84ELb0ELb1ELb0EdKPKdKPdEEviiiT16_PT17_ilS8_ilS6_S8_ilPT18_ili26rocblas_geam_ex_operation_
; %bb.0:
	s_load_dwordx4 s[12:15], s[0:1], 0x10
	s_load_dwordx4 s[4:7], s[0:1], 0x28
	s_mov_b32 s8, s3
	s_mov_b64 s[16:17], 0
	s_waitcnt lgkmcnt(0)
	v_cmp_eq_f64_e64 s[10:11], s[12:13], 0
	s_and_b64 vcc, exec, s[10:11]
	s_cbranch_vccnz .LBB146_2
; %bb.1:
	s_mov_b32 s9, 0
	s_lshl_b64 s[16:17], s[8:9], 3
	s_add_u32 s14, s14, s16
	s_addc_u32 s15, s15, s17
	s_load_dwordx2 s[14:15], s[14:15], 0x0
	s_lshl_b64 s[4:5], s[4:5], 3
	s_waitcnt lgkmcnt(0)
	s_add_u32 s16, s14, s4
	s_addc_u32 s17, s15, s5
.LBB146_2:
	s_load_dwordx4 s[68:71], s[0:1], 0x40
	s_load_dwordx2 s[14:15], s[0:1], 0x50
	s_andn2_b64 vcc, exec, s[10:11]
	s_cbranch_vccnz .LBB146_4
; %bb.3:
	s_mov_b32 s9, 0
	s_mov_b64 s[18:19], 0
	s_cbranch_execz .LBB146_5
	s_branch .LBB146_6
.LBB146_4:
                                        ; implicit-def: $sgpr18_sgpr19
.LBB146_5:
	s_mov_b32 s9, 0
	s_lshl_b64 s[4:5], s[8:9], 3
	s_add_u32 s4, s6, s4
	s_addc_u32 s5, s7, s5
	s_load_dwordx2 s[4:5], s[4:5], 0x0
	s_waitcnt lgkmcnt(0)
	s_lshl_b64 s[6:7], s[68:69], 3
	s_add_u32 s18, s4, s6
	s_addc_u32 s19, s5, s7
.LBB146_6:
	s_load_dwordx4 s[4:7], s[0:1], 0x60
	s_waitcnt lgkmcnt(0)
	v_cmp_eq_f64_e64 s[20:21], s[70:71], 0
	s_mov_b64 s[76:77], 0
	v_cmp_neq_f64_e64 s[10:11], s[70:71], 0
	s_and_b64 vcc, exec, s[20:21]
	s_cbranch_vccnz .LBB146_8
; %bb.7:
	s_lshl_b64 s[20:21], s[8:9], 3
	s_add_u32 s14, s14, s20
	s_addc_u32 s15, s15, s21
	s_load_dwordx2 s[14:15], s[14:15], 0x0
	s_lshl_b64 s[4:5], s[4:5], 3
	s_waitcnt lgkmcnt(0)
	s_add_u32 s76, s14, s4
	s_addc_u32 s77, s15, s5
.LBB146_8:
	s_load_dwordx4 s[72:75], s[0:1], 0x0
	s_load_dword s26, s[0:1], 0x20
	s_lshl_b64 s[4:5], s[8:9], 3
	s_add_u32 s4, s6, s4
	s_addc_u32 s5, s7, s5
	s_waitcnt lgkmcnt(0)
	s_add_i32 s3, s72, -1
	s_ashr_i32 s6, s3, 31
	s_lshr_b32 s6, s6, 25
	s_add_i32 s3, s3, s6
	s_ashr_i32 s3, s3, 7
	s_add_i32 s6, s3, 1
	v_cvt_f32_u32_e32 v1, s6
	s_load_dwordx2 s[14:15], s[4:5], 0x0
	s_not_b32 s3, s3
	v_and_b32_e32 v142, 0x3ff, v0
	v_rcp_iflag_f32_e32 v1, v1
	v_bfe_u32 v143, v0, 10, 10
	v_lshl_add_u32 v0, v143, 2, v142
	v_lshrrev_b32_e32 v144, 6, v0
	v_mul_f32_e32 v1, 0x4f7ffffe, v1
	v_cvt_u32_f32_e32 v1, v1
	v_and_b32_e32 v141, 63, v0
	v_cmp_le_i32_e32 vcc, s74, v144
	v_cmp_eq_f64_e64 s[20:21], s[12:13], 0
	v_readfirstlane_b32 s4, v1
	s_mul_i32 s3, s3, s4
	s_mul_hi_u32 s3, s4, s3
	s_add_i32 s4, s4, s3
	s_mul_hi_u32 s3, s2, s4
	s_mul_i32 s4, s3, s6
	s_sub_i32 s4, s2, s4
	s_add_i32 s5, s3, 1
	s_sub_i32 s7, s4, s6
	s_cmp_ge_u32 s4, s6
	s_cselect_b32 s3, s5, s3
	s_cselect_b32 s4, s7, s4
	s_add_i32 s5, s3, 1
	s_cmp_ge_u32 s4, s6
	s_cselect_b32 s8, s5, s3
	s_mul_i32 s3, s8, s6
	s_sub_i32 s2, s2, s3
	s_add_i32 s27, s74, -1
	s_lshl_b32 s24, s2, 7
	v_min_i32_e32 v8, s27, v144
	v_or_b32_e32 v128, s24, v141
	v_mad_i64_i32 v[2:3], s[2:3], s26, v8, 0
	v_cmp_le_i32_e64 s[2:3], s72, v128
	s_or_b64 s[4:5], s[2:3], vcc
	v_mov_b64_e32 v[0:1], 0
	s_or_b64 s[4:5], s[20:21], s[4:5]
	v_lshl_add_u64 v[6:7], v[2:3], 3, s[16:17]
	s_xor_b64 s[6:7], s[4:5], -1
	v_ashrrev_i32_e32 v129, 31, v128
	v_mov_b64_e32 v[2:3], v[0:1]
	s_and_saveexec_b64 s[4:5], s[6:7]
	s_cbranch_execz .LBB146_10
; %bb.9:
	v_lshl_add_u64 v[2:3], v[128:129], 3, v[6:7]
	flat_load_dwordx2 v[2:3], v[2:3]
	s_waitcnt vmcnt(0) lgkmcnt(0)
	v_mul_f64 v[2:3], v[2:3], s[12:13]
.LBB146_10:
	s_or_b64 exec, exec, s[4:5]
	v_or_b32_e32 v4, 64, v128
	v_cmp_le_i32_e64 s[4:5], s72, v4
	s_or_b64 s[6:7], s[4:5], vcc
	s_or_b64 s[6:7], s[20:21], s[6:7]
	s_xor_b64 s[22:23], s[6:7], -1
	v_mov_b64_e32 v[4:5], v[0:1]
	s_and_saveexec_b64 s[6:7], s[22:23]
	s_cbranch_execz .LBB146_12
; %bb.11:
	v_lshl_add_u64 v[4:5], v[128:129], 3, v[6:7]
	flat_load_dwordx2 v[4:5], v[4:5] offset:512
	s_waitcnt vmcnt(0) lgkmcnt(0)
	v_mul_f64 v[4:5], v[4:5], s[12:13]
.LBB146_12:
	s_or_b64 exec, exec, s[6:7]
	s_load_dword s28, s[0:1], 0x38
	s_lshl_b32 s25, s8, 7
	v_or_b32_e32 v130, s25, v141
	v_cmp_le_i32_e64 s[6:7], s73, v130
	v_ashrrev_i32_e32 v131, 31, v130
	s_waitcnt lgkmcnt(0)
	v_mad_i64_i32 v[6:7], s[8:9], s28, v8, 0
	s_or_b64 s[8:9], s[6:7], vcc
	s_or_b64 s[8:9], s[20:21], s[8:9]
	v_lshl_add_u64 v[8:9], v[6:7], 3, s[18:19]
	s_xor_b64 s[22:23], s[8:9], -1
	s_and_saveexec_b64 s[8:9], s[22:23]
	s_cbranch_execz .LBB146_14
; %bb.13:
	v_lshl_add_u64 v[0:1], v[130:131], 3, v[8:9]
	flat_load_dwordx2 v[0:1], v[0:1]
	s_waitcnt vmcnt(0) lgkmcnt(0)
	v_mul_f64 v[0:1], v[0:1], s[12:13]
.LBB146_14:
	s_or_b64 exec, exec, s[8:9]
	v_or_b32_e32 v6, 64, v130
	v_cmp_le_i32_e64 s[8:9], s73, v6
	s_or_b64 s[22:23], s[8:9], vcc
	s_or_b64 s[22:23], s[20:21], s[22:23]
	v_mov_b64_e32 v[132:133], 0
	s_xor_b64 s[30:31], s[22:23], -1
	v_mov_b64_e32 v[6:7], v[132:133]
	s_and_saveexec_b64 s[22:23], s[30:31]
	s_cbranch_execz .LBB146_16
; %bb.15:
	v_lshl_add_u64 v[6:7], v[130:131], 3, v[8:9]
	flat_load_dwordx2 v[6:7], v[6:7] offset:512
	s_waitcnt vmcnt(0) lgkmcnt(0)
	v_mul_f64 v[6:7], v[6:7], s[12:13]
.LBB146_16:
	s_or_b64 exec, exec, s[22:23]
	v_add_u32_e32 v8, 4, v144
	v_min_i32_e32 v10, s27, v8
	v_cmp_le_i32_e32 vcc, s74, v8
	v_mad_i64_i32 v[8:9], s[22:23], s26, v10, 0
	s_or_b64 s[22:23], s[2:3], vcc
	s_or_b64 s[22:23], s[20:21], s[22:23]
	v_lshl_add_u64 v[8:9], v[8:9], 3, s[16:17]
	s_xor_b64 s[30:31], s[22:23], -1
	s_and_saveexec_b64 s[22:23], s[30:31]
	s_cbranch_execz .LBB146_18
; %bb.17:
	v_lshl_add_u64 v[12:13], v[128:129], 3, v[8:9]
	flat_load_dwordx2 v[12:13], v[12:13]
	s_waitcnt vmcnt(0) lgkmcnt(0)
	v_mul_f64 v[132:133], v[12:13], s[12:13]
.LBB146_18:
	s_or_b64 exec, exec, s[22:23]
	s_or_b64 s[22:23], s[4:5], vcc
	s_or_b64 s[22:23], s[20:21], s[22:23]
	v_mov_b64_e32 v[134:135], 0
	s_xor_b64 s[30:31], s[22:23], -1
	v_mov_b64_e32 v[136:137], v[134:135]
	s_and_saveexec_b64 s[22:23], s[30:31]
	s_cbranch_execz .LBB146_20
; %bb.19:
	v_lshl_add_u64 v[8:9], v[128:129], 3, v[8:9]
	flat_load_dwordx2 v[8:9], v[8:9] offset:512
	s_waitcnt vmcnt(0) lgkmcnt(0)
	v_mul_f64 v[136:137], v[8:9], s[12:13]
.LBB146_20:
	s_or_b64 exec, exec, s[22:23]
	v_mad_i64_i32 v[8:9], s[22:23], s28, v10, 0
	s_or_b64 s[22:23], s[6:7], vcc
	s_or_b64 s[22:23], s[20:21], s[22:23]
	v_lshl_add_u64 v[8:9], v[8:9], 3, s[18:19]
	s_xor_b64 s[30:31], s[22:23], -1
	s_and_saveexec_b64 s[22:23], s[30:31]
	s_cbranch_execz .LBB146_22
; %bb.21:
	v_lshl_add_u64 v[10:11], v[130:131], 3, v[8:9]
	flat_load_dwordx2 v[10:11], v[10:11]
	s_waitcnt vmcnt(0) lgkmcnt(0)
	v_mul_f64 v[134:135], v[10:11], s[12:13]
.LBB146_22:
	s_or_b64 exec, exec, s[22:23]
	s_or_b64 s[22:23], s[8:9], vcc
	s_or_b64 s[22:23], s[20:21], s[22:23]
	v_mov_b64_e32 v[126:127], 0
	s_xor_b64 s[30:31], s[22:23], -1
	v_mov_b64_e32 v[138:139], v[126:127]
	s_and_saveexec_b64 s[22:23], s[30:31]
	s_cbranch_execz .LBB146_24
; %bb.23:
	v_lshl_add_u64 v[8:9], v[130:131], 3, v[8:9]
	flat_load_dwordx2 v[8:9], v[8:9] offset:512
	s_waitcnt vmcnt(0) lgkmcnt(0)
	v_mul_f64 v[138:139], v[8:9], s[12:13]
.LBB146_24:
	s_or_b64 exec, exec, s[22:23]
	v_lshlrev_b32_e32 v8, 3, v144
	v_lshl_add_u32 v145, v141, 5, v8
	v_lshlrev_b32_e32 v140, 5, v143
	ds_write2st64_b64 v145, v[2:3], v[4:5] offset1:4
	v_or_b32_e32 v146, 0x2000, v145
	ds_write2st64_b64 v145, v[0:1], v[6:7] offset0:16 offset1:20
	v_lshlrev_b32_e32 v147, 5, v142
	v_add_u32_e32 v148, 0x2000, v140
	s_mov_b32 s22, 0
	v_mov_b64_e32 v[124:125], v[126:127]
	v_mov_b64_e32 v[122:123], v[126:127]
	;; [unrolled: 1-line block ×63, first 2 shown]
	s_waitcnt lgkmcnt(0)
	s_barrier
.LBB146_25:                             ; =>This Inner Loop Header: Depth=1
	v_add_u32_e32 v149, s22, v147
	v_add_u32_e32 v182, s22, v148
	ds_read2_b64 v[150:153], v149 offset1:16
	ds_read2_b64 v[154:157], v149 offset0:32 offset1:48
	ds_read2_b64 v[158:161], v149 offset0:64 offset1:80
	;; [unrolled: 1-line block ×7, first 2 shown]
	ds_read2st64_b64 v[182:185], v182 offset1:4
	v_add_u32_e32 v149, 0x800, v149
	ds_read2_b64 v[186:189], v149 offset1:16
	ds_read2_b64 v[190:193], v149 offset0:32 offset1:48
	ds_read2_b64 v[194:197], v149 offset0:64 offset1:80
	;; [unrolled: 1-line block ×7, first 2 shown]
	s_waitcnt lgkmcnt(14)
	v_max_f64 v[150:151], v[150:151], v[150:151]
	v_max_f64 v[152:153], v[152:153], v[152:153]
	;; [unrolled: 1-line block ×6, first 2 shown]
	s_waitcnt lgkmcnt(13)
	v_max_f64 v[162:163], v[162:163], v[162:163]
	v_max_f64 v[164:165], v[164:165], v[164:165]
	s_waitcnt lgkmcnt(12)
	v_max_f64 v[166:167], v[166:167], v[166:167]
	v_max_f64 v[168:169], v[168:169], v[168:169]
	s_waitcnt lgkmcnt(11)
	v_max_f64 v[170:171], v[170:171], v[170:171]
	v_max_f64 v[172:173], v[172:173], v[172:173]
	s_waitcnt lgkmcnt(10)
	v_max_f64 v[174:175], v[174:175], v[174:175]
	v_max_f64 v[176:177], v[176:177], v[176:177]
	s_waitcnt lgkmcnt(9)
	v_max_f64 v[178:179], v[178:179], v[178:179]
	v_max_f64 v[180:181], v[180:181], v[180:181]
	s_waitcnt lgkmcnt(8)
	v_max_f64 v[182:183], v[182:183], v[182:183]
	v_max_f64 v[184:185], v[184:185], v[184:185]
	s_waitcnt lgkmcnt(7)
	v_max_f64 v[186:187], v[186:187], v[186:187]
	v_max_f64 v[188:189], v[188:189], v[188:189]
	s_waitcnt lgkmcnt(6)
	v_max_f64 v[190:191], v[190:191], v[190:191]
	v_max_f64 v[192:193], v[192:193], v[192:193]
	s_waitcnt lgkmcnt(5)
	v_max_f64 v[194:195], v[194:195], v[194:195]
	v_max_f64 v[196:197], v[196:197], v[196:197]
	s_waitcnt lgkmcnt(4)
	v_max_f64 v[198:199], v[198:199], v[198:199]
	v_max_f64 v[200:201], v[200:201], v[200:201]
	s_waitcnt lgkmcnt(3)
	v_max_f64 v[202:203], v[202:203], v[202:203]
	v_max_f64 v[204:205], v[204:205], v[204:205]
	s_waitcnt lgkmcnt(2)
	v_max_f64 v[206:207], v[206:207], v[206:207]
	v_max_f64 v[208:209], v[208:209], v[208:209]
	s_waitcnt lgkmcnt(1)
	v_max_f64 v[210:211], v[210:211], v[210:211]
	v_max_f64 v[212:213], v[212:213], v[212:213]
	s_waitcnt lgkmcnt(0)
	v_max_f64 v[214:215], v[214:215], v[214:215]
	v_max_f64 v[216:217], v[216:217], v[216:217]
	v_min_f64 v[218:219], v[150:151], v[182:183]
	v_min_f64 v[220:221], v[152:153], v[182:183]
	;; [unrolled: 1-line block ×32, first 2 shown]
	s_add_i32 s22, s22, 8
	v_add_f64 v[62:63], v[150:151], v[62:63]
	v_add_f64 v[60:61], v[152:153], v[60:61]
	;; [unrolled: 1-line block ×16, first 2 shown]
	v_min_f64 v[150:151], v[186:187], v[182:183]
	v_min_f64 v[152:153], v[188:189], v[182:183]
	;; [unrolled: 1-line block ×32, first 2 shown]
	s_cmp_eq_u32 s22, 32
	v_add_f64 v[126:127], v[218:219], v[126:127]
	v_add_f64 v[124:125], v[220:221], v[124:125]
	;; [unrolled: 1-line block ×48, first 2 shown]
	s_cbranch_scc0 .LBB146_25
; %bb.26:
	v_lshlrev_b32_e32 v141, 5, v141
	v_lshl_add_u32 v141, v144, 3, v141
	s_cmp_gt_i32 s74, 8
	ds_write2st64_b64 v141, v[132:133], v[136:137] offset0:8 offset1:12
	ds_write2st64_b64 v141, v[134:135], v[138:139] offset0:24 offset1:28
	s_waitcnt lgkmcnt(0)
	s_barrier
	s_cbranch_scc1 .LBB146_28
; %bb.27:
	v_add_u32_e32 v149, 0x1000, v147
	v_add_u32_e32 v150, 0x3000, v140
	s_cbranch_execz .LBB146_29
	s_branch .LBB146_51
.LBB146_28:
                                        ; implicit-def: $vgpr149
                                        ; implicit-def: $vgpr150
.LBB146_29:
	v_or_b32_e32 v151, 0x1000, v141
	v_or_b32_e32 v152, 0x3000, v141
	s_add_i32 s29, s74, -8
	v_add_u32_e32 v149, 0x1000, v147
	v_add_u32_e32 v150, 0x3000, v140
	s_mov_b32 s30, 8
	s_mov_b32 s31, 0
.LBB146_30:                             ; =>This Loop Header: Depth=1
                                        ;     Child Loop BB146_39 Depth 2
                                        ;     Child Loop BB146_49 Depth 2
	v_add_u32_e32 v132, s30, v144
	v_min_i32_e32 v138, s27, v132
	v_cmp_le_i32_e32 vcc, s74, v132
	v_mad_i64_i32 v[132:133], s[22:23], v138, s26, 0
	s_or_b64 s[22:23], s[2:3], vcc
	v_lshl_add_u64 v[134:135], v[132:133], 3, s[16:17]
	s_or_b64 s[22:23], s[20:21], s[22:23]
	v_mov_b64_e32 v[132:133], 0
	s_xor_b64 s[34:35], s[22:23], -1
	v_lshl_add_u64 v[136:137], v[128:129], 3, v[134:135]
	v_mov_b64_e32 v[134:135], v[132:133]
	s_and_saveexec_b64 s[22:23], s[34:35]
	s_cbranch_execz .LBB146_32
; %bb.31:                               ;   in Loop: Header=BB146_30 Depth=1
	flat_load_dwordx2 v[134:135], v[136:137]
	s_waitcnt vmcnt(0) lgkmcnt(0)
	v_mul_f64 v[134:135], v[134:135], s[12:13]
.LBB146_32:                             ;   in Loop: Header=BB146_30 Depth=1
	s_or_b64 exec, exec, s[22:23]
	s_or_b64 s[22:23], s[4:5], vcc
	s_or_b64 s[22:23], s[20:21], s[22:23]
	s_xor_b64 s[34:35], s[22:23], -1
	s_and_saveexec_b64 s[22:23], s[34:35]
	s_cbranch_execz .LBB146_34
; %bb.33:                               ;   in Loop: Header=BB146_30 Depth=1
	flat_load_dwordx2 v[132:133], v[136:137] offset:512
	s_waitcnt vmcnt(0) lgkmcnt(0)
	v_mul_f64 v[132:133], v[132:133], s[12:13]
.LBB146_34:                             ;   in Loop: Header=BB146_30 Depth=1
	s_or_b64 exec, exec, s[22:23]
	v_mad_i64_i32 v[136:137], s[22:23], v138, s28, 0
	s_or_b64 s[22:23], s[6:7], vcc
	v_lshl_add_u64 v[138:139], v[136:137], 3, s[18:19]
	s_or_b64 s[22:23], s[20:21], s[22:23]
	v_mov_b64_e32 v[136:137], 0
	s_xor_b64 s[34:35], s[22:23], -1
	v_lshl_add_u64 v[140:141], v[130:131], 3, v[138:139]
	v_mov_b64_e32 v[138:139], v[136:137]
	s_and_saveexec_b64 s[22:23], s[34:35]
	s_cbranch_execz .LBB146_36
; %bb.35:                               ;   in Loop: Header=BB146_30 Depth=1
	flat_load_dwordx2 v[138:139], v[140:141]
	s_waitcnt vmcnt(0) lgkmcnt(0)
	v_mul_f64 v[138:139], v[138:139], s[12:13]
.LBB146_36:                             ;   in Loop: Header=BB146_30 Depth=1
	s_or_b64 exec, exec, s[22:23]
	s_or_b64 s[22:23], s[8:9], vcc
	s_or_b64 s[22:23], s[20:21], s[22:23]
	s_xor_b64 s[34:35], s[22:23], -1
	s_and_saveexec_b64 s[22:23], s[34:35]
	s_cbranch_execz .LBB146_38
; %bb.37:                               ;   in Loop: Header=BB146_30 Depth=1
	flat_load_dwordx2 v[136:137], v[140:141] offset:512
	s_waitcnt vmcnt(0) lgkmcnt(0)
	v_mul_f64 v[136:137], v[136:137], s[12:13]
.LBB146_38:                             ;   in Loop: Header=BB146_30 Depth=1
	s_or_b64 exec, exec, s[22:23]
	s_mov_b32 s22, 0
.LBB146_39:                             ;   Parent Loop BB146_30 Depth=1
                                        ; =>  This Inner Loop Header: Depth=2
	v_add_u32_e32 v140, s22, v149
	v_add_u32_e32 v141, s22, v150
	ds_read2_b64 v[154:157], v140 offset1:16
	ds_read2_b64 v[158:161], v140 offset0:32 offset1:48
	ds_read2_b64 v[162:165], v140 offset0:64 offset1:80
	;; [unrolled: 1-line block ×7, first 2 shown]
	v_add_u32_e32 v140, 0x800, v140
	ds_read2st64_b64 v[186:189], v141 offset1:4
	ds_read2_b64 v[190:193], v140 offset1:16
	ds_read2_b64 v[194:197], v140 offset0:32 offset1:48
	ds_read2_b64 v[198:201], v140 offset0:64 offset1:80
	;; [unrolled: 1-line block ×7, first 2 shown]
	s_waitcnt lgkmcnt(14)
	v_max_f64 v[154:155], v[154:155], v[154:155]
	v_max_f64 v[156:157], v[156:157], v[156:157]
	v_max_f64 v[158:159], v[158:159], v[158:159]
	s_waitcnt lgkmcnt(8)
	v_max_f64 v[140:141], v[186:187], v[186:187]
	v_max_f64 v[160:161], v[160:161], v[160:161]
	;; [unrolled: 1-line block ×15, first 2 shown]
	v_min_f64 v[188:189], v[154:155], v[140:141]
	v_min_f64 v[222:223], v[156:157], v[140:141]
	;; [unrolled: 1-line block ×16, first 2 shown]
	s_waitcnt lgkmcnt(7)
	v_max_f64 v[190:191], v[190:191], v[190:191]
	v_max_f64 v[192:193], v[192:193], v[192:193]
	s_waitcnt lgkmcnt(6)
	v_max_f64 v[194:195], v[194:195], v[194:195]
	v_max_f64 v[196:197], v[196:197], v[196:197]
	;; [unrolled: 3-line block ×8, first 2 shown]
	v_min_f64 v[154:155], v[154:155], v[186:187]
	v_min_f64 v[156:157], v[156:157], v[186:187]
	;; [unrolled: 1-line block ×16, first 2 shown]
	s_add_i32 s22, s22, 8
	v_add_f64 v[126:127], v[188:189], v[126:127]
	v_add_f64 v[124:125], v[222:223], v[124:125]
	;; [unrolled: 1-line block ×15, first 2 shown]
	v_min_f64 v[188:189], v[190:191], v[140:141]
	v_min_f64 v[222:223], v[192:193], v[140:141]
	;; [unrolled: 1-line block ×16, first 2 shown]
	v_add_f64 v[62:63], v[154:155], v[62:63]
	v_add_f64 v[60:61], v[156:157], v[60:61]
	;; [unrolled: 1-line block ×16, first 2 shown]
	v_min_f64 v[154:155], v[190:191], v[186:187]
	v_min_f64 v[156:157], v[192:193], v[186:187]
	;; [unrolled: 1-line block ×16, first 2 shown]
	s_cmp_eq_u32 s22, 32
	v_add_f64 v[96:97], v[250:251], v[96:97]
	v_add_f64 v[94:95], v[188:189], v[94:95]
	;; [unrolled: 1-line block ×33, first 2 shown]
	s_cbranch_scc0 .LBB146_39
; %bb.40:                               ;   in Loop: Header=BB146_30 Depth=1
	ds_write2st64_b64 v145, v[134:135], v[132:133] offset1:4
	ds_write2st64_b64 v146, v[138:139], v[136:137] offset1:4
	v_add3_u32 v132, v144, s30, 4
	v_min_i32_e32 v138, s27, v132
	v_cmp_le_i32_e32 vcc, s74, v132
	v_mad_i64_i32 v[132:133], s[22:23], v138, s26, 0
	s_or_b64 s[22:23], s[2:3], vcc
	v_lshl_add_u64 v[134:135], v[132:133], 3, s[16:17]
	s_or_b64 s[22:23], s[20:21], s[22:23]
	v_mov_b64_e32 v[132:133], 0
	s_xor_b64 s[34:35], s[22:23], -1
	v_lshl_add_u64 v[136:137], v[128:129], 3, v[134:135]
	v_mov_b64_e32 v[134:135], v[132:133]
	s_waitcnt lgkmcnt(0)
	s_barrier
	s_and_saveexec_b64 s[22:23], s[34:35]
	s_cbranch_execz .LBB146_42
; %bb.41:                               ;   in Loop: Header=BB146_30 Depth=1
	flat_load_dwordx2 v[134:135], v[136:137]
	s_waitcnt vmcnt(0) lgkmcnt(0)
	v_mul_f64 v[134:135], v[134:135], s[12:13]
.LBB146_42:                             ;   in Loop: Header=BB146_30 Depth=1
	s_or_b64 exec, exec, s[22:23]
	s_or_b64 s[22:23], s[4:5], vcc
	s_or_b64 s[22:23], s[20:21], s[22:23]
	s_xor_b64 s[34:35], s[22:23], -1
	s_and_saveexec_b64 s[22:23], s[34:35]
	s_cbranch_execz .LBB146_44
; %bb.43:                               ;   in Loop: Header=BB146_30 Depth=1
	flat_load_dwordx2 v[132:133], v[136:137] offset:512
	s_waitcnt vmcnt(0) lgkmcnt(0)
	v_mul_f64 v[132:133], v[132:133], s[12:13]
.LBB146_44:                             ;   in Loop: Header=BB146_30 Depth=1
	s_or_b64 exec, exec, s[22:23]
	v_mad_i64_i32 v[136:137], s[22:23], v138, s28, 0
	s_or_b64 s[22:23], s[6:7], vcc
	v_lshl_add_u64 v[138:139], v[136:137], 3, s[18:19]
	s_or_b64 s[22:23], s[20:21], s[22:23]
	v_mov_b64_e32 v[136:137], 0
	s_xor_b64 s[34:35], s[22:23], -1
	v_lshl_add_u64 v[140:141], v[130:131], 3, v[138:139]
	v_mov_b64_e32 v[138:139], v[136:137]
	s_and_saveexec_b64 s[22:23], s[34:35]
	s_cbranch_execz .LBB146_46
; %bb.45:                               ;   in Loop: Header=BB146_30 Depth=1
	flat_load_dwordx2 v[138:139], v[140:141]
	s_waitcnt vmcnt(0) lgkmcnt(0)
	v_mul_f64 v[138:139], v[138:139], s[12:13]
.LBB146_46:                             ;   in Loop: Header=BB146_30 Depth=1
	s_or_b64 exec, exec, s[22:23]
	s_or_b64 s[22:23], s[8:9], vcc
	s_or_b64 s[22:23], s[20:21], s[22:23]
	s_xor_b64 s[34:35], s[22:23], -1
	s_and_saveexec_b64 s[22:23], s[34:35]
	s_cbranch_execz .LBB146_48
; %bb.47:                               ;   in Loop: Header=BB146_30 Depth=1
	flat_load_dwordx2 v[136:137], v[140:141] offset:512
	s_waitcnt vmcnt(0) lgkmcnt(0)
	v_mul_f64 v[136:137], v[136:137], s[12:13]
.LBB146_48:                             ;   in Loop: Header=BB146_30 Depth=1
	s_or_b64 exec, exec, s[22:23]
	s_mov_b32 s22, 0
.LBB146_49:                             ;   Parent Loop BB146_30 Depth=1
                                        ; =>  This Inner Loop Header: Depth=2
	v_add_u32_e32 v140, s22, v147
	v_add_u32_e32 v141, s22, v148
	ds_read2_b64 v[154:157], v140 offset1:16
	ds_read2_b64 v[158:161], v140 offset0:32 offset1:48
	ds_read2_b64 v[162:165], v140 offset0:64 offset1:80
	;; [unrolled: 1-line block ×7, first 2 shown]
	v_add_u32_e32 v140, 0x800, v140
	ds_read2st64_b64 v[186:189], v141 offset1:4
	ds_read2_b64 v[190:193], v140 offset1:16
	ds_read2_b64 v[194:197], v140 offset0:32 offset1:48
	ds_read2_b64 v[198:201], v140 offset0:64 offset1:80
	;; [unrolled: 1-line block ×7, first 2 shown]
	s_waitcnt lgkmcnt(14)
	v_max_f64 v[154:155], v[154:155], v[154:155]
	v_max_f64 v[156:157], v[156:157], v[156:157]
	v_max_f64 v[158:159], v[158:159], v[158:159]
	s_waitcnt lgkmcnt(8)
	v_max_f64 v[140:141], v[186:187], v[186:187]
	v_max_f64 v[160:161], v[160:161], v[160:161]
	;; [unrolled: 1-line block ×15, first 2 shown]
	v_min_f64 v[188:189], v[154:155], v[140:141]
	v_min_f64 v[222:223], v[156:157], v[140:141]
	;; [unrolled: 1-line block ×16, first 2 shown]
	s_waitcnt lgkmcnt(7)
	v_max_f64 v[190:191], v[190:191], v[190:191]
	v_max_f64 v[192:193], v[192:193], v[192:193]
	s_waitcnt lgkmcnt(6)
	v_max_f64 v[194:195], v[194:195], v[194:195]
	v_max_f64 v[196:197], v[196:197], v[196:197]
	s_waitcnt lgkmcnt(5)
	v_max_f64 v[198:199], v[198:199], v[198:199]
	v_max_f64 v[200:201], v[200:201], v[200:201]
	s_waitcnt lgkmcnt(4)
	v_max_f64 v[202:203], v[202:203], v[202:203]
	v_max_f64 v[204:205], v[204:205], v[204:205]
	s_waitcnt lgkmcnt(3)
	v_max_f64 v[206:207], v[206:207], v[206:207]
	v_max_f64 v[208:209], v[208:209], v[208:209]
	s_waitcnt lgkmcnt(2)
	v_max_f64 v[210:211], v[210:211], v[210:211]
	v_max_f64 v[212:213], v[212:213], v[212:213]
	s_waitcnt lgkmcnt(1)
	v_max_f64 v[214:215], v[214:215], v[214:215]
	v_max_f64 v[216:217], v[216:217], v[216:217]
	s_waitcnt lgkmcnt(0)
	v_max_f64 v[218:219], v[218:219], v[218:219]
	v_max_f64 v[220:221], v[220:221], v[220:221]
	v_min_f64 v[154:155], v[154:155], v[186:187]
	v_min_f64 v[156:157], v[156:157], v[186:187]
	;; [unrolled: 1-line block ×16, first 2 shown]
	s_add_i32 s22, s22, 8
	v_add_f64 v[126:127], v[188:189], v[126:127]
	v_add_f64 v[124:125], v[222:223], v[124:125]
	;; [unrolled: 1-line block ×15, first 2 shown]
	v_min_f64 v[188:189], v[190:191], v[140:141]
	v_min_f64 v[222:223], v[192:193], v[140:141]
	;; [unrolled: 1-line block ×16, first 2 shown]
	v_add_f64 v[62:63], v[154:155], v[62:63]
	v_add_f64 v[60:61], v[156:157], v[60:61]
	;; [unrolled: 1-line block ×16, first 2 shown]
	v_min_f64 v[154:155], v[190:191], v[186:187]
	v_min_f64 v[156:157], v[192:193], v[186:187]
	v_min_f64 v[158:159], v[194:195], v[186:187]
	v_min_f64 v[160:161], v[196:197], v[186:187]
	v_min_f64 v[162:163], v[198:199], v[186:187]
	v_min_f64 v[164:165], v[200:201], v[186:187]
	v_min_f64 v[166:167], v[202:203], v[186:187]
	v_min_f64 v[168:169], v[204:205], v[186:187]
	v_min_f64 v[170:171], v[206:207], v[186:187]
	v_min_f64 v[172:173], v[208:209], v[186:187]
	v_min_f64 v[174:175], v[210:211], v[186:187]
	v_min_f64 v[176:177], v[212:213], v[186:187]
	v_min_f64 v[178:179], v[214:215], v[186:187]
	v_min_f64 v[180:181], v[216:217], v[186:187]
	v_min_f64 v[182:183], v[218:219], v[186:187]
	v_min_f64 v[184:185], v[220:221], v[186:187]
	s_cmp_eq_u32 s22, 32
	v_add_f64 v[96:97], v[250:251], v[96:97]
	v_add_f64 v[94:95], v[188:189], v[94:95]
	;; [unrolled: 1-line block ×33, first 2 shown]
	s_cbranch_scc0 .LBB146_49
; %bb.50:                               ;   in Loop: Header=BB146_30 Depth=1
	s_add_i32 s30, s30, 8
	s_add_i32 s31, s31, 8
	s_cmp_ge_i32 s31, s29
	ds_write2st64_b64 v151, v[134:135], v[132:133] offset1:4
	ds_write2st64_b64 v152, v[138:139], v[136:137] offset1:4
	s_waitcnt lgkmcnt(0)
	s_barrier
	s_cbranch_scc0 .LBB146_30
.LBB146_51:
	s_mov_b32 s2, 0
.LBB146_52:                             ; =>This Inner Loop Header: Depth=1
	v_add_u32_e32 v140, s2, v149
	v_add_u32_e32 v141, s2, v150
	ds_read2_b64 v[128:131], v140 offset1:16
	ds_read2_b64 v[132:135], v140 offset0:32 offset1:48
	ds_read2_b64 v[136:139], v140 offset0:64 offset1:80
	;; [unrolled: 1-line block ×7, first 2 shown]
	v_add_u32_e32 v140, 0x800, v140
	ds_read2st64_b64 v[168:171], v141 offset1:4
	ds_read2_b64 v[172:175], v140 offset1:16
	ds_read2_b64 v[176:179], v140 offset0:32 offset1:48
	ds_read2_b64 v[180:183], v140 offset0:64 offset1:80
	ds_read2_b64 v[184:187], v140 offset0:96 offset1:112
	ds_read2_b64 v[188:191], v140 offset0:128 offset1:144
	ds_read2_b64 v[192:195], v140 offset0:160 offset1:176
	ds_read2_b64 v[196:199], v140 offset0:192 offset1:208
	ds_read2_b64 v[200:203], v140 offset0:224 offset1:240
	s_waitcnt lgkmcnt(14)
	v_max_f64 v[128:129], v[128:129], v[128:129]
	v_max_f64 v[130:131], v[130:131], v[130:131]
	;; [unrolled: 1-line block ×3, first 2 shown]
	s_waitcnt lgkmcnt(8)
	v_max_f64 v[140:141], v[168:169], v[168:169]
	v_max_f64 v[134:135], v[134:135], v[134:135]
	;; [unrolled: 1-line block ×15, first 2 shown]
	v_min_f64 v[170:171], v[128:129], v[140:141]
	v_min_f64 v[204:205], v[130:131], v[140:141]
	;; [unrolled: 1-line block ×16, first 2 shown]
	s_waitcnt lgkmcnt(7)
	v_max_f64 v[172:173], v[172:173], v[172:173]
	v_max_f64 v[174:175], v[174:175], v[174:175]
	s_waitcnt lgkmcnt(6)
	v_max_f64 v[176:177], v[176:177], v[176:177]
	v_max_f64 v[178:179], v[178:179], v[178:179]
	;; [unrolled: 3-line block ×8, first 2 shown]
	v_min_f64 v[128:129], v[128:129], v[168:169]
	v_min_f64 v[130:131], v[130:131], v[168:169]
	;; [unrolled: 1-line block ×16, first 2 shown]
	s_add_i32 s2, s2, 8
	v_add_f64 v[126:127], v[170:171], v[126:127]
	v_add_f64 v[124:125], v[204:205], v[124:125]
	;; [unrolled: 1-line block ×15, first 2 shown]
	v_min_f64 v[170:171], v[172:173], v[140:141]
	v_min_f64 v[204:205], v[174:175], v[140:141]
	v_min_f64 v[206:207], v[176:177], v[140:141]
	v_min_f64 v[208:209], v[178:179], v[140:141]
	v_min_f64 v[210:211], v[180:181], v[140:141]
	v_min_f64 v[212:213], v[182:183], v[140:141]
	v_min_f64 v[214:215], v[184:185], v[140:141]
	v_min_f64 v[216:217], v[186:187], v[140:141]
	v_min_f64 v[218:219], v[188:189], v[140:141]
	v_min_f64 v[220:221], v[190:191], v[140:141]
	v_min_f64 v[222:223], v[192:193], v[140:141]
	v_min_f64 v[224:225], v[194:195], v[140:141]
	v_min_f64 v[226:227], v[196:197], v[140:141]
	v_min_f64 v[228:229], v[198:199], v[140:141]
	v_min_f64 v[230:231], v[200:201], v[140:141]
	v_min_f64 v[140:141], v[202:203], v[140:141]
	v_add_f64 v[62:63], v[128:129], v[62:63]
	v_add_f64 v[60:61], v[130:131], v[60:61]
	;; [unrolled: 1-line block ×16, first 2 shown]
	v_min_f64 v[128:129], v[172:173], v[168:169]
	v_min_f64 v[130:131], v[174:175], v[168:169]
	;; [unrolled: 1-line block ×16, first 2 shown]
	s_cmp_eq_u32 s2, 32
	v_add_f64 v[96:97], v[232:233], v[96:97]
	v_add_f64 v[94:95], v[170:171], v[94:95]
	;; [unrolled: 1-line block ×33, first 2 shown]
	s_cbranch_scc0 .LBB146_52
; %bb.53:
	s_load_dwordx2 s[2:3], s[0:1], 0x78
	s_load_dword s78, s[0:1], 0x58
	s_load_dword s33, s[0:1], 0x70
	v_add_u32_e32 v136, s25, v143
	v_add_u32_e32 v128, s24, v142
	s_waitcnt lgkmcnt(0)
	s_lshl_b64 s[0:1], s[2:3], 3
	s_add_u32 s74, s14, s0
	s_addc_u32 s75, s15, s1
	v_mad_i64_i32 v[130:131], s[0:1], v136, s78, 0
	v_cmp_gt_i32_e64 s[24:25], s73, v136
	v_lshl_add_u64 v[132:133], v[130:131], 3, s[76:77]
	v_mad_i64_i32 v[130:131], s[0:1], v136, s33, 0
	v_cmp_gt_i32_e64 s[2:3], s72, v128
	v_cndmask_b32_e64 v134, 0, 1, s[10:11]
	v_lshl_add_u64 v[130:131], v[130:131], 3, s[74:75]
	s_and_b64 s[6:7], s[24:25], s[2:3]
	v_ashrrev_i32_e32 v129, 31, v128
	v_cmp_ne_u32_e64 s[0:1], 1, v134
	s_and_saveexec_b64 s[4:5], s[6:7]
	s_cbranch_execz .LBB146_58
; %bb.54:
	s_and_b64 vcc, exec, s[0:1]
	s_cbranch_vccnz .LBB146_56
; %bb.55:
	v_lshl_add_u64 v[134:135], v[128:129], 3, v[132:133]
	flat_load_dwordx2 v[134:135], v[134:135]
	s_waitcnt vmcnt(0) lgkmcnt(0)
	v_mul_f64 v[134:135], v[134:135], s[70:71]
	s_branch .LBB146_57
.LBB146_56:
	v_mov_b64_e32 v[134:135], 0
.LBB146_57:
	v_add_f64 v[126:127], v[126:127], v[134:135]
	v_lshl_add_u64 v[134:135], v[128:129], 3, v[130:131]
	global_store_dwordx2 v[134:135], v[126:127], off
.LBB146_58:
	s_or_b64 exec, exec, s[4:5]
	v_add_u32_e32 v126, 4, v128
	v_cmp_gt_i32_e64 s[4:5], s72, v126
	s_and_b64 s[8:9], s[24:25], s[4:5]
	v_ashrrev_i32_e32 v127, 31, v126
	s_and_saveexec_b64 s[6:7], s[8:9]
	s_cbranch_execz .LBB146_63
; %bb.59:
	s_and_b64 vcc, exec, s[0:1]
	s_cbranch_vccnz .LBB146_61
; %bb.60:
	v_lshl_add_u64 v[134:135], v[126:127], 3, v[132:133]
	flat_load_dwordx2 v[134:135], v[134:135]
	s_waitcnt vmcnt(0) lgkmcnt(0)
	v_mul_f64 v[134:135], v[134:135], s[70:71]
	s_branch .LBB146_62
.LBB146_61:
	v_mov_b64_e32 v[134:135], 0
.LBB146_62:
	v_add_f64 v[124:125], v[124:125], v[134:135]
	v_lshl_add_u64 v[134:135], v[126:127], 3, v[130:131]
	global_store_dwordx2 v[134:135], v[124:125], off
.LBB146_63:
	s_or_b64 exec, exec, s[6:7]
	v_add_u32_e32 v124, 8, v128
	v_cmp_gt_i32_e64 s[6:7], s72, v124
	s_and_b64 s[10:11], s[24:25], s[6:7]
	v_ashrrev_i32_e32 v125, 31, v124
	s_and_saveexec_b64 s[8:9], s[10:11]
	s_cbranch_execz .LBB146_68
; %bb.64:
	s_and_b64 vcc, exec, s[0:1]
	s_cbranch_vccnz .LBB146_66
; %bb.65:
	v_lshl_add_u64 v[134:135], v[124:125], 3, v[132:133]
	flat_load_dwordx2 v[134:135], v[134:135]
	s_waitcnt vmcnt(0) lgkmcnt(0)
	v_mul_f64 v[134:135], v[134:135], s[70:71]
	s_branch .LBB146_67
.LBB146_66:
	v_mov_b64_e32 v[134:135], 0
.LBB146_67:
	v_add_f64 v[122:123], v[122:123], v[134:135]
	v_lshl_add_u64 v[134:135], v[124:125], 3, v[130:131]
	global_store_dwordx2 v[134:135], v[122:123], off
.LBB146_68:
	s_or_b64 exec, exec, s[8:9]
	v_add_u32_e32 v122, 12, v128
	v_cmp_gt_i32_e64 s[8:9], s72, v122
	s_and_b64 s[12:13], s[24:25], s[8:9]
	v_ashrrev_i32_e32 v123, 31, v122
	s_and_saveexec_b64 s[10:11], s[12:13]
	s_cbranch_execz .LBB146_73
; %bb.69:
	s_and_b64 vcc, exec, s[0:1]
	s_cbranch_vccnz .LBB146_71
; %bb.70:
	v_lshl_add_u64 v[134:135], v[122:123], 3, v[132:133]
	flat_load_dwordx2 v[134:135], v[134:135]
	s_waitcnt vmcnt(0) lgkmcnt(0)
	v_mul_f64 v[134:135], v[134:135], s[70:71]
	s_branch .LBB146_72
.LBB146_71:
	v_mov_b64_e32 v[134:135], 0
.LBB146_72:
	v_add_f64 v[120:121], v[120:121], v[134:135]
	v_lshl_add_u64 v[134:135], v[122:123], 3, v[130:131]
	global_store_dwordx2 v[134:135], v[120:121], off
.LBB146_73:
	s_or_b64 exec, exec, s[10:11]
	v_add_u32_e32 v120, 16, v128
	v_cmp_gt_i32_e64 s[10:11], s72, v120
	s_and_b64 s[14:15], s[24:25], s[10:11]
	v_ashrrev_i32_e32 v121, 31, v120
	s_and_saveexec_b64 s[12:13], s[14:15]
	s_cbranch_execz .LBB146_78
; %bb.74:
	s_and_b64 vcc, exec, s[0:1]
	s_cbranch_vccnz .LBB146_76
; %bb.75:
	v_lshl_add_u64 v[134:135], v[120:121], 3, v[132:133]
	flat_load_dwordx2 v[134:135], v[134:135]
	s_waitcnt vmcnt(0) lgkmcnt(0)
	v_mul_f64 v[134:135], v[134:135], s[70:71]
	s_branch .LBB146_77
.LBB146_76:
	v_mov_b64_e32 v[134:135], 0
.LBB146_77:
	v_add_f64 v[118:119], v[118:119], v[134:135]
	v_lshl_add_u64 v[134:135], v[120:121], 3, v[130:131]
	global_store_dwordx2 v[134:135], v[118:119], off
.LBB146_78:
	s_or_b64 exec, exec, s[12:13]
	v_add_u32_e32 v118, 20, v128
	v_cmp_gt_i32_e64 s[12:13], s72, v118
	s_and_b64 s[16:17], s[24:25], s[12:13]
	v_ashrrev_i32_e32 v119, 31, v118
	s_and_saveexec_b64 s[14:15], s[16:17]
	s_cbranch_execz .LBB146_83
; %bb.79:
	s_and_b64 vcc, exec, s[0:1]
	s_cbranch_vccnz .LBB146_81
; %bb.80:
	v_lshl_add_u64 v[134:135], v[118:119], 3, v[132:133]
	flat_load_dwordx2 v[134:135], v[134:135]
	s_waitcnt vmcnt(0) lgkmcnt(0)
	v_mul_f64 v[134:135], v[134:135], s[70:71]
	s_branch .LBB146_82
.LBB146_81:
	v_mov_b64_e32 v[134:135], 0
.LBB146_82:
	v_add_f64 v[116:117], v[116:117], v[134:135]
	v_lshl_add_u64 v[134:135], v[118:119], 3, v[130:131]
	global_store_dwordx2 v[134:135], v[116:117], off
.LBB146_83:
	s_or_b64 exec, exec, s[14:15]
	v_add_u32_e32 v116, 24, v128
	v_cmp_gt_i32_e64 s[14:15], s72, v116
	s_and_b64 s[18:19], s[24:25], s[14:15]
	v_ashrrev_i32_e32 v117, 31, v116
	s_and_saveexec_b64 s[16:17], s[18:19]
	s_cbranch_execz .LBB146_88
; %bb.84:
	s_and_b64 vcc, exec, s[0:1]
	s_cbranch_vccnz .LBB146_86
; %bb.85:
	v_lshl_add_u64 v[134:135], v[116:117], 3, v[132:133]
	flat_load_dwordx2 v[134:135], v[134:135]
	s_waitcnt vmcnt(0) lgkmcnt(0)
	v_mul_f64 v[134:135], v[134:135], s[70:71]
	s_branch .LBB146_87
.LBB146_86:
	v_mov_b64_e32 v[134:135], 0
.LBB146_87:
	v_add_f64 v[114:115], v[114:115], v[134:135]
	v_lshl_add_u64 v[134:135], v[116:117], 3, v[130:131]
	global_store_dwordx2 v[134:135], v[114:115], off
.LBB146_88:
	s_or_b64 exec, exec, s[16:17]
	v_add_u32_e32 v114, 28, v128
	v_cmp_gt_i32_e64 s[16:17], s72, v114
	s_and_b64 s[20:21], s[24:25], s[16:17]
	v_ashrrev_i32_e32 v115, 31, v114
	s_and_saveexec_b64 s[18:19], s[20:21]
	s_cbranch_execz .LBB146_93
; %bb.89:
	s_and_b64 vcc, exec, s[0:1]
	s_cbranch_vccnz .LBB146_91
; %bb.90:
	v_lshl_add_u64 v[134:135], v[114:115], 3, v[132:133]
	flat_load_dwordx2 v[134:135], v[134:135]
	s_waitcnt vmcnt(0) lgkmcnt(0)
	v_mul_f64 v[134:135], v[134:135], s[70:71]
	s_branch .LBB146_92
.LBB146_91:
	v_mov_b64_e32 v[134:135], 0
.LBB146_92:
	v_add_f64 v[112:113], v[112:113], v[134:135]
	v_lshl_add_u64 v[134:135], v[114:115], 3, v[130:131]
	global_store_dwordx2 v[134:135], v[112:113], off
.LBB146_93:
	s_or_b64 exec, exec, s[18:19]
	v_add_u32_e32 v112, 32, v128
	v_cmp_gt_i32_e64 s[18:19], s72, v112
	s_and_b64 s[22:23], s[24:25], s[18:19]
	v_ashrrev_i32_e32 v113, 31, v112
	s_and_saveexec_b64 s[20:21], s[22:23]
	s_cbranch_execz .LBB146_98
; %bb.94:
	s_and_b64 vcc, exec, s[0:1]
	s_cbranch_vccnz .LBB146_96
; %bb.95:
	v_lshl_add_u64 v[134:135], v[112:113], 3, v[132:133]
	flat_load_dwordx2 v[134:135], v[134:135]
	s_waitcnt vmcnt(0) lgkmcnt(0)
	v_mul_f64 v[134:135], v[134:135], s[70:71]
	s_branch .LBB146_97
.LBB146_96:
	v_mov_b64_e32 v[134:135], 0
.LBB146_97:
	v_add_f64 v[110:111], v[110:111], v[134:135]
	v_lshl_add_u64 v[134:135], v[112:113], 3, v[130:131]
	global_store_dwordx2 v[134:135], v[110:111], off
.LBB146_98:
	s_or_b64 exec, exec, s[20:21]
	v_add_u32_e32 v110, 36, v128
	v_cmp_gt_i32_e64 s[20:21], s72, v110
	s_and_b64 s[26:27], s[24:25], s[20:21]
	v_ashrrev_i32_e32 v111, 31, v110
	s_and_saveexec_b64 s[22:23], s[26:27]
	s_cbranch_execz .LBB146_103
; %bb.99:
	s_and_b64 vcc, exec, s[0:1]
	s_cbranch_vccnz .LBB146_101
; %bb.100:
	v_lshl_add_u64 v[134:135], v[110:111], 3, v[132:133]
	flat_load_dwordx2 v[134:135], v[134:135]
	s_waitcnt vmcnt(0) lgkmcnt(0)
	v_mul_f64 v[134:135], v[134:135], s[70:71]
	s_branch .LBB146_102
.LBB146_101:
	v_mov_b64_e32 v[134:135], 0
.LBB146_102:
	v_add_f64 v[108:109], v[108:109], v[134:135]
	v_lshl_add_u64 v[134:135], v[110:111], 3, v[130:131]
	global_store_dwordx2 v[134:135], v[108:109], off
.LBB146_103:
	s_or_b64 exec, exec, s[22:23]
	v_add_u32_e32 v108, 40, v128
	v_cmp_gt_i32_e64 s[22:23], s72, v108
	s_and_b64 s[28:29], s[24:25], s[22:23]
	v_ashrrev_i32_e32 v109, 31, v108
	s_and_saveexec_b64 s[26:27], s[28:29]
	s_cbranch_execz .LBB146_108
; %bb.104:
	s_and_b64 vcc, exec, s[0:1]
	s_cbranch_vccnz .LBB146_106
; %bb.105:
	v_lshl_add_u64 v[134:135], v[108:109], 3, v[132:133]
	flat_load_dwordx2 v[134:135], v[134:135]
	s_waitcnt vmcnt(0) lgkmcnt(0)
	v_mul_f64 v[134:135], v[134:135], s[70:71]
	s_branch .LBB146_107
.LBB146_106:
	v_mov_b64_e32 v[134:135], 0
.LBB146_107:
	v_add_f64 v[106:107], v[106:107], v[134:135]
	v_lshl_add_u64 v[134:135], v[108:109], 3, v[130:131]
	global_store_dwordx2 v[134:135], v[106:107], off
.LBB146_108:
	s_or_b64 exec, exec, s[26:27]
	v_add_u32_e32 v106, 44, v128
	v_cmp_gt_i32_e64 s[26:27], s72, v106
	s_and_b64 s[30:31], s[24:25], s[26:27]
	v_ashrrev_i32_e32 v107, 31, v106
	s_and_saveexec_b64 s[28:29], s[30:31]
	s_cbranch_execz .LBB146_113
; %bb.109:
	s_and_b64 vcc, exec, s[0:1]
	s_cbranch_vccnz .LBB146_111
; %bb.110:
	v_lshl_add_u64 v[134:135], v[106:107], 3, v[132:133]
	flat_load_dwordx2 v[134:135], v[134:135]
	s_waitcnt vmcnt(0) lgkmcnt(0)
	v_mul_f64 v[134:135], v[134:135], s[70:71]
	s_branch .LBB146_112
.LBB146_111:
	v_mov_b64_e32 v[134:135], 0
.LBB146_112:
	v_add_f64 v[104:105], v[104:105], v[134:135]
	v_lshl_add_u64 v[134:135], v[106:107], 3, v[130:131]
	global_store_dwordx2 v[134:135], v[104:105], off
.LBB146_113:
	s_or_b64 exec, exec, s[28:29]
	v_add_u32_e32 v104, 48, v128
	v_cmp_gt_i32_e64 s[28:29], s72, v104
	s_and_b64 s[34:35], s[24:25], s[28:29]
	v_ashrrev_i32_e32 v105, 31, v104
	s_and_saveexec_b64 s[30:31], s[34:35]
	s_cbranch_execz .LBB146_118
; %bb.114:
	s_and_b64 vcc, exec, s[0:1]
	s_cbranch_vccnz .LBB146_116
; %bb.115:
	v_lshl_add_u64 v[134:135], v[104:105], 3, v[132:133]
	flat_load_dwordx2 v[134:135], v[134:135]
	s_waitcnt vmcnt(0) lgkmcnt(0)
	v_mul_f64 v[134:135], v[134:135], s[70:71]
	s_branch .LBB146_117
.LBB146_116:
	v_mov_b64_e32 v[134:135], 0
.LBB146_117:
	v_add_f64 v[102:103], v[102:103], v[134:135]
	v_lshl_add_u64 v[134:135], v[104:105], 3, v[130:131]
	global_store_dwordx2 v[134:135], v[102:103], off
.LBB146_118:
	s_or_b64 exec, exec, s[30:31]
	v_add_u32_e32 v102, 52, v128
	v_cmp_gt_i32_e64 s[30:31], s72, v102
	s_and_b64 s[36:37], s[24:25], s[30:31]
	v_ashrrev_i32_e32 v103, 31, v102
	s_and_saveexec_b64 s[34:35], s[36:37]
	s_cbranch_execz .LBB146_123
; %bb.119:
	s_and_b64 vcc, exec, s[0:1]
	s_cbranch_vccnz .LBB146_121
; %bb.120:
	v_lshl_add_u64 v[134:135], v[102:103], 3, v[132:133]
	flat_load_dwordx2 v[134:135], v[134:135]
	s_waitcnt vmcnt(0) lgkmcnt(0)
	v_mul_f64 v[134:135], v[134:135], s[70:71]
	s_branch .LBB146_122
.LBB146_121:
	v_mov_b64_e32 v[134:135], 0
.LBB146_122:
	v_add_f64 v[100:101], v[100:101], v[134:135]
	v_lshl_add_u64 v[134:135], v[102:103], 3, v[130:131]
	global_store_dwordx2 v[134:135], v[100:101], off
.LBB146_123:
	s_or_b64 exec, exec, s[34:35]
	v_add_u32_e32 v100, 56, v128
	v_cmp_gt_i32_e64 s[34:35], s72, v100
	s_and_b64 s[38:39], s[24:25], s[34:35]
	v_ashrrev_i32_e32 v101, 31, v100
	s_and_saveexec_b64 s[36:37], s[38:39]
	s_cbranch_execz .LBB146_128
; %bb.124:
	s_and_b64 vcc, exec, s[0:1]
	s_cbranch_vccnz .LBB146_126
; %bb.125:
	v_lshl_add_u64 v[134:135], v[100:101], 3, v[132:133]
	flat_load_dwordx2 v[134:135], v[134:135]
	s_waitcnt vmcnt(0) lgkmcnt(0)
	v_mul_f64 v[134:135], v[134:135], s[70:71]
	s_branch .LBB146_127
.LBB146_126:
	v_mov_b64_e32 v[134:135], 0
.LBB146_127:
	v_add_f64 v[98:99], v[98:99], v[134:135]
	v_lshl_add_u64 v[134:135], v[100:101], 3, v[130:131]
	global_store_dwordx2 v[134:135], v[98:99], off
.LBB146_128:
	s_or_b64 exec, exec, s[36:37]
	v_add_u32_e32 v98, 60, v128
	v_cmp_gt_i32_e64 s[36:37], s72, v98
	s_and_b64 s[40:41], s[24:25], s[36:37]
	v_ashrrev_i32_e32 v99, 31, v98
	s_and_saveexec_b64 s[38:39], s[40:41]
	s_cbranch_execz .LBB146_133
; %bb.129:
	s_and_b64 vcc, exec, s[0:1]
	s_cbranch_vccnz .LBB146_131
; %bb.130:
	v_lshl_add_u64 v[134:135], v[98:99], 3, v[132:133]
	flat_load_dwordx2 v[134:135], v[134:135]
	s_waitcnt vmcnt(0) lgkmcnt(0)
	v_mul_f64 v[134:135], v[134:135], s[70:71]
	s_branch .LBB146_132
.LBB146_131:
	v_mov_b64_e32 v[134:135], 0
.LBB146_132:
	v_add_f64 v[96:97], v[96:97], v[134:135]
	v_lshl_add_u64 v[134:135], v[98:99], 3, v[130:131]
	global_store_dwordx2 v[134:135], v[96:97], off
.LBB146_133:
	s_or_b64 exec, exec, s[38:39]
	v_add_u32_e32 v96, 64, v128
	v_cmp_gt_i32_e64 s[38:39], s72, v96
	s_and_b64 s[42:43], s[24:25], s[38:39]
	v_ashrrev_i32_e32 v97, 31, v96
	s_and_saveexec_b64 s[40:41], s[42:43]
	s_cbranch_execz .LBB146_138
; %bb.134:
	s_and_b64 vcc, exec, s[0:1]
	s_cbranch_vccnz .LBB146_136
; %bb.135:
	v_lshl_add_u64 v[134:135], v[96:97], 3, v[132:133]
	flat_load_dwordx2 v[134:135], v[134:135]
	s_waitcnt vmcnt(0) lgkmcnt(0)
	v_mul_f64 v[134:135], v[134:135], s[70:71]
	s_branch .LBB146_137
.LBB146_136:
	v_mov_b64_e32 v[134:135], 0
.LBB146_137:
	v_add_f64 v[94:95], v[94:95], v[134:135]
	v_lshl_add_u64 v[134:135], v[96:97], 3, v[130:131]
	global_store_dwordx2 v[134:135], v[94:95], off
.LBB146_138:
	s_or_b64 exec, exec, s[40:41]
	v_add_u32_e32 v94, 0x44, v128
	v_cmp_gt_i32_e64 s[40:41], s72, v94
	s_and_b64 s[44:45], s[24:25], s[40:41]
	v_ashrrev_i32_e32 v95, 31, v94
	s_and_saveexec_b64 s[42:43], s[44:45]
	s_cbranch_execz .LBB146_143
; %bb.139:
	s_and_b64 vcc, exec, s[0:1]
	s_cbranch_vccnz .LBB146_141
; %bb.140:
	v_lshl_add_u64 v[134:135], v[94:95], 3, v[132:133]
	flat_load_dwordx2 v[134:135], v[134:135]
	s_waitcnt vmcnt(0) lgkmcnt(0)
	v_mul_f64 v[134:135], v[134:135], s[70:71]
	s_branch .LBB146_142
.LBB146_141:
	v_mov_b64_e32 v[134:135], 0
.LBB146_142:
	v_add_f64 v[92:93], v[92:93], v[134:135]
	v_lshl_add_u64 v[134:135], v[94:95], 3, v[130:131]
	global_store_dwordx2 v[134:135], v[92:93], off
.LBB146_143:
	s_or_b64 exec, exec, s[42:43]
	v_add_u32_e32 v92, 0x48, v128
	v_cmp_gt_i32_e64 s[42:43], s72, v92
	s_and_b64 s[46:47], s[24:25], s[42:43]
	v_ashrrev_i32_e32 v93, 31, v92
	s_and_saveexec_b64 s[44:45], s[46:47]
	s_cbranch_execz .LBB146_148
; %bb.144:
	s_and_b64 vcc, exec, s[0:1]
	s_cbranch_vccnz .LBB146_146
; %bb.145:
	v_lshl_add_u64 v[134:135], v[92:93], 3, v[132:133]
	flat_load_dwordx2 v[134:135], v[134:135]
	s_waitcnt vmcnt(0) lgkmcnt(0)
	v_mul_f64 v[134:135], v[134:135], s[70:71]
	s_branch .LBB146_147
.LBB146_146:
	v_mov_b64_e32 v[134:135], 0
.LBB146_147:
	v_add_f64 v[90:91], v[90:91], v[134:135]
	v_lshl_add_u64 v[134:135], v[92:93], 3, v[130:131]
	global_store_dwordx2 v[134:135], v[90:91], off
.LBB146_148:
	s_or_b64 exec, exec, s[44:45]
	v_add_u32_e32 v90, 0x4c, v128
	v_cmp_gt_i32_e64 s[44:45], s72, v90
	s_and_b64 s[48:49], s[24:25], s[44:45]
	v_ashrrev_i32_e32 v91, 31, v90
	s_and_saveexec_b64 s[46:47], s[48:49]
	s_cbranch_execz .LBB146_153
; %bb.149:
	s_and_b64 vcc, exec, s[0:1]
	s_cbranch_vccnz .LBB146_151
; %bb.150:
	v_lshl_add_u64 v[134:135], v[90:91], 3, v[132:133]
	flat_load_dwordx2 v[134:135], v[134:135]
	s_waitcnt vmcnt(0) lgkmcnt(0)
	v_mul_f64 v[134:135], v[134:135], s[70:71]
	s_branch .LBB146_152
.LBB146_151:
	v_mov_b64_e32 v[134:135], 0
.LBB146_152:
	v_add_f64 v[88:89], v[88:89], v[134:135]
	v_lshl_add_u64 v[134:135], v[90:91], 3, v[130:131]
	global_store_dwordx2 v[134:135], v[88:89], off
.LBB146_153:
	s_or_b64 exec, exec, s[46:47]
	v_add_u32_e32 v88, 0x50, v128
	v_cmp_gt_i32_e64 s[46:47], s72, v88
	s_and_b64 s[50:51], s[24:25], s[46:47]
	v_ashrrev_i32_e32 v89, 31, v88
	s_and_saveexec_b64 s[48:49], s[50:51]
	s_cbranch_execz .LBB146_158
; %bb.154:
	s_and_b64 vcc, exec, s[0:1]
	s_cbranch_vccnz .LBB146_156
; %bb.155:
	v_lshl_add_u64 v[134:135], v[88:89], 3, v[132:133]
	flat_load_dwordx2 v[134:135], v[134:135]
	s_waitcnt vmcnt(0) lgkmcnt(0)
	v_mul_f64 v[134:135], v[134:135], s[70:71]
	s_branch .LBB146_157
.LBB146_156:
	v_mov_b64_e32 v[134:135], 0
.LBB146_157:
	v_add_f64 v[86:87], v[86:87], v[134:135]
	v_lshl_add_u64 v[134:135], v[88:89], 3, v[130:131]
	global_store_dwordx2 v[134:135], v[86:87], off
.LBB146_158:
	s_or_b64 exec, exec, s[48:49]
	v_add_u32_e32 v86, 0x54, v128
	v_cmp_gt_i32_e64 s[48:49], s72, v86
	s_and_b64 s[52:53], s[24:25], s[48:49]
	v_ashrrev_i32_e32 v87, 31, v86
	s_and_saveexec_b64 s[50:51], s[52:53]
	s_cbranch_execz .LBB146_163
; %bb.159:
	s_and_b64 vcc, exec, s[0:1]
	s_cbranch_vccnz .LBB146_161
; %bb.160:
	v_lshl_add_u64 v[134:135], v[86:87], 3, v[132:133]
	flat_load_dwordx2 v[134:135], v[134:135]
	s_waitcnt vmcnt(0) lgkmcnt(0)
	v_mul_f64 v[134:135], v[134:135], s[70:71]
	s_branch .LBB146_162
.LBB146_161:
	v_mov_b64_e32 v[134:135], 0
.LBB146_162:
	v_add_f64 v[84:85], v[84:85], v[134:135]
	v_lshl_add_u64 v[134:135], v[86:87], 3, v[130:131]
	global_store_dwordx2 v[134:135], v[84:85], off
.LBB146_163:
	s_or_b64 exec, exec, s[50:51]
	v_add_u32_e32 v84, 0x58, v128
	v_cmp_gt_i32_e64 s[50:51], s72, v84
	s_and_b64 s[54:55], s[24:25], s[50:51]
	v_ashrrev_i32_e32 v85, 31, v84
	s_and_saveexec_b64 s[52:53], s[54:55]
	s_cbranch_execz .LBB146_168
; %bb.164:
	s_and_b64 vcc, exec, s[0:1]
	s_cbranch_vccnz .LBB146_166
; %bb.165:
	v_lshl_add_u64 v[134:135], v[84:85], 3, v[132:133]
	flat_load_dwordx2 v[134:135], v[134:135]
	s_waitcnt vmcnt(0) lgkmcnt(0)
	v_mul_f64 v[134:135], v[134:135], s[70:71]
	s_branch .LBB146_167
.LBB146_166:
	v_mov_b64_e32 v[134:135], 0
.LBB146_167:
	v_add_f64 v[82:83], v[82:83], v[134:135]
	v_lshl_add_u64 v[134:135], v[84:85], 3, v[130:131]
	global_store_dwordx2 v[134:135], v[82:83], off
.LBB146_168:
	s_or_b64 exec, exec, s[52:53]
	v_add_u32_e32 v82, 0x5c, v128
	v_cmp_gt_i32_e64 s[52:53], s72, v82
	s_and_b64 s[56:57], s[24:25], s[52:53]
	v_ashrrev_i32_e32 v83, 31, v82
	s_and_saveexec_b64 s[54:55], s[56:57]
	s_cbranch_execz .LBB146_173
; %bb.169:
	s_and_b64 vcc, exec, s[0:1]
	s_cbranch_vccnz .LBB146_171
; %bb.170:
	v_lshl_add_u64 v[134:135], v[82:83], 3, v[132:133]
	flat_load_dwordx2 v[134:135], v[134:135]
	s_waitcnt vmcnt(0) lgkmcnt(0)
	v_mul_f64 v[134:135], v[134:135], s[70:71]
	s_branch .LBB146_172
.LBB146_171:
	v_mov_b64_e32 v[134:135], 0
.LBB146_172:
	v_add_f64 v[80:81], v[80:81], v[134:135]
	v_lshl_add_u64 v[134:135], v[82:83], 3, v[130:131]
	global_store_dwordx2 v[134:135], v[80:81], off
.LBB146_173:
	s_or_b64 exec, exec, s[54:55]
	v_add_u32_e32 v80, 0x60, v128
	v_cmp_gt_i32_e64 s[54:55], s72, v80
	s_and_b64 s[58:59], s[24:25], s[54:55]
	v_ashrrev_i32_e32 v81, 31, v80
	s_and_saveexec_b64 s[56:57], s[58:59]
	s_cbranch_execz .LBB146_178
; %bb.174:
	s_and_b64 vcc, exec, s[0:1]
	s_cbranch_vccnz .LBB146_176
; %bb.175:
	v_lshl_add_u64 v[134:135], v[80:81], 3, v[132:133]
	flat_load_dwordx2 v[134:135], v[134:135]
	s_waitcnt vmcnt(0) lgkmcnt(0)
	v_mul_f64 v[134:135], v[134:135], s[70:71]
	s_branch .LBB146_177
.LBB146_176:
	v_mov_b64_e32 v[134:135], 0
.LBB146_177:
	v_add_f64 v[78:79], v[78:79], v[134:135]
	v_lshl_add_u64 v[134:135], v[80:81], 3, v[130:131]
	global_store_dwordx2 v[134:135], v[78:79], off
.LBB146_178:
	s_or_b64 exec, exec, s[56:57]
	v_add_u32_e32 v78, 0x64, v128
	v_cmp_gt_i32_e64 s[56:57], s72, v78
	s_and_b64 s[60:61], s[24:25], s[56:57]
	v_ashrrev_i32_e32 v79, 31, v78
	s_and_saveexec_b64 s[58:59], s[60:61]
	s_cbranch_execz .LBB146_183
; %bb.179:
	s_and_b64 vcc, exec, s[0:1]
	s_cbranch_vccnz .LBB146_181
; %bb.180:
	v_lshl_add_u64 v[134:135], v[78:79], 3, v[132:133]
	flat_load_dwordx2 v[134:135], v[134:135]
	s_waitcnt vmcnt(0) lgkmcnt(0)
	v_mul_f64 v[134:135], v[134:135], s[70:71]
	s_branch .LBB146_182
.LBB146_181:
	v_mov_b64_e32 v[134:135], 0
.LBB146_182:
	v_add_f64 v[76:77], v[76:77], v[134:135]
	v_lshl_add_u64 v[134:135], v[78:79], 3, v[130:131]
	global_store_dwordx2 v[134:135], v[76:77], off
.LBB146_183:
	s_or_b64 exec, exec, s[58:59]
	v_add_u32_e32 v76, 0x68, v128
	v_cmp_gt_i32_e64 s[58:59], s72, v76
	s_and_b64 s[62:63], s[24:25], s[58:59]
	v_ashrrev_i32_e32 v77, 31, v76
	s_and_saveexec_b64 s[60:61], s[62:63]
	s_cbranch_execz .LBB146_188
; %bb.184:
	s_and_b64 vcc, exec, s[0:1]
	s_cbranch_vccnz .LBB146_186
; %bb.185:
	v_lshl_add_u64 v[134:135], v[76:77], 3, v[132:133]
	flat_load_dwordx2 v[134:135], v[134:135]
	s_waitcnt vmcnt(0) lgkmcnt(0)
	v_mul_f64 v[134:135], v[134:135], s[70:71]
	s_branch .LBB146_187
.LBB146_186:
	v_mov_b64_e32 v[134:135], 0
.LBB146_187:
	v_add_f64 v[74:75], v[74:75], v[134:135]
	v_lshl_add_u64 v[134:135], v[76:77], 3, v[130:131]
	global_store_dwordx2 v[134:135], v[74:75], off
.LBB146_188:
	s_or_b64 exec, exec, s[60:61]
	v_add_u32_e32 v74, 0x6c, v128
	v_cmp_gt_i32_e64 s[60:61], s72, v74
	s_and_b64 s[64:65], s[24:25], s[60:61]
	v_ashrrev_i32_e32 v75, 31, v74
	s_and_saveexec_b64 s[62:63], s[64:65]
	s_cbranch_execz .LBB146_193
; %bb.189:
	s_and_b64 vcc, exec, s[0:1]
	s_cbranch_vccnz .LBB146_191
; %bb.190:
	v_lshl_add_u64 v[134:135], v[74:75], 3, v[132:133]
	flat_load_dwordx2 v[134:135], v[134:135]
	s_waitcnt vmcnt(0) lgkmcnt(0)
	v_mul_f64 v[134:135], v[134:135], s[70:71]
	s_branch .LBB146_192
.LBB146_191:
	v_mov_b64_e32 v[134:135], 0
.LBB146_192:
	v_add_f64 v[72:73], v[72:73], v[134:135]
	v_lshl_add_u64 v[134:135], v[74:75], 3, v[130:131]
	global_store_dwordx2 v[134:135], v[72:73], off
.LBB146_193:
	s_or_b64 exec, exec, s[62:63]
	v_add_u32_e32 v72, 0x70, v128
	v_cmp_gt_i32_e64 s[62:63], s72, v72
	s_and_b64 s[66:67], s[24:25], s[62:63]
	v_ashrrev_i32_e32 v73, 31, v72
	s_and_saveexec_b64 s[64:65], s[66:67]
	s_cbranch_execz .LBB146_198
; %bb.194:
	s_and_b64 vcc, exec, s[0:1]
	s_cbranch_vccnz .LBB146_196
; %bb.195:
	v_lshl_add_u64 v[134:135], v[72:73], 3, v[132:133]
	flat_load_dwordx2 v[134:135], v[134:135]
	s_waitcnt vmcnt(0) lgkmcnt(0)
	v_mul_f64 v[134:135], v[134:135], s[70:71]
	s_branch .LBB146_197
.LBB146_196:
	v_mov_b64_e32 v[134:135], 0
.LBB146_197:
	v_add_f64 v[70:71], v[70:71], v[134:135]
	v_lshl_add_u64 v[134:135], v[72:73], 3, v[130:131]
	global_store_dwordx2 v[134:135], v[70:71], off
.LBB146_198:
	s_or_b64 exec, exec, s[64:65]
	v_add_u32_e32 v70, 0x74, v128
	v_cmp_gt_i32_e64 s[64:65], s72, v70
	s_and_b64 s[68:69], s[24:25], s[64:65]
	v_ashrrev_i32_e32 v71, 31, v70
	s_and_saveexec_b64 s[66:67], s[68:69]
	s_cbranch_execz .LBB146_203
; %bb.199:
	s_and_b64 vcc, exec, s[0:1]
	s_cbranch_vccnz .LBB146_201
; %bb.200:
	v_lshl_add_u64 v[134:135], v[70:71], 3, v[132:133]
	flat_load_dwordx2 v[134:135], v[134:135]
	s_waitcnt vmcnt(0) lgkmcnt(0)
	v_mul_f64 v[134:135], v[134:135], s[70:71]
	s_branch .LBB146_202
.LBB146_201:
	v_mov_b64_e32 v[134:135], 0
.LBB146_202:
	v_add_f64 v[68:69], v[68:69], v[134:135]
	v_lshl_add_u64 v[134:135], v[70:71], 3, v[130:131]
	global_store_dwordx2 v[134:135], v[68:69], off
.LBB146_203:
	s_or_b64 exec, exec, s[66:67]
	v_add_u32_e32 v68, 0x78, v128
	v_cmp_gt_i32_e64 s[66:67], s72, v68
	s_and_b64 s[80:81], s[24:25], s[66:67]
	v_ashrrev_i32_e32 v69, 31, v68
	s_and_saveexec_b64 s[68:69], s[80:81]
	s_cbranch_execz .LBB146_208
; %bb.204:
	s_and_b64 vcc, exec, s[0:1]
	s_cbranch_vccnz .LBB146_206
; %bb.205:
	v_lshl_add_u64 v[134:135], v[68:69], 3, v[132:133]
	flat_load_dwordx2 v[134:135], v[134:135]
	s_waitcnt vmcnt(0) lgkmcnt(0)
	v_mul_f64 v[134:135], v[134:135], s[70:71]
	s_branch .LBB146_207
.LBB146_206:
	v_mov_b64_e32 v[134:135], 0
.LBB146_207:
	v_add_f64 v[66:67], v[66:67], v[134:135]
	v_lshl_add_u64 v[134:135], v[68:69], 3, v[130:131]
	global_store_dwordx2 v[134:135], v[66:67], off
.LBB146_208:
	s_or_b64 exec, exec, s[68:69]
	v_add_u32_e32 v66, 0x7c, v128
	v_cmp_gt_i32_e64 s[68:69], s72, v66
	s_and_b64 s[80:81], s[24:25], s[68:69]
	v_ashrrev_i32_e32 v67, 31, v66
	s_and_saveexec_b64 s[24:25], s[80:81]
	s_cbranch_execz .LBB146_213
; %bb.209:
	s_and_b64 vcc, exec, s[0:1]
	s_cbranch_vccnz .LBB146_211
; %bb.210:
	v_lshl_add_u64 v[132:133], v[66:67], 3, v[132:133]
	flat_load_dwordx2 v[132:133], v[132:133]
	s_waitcnt vmcnt(0) lgkmcnt(0)
	v_mul_f64 v[132:133], v[132:133], s[70:71]
	s_branch .LBB146_212
.LBB146_211:
	v_mov_b64_e32 v[132:133], 0
.LBB146_212:
	v_add_f64 v[64:65], v[64:65], v[132:133]
	v_lshl_add_u64 v[130:131], v[66:67], 3, v[130:131]
	global_store_dwordx2 v[130:131], v[64:65], off
.LBB146_213:
	s_or_b64 exec, exec, s[24:25]
	v_add_u32_e32 v132, 64, v136
	v_cmp_gt_i32_e64 s[24:25], s73, v132
	v_mad_i64_i32 v[64:65], s[72:73], v132, s78, 0
	v_lshl_add_u64 v[130:131], v[64:65], 3, s[76:77]
	v_mad_i64_i32 v[64:65], s[72:73], v132, s33, 0
	v_lshl_add_u64 v[64:65], v[64:65], 3, s[74:75]
	s_and_b64 s[2:3], s[24:25], s[2:3]
	s_and_saveexec_b64 s[72:73], s[2:3]
	s_xor_b64 s[2:3], exec, s[72:73]
	s_cbranch_execnz .LBB146_246
; %bb.214:
	s_or_b64 exec, exec, s[2:3]
	s_and_b64 s[4:5], s[24:25], s[4:5]
	s_and_saveexec_b64 s[2:3], s[4:5]
	s_cbranch_execnz .LBB146_250
.LBB146_215:
	s_or_b64 exec, exec, s[2:3]
	s_and_b64 s[4:5], s[24:25], s[6:7]
	s_and_saveexec_b64 s[2:3], s[4:5]
	s_cbranch_execnz .LBB146_254
.LBB146_216:
	s_or_b64 exec, exec, s[2:3]
	s_and_b64 s[4:5], s[24:25], s[8:9]
	s_and_saveexec_b64 s[2:3], s[4:5]
	s_cbranch_execnz .LBB146_258
.LBB146_217:
	s_or_b64 exec, exec, s[2:3]
	s_and_b64 s[4:5], s[24:25], s[10:11]
	s_and_saveexec_b64 s[2:3], s[4:5]
	s_cbranch_execnz .LBB146_262
.LBB146_218:
	s_or_b64 exec, exec, s[2:3]
	s_and_b64 s[4:5], s[24:25], s[12:13]
	s_and_saveexec_b64 s[2:3], s[4:5]
	s_cbranch_execnz .LBB146_266
.LBB146_219:
	s_or_b64 exec, exec, s[2:3]
	s_and_b64 s[4:5], s[24:25], s[14:15]
	s_and_saveexec_b64 s[2:3], s[4:5]
	s_cbranch_execnz .LBB146_270
.LBB146_220:
	s_or_b64 exec, exec, s[2:3]
	s_and_b64 s[4:5], s[24:25], s[16:17]
	s_and_saveexec_b64 s[2:3], s[4:5]
	s_cbranch_execnz .LBB146_274
.LBB146_221:
	s_or_b64 exec, exec, s[2:3]
	s_and_b64 s[4:5], s[24:25], s[18:19]
	s_and_saveexec_b64 s[2:3], s[4:5]
	s_cbranch_execnz .LBB146_278
.LBB146_222:
	s_or_b64 exec, exec, s[2:3]
	s_and_b64 s[4:5], s[24:25], s[20:21]
	s_and_saveexec_b64 s[2:3], s[4:5]
	s_cbranch_execnz .LBB146_282
.LBB146_223:
	s_or_b64 exec, exec, s[2:3]
	s_and_b64 s[4:5], s[24:25], s[22:23]
	s_and_saveexec_b64 s[2:3], s[4:5]
	s_cbranch_execnz .LBB146_286
.LBB146_224:
	s_or_b64 exec, exec, s[2:3]
	s_and_b64 s[4:5], s[24:25], s[26:27]
	s_and_saveexec_b64 s[2:3], s[4:5]
	s_cbranch_execnz .LBB146_290
.LBB146_225:
	s_or_b64 exec, exec, s[2:3]
	s_and_b64 s[4:5], s[24:25], s[28:29]
	s_and_saveexec_b64 s[2:3], s[4:5]
	s_cbranch_execnz .LBB146_294
.LBB146_226:
	s_or_b64 exec, exec, s[2:3]
	s_and_b64 s[4:5], s[24:25], s[30:31]
	s_and_saveexec_b64 s[2:3], s[4:5]
	s_cbranch_execnz .LBB146_298
.LBB146_227:
	s_or_b64 exec, exec, s[2:3]
	s_and_b64 s[4:5], s[24:25], s[34:35]
	s_and_saveexec_b64 s[2:3], s[4:5]
	s_cbranch_execnz .LBB146_302
.LBB146_228:
	s_or_b64 exec, exec, s[2:3]
	s_and_b64 s[4:5], s[24:25], s[36:37]
	s_and_saveexec_b64 s[2:3], s[4:5]
	s_cbranch_execnz .LBB146_306
.LBB146_229:
	s_or_b64 exec, exec, s[2:3]
	s_and_b64 s[4:5], s[24:25], s[38:39]
	s_and_saveexec_b64 s[2:3], s[4:5]
	s_cbranch_execnz .LBB146_310
.LBB146_230:
	s_or_b64 exec, exec, s[2:3]
	s_and_b64 s[4:5], s[24:25], s[40:41]
	s_and_saveexec_b64 s[2:3], s[4:5]
	s_cbranch_execnz .LBB146_314
.LBB146_231:
	s_or_b64 exec, exec, s[2:3]
	s_and_b64 s[4:5], s[24:25], s[42:43]
	s_and_saveexec_b64 s[2:3], s[4:5]
	s_cbranch_execnz .LBB146_318
.LBB146_232:
	s_or_b64 exec, exec, s[2:3]
	s_and_b64 s[4:5], s[24:25], s[44:45]
	s_and_saveexec_b64 s[2:3], s[4:5]
	s_cbranch_execnz .LBB146_322
.LBB146_233:
	s_or_b64 exec, exec, s[2:3]
	s_and_b64 s[4:5], s[24:25], s[46:47]
	s_and_saveexec_b64 s[2:3], s[4:5]
	s_cbranch_execnz .LBB146_326
.LBB146_234:
	s_or_b64 exec, exec, s[2:3]
	s_and_b64 s[4:5], s[24:25], s[48:49]
	s_and_saveexec_b64 s[2:3], s[4:5]
	s_cbranch_execnz .LBB146_330
.LBB146_235:
	s_or_b64 exec, exec, s[2:3]
	s_and_b64 s[4:5], s[24:25], s[50:51]
	s_and_saveexec_b64 s[2:3], s[4:5]
	s_cbranch_execnz .LBB146_334
.LBB146_236:
	s_or_b64 exec, exec, s[2:3]
	s_and_b64 s[4:5], s[24:25], s[52:53]
	s_and_saveexec_b64 s[2:3], s[4:5]
	s_cbranch_execnz .LBB146_338
.LBB146_237:
	s_or_b64 exec, exec, s[2:3]
	s_and_b64 s[4:5], s[24:25], s[54:55]
	s_and_saveexec_b64 s[2:3], s[4:5]
	s_cbranch_execnz .LBB146_342
.LBB146_238:
	s_or_b64 exec, exec, s[2:3]
	s_and_b64 s[4:5], s[24:25], s[56:57]
	s_and_saveexec_b64 s[2:3], s[4:5]
	s_cbranch_execnz .LBB146_346
.LBB146_239:
	s_or_b64 exec, exec, s[2:3]
	s_and_b64 s[4:5], s[24:25], s[58:59]
	s_and_saveexec_b64 s[2:3], s[4:5]
	s_cbranch_execnz .LBB146_350
.LBB146_240:
	s_or_b64 exec, exec, s[2:3]
	s_and_b64 s[4:5], s[24:25], s[60:61]
	s_and_saveexec_b64 s[2:3], s[4:5]
	s_cbranch_execnz .LBB146_354
.LBB146_241:
	s_or_b64 exec, exec, s[2:3]
	s_and_b64 s[4:5], s[24:25], s[62:63]
	s_and_saveexec_b64 s[2:3], s[4:5]
	s_cbranch_execnz .LBB146_358
.LBB146_242:
	s_or_b64 exec, exec, s[2:3]
	s_and_b64 s[4:5], s[24:25], s[64:65]
	s_and_saveexec_b64 s[2:3], s[4:5]
	s_cbranch_execnz .LBB146_362
.LBB146_243:
	s_or_b64 exec, exec, s[2:3]
	s_and_b64 s[4:5], s[24:25], s[66:67]
	s_and_saveexec_b64 s[2:3], s[4:5]
	s_cbranch_execnz .LBB146_366
.LBB146_244:
	s_or_b64 exec, exec, s[2:3]
	s_and_b64 s[2:3], s[24:25], s[68:69]
	s_and_saveexec_b64 s[4:5], s[2:3]
	s_cbranch_execnz .LBB146_370
.LBB146_245:
	s_endpgm
.LBB146_246:
	s_and_b64 vcc, exec, s[0:1]
	s_cbranch_vccnz .LBB146_248
; %bb.247:
	v_lshl_add_u64 v[132:133], v[128:129], 3, v[130:131]
	flat_load_dwordx2 v[132:133], v[132:133]
	s_waitcnt vmcnt(0) lgkmcnt(0)
	v_mul_f64 v[132:133], v[132:133], s[70:71]
	s_branch .LBB146_249
.LBB146_248:
	v_mov_b64_e32 v[132:133], 0
.LBB146_249:
	v_add_f64 v[62:63], v[62:63], v[132:133]
	v_lshl_add_u64 v[128:129], v[128:129], 3, v[64:65]
	global_store_dwordx2 v[128:129], v[62:63], off
	s_or_b64 exec, exec, s[2:3]
	s_and_b64 s[4:5], s[24:25], s[4:5]
	s_and_saveexec_b64 s[2:3], s[4:5]
	s_cbranch_execz .LBB146_215
.LBB146_250:
	s_and_b64 vcc, exec, s[0:1]
	s_cbranch_vccnz .LBB146_252
; %bb.251:
	v_lshl_add_u64 v[62:63], v[126:127], 3, v[130:131]
	flat_load_dwordx2 v[62:63], v[62:63]
	s_waitcnt vmcnt(0) lgkmcnt(0)
	v_mul_f64 v[62:63], v[62:63], s[70:71]
	s_branch .LBB146_253
.LBB146_252:
	v_mov_b64_e32 v[62:63], 0
.LBB146_253:
	v_add_f64 v[60:61], v[60:61], v[62:63]
	v_lshl_add_u64 v[62:63], v[126:127], 3, v[64:65]
	global_store_dwordx2 v[62:63], v[60:61], off
	s_or_b64 exec, exec, s[2:3]
	s_and_b64 s[4:5], s[24:25], s[6:7]
	s_and_saveexec_b64 s[2:3], s[4:5]
	s_cbranch_execz .LBB146_216
.LBB146_254:
	s_and_b64 vcc, exec, s[0:1]
	s_cbranch_vccnz .LBB146_256
; %bb.255:
	v_lshl_add_u64 v[60:61], v[124:125], 3, v[130:131]
	flat_load_dwordx2 v[60:61], v[60:61]
	s_waitcnt vmcnt(0) lgkmcnt(0)
	v_mul_f64 v[60:61], v[60:61], s[70:71]
	s_branch .LBB146_257
.LBB146_256:
	v_mov_b64_e32 v[60:61], 0
.LBB146_257:
	v_add_f64 v[58:59], v[58:59], v[60:61]
	v_lshl_add_u64 v[60:61], v[124:125], 3, v[64:65]
	global_store_dwordx2 v[60:61], v[58:59], off
	s_or_b64 exec, exec, s[2:3]
	s_and_b64 s[4:5], s[24:25], s[8:9]
	s_and_saveexec_b64 s[2:3], s[4:5]
	s_cbranch_execz .LBB146_217
.LBB146_258:
	s_and_b64 vcc, exec, s[0:1]
	s_cbranch_vccnz .LBB146_260
; %bb.259:
	v_lshl_add_u64 v[58:59], v[122:123], 3, v[130:131]
	flat_load_dwordx2 v[58:59], v[58:59]
	s_waitcnt vmcnt(0) lgkmcnt(0)
	v_mul_f64 v[58:59], v[58:59], s[70:71]
	s_branch .LBB146_261
.LBB146_260:
	v_mov_b64_e32 v[58:59], 0
.LBB146_261:
	v_add_f64 v[56:57], v[56:57], v[58:59]
	v_lshl_add_u64 v[58:59], v[122:123], 3, v[64:65]
	global_store_dwordx2 v[58:59], v[56:57], off
	s_or_b64 exec, exec, s[2:3]
	s_and_b64 s[4:5], s[24:25], s[10:11]
	s_and_saveexec_b64 s[2:3], s[4:5]
	s_cbranch_execz .LBB146_218
.LBB146_262:
	s_and_b64 vcc, exec, s[0:1]
	s_cbranch_vccnz .LBB146_264
; %bb.263:
	v_lshl_add_u64 v[56:57], v[120:121], 3, v[130:131]
	flat_load_dwordx2 v[56:57], v[56:57]
	s_waitcnt vmcnt(0) lgkmcnt(0)
	v_mul_f64 v[56:57], v[56:57], s[70:71]
	s_branch .LBB146_265
.LBB146_264:
	v_mov_b64_e32 v[56:57], 0
.LBB146_265:
	v_add_f64 v[54:55], v[54:55], v[56:57]
	v_lshl_add_u64 v[56:57], v[120:121], 3, v[64:65]
	global_store_dwordx2 v[56:57], v[54:55], off
	s_or_b64 exec, exec, s[2:3]
	s_and_b64 s[4:5], s[24:25], s[12:13]
	s_and_saveexec_b64 s[2:3], s[4:5]
	s_cbranch_execz .LBB146_219
.LBB146_266:
	s_and_b64 vcc, exec, s[0:1]
	s_cbranch_vccnz .LBB146_268
; %bb.267:
	v_lshl_add_u64 v[54:55], v[118:119], 3, v[130:131]
	flat_load_dwordx2 v[54:55], v[54:55]
	s_waitcnt vmcnt(0) lgkmcnt(0)
	v_mul_f64 v[54:55], v[54:55], s[70:71]
	s_branch .LBB146_269
.LBB146_268:
	v_mov_b64_e32 v[54:55], 0
.LBB146_269:
	v_add_f64 v[52:53], v[52:53], v[54:55]
	v_lshl_add_u64 v[54:55], v[118:119], 3, v[64:65]
	global_store_dwordx2 v[54:55], v[52:53], off
	s_or_b64 exec, exec, s[2:3]
	s_and_b64 s[4:5], s[24:25], s[14:15]
	s_and_saveexec_b64 s[2:3], s[4:5]
	s_cbranch_execz .LBB146_220
.LBB146_270:
	s_and_b64 vcc, exec, s[0:1]
	s_cbranch_vccnz .LBB146_272
; %bb.271:
	v_lshl_add_u64 v[52:53], v[116:117], 3, v[130:131]
	flat_load_dwordx2 v[52:53], v[52:53]
	s_waitcnt vmcnt(0) lgkmcnt(0)
	v_mul_f64 v[52:53], v[52:53], s[70:71]
	s_branch .LBB146_273
.LBB146_272:
	v_mov_b64_e32 v[52:53], 0
.LBB146_273:
	v_add_f64 v[50:51], v[50:51], v[52:53]
	v_lshl_add_u64 v[52:53], v[116:117], 3, v[64:65]
	global_store_dwordx2 v[52:53], v[50:51], off
	s_or_b64 exec, exec, s[2:3]
	s_and_b64 s[4:5], s[24:25], s[16:17]
	s_and_saveexec_b64 s[2:3], s[4:5]
	s_cbranch_execz .LBB146_221
.LBB146_274:
	s_and_b64 vcc, exec, s[0:1]
	s_cbranch_vccnz .LBB146_276
; %bb.275:
	v_lshl_add_u64 v[50:51], v[114:115], 3, v[130:131]
	flat_load_dwordx2 v[50:51], v[50:51]
	s_waitcnt vmcnt(0) lgkmcnt(0)
	v_mul_f64 v[50:51], v[50:51], s[70:71]
	s_branch .LBB146_277
.LBB146_276:
	v_mov_b64_e32 v[50:51], 0
.LBB146_277:
	v_add_f64 v[48:49], v[48:49], v[50:51]
	v_lshl_add_u64 v[50:51], v[114:115], 3, v[64:65]
	global_store_dwordx2 v[50:51], v[48:49], off
	s_or_b64 exec, exec, s[2:3]
	s_and_b64 s[4:5], s[24:25], s[18:19]
	s_and_saveexec_b64 s[2:3], s[4:5]
	s_cbranch_execz .LBB146_222
.LBB146_278:
	s_and_b64 vcc, exec, s[0:1]
	s_cbranch_vccnz .LBB146_280
; %bb.279:
	v_lshl_add_u64 v[48:49], v[112:113], 3, v[130:131]
	flat_load_dwordx2 v[48:49], v[48:49]
	s_waitcnt vmcnt(0) lgkmcnt(0)
	v_mul_f64 v[48:49], v[48:49], s[70:71]
	s_branch .LBB146_281
.LBB146_280:
	v_mov_b64_e32 v[48:49], 0
.LBB146_281:
	v_add_f64 v[46:47], v[46:47], v[48:49]
	v_lshl_add_u64 v[48:49], v[112:113], 3, v[64:65]
	global_store_dwordx2 v[48:49], v[46:47], off
	s_or_b64 exec, exec, s[2:3]
	s_and_b64 s[4:5], s[24:25], s[20:21]
	s_and_saveexec_b64 s[2:3], s[4:5]
	s_cbranch_execz .LBB146_223
.LBB146_282:
	s_and_b64 vcc, exec, s[0:1]
	s_cbranch_vccnz .LBB146_284
; %bb.283:
	v_lshl_add_u64 v[46:47], v[110:111], 3, v[130:131]
	flat_load_dwordx2 v[46:47], v[46:47]
	s_waitcnt vmcnt(0) lgkmcnt(0)
	v_mul_f64 v[46:47], v[46:47], s[70:71]
	s_branch .LBB146_285
.LBB146_284:
	v_mov_b64_e32 v[46:47], 0
.LBB146_285:
	v_add_f64 v[44:45], v[44:45], v[46:47]
	v_lshl_add_u64 v[46:47], v[110:111], 3, v[64:65]
	global_store_dwordx2 v[46:47], v[44:45], off
	s_or_b64 exec, exec, s[2:3]
	s_and_b64 s[4:5], s[24:25], s[22:23]
	s_and_saveexec_b64 s[2:3], s[4:5]
	s_cbranch_execz .LBB146_224
.LBB146_286:
	s_and_b64 vcc, exec, s[0:1]
	s_cbranch_vccnz .LBB146_288
; %bb.287:
	v_lshl_add_u64 v[44:45], v[108:109], 3, v[130:131]
	flat_load_dwordx2 v[44:45], v[44:45]
	s_waitcnt vmcnt(0) lgkmcnt(0)
	v_mul_f64 v[44:45], v[44:45], s[70:71]
	s_branch .LBB146_289
.LBB146_288:
	v_mov_b64_e32 v[44:45], 0
.LBB146_289:
	v_add_f64 v[42:43], v[42:43], v[44:45]
	v_lshl_add_u64 v[44:45], v[108:109], 3, v[64:65]
	global_store_dwordx2 v[44:45], v[42:43], off
	s_or_b64 exec, exec, s[2:3]
	s_and_b64 s[4:5], s[24:25], s[26:27]
	s_and_saveexec_b64 s[2:3], s[4:5]
	s_cbranch_execz .LBB146_225
.LBB146_290:
	s_and_b64 vcc, exec, s[0:1]
	s_cbranch_vccnz .LBB146_292
; %bb.291:
	v_lshl_add_u64 v[42:43], v[106:107], 3, v[130:131]
	flat_load_dwordx2 v[42:43], v[42:43]
	s_waitcnt vmcnt(0) lgkmcnt(0)
	v_mul_f64 v[42:43], v[42:43], s[70:71]
	s_branch .LBB146_293
.LBB146_292:
	v_mov_b64_e32 v[42:43], 0
.LBB146_293:
	v_add_f64 v[40:41], v[40:41], v[42:43]
	v_lshl_add_u64 v[42:43], v[106:107], 3, v[64:65]
	global_store_dwordx2 v[42:43], v[40:41], off
	s_or_b64 exec, exec, s[2:3]
	s_and_b64 s[4:5], s[24:25], s[28:29]
	s_and_saveexec_b64 s[2:3], s[4:5]
	s_cbranch_execz .LBB146_226
.LBB146_294:
	s_and_b64 vcc, exec, s[0:1]
	s_cbranch_vccnz .LBB146_296
; %bb.295:
	v_lshl_add_u64 v[40:41], v[104:105], 3, v[130:131]
	flat_load_dwordx2 v[40:41], v[40:41]
	s_waitcnt vmcnt(0) lgkmcnt(0)
	v_mul_f64 v[40:41], v[40:41], s[70:71]
	s_branch .LBB146_297
.LBB146_296:
	v_mov_b64_e32 v[40:41], 0
.LBB146_297:
	v_add_f64 v[38:39], v[38:39], v[40:41]
	v_lshl_add_u64 v[40:41], v[104:105], 3, v[64:65]
	global_store_dwordx2 v[40:41], v[38:39], off
	s_or_b64 exec, exec, s[2:3]
	s_and_b64 s[4:5], s[24:25], s[30:31]
	s_and_saveexec_b64 s[2:3], s[4:5]
	s_cbranch_execz .LBB146_227
.LBB146_298:
	s_and_b64 vcc, exec, s[0:1]
	s_cbranch_vccnz .LBB146_300
; %bb.299:
	v_lshl_add_u64 v[38:39], v[102:103], 3, v[130:131]
	flat_load_dwordx2 v[38:39], v[38:39]
	s_waitcnt vmcnt(0) lgkmcnt(0)
	v_mul_f64 v[38:39], v[38:39], s[70:71]
	s_branch .LBB146_301
.LBB146_300:
	v_mov_b64_e32 v[38:39], 0
.LBB146_301:
	v_add_f64 v[36:37], v[36:37], v[38:39]
	v_lshl_add_u64 v[38:39], v[102:103], 3, v[64:65]
	global_store_dwordx2 v[38:39], v[36:37], off
	s_or_b64 exec, exec, s[2:3]
	s_and_b64 s[4:5], s[24:25], s[34:35]
	s_and_saveexec_b64 s[2:3], s[4:5]
	s_cbranch_execz .LBB146_228
.LBB146_302:
	s_and_b64 vcc, exec, s[0:1]
	s_cbranch_vccnz .LBB146_304
; %bb.303:
	v_lshl_add_u64 v[36:37], v[100:101], 3, v[130:131]
	flat_load_dwordx2 v[36:37], v[36:37]
	s_waitcnt vmcnt(0) lgkmcnt(0)
	v_mul_f64 v[36:37], v[36:37], s[70:71]
	s_branch .LBB146_305
.LBB146_304:
	v_mov_b64_e32 v[36:37], 0
.LBB146_305:
	v_add_f64 v[34:35], v[34:35], v[36:37]
	v_lshl_add_u64 v[36:37], v[100:101], 3, v[64:65]
	global_store_dwordx2 v[36:37], v[34:35], off
	s_or_b64 exec, exec, s[2:3]
	s_and_b64 s[4:5], s[24:25], s[36:37]
	s_and_saveexec_b64 s[2:3], s[4:5]
	s_cbranch_execz .LBB146_229
.LBB146_306:
	s_and_b64 vcc, exec, s[0:1]
	s_cbranch_vccnz .LBB146_308
; %bb.307:
	v_lshl_add_u64 v[34:35], v[98:99], 3, v[130:131]
	flat_load_dwordx2 v[34:35], v[34:35]
	s_waitcnt vmcnt(0) lgkmcnt(0)
	v_mul_f64 v[34:35], v[34:35], s[70:71]
	s_branch .LBB146_309
.LBB146_308:
	v_mov_b64_e32 v[34:35], 0
.LBB146_309:
	v_add_f64 v[32:33], v[32:33], v[34:35]
	v_lshl_add_u64 v[34:35], v[98:99], 3, v[64:65]
	global_store_dwordx2 v[34:35], v[32:33], off
	s_or_b64 exec, exec, s[2:3]
	s_and_b64 s[4:5], s[24:25], s[38:39]
	s_and_saveexec_b64 s[2:3], s[4:5]
	s_cbranch_execz .LBB146_230
.LBB146_310:
	s_and_b64 vcc, exec, s[0:1]
	s_cbranch_vccnz .LBB146_312
; %bb.311:
	v_lshl_add_u64 v[32:33], v[96:97], 3, v[130:131]
	flat_load_dwordx2 v[32:33], v[32:33]
	s_waitcnt vmcnt(0) lgkmcnt(0)
	v_mul_f64 v[32:33], v[32:33], s[70:71]
	s_branch .LBB146_313
.LBB146_312:
	v_mov_b64_e32 v[32:33], 0
.LBB146_313:
	v_add_f64 v[30:31], v[30:31], v[32:33]
	v_lshl_add_u64 v[32:33], v[96:97], 3, v[64:65]
	global_store_dwordx2 v[32:33], v[30:31], off
	s_or_b64 exec, exec, s[2:3]
	s_and_b64 s[4:5], s[24:25], s[40:41]
	s_and_saveexec_b64 s[2:3], s[4:5]
	s_cbranch_execz .LBB146_231
.LBB146_314:
	s_and_b64 vcc, exec, s[0:1]
	s_cbranch_vccnz .LBB146_316
; %bb.315:
	v_lshl_add_u64 v[30:31], v[94:95], 3, v[130:131]
	flat_load_dwordx2 v[30:31], v[30:31]
	s_waitcnt vmcnt(0) lgkmcnt(0)
	v_mul_f64 v[30:31], v[30:31], s[70:71]
	s_branch .LBB146_317
.LBB146_316:
	v_mov_b64_e32 v[30:31], 0
.LBB146_317:
	v_add_f64 v[28:29], v[28:29], v[30:31]
	v_lshl_add_u64 v[30:31], v[94:95], 3, v[64:65]
	global_store_dwordx2 v[30:31], v[28:29], off
	s_or_b64 exec, exec, s[2:3]
	s_and_b64 s[4:5], s[24:25], s[42:43]
	s_and_saveexec_b64 s[2:3], s[4:5]
	s_cbranch_execz .LBB146_232
.LBB146_318:
	s_and_b64 vcc, exec, s[0:1]
	s_cbranch_vccnz .LBB146_320
; %bb.319:
	v_lshl_add_u64 v[28:29], v[92:93], 3, v[130:131]
	flat_load_dwordx2 v[28:29], v[28:29]
	s_waitcnt vmcnt(0) lgkmcnt(0)
	v_mul_f64 v[28:29], v[28:29], s[70:71]
	s_branch .LBB146_321
.LBB146_320:
	v_mov_b64_e32 v[28:29], 0
.LBB146_321:
	v_add_f64 v[26:27], v[26:27], v[28:29]
	v_lshl_add_u64 v[28:29], v[92:93], 3, v[64:65]
	global_store_dwordx2 v[28:29], v[26:27], off
	s_or_b64 exec, exec, s[2:3]
	s_and_b64 s[4:5], s[24:25], s[44:45]
	s_and_saveexec_b64 s[2:3], s[4:5]
	s_cbranch_execz .LBB146_233
.LBB146_322:
	s_and_b64 vcc, exec, s[0:1]
	s_cbranch_vccnz .LBB146_324
; %bb.323:
	v_lshl_add_u64 v[26:27], v[90:91], 3, v[130:131]
	flat_load_dwordx2 v[26:27], v[26:27]
	s_waitcnt vmcnt(0) lgkmcnt(0)
	v_mul_f64 v[26:27], v[26:27], s[70:71]
	s_branch .LBB146_325
.LBB146_324:
	v_mov_b64_e32 v[26:27], 0
.LBB146_325:
	v_add_f64 v[24:25], v[24:25], v[26:27]
	v_lshl_add_u64 v[26:27], v[90:91], 3, v[64:65]
	global_store_dwordx2 v[26:27], v[24:25], off
	s_or_b64 exec, exec, s[2:3]
	s_and_b64 s[4:5], s[24:25], s[46:47]
	s_and_saveexec_b64 s[2:3], s[4:5]
	s_cbranch_execz .LBB146_234
.LBB146_326:
	s_and_b64 vcc, exec, s[0:1]
	s_cbranch_vccnz .LBB146_328
; %bb.327:
	v_lshl_add_u64 v[24:25], v[88:89], 3, v[130:131]
	flat_load_dwordx2 v[24:25], v[24:25]
	s_waitcnt vmcnt(0) lgkmcnt(0)
	v_mul_f64 v[24:25], v[24:25], s[70:71]
	s_branch .LBB146_329
.LBB146_328:
	v_mov_b64_e32 v[24:25], 0
.LBB146_329:
	v_add_f64 v[22:23], v[22:23], v[24:25]
	v_lshl_add_u64 v[24:25], v[88:89], 3, v[64:65]
	global_store_dwordx2 v[24:25], v[22:23], off
	s_or_b64 exec, exec, s[2:3]
	s_and_b64 s[4:5], s[24:25], s[48:49]
	s_and_saveexec_b64 s[2:3], s[4:5]
	s_cbranch_execz .LBB146_235
.LBB146_330:
	s_and_b64 vcc, exec, s[0:1]
	s_cbranch_vccnz .LBB146_332
; %bb.331:
	v_lshl_add_u64 v[22:23], v[86:87], 3, v[130:131]
	flat_load_dwordx2 v[22:23], v[22:23]
	s_waitcnt vmcnt(0) lgkmcnt(0)
	v_mul_f64 v[22:23], v[22:23], s[70:71]
	s_branch .LBB146_333
.LBB146_332:
	v_mov_b64_e32 v[22:23], 0
.LBB146_333:
	v_add_f64 v[20:21], v[20:21], v[22:23]
	v_lshl_add_u64 v[22:23], v[86:87], 3, v[64:65]
	global_store_dwordx2 v[22:23], v[20:21], off
	s_or_b64 exec, exec, s[2:3]
	s_and_b64 s[4:5], s[24:25], s[50:51]
	s_and_saveexec_b64 s[2:3], s[4:5]
	s_cbranch_execz .LBB146_236
.LBB146_334:
	s_and_b64 vcc, exec, s[0:1]
	s_cbranch_vccnz .LBB146_336
; %bb.335:
	v_lshl_add_u64 v[20:21], v[84:85], 3, v[130:131]
	flat_load_dwordx2 v[20:21], v[20:21]
	s_waitcnt vmcnt(0) lgkmcnt(0)
	v_mul_f64 v[20:21], v[20:21], s[70:71]
	s_branch .LBB146_337
.LBB146_336:
	v_mov_b64_e32 v[20:21], 0
.LBB146_337:
	v_add_f64 v[18:19], v[18:19], v[20:21]
	v_lshl_add_u64 v[20:21], v[84:85], 3, v[64:65]
	global_store_dwordx2 v[20:21], v[18:19], off
	s_or_b64 exec, exec, s[2:3]
	s_and_b64 s[4:5], s[24:25], s[52:53]
	s_and_saveexec_b64 s[2:3], s[4:5]
	s_cbranch_execz .LBB146_237
.LBB146_338:
	s_and_b64 vcc, exec, s[0:1]
	s_cbranch_vccnz .LBB146_340
; %bb.339:
	v_lshl_add_u64 v[18:19], v[82:83], 3, v[130:131]
	flat_load_dwordx2 v[18:19], v[18:19]
	s_waitcnt vmcnt(0) lgkmcnt(0)
	v_mul_f64 v[18:19], v[18:19], s[70:71]
	s_branch .LBB146_341
.LBB146_340:
	v_mov_b64_e32 v[18:19], 0
.LBB146_341:
	v_add_f64 v[16:17], v[16:17], v[18:19]
	v_lshl_add_u64 v[18:19], v[82:83], 3, v[64:65]
	global_store_dwordx2 v[18:19], v[16:17], off
	s_or_b64 exec, exec, s[2:3]
	s_and_b64 s[4:5], s[24:25], s[54:55]
	s_and_saveexec_b64 s[2:3], s[4:5]
	s_cbranch_execz .LBB146_238
.LBB146_342:
	s_and_b64 vcc, exec, s[0:1]
	s_cbranch_vccnz .LBB146_344
; %bb.343:
	v_lshl_add_u64 v[16:17], v[80:81], 3, v[130:131]
	flat_load_dwordx2 v[16:17], v[16:17]
	s_waitcnt vmcnt(0) lgkmcnt(0)
	v_mul_f64 v[16:17], v[16:17], s[70:71]
	s_branch .LBB146_345
.LBB146_344:
	v_mov_b64_e32 v[16:17], 0
.LBB146_345:
	v_add_f64 v[14:15], v[14:15], v[16:17]
	v_lshl_add_u64 v[16:17], v[80:81], 3, v[64:65]
	global_store_dwordx2 v[16:17], v[14:15], off
	s_or_b64 exec, exec, s[2:3]
	s_and_b64 s[4:5], s[24:25], s[56:57]
	s_and_saveexec_b64 s[2:3], s[4:5]
	s_cbranch_execz .LBB146_239
.LBB146_346:
	s_and_b64 vcc, exec, s[0:1]
	s_cbranch_vccnz .LBB146_348
; %bb.347:
	v_lshl_add_u64 v[14:15], v[78:79], 3, v[130:131]
	flat_load_dwordx2 v[14:15], v[14:15]
	s_waitcnt vmcnt(0) lgkmcnt(0)
	v_mul_f64 v[14:15], v[14:15], s[70:71]
	s_branch .LBB146_349
.LBB146_348:
	v_mov_b64_e32 v[14:15], 0
.LBB146_349:
	v_add_f64 v[12:13], v[12:13], v[14:15]
	v_lshl_add_u64 v[14:15], v[78:79], 3, v[64:65]
	global_store_dwordx2 v[14:15], v[12:13], off
	s_or_b64 exec, exec, s[2:3]
	s_and_b64 s[4:5], s[24:25], s[58:59]
	s_and_saveexec_b64 s[2:3], s[4:5]
	s_cbranch_execz .LBB146_240
.LBB146_350:
	s_and_b64 vcc, exec, s[0:1]
	s_cbranch_vccnz .LBB146_352
; %bb.351:
	v_lshl_add_u64 v[12:13], v[76:77], 3, v[130:131]
	flat_load_dwordx2 v[12:13], v[12:13]
	s_waitcnt vmcnt(0) lgkmcnt(0)
	v_mul_f64 v[12:13], v[12:13], s[70:71]
	s_branch .LBB146_353
.LBB146_352:
	v_mov_b64_e32 v[12:13], 0
.LBB146_353:
	v_add_f64 v[10:11], v[10:11], v[12:13]
	v_lshl_add_u64 v[12:13], v[76:77], 3, v[64:65]
	global_store_dwordx2 v[12:13], v[10:11], off
	s_or_b64 exec, exec, s[2:3]
	s_and_b64 s[4:5], s[24:25], s[60:61]
	s_and_saveexec_b64 s[2:3], s[4:5]
	s_cbranch_execz .LBB146_241
.LBB146_354:
	s_and_b64 vcc, exec, s[0:1]
	s_cbranch_vccnz .LBB146_356
; %bb.355:
	v_lshl_add_u64 v[10:11], v[74:75], 3, v[130:131]
	flat_load_dwordx2 v[10:11], v[10:11]
	s_waitcnt vmcnt(0) lgkmcnt(0)
	v_mul_f64 v[10:11], v[10:11], s[70:71]
	s_branch .LBB146_357
.LBB146_356:
	v_mov_b64_e32 v[10:11], 0
.LBB146_357:
	v_add_f64 v[8:9], v[8:9], v[10:11]
	v_lshl_add_u64 v[10:11], v[74:75], 3, v[64:65]
	global_store_dwordx2 v[10:11], v[8:9], off
	s_or_b64 exec, exec, s[2:3]
	s_and_b64 s[4:5], s[24:25], s[62:63]
	s_and_saveexec_b64 s[2:3], s[4:5]
	s_cbranch_execz .LBB146_242
.LBB146_358:
	s_and_b64 vcc, exec, s[0:1]
	s_cbranch_vccnz .LBB146_360
; %bb.359:
	v_lshl_add_u64 v[8:9], v[72:73], 3, v[130:131]
	flat_load_dwordx2 v[8:9], v[8:9]
	s_waitcnt vmcnt(0) lgkmcnt(0)
	v_mul_f64 v[8:9], v[8:9], s[70:71]
	s_branch .LBB146_361
.LBB146_360:
	v_mov_b64_e32 v[8:9], 0
.LBB146_361:
	v_add_f64 v[6:7], v[6:7], v[8:9]
	v_lshl_add_u64 v[8:9], v[72:73], 3, v[64:65]
	global_store_dwordx2 v[8:9], v[6:7], off
	s_or_b64 exec, exec, s[2:3]
	s_and_b64 s[4:5], s[24:25], s[64:65]
	s_and_saveexec_b64 s[2:3], s[4:5]
	s_cbranch_execz .LBB146_243
.LBB146_362:
	s_and_b64 vcc, exec, s[0:1]
	s_cbranch_vccnz .LBB146_364
; %bb.363:
	v_lshl_add_u64 v[6:7], v[70:71], 3, v[130:131]
	flat_load_dwordx2 v[6:7], v[6:7]
	s_waitcnt vmcnt(0) lgkmcnt(0)
	v_mul_f64 v[6:7], v[6:7], s[70:71]
	s_branch .LBB146_365
.LBB146_364:
	v_mov_b64_e32 v[6:7], 0
.LBB146_365:
	v_add_f64 v[4:5], v[4:5], v[6:7]
	v_lshl_add_u64 v[6:7], v[70:71], 3, v[64:65]
	global_store_dwordx2 v[6:7], v[4:5], off
	s_or_b64 exec, exec, s[2:3]
	s_and_b64 s[4:5], s[24:25], s[66:67]
	s_and_saveexec_b64 s[2:3], s[4:5]
	s_cbranch_execz .LBB146_244
.LBB146_366:
	s_and_b64 vcc, exec, s[0:1]
	s_cbranch_vccnz .LBB146_368
; %bb.367:
	v_lshl_add_u64 v[4:5], v[68:69], 3, v[130:131]
	flat_load_dwordx2 v[4:5], v[4:5]
	s_waitcnt vmcnt(0) lgkmcnt(0)
	v_mul_f64 v[4:5], v[4:5], s[70:71]
	s_branch .LBB146_369
.LBB146_368:
	v_mov_b64_e32 v[4:5], 0
.LBB146_369:
	v_add_f64 v[2:3], v[2:3], v[4:5]
	v_lshl_add_u64 v[4:5], v[68:69], 3, v[64:65]
	global_store_dwordx2 v[4:5], v[2:3], off
	s_or_b64 exec, exec, s[2:3]
	s_and_b64 s[2:3], s[24:25], s[68:69]
	s_and_saveexec_b64 s[4:5], s[2:3]
	s_cbranch_execz .LBB146_245
.LBB146_370:
	s_and_b64 vcc, exec, s[0:1]
	s_cbranch_vccnz .LBB146_372
; %bb.371:
	v_lshl_add_u64 v[2:3], v[66:67], 3, v[130:131]
	flat_load_dwordx2 v[2:3], v[2:3]
	s_waitcnt vmcnt(0) lgkmcnt(0)
	v_mul_f64 v[2:3], v[2:3], s[70:71]
	v_add_f64 v[0:1], v[0:1], v[2:3]
	v_lshl_add_u64 v[2:3], v[66:67], 3, v[64:65]
	global_store_dwordx2 v[2:3], v[0:1], off
	s_endpgm
.LBB146_372:
	v_mov_b64_e32 v[2:3], 0
	v_add_f64 v[0:1], v[0:1], v[2:3]
	v_lshl_add_u64 v[2:3], v[66:67], 3, v[64:65]
	global_store_dwordx2 v[2:3], v[0:1], off
	s_endpgm
	.section	.rodata,"a",@progbits
	.p2align	6, 0x0
	.amdhsa_kernel _ZN12_GLOBAL__N_120geam_min_plus_kernelIdddLi4ELi64ELi128ELi128ELi4ELi64ELi4ELi64ELi4ELc78ELc84ELb0ELb1ELb0EdKPKdKPdEEviiiT16_PT17_ilS8_ilS6_S8_ilPT18_ili26rocblas_geam_ex_operation_
		.amdhsa_group_segment_fixed_size 16384
		.amdhsa_private_segment_fixed_size 0
		.amdhsa_kernarg_size 136
		.amdhsa_user_sgpr_count 2
		.amdhsa_user_sgpr_dispatch_ptr 0
		.amdhsa_user_sgpr_queue_ptr 0
		.amdhsa_user_sgpr_kernarg_segment_ptr 1
		.amdhsa_user_sgpr_dispatch_id 0
		.amdhsa_user_sgpr_kernarg_preload_length 0
		.amdhsa_user_sgpr_kernarg_preload_offset 0
		.amdhsa_user_sgpr_private_segment_size 0
		.amdhsa_uses_dynamic_stack 0
		.amdhsa_enable_private_segment 0
		.amdhsa_system_sgpr_workgroup_id_x 1
		.amdhsa_system_sgpr_workgroup_id_y 0
		.amdhsa_system_sgpr_workgroup_id_z 1
		.amdhsa_system_sgpr_workgroup_info 0
		.amdhsa_system_vgpr_workitem_id 1
		.amdhsa_next_free_vgpr 252
		.amdhsa_next_free_sgpr 82
		.amdhsa_accum_offset 252
		.amdhsa_reserve_vcc 1
		.amdhsa_float_round_mode_32 0
		.amdhsa_float_round_mode_16_64 0
		.amdhsa_float_denorm_mode_32 3
		.amdhsa_float_denorm_mode_16_64 3
		.amdhsa_dx10_clamp 1
		.amdhsa_ieee_mode 1
		.amdhsa_fp16_overflow 0
		.amdhsa_tg_split 0
		.amdhsa_exception_fp_ieee_invalid_op 0
		.amdhsa_exception_fp_denorm_src 0
		.amdhsa_exception_fp_ieee_div_zero 0
		.amdhsa_exception_fp_ieee_overflow 0
		.amdhsa_exception_fp_ieee_underflow 0
		.amdhsa_exception_fp_ieee_inexact 0
		.amdhsa_exception_int_div_zero 0
	.end_amdhsa_kernel
	.section	.text._ZN12_GLOBAL__N_120geam_min_plus_kernelIdddLi4ELi64ELi128ELi128ELi4ELi64ELi4ELi64ELi4ELc78ELc84ELb0ELb1ELb0EdKPKdKPdEEviiiT16_PT17_ilS8_ilS6_S8_ilPT18_ili26rocblas_geam_ex_operation_,"axG",@progbits,_ZN12_GLOBAL__N_120geam_min_plus_kernelIdddLi4ELi64ELi128ELi128ELi4ELi64ELi4ELi64ELi4ELc78ELc84ELb0ELb1ELb0EdKPKdKPdEEviiiT16_PT17_ilS8_ilS6_S8_ilPT18_ili26rocblas_geam_ex_operation_,comdat
.Lfunc_end146:
	.size	_ZN12_GLOBAL__N_120geam_min_plus_kernelIdddLi4ELi64ELi128ELi128ELi4ELi64ELi4ELi64ELi4ELc78ELc84ELb0ELb1ELb0EdKPKdKPdEEviiiT16_PT17_ilS8_ilS6_S8_ilPT18_ili26rocblas_geam_ex_operation_, .Lfunc_end146-_ZN12_GLOBAL__N_120geam_min_plus_kernelIdddLi4ELi64ELi128ELi128ELi4ELi64ELi4ELi64ELi4ELc78ELc84ELb0ELb1ELb0EdKPKdKPdEEviiiT16_PT17_ilS8_ilS6_S8_ilPT18_ili26rocblas_geam_ex_operation_
                                        ; -- End function
	.section	.AMDGPU.csdata,"",@progbits
; Kernel info:
; codeLenInByte = 14704
; NumSgprs: 88
; NumVgprs: 252
; NumAgprs: 0
; TotalNumVgprs: 252
; ScratchSize: 0
; MemoryBound: 0
; FloatMode: 240
; IeeeMode: 1
; LDSByteSize: 16384 bytes/workgroup (compile time only)
; SGPRBlocks: 10
; VGPRBlocks: 31
; NumSGPRsForWavesPerEU: 88
; NumVGPRsForWavesPerEU: 252
; AccumOffset: 252
; Occupancy: 2
; WaveLimiterHint : 1
; COMPUTE_PGM_RSRC2:SCRATCH_EN: 0
; COMPUTE_PGM_RSRC2:USER_SGPR: 2
; COMPUTE_PGM_RSRC2:TRAP_HANDLER: 0
; COMPUTE_PGM_RSRC2:TGID_X_EN: 1
; COMPUTE_PGM_RSRC2:TGID_Y_EN: 0
; COMPUTE_PGM_RSRC2:TGID_Z_EN: 1
; COMPUTE_PGM_RSRC2:TIDIG_COMP_CNT: 1
; COMPUTE_PGM_RSRC3_GFX90A:ACCUM_OFFSET: 62
; COMPUTE_PGM_RSRC3_GFX90A:TG_SPLIT: 0
	.section	.text._ZN12_GLOBAL__N_120geam_min_plus_kernelIdddLi4ELi64ELi128ELi128ELi4ELi4ELi64ELi64ELi4ELc84ELc84ELb0ELb0ELb0EPKdKS2_KPdEEviiiT16_PT17_ilS8_ilS6_S8_ilPT18_ili26rocblas_geam_ex_operation_,"axG",@progbits,_ZN12_GLOBAL__N_120geam_min_plus_kernelIdddLi4ELi64ELi128ELi128ELi4ELi4ELi64ELi64ELi4ELc84ELc84ELb0ELb0ELb0EPKdKS2_KPdEEviiiT16_PT17_ilS8_ilS6_S8_ilPT18_ili26rocblas_geam_ex_operation_,comdat
	.globl	_ZN12_GLOBAL__N_120geam_min_plus_kernelIdddLi4ELi64ELi128ELi128ELi4ELi4ELi64ELi64ELi4ELc84ELc84ELb0ELb0ELb0EPKdKS2_KPdEEviiiT16_PT17_ilS8_ilS6_S8_ilPT18_ili26rocblas_geam_ex_operation_ ; -- Begin function _ZN12_GLOBAL__N_120geam_min_plus_kernelIdddLi4ELi64ELi128ELi128ELi4ELi4ELi64ELi64ELi4ELc84ELc84ELb0ELb0ELb0EPKdKS2_KPdEEviiiT16_PT17_ilS8_ilS6_S8_ilPT18_ili26rocblas_geam_ex_operation_
	.p2align	8
	.type	_ZN12_GLOBAL__N_120geam_min_plus_kernelIdddLi4ELi64ELi128ELi128ELi4ELi4ELi64ELi64ELi4ELc84ELc84ELb0ELb0ELb0EPKdKS2_KPdEEviiiT16_PT17_ilS8_ilS6_S8_ilPT18_ili26rocblas_geam_ex_operation_,@function
_ZN12_GLOBAL__N_120geam_min_plus_kernelIdddLi4ELi64ELi128ELi128ELi4ELi4ELi64ELi64ELi4ELc84ELc84ELb0ELb0ELb0EPKdKS2_KPdEEviiiT16_PT17_ilS8_ilS6_S8_ilPT18_ili26rocblas_geam_ex_operation_: ; @_ZN12_GLOBAL__N_120geam_min_plus_kernelIdddLi4ELi64ELi128ELi128ELi4ELi4ELi64ELi64ELi4ELc84ELc84ELb0ELb0ELb0EPKdKS2_KPdEEviiiT16_PT17_ilS8_ilS6_S8_ilPT18_ili26rocblas_geam_ex_operation_
; %bb.0:
	s_load_dwordx4 s[12:15], s[0:1], 0x10
	s_load_dwordx4 s[4:7], s[0:1], 0x28
	s_mov_b32 s8, s3
	s_mov_b32 s9, 0
	s_lshl_b64 s[22:23], s[8:9], 3
	s_waitcnt lgkmcnt(0)
	s_add_u32 s12, s12, s22
	s_load_dwordx4 s[8:11], s[0:1], 0x40
	s_addc_u32 s13, s13, s23
	s_load_dwordx2 s[16:17], s[12:13], 0x0
	s_load_dwordx2 s[24:25], s[0:1], 0x50
	s_mov_b64 s[20:21], 0
	s_mov_b64 s[18:19], 0
	s_waitcnt lgkmcnt(0)
	s_add_u32 s10, s10, s22
	v_cmp_eq_f64_e64 s[12:13], s[16:17], 0
	s_addc_u32 s11, s11, s23
	v_cmp_neq_f64_e64 s[26:27], s[16:17], 0
	s_and_b64 vcc, exec, s[12:13]
	s_cbranch_vccnz .LBB147_2
; %bb.1:
	s_add_u32 s12, s14, s22
	s_addc_u32 s13, s15, s23
	s_load_dwordx2 s[12:13], s[12:13], 0x0
	s_lshl_b64 s[4:5], s[4:5], 3
	s_waitcnt lgkmcnt(0)
	s_add_u32 s18, s12, s4
	s_addc_u32 s19, s13, s5
.LBB147_2:
	s_load_dwordx2 s[12:13], s[10:11], 0x0
	v_cndmask_b32_e64 v1, 0, 1, s[26:27]
	v_cmp_ne_u32_e64 s[4:5], 1, v1
	s_andn2_b64 vcc, exec, s[26:27]
	s_cbranch_vccnz .LBB147_4
; %bb.3:
	s_add_u32 s6, s6, s22
	s_addc_u32 s7, s7, s23
	s_load_dwordx2 s[6:7], s[6:7], 0x0
	s_lshl_b64 s[8:9], s[8:9], 3
	s_waitcnt lgkmcnt(0)
	s_add_u32 s20, s6, s8
	s_addc_u32 s21, s7, s9
.LBB147_4:
	s_load_dwordx4 s[8:11], s[0:1], 0x60
	s_waitcnt lgkmcnt(0)
	v_cmp_eq_f64_e64 s[6:7], s[12:13], 0
	s_and_b64 s[6:7], exec, s[6:7]
	s_mov_b64 s[14:15], 0
	s_mov_b64 vcc, s[6:7]
	s_cbranch_vccnz .LBB147_6
; %bb.5:
	s_add_u32 s14, s24, s22
	s_addc_u32 s15, s25, s23
	s_load_dwordx2 s[14:15], s[14:15], 0x0
	s_lshl_b64 s[8:9], s[8:9], 3
	s_waitcnt lgkmcnt(0)
	s_add_u32 s14, s14, s8
	s_addc_u32 s15, s15, s9
.LBB147_6:
	s_load_dword s3, s[0:1], 0x0
	s_load_dword s24, s[0:1], 0x20
	s_add_u32 s8, s10, s22
	s_addc_u32 s9, s11, s23
	v_and_b32_e32 v144, 0x3ff, v0
	s_waitcnt lgkmcnt(0)
	s_add_i32 s3, s3, -1
	s_ashr_i32 s10, s3, 31
	s_lshr_b32 s10, s10, 25
	s_add_i32 s3, s3, s10
	s_ashr_i32 s3, s3, 7
	s_add_i32 s10, s3, 1
	v_cvt_f32_u32_e32 v1, s10
	v_bfe_u32 v145, v0, 10, 10
	s_not_b32 s3, s3
	s_load_dwordx2 s[8:9], s[8:9], 0x0
	v_rcp_iflag_f32_e32 v1, v1
	v_lshl_add_u32 v6, v145, 2, v144
	v_lshrrev_b32_e32 v10, 2, v6
	v_and_b32_e32 v146, 3, v144
	v_mul_f32_e32 v0, 0x4f7ffffe, v1
	v_cvt_u32_f32_e32 v0, v0
	s_nop 0
	v_readfirstlane_b32 s11, v0
	s_mul_i32 s3, s3, s11
	s_mul_hi_u32 s3, s11, s3
	s_add_i32 s11, s11, s3
	s_mul_hi_u32 s3, s2, s11
	s_mul_i32 s11, s3, s10
	s_sub_i32 s11, s2, s11
	s_add_i32 s22, s3, 1
	s_sub_i32 s23, s11, s10
	s_cmp_ge_u32 s11, s10
	s_cselect_b32 s3, s22, s3
	s_cselect_b32 s11, s23, s11
	s_add_i32 s22, s3, 1
	s_cmp_ge_u32 s11, s10
	s_cselect_b32 s3, s22, s3
	s_mul_i32 s10, s3, s10
	s_sub_i32 s2, s2, s10
	s_lshl_b32 s10, s2, 7
	v_add_u32_e32 v139, s10, v10
	s_and_b64 vcc, exec, s[4:5]
	v_lshlrev_b32_e32 v0, 3, v146
	v_add_u32_e32 v138, 64, v139
	s_cbranch_vccnz .LBB147_8
; %bb.7:
	v_mov_b32_e32 v1, 0
	v_lshl_add_u64 v[2:3], s[18:19], 0, v[0:1]
	v_mad_i64_i32 v[4:5], s[22:23], v139, s24, 0
	v_lshl_add_u64 v[4:5], v[4:5], 3, v[2:3]
	v_mad_i64_i32 v[8:9], s[22:23], v138, s24, 0
	v_lshl_add_u64 v[2:3], v[8:9], 3, v[2:3]
	flat_load_dwordx2 v[8:9], v[4:5]
	flat_load_dwordx2 v[12:13], v[2:3]
	s_waitcnt vmcnt(0) lgkmcnt(0)
	v_mul_f64 v[2:3], s[16:17], v[8:9]
	v_mul_f64 v[4:5], s[16:17], v[12:13]
	s_branch .LBB147_9
.LBB147_8:
	v_mov_b64_e32 v[2:3], 0
	v_mov_b64_e32 v[4:5], 0
.LBB147_9:
	s_load_dword s22, s[0:1], 0x38
	v_and_b32_e32 v11, 63, v6
	s_lshl_b32 s11, s3, 7
	v_or_b32_e32 v132, s11, v11
	v_lshrrev_b32_e32 v147, 6, v6
	s_and_b64 vcc, exec, s[4:5]
	s_waitcnt lgkmcnt(0)
	s_ashr_i32 s23, s22, 31
	v_ashrrev_i32_e32 v133, 31, v132
	s_cbranch_vccnz .LBB147_13
; %bb.10:
	v_mad_i64_i32 v[6:7], s[2:3], s22, v147, 0
	v_lshl_add_u64 v[6:7], v[6:7], 3, s[20:21]
	v_lshl_add_u64 v[6:7], v[132:133], 3, v[6:7]
	flat_load_dwordx2 v[8:9], v[6:7]
	flat_load_dwordx2 v[12:13], v[6:7] offset:512
	s_waitcnt vmcnt(0) lgkmcnt(0)
	v_mul_f64 v[6:7], s[16:17], v[8:9]
	v_mul_f64 v[8:9], s[16:17], v[12:13]
	s_and_b64 vcc, exec, s[4:5]
	s_cbranch_vccnz .LBB147_14
.LBB147_11:
	v_mov_b32_e32 v1, 0
	v_lshl_add_u64 v[12:13], s[18:19], 0, v[0:1]
	v_mad_i64_i32 v[14:15], s[2:3], v139, s24, 0
	v_lshl_add_u64 v[14:15], v[14:15], 3, v[12:13]
	v_mad_i64_i32 v[16:17], s[2:3], v138, s24, 0
	v_lshl_add_u64 v[12:13], v[16:17], 3, v[12:13]
	flat_load_dwordx2 v[16:17], v[14:15] offset:32
	flat_load_dwordx2 v[18:19], v[12:13] offset:32
	s_waitcnt vmcnt(0) lgkmcnt(0)
	v_mul_f64 v[128:129], s[16:17], v[16:17]
	v_mul_f64 v[130:131], s[16:17], v[18:19]
	s_and_b64 vcc, exec, s[4:5]
	v_add_u32_e32 v148, 4, v147
	s_cbranch_vccnz .LBB147_15
.LBB147_12:
	v_mad_i64_i32 v[12:13], s[2:3], s22, v148, 0
	v_lshl_add_u64 v[12:13], v[12:13], 3, s[20:21]
	v_lshl_add_u64 v[12:13], v[132:133], 3, v[12:13]
	flat_load_dwordx2 v[14:15], v[12:13]
	flat_load_dwordx2 v[16:17], v[12:13] offset:512
	s_waitcnt vmcnt(0) lgkmcnt(0)
	v_mul_f64 v[134:135], s[16:17], v[14:15]
	v_mul_f64 v[136:137], s[16:17], v[16:17]
	s_branch .LBB147_16
.LBB147_13:
	v_mov_b64_e32 v[6:7], 0
	v_mov_b64_e32 v[8:9], 0
	s_and_b64 vcc, exec, s[4:5]
	s_cbranch_vccz .LBB147_11
.LBB147_14:
	v_mov_b64_e32 v[128:129], 0
	v_mov_b64_e32 v[130:131], 0
	s_and_b64 vcc, exec, s[4:5]
	v_add_u32_e32 v148, 4, v147
	s_cbranch_vccz .LBB147_12
.LBB147_15:
	v_mov_b64_e32 v[134:135], 0
	v_mov_b64_e32 v[136:137], 0
.LBB147_16:
	v_lshl_or_b32 v149, v10, 5, v0
	v_lshlrev_b32_e32 v0, 5, v11
	v_lshl_add_u32 v141, v147, 3, v0
	v_lshlrev_b32_e32 v140, 5, v145
	ds_write2st64_b64 v149, v[2:3], v[4:5] offset1:4
	v_or_b32_e32 v150, 0x2000, v141
	ds_write2st64_b64 v141, v[6:7], v[8:9] offset0:16 offset1:20
	v_lshlrev_b32_e32 v151, 5, v144
	v_add_u32_e32 v152, 0x2000, v140
	s_mov_b32 s2, 0
	v_mov_b64_e32 v[126:127], 0
	v_mov_b64_e32 v[124:125], 0
	;; [unrolled: 1-line block ×64, first 2 shown]
	s_waitcnt lgkmcnt(0)
	s_barrier
.LBB147_17:                             ; =>This Inner Loop Header: Depth=1
	v_add_u32_e32 v142, s2, v151
	v_add_u32_e32 v143, s2, v152
	ds_read2_b64 v[154:157], v142 offset1:16
	ds_read2_b64 v[158:161], v142 offset0:32 offset1:48
	ds_read2_b64 v[162:165], v142 offset0:64 offset1:80
	;; [unrolled: 1-line block ×7, first 2 shown]
	ds_read2st64_b64 v[186:189], v143 offset1:4
	v_add_u32_e32 v142, 0x800, v142
	ds_read2_b64 v[190:193], v142 offset1:16
	ds_read2_b64 v[194:197], v142 offset0:32 offset1:48
	ds_read2_b64 v[198:201], v142 offset0:64 offset1:80
	;; [unrolled: 1-line block ×7, first 2 shown]
	s_waitcnt lgkmcnt(14)
	v_max_f64 v[142:143], v[154:155], v[154:155]
	v_max_f64 v[154:155], v[156:157], v[156:157]
	;; [unrolled: 1-line block ×6, first 2 shown]
	s_waitcnt lgkmcnt(13)
	v_max_f64 v[164:165], v[166:167], v[166:167]
	v_max_f64 v[166:167], v[168:169], v[168:169]
	s_waitcnt lgkmcnt(12)
	v_max_f64 v[168:169], v[170:171], v[170:171]
	v_max_f64 v[170:171], v[172:173], v[172:173]
	;; [unrolled: 3-line block ×14, first 2 shown]
	v_min_f64 v[220:221], v[142:143], v[184:185]
	v_min_f64 v[222:223], v[154:155], v[184:185]
	;; [unrolled: 1-line block ×32, first 2 shown]
	s_add_i32 s2, s2, 8
	v_add_f64 v[62:63], v[142:143], v[62:63]
	v_add_f64 v[60:61], v[154:155], v[60:61]
	;; [unrolled: 1-line block ×16, first 2 shown]
	v_min_f64 v[142:143], v[188:189], v[184:185]
	v_min_f64 v[154:155], v[190:191], v[184:185]
	v_min_f64 v[156:157], v[192:193], v[184:185]
	v_min_f64 v[158:159], v[194:195], v[184:185]
	v_min_f64 v[160:161], v[196:197], v[184:185]
	v_min_f64 v[162:163], v[198:199], v[184:185]
	v_min_f64 v[164:165], v[200:201], v[184:185]
	v_min_f64 v[166:167], v[202:203], v[184:185]
	v_min_f64 v[168:169], v[204:205], v[184:185]
	v_min_f64 v[170:171], v[206:207], v[184:185]
	v_min_f64 v[172:173], v[208:209], v[184:185]
	v_min_f64 v[174:175], v[210:211], v[184:185]
	v_min_f64 v[176:177], v[212:213], v[184:185]
	v_min_f64 v[178:179], v[214:215], v[184:185]
	v_min_f64 v[180:181], v[216:217], v[184:185]
	v_min_f64 v[182:183], v[218:219], v[184:185]
	v_min_f64 v[184:185], v[188:189], v[186:187]
	v_min_f64 v[188:189], v[190:191], v[186:187]
	v_min_f64 v[190:191], v[192:193], v[186:187]
	v_min_f64 v[192:193], v[194:195], v[186:187]
	v_min_f64 v[194:195], v[196:197], v[186:187]
	v_min_f64 v[196:197], v[198:199], v[186:187]
	v_min_f64 v[198:199], v[200:201], v[186:187]
	v_min_f64 v[200:201], v[202:203], v[186:187]
	v_min_f64 v[202:203], v[204:205], v[186:187]
	v_min_f64 v[204:205], v[206:207], v[186:187]
	v_min_f64 v[206:207], v[208:209], v[186:187]
	v_min_f64 v[208:209], v[210:211], v[186:187]
	v_min_f64 v[210:211], v[212:213], v[186:187]
	v_min_f64 v[212:213], v[214:215], v[186:187]
	v_min_f64 v[214:215], v[216:217], v[186:187]
	v_min_f64 v[186:187], v[218:219], v[186:187]
	s_cmp_eq_u32 s2, 32
	v_add_f64 v[126:127], v[220:221], v[126:127]
	v_add_f64 v[124:125], v[222:223], v[124:125]
	;; [unrolled: 1-line block ×48, first 2 shown]
	s_cbranch_scc0 .LBB147_17
; %bb.18:
	s_load_dword s25, s[0:1], 0x8
	ds_write2st64_b64 v149, v[128:129], v[130:131] offset0:8 offset1:12
	ds_write2st64_b64 v141, v[134:135], v[136:137] offset0:24 offset1:28
	s_waitcnt lgkmcnt(0)
	s_barrier
	s_cmp_gt_i32 s25, 8
	s_cbranch_scc1 .LBB147_20
; %bb.19:
	v_add_u32_e32 v153, 0x1000, v151
	v_add_u32_e32 v154, 0x3000, v140
	s_cbranch_execz .LBB147_21
	s_branch .LBB147_37
.LBB147_20:
                                        ; implicit-def: $vgpr153
                                        ; implicit-def: $vgpr154
.LBB147_21:
	v_add_u32_e32 v155, 0x1000, v149
	v_or_b32_e32 v156, 0x3000, v141
	s_add_i32 s2, s25, -8
	v_mad_i64_i32 v[128:129], s[26:27], v139, s24, 0
	v_mad_i64_i32 v[130:131], s[24:25], v138, s24, 0
	v_lshl_add_u64 v[132:133], v[132:133], 3, s[20:21]
	v_add_u32_e32 v153, 0x1000, v151
	v_add_u32_e32 v154, 0x3000, v140
	s_mov_b32 s3, 8
	s_mov_b32 s20, 0
	v_mov_b32_e32 v135, 0
.LBB147_22:                             ; =>This Loop Header: Depth=1
                                        ;     Child Loop BB147_28 Depth 2
                                        ;     Child Loop BB147_35 Depth 2
	s_and_b64 vcc, exec, s[4:5]
	s_cbranch_vccnz .LBB147_25
; %bb.23:                               ;   in Loop: Header=BB147_22 Depth=1
	v_or_b32_e32 v134, s3, v146
	v_lshl_add_u64 v[136:137], v[134:135], 3, s[18:19]
	v_lshl_add_u64 v[138:139], v[128:129], 3, v[136:137]
	;; [unrolled: 1-line block ×3, first 2 shown]
	flat_load_dwordx2 v[138:139], v[138:139]
	s_nop 0
	flat_load_dwordx2 v[140:141], v[136:137]
	s_waitcnt vmcnt(0) lgkmcnt(0)
	v_mul_f64 v[136:137], s[16:17], v[138:139]
	v_mul_f64 v[138:139], s[16:17], v[140:141]
	s_and_b64 vcc, exec, s[4:5]
	s_cbranch_vccnz .LBB147_26
.LBB147_24:                             ;   in Loop: Header=BB147_22 Depth=1
	v_add_u32_e32 v142, s3, v147
	v_mad_u64_u32 v[140:141], s[24:25], v142, s22, 0
	v_mov_b32_e32 v134, v141
	v_mad_u64_u32 v[142:143], s[24:25], v142, s23, v[134:135]
	v_mov_b32_e32 v141, v142
	v_lshl_add_u64 v[140:141], v[140:141], 3, v[132:133]
	flat_load_dwordx2 v[142:143], v[140:141]
	flat_load_dwordx2 v[158:159], v[140:141] offset:512
	s_waitcnt vmcnt(0) lgkmcnt(0)
	v_mul_f64 v[140:141], s[16:17], v[142:143]
	v_mul_f64 v[142:143], s[16:17], v[158:159]
	s_branch .LBB147_27
.LBB147_25:                             ;   in Loop: Header=BB147_22 Depth=1
	v_mov_b64_e32 v[136:137], 0
	v_mov_b64_e32 v[138:139], 0
	s_and_b64 vcc, exec, s[4:5]
	s_cbranch_vccz .LBB147_24
.LBB147_26:                             ;   in Loop: Header=BB147_22 Depth=1
	v_mov_b64_e32 v[140:141], 0
	v_mov_b64_e32 v[142:143], 0
.LBB147_27:                             ;   in Loop: Header=BB147_22 Depth=1
	s_mov_b32 s21, 0
.LBB147_28:                             ;   Parent Loop BB147_22 Depth=1
                                        ; =>  This Inner Loop Header: Depth=2
	v_add_u32_e32 v134, s21, v153
	ds_read2_b64 v[158:161], v134 offset1:16
	ds_read2_b64 v[162:165], v134 offset0:32 offset1:48
	ds_read2_b64 v[166:169], v134 offset0:64 offset1:80
	;; [unrolled: 1-line block ×7, first 2 shown]
	v_add_u32_e32 v134, 0x800, v134
	ds_read2_b64 v[190:193], v134 offset1:16
	ds_read2_b64 v[194:197], v134 offset0:32 offset1:48
	ds_read2_b64 v[198:201], v134 offset0:64 offset1:80
	;; [unrolled: 1-line block ×7, first 2 shown]
	v_add_u32_e32 v134, s21, v154
	ds_read2st64_b64 v[222:225], v134 offset1:4
	s_waitcnt lgkmcnt(14)
	v_max_f64 v[158:159], v[158:159], v[158:159]
	v_max_f64 v[160:161], v[160:161], v[160:161]
	;; [unrolled: 1-line block ×4, first 2 shown]
	s_waitcnt lgkmcnt(0)
	v_max_f64 v[222:223], v[222:223], v[222:223]
	v_min_f64 v[226:227], v[158:159], v[222:223]
	v_add_f64 v[126:127], v[226:227], v[126:127]
	v_min_f64 v[226:227], v[160:161], v[222:223]
	v_add_f64 v[124:125], v[226:227], v[124:125]
	;; [unrolled: 2-line block ×3, first 2 shown]
	v_min_f64 v[226:227], v[164:165], v[222:223]
	v_max_f64 v[166:167], v[166:167], v[166:167]
	v_add_f64 v[120:121], v[226:227], v[120:121]
	v_min_f64 v[226:227], v[166:167], v[222:223]
	v_max_f64 v[168:169], v[168:169], v[168:169]
	v_add_f64 v[118:119], v[226:227], v[118:119]
	;; [unrolled: 3-line block ×26, first 2 shown]
	v_min_f64 v[226:227], v[216:217], v[222:223]
	v_max_f64 v[218:219], v[218:219], v[218:219]
	v_max_f64 v[220:221], v[220:221], v[220:221]
	v_add_f64 v[68:69], v[226:227], v[68:69]
	v_min_f64 v[226:227], v[218:219], v[222:223]
	v_min_f64 v[222:223], v[220:221], v[222:223]
	v_add_f64 v[64:65], v[222:223], v[64:65]
	v_max_f64 v[222:223], v[224:225], v[224:225]
	v_min_f64 v[158:159], v[158:159], v[222:223]
	v_add_f64 v[62:63], v[158:159], v[62:63]
	v_min_f64 v[158:159], v[160:161], v[222:223]
	v_add_f64 v[60:61], v[158:159], v[60:61]
	;; [unrolled: 2-line block ×31, first 2 shown]
	v_min_f64 v[158:159], v[220:221], v[222:223]
	s_add_i32 s21, s21, 8
	v_add_f64 v[66:67], v[226:227], v[66:67]
	v_add_f64 v[0:1], v[158:159], v[0:1]
	s_cmp_eq_u32 s21, 32
	s_cbranch_scc0 .LBB147_28
; %bb.29:                               ;   in Loop: Header=BB147_22 Depth=1
	s_and_b64 vcc, exec, s[4:5]
	ds_write2st64_b64 v149, v[136:137], v[138:139] offset1:4
	ds_write2st64_b64 v150, v[140:141], v[142:143] offset1:4
	s_waitcnt lgkmcnt(0)
	s_barrier
	s_cbranch_vccnz .LBB147_32
; %bb.30:                               ;   in Loop: Header=BB147_22 Depth=1
	v_or_b32_e32 v134, s3, v146
	v_lshl_add_u64 v[136:137], v[134:135], 3, s[18:19]
	v_lshl_add_u64 v[138:139], v[128:129], 3, v[136:137]
	;; [unrolled: 1-line block ×3, first 2 shown]
	flat_load_dwordx2 v[138:139], v[138:139] offset:32
	s_nop 0
	flat_load_dwordx2 v[140:141], v[136:137] offset:32
	s_waitcnt vmcnt(0) lgkmcnt(0)
	v_mul_f64 v[136:137], s[16:17], v[138:139]
	v_mul_f64 v[138:139], s[16:17], v[140:141]
	s_and_b64 vcc, exec, s[4:5]
	s_cbranch_vccnz .LBB147_33
.LBB147_31:                             ;   in Loop: Header=BB147_22 Depth=1
	v_add_u32_e32 v142, s3, v148
	v_mad_u64_u32 v[140:141], s[24:25], v142, s22, 0
	v_mov_b32_e32 v134, v141
	v_mad_u64_u32 v[142:143], s[24:25], v142, s23, v[134:135]
	v_mov_b32_e32 v141, v142
	v_lshl_add_u64 v[140:141], v[140:141], 3, v[132:133]
	flat_load_dwordx2 v[142:143], v[140:141]
	flat_load_dwordx2 v[158:159], v[140:141] offset:512
	s_waitcnt vmcnt(0) lgkmcnt(0)
	v_mul_f64 v[140:141], s[16:17], v[142:143]
	v_mul_f64 v[142:143], s[16:17], v[158:159]
	s_branch .LBB147_34
.LBB147_32:                             ;   in Loop: Header=BB147_22 Depth=1
	v_mov_b64_e32 v[136:137], 0
	v_mov_b64_e32 v[138:139], 0
	s_and_b64 vcc, exec, s[4:5]
	s_cbranch_vccz .LBB147_31
.LBB147_33:                             ;   in Loop: Header=BB147_22 Depth=1
	v_mov_b64_e32 v[140:141], 0
	v_mov_b64_e32 v[142:143], 0
.LBB147_34:                             ;   in Loop: Header=BB147_22 Depth=1
	s_mov_b32 s21, 0
.LBB147_35:                             ;   Parent Loop BB147_22 Depth=1
                                        ; =>  This Inner Loop Header: Depth=2
	v_add_u32_e32 v134, s21, v151
	ds_read2_b64 v[158:161], v134 offset1:16
	ds_read2_b64 v[162:165], v134 offset0:32 offset1:48
	ds_read2_b64 v[166:169], v134 offset0:64 offset1:80
	;; [unrolled: 1-line block ×7, first 2 shown]
	v_add_u32_e32 v134, 0x800, v134
	ds_read2_b64 v[190:193], v134 offset1:16
	ds_read2_b64 v[194:197], v134 offset0:32 offset1:48
	ds_read2_b64 v[198:201], v134 offset0:64 offset1:80
	;; [unrolled: 1-line block ×7, first 2 shown]
	v_add_u32_e32 v134, s21, v152
	ds_read2st64_b64 v[222:225], v134 offset1:4
	s_waitcnt lgkmcnt(14)
	v_max_f64 v[158:159], v[158:159], v[158:159]
	v_max_f64 v[160:161], v[160:161], v[160:161]
	;; [unrolled: 1-line block ×4, first 2 shown]
	s_waitcnt lgkmcnt(0)
	v_max_f64 v[222:223], v[222:223], v[222:223]
	v_min_f64 v[226:227], v[158:159], v[222:223]
	v_add_f64 v[126:127], v[226:227], v[126:127]
	v_min_f64 v[226:227], v[160:161], v[222:223]
	v_add_f64 v[124:125], v[226:227], v[124:125]
	;; [unrolled: 2-line block ×3, first 2 shown]
	v_min_f64 v[226:227], v[164:165], v[222:223]
	v_max_f64 v[166:167], v[166:167], v[166:167]
	v_add_f64 v[120:121], v[226:227], v[120:121]
	v_min_f64 v[226:227], v[166:167], v[222:223]
	v_max_f64 v[168:169], v[168:169], v[168:169]
	v_add_f64 v[118:119], v[226:227], v[118:119]
	;; [unrolled: 3-line block ×26, first 2 shown]
	v_min_f64 v[226:227], v[216:217], v[222:223]
	v_max_f64 v[218:219], v[218:219], v[218:219]
	v_max_f64 v[220:221], v[220:221], v[220:221]
	v_add_f64 v[68:69], v[226:227], v[68:69]
	v_min_f64 v[226:227], v[218:219], v[222:223]
	v_min_f64 v[222:223], v[220:221], v[222:223]
	v_add_f64 v[64:65], v[222:223], v[64:65]
	v_max_f64 v[222:223], v[224:225], v[224:225]
	v_min_f64 v[158:159], v[158:159], v[222:223]
	v_add_f64 v[62:63], v[158:159], v[62:63]
	v_min_f64 v[158:159], v[160:161], v[222:223]
	v_add_f64 v[60:61], v[158:159], v[60:61]
	;; [unrolled: 2-line block ×31, first 2 shown]
	v_min_f64 v[158:159], v[220:221], v[222:223]
	s_add_i32 s21, s21, 8
	v_add_f64 v[66:67], v[226:227], v[66:67]
	v_add_f64 v[0:1], v[158:159], v[0:1]
	s_cmp_eq_u32 s21, 32
	s_cbranch_scc0 .LBB147_35
; %bb.36:                               ;   in Loop: Header=BB147_22 Depth=1
	s_add_i32 s3, s3, 8
	s_add_i32 s20, s20, 8
	s_cmp_ge_i32 s20, s2
	ds_write2st64_b64 v155, v[136:137], v[138:139] offset1:4
	ds_write2st64_b64 v156, v[140:141], v[142:143] offset1:4
	s_waitcnt lgkmcnt(0)
	s_barrier
	s_cbranch_scc0 .LBB147_22
.LBB147_37:
	s_mov_b32 s2, 0
.LBB147_38:                             ; =>This Inner Loop Header: Depth=1
	v_add_u32_e32 v150, s2, v153
	v_add_u32_e32 v151, s2, v154
	ds_read2_b64 v[128:131], v150 offset1:16
	ds_read2_b64 v[132:135], v150 offset0:32 offset1:48
	ds_read2_b64 v[136:139], v150 offset0:64 offset1:80
	;; [unrolled: 1-line block ×7, first 2 shown]
	v_add_u32_e32 v150, 0x800, v150
	ds_read2st64_b64 v[168:171], v151 offset1:4
	ds_read2_b64 v[172:175], v150 offset1:16
	ds_read2_b64 v[176:179], v150 offset0:32 offset1:48
	ds_read2_b64 v[180:183], v150 offset0:64 offset1:80
	;; [unrolled: 1-line block ×7, first 2 shown]
	s_waitcnt lgkmcnt(14)
	v_max_f64 v[128:129], v[128:129], v[128:129]
	v_max_f64 v[130:131], v[130:131], v[130:131]
	;; [unrolled: 1-line block ×3, first 2 shown]
	s_waitcnt lgkmcnt(8)
	v_max_f64 v[150:151], v[168:169], v[168:169]
	v_max_f64 v[134:135], v[134:135], v[134:135]
	;; [unrolled: 1-line block ×15, first 2 shown]
	v_min_f64 v[170:171], v[128:129], v[150:151]
	v_min_f64 v[204:205], v[130:131], v[150:151]
	;; [unrolled: 1-line block ×16, first 2 shown]
	s_waitcnt lgkmcnt(7)
	v_max_f64 v[172:173], v[172:173], v[172:173]
	v_max_f64 v[174:175], v[174:175], v[174:175]
	s_waitcnt lgkmcnt(6)
	v_max_f64 v[176:177], v[176:177], v[176:177]
	v_max_f64 v[178:179], v[178:179], v[178:179]
	;; [unrolled: 3-line block ×8, first 2 shown]
	v_min_f64 v[128:129], v[128:129], v[168:169]
	v_min_f64 v[130:131], v[130:131], v[168:169]
	;; [unrolled: 1-line block ×16, first 2 shown]
	s_add_i32 s2, s2, 8
	v_add_f64 v[126:127], v[170:171], v[126:127]
	v_add_f64 v[124:125], v[204:205], v[124:125]
	v_add_f64 v[122:123], v[206:207], v[122:123]
	v_add_f64 v[120:121], v[208:209], v[120:121]
	v_add_f64 v[118:119], v[210:211], v[118:119]
	v_add_f64 v[116:117], v[212:213], v[116:117]
	v_add_f64 v[114:115], v[214:215], v[114:115]
	v_add_f64 v[112:113], v[216:217], v[112:113]
	v_add_f64 v[110:111], v[218:219], v[110:111]
	v_add_f64 v[108:109], v[220:221], v[108:109]
	v_add_f64 v[106:107], v[222:223], v[106:107]
	v_add_f64 v[104:105], v[224:225], v[104:105]
	v_add_f64 v[102:103], v[226:227], v[102:103]
	v_add_f64 v[100:101], v[228:229], v[100:101]
	v_add_f64 v[98:99], v[230:231], v[98:99]
	v_min_f64 v[170:171], v[172:173], v[150:151]
	v_min_f64 v[204:205], v[174:175], v[150:151]
	;; [unrolled: 1-line block ×16, first 2 shown]
	v_add_f64 v[62:63], v[128:129], v[62:63]
	v_add_f64 v[60:61], v[130:131], v[60:61]
	;; [unrolled: 1-line block ×16, first 2 shown]
	v_min_f64 v[128:129], v[172:173], v[168:169]
	v_min_f64 v[130:131], v[174:175], v[168:169]
	v_min_f64 v[132:133], v[176:177], v[168:169]
	v_min_f64 v[134:135], v[178:179], v[168:169]
	v_min_f64 v[136:137], v[180:181], v[168:169]
	v_min_f64 v[138:139], v[182:183], v[168:169]
	v_min_f64 v[140:141], v[184:185], v[168:169]
	v_min_f64 v[142:143], v[186:187], v[168:169]
	v_min_f64 v[146:147], v[188:189], v[168:169]
	v_min_f64 v[148:149], v[190:191], v[168:169]
	v_min_f64 v[156:157], v[192:193], v[168:169]
	v_min_f64 v[158:159], v[194:195], v[168:169]
	v_min_f64 v[160:161], v[196:197], v[168:169]
	v_min_f64 v[162:163], v[198:199], v[168:169]
	v_min_f64 v[164:165], v[200:201], v[168:169]
	v_min_f64 v[166:167], v[202:203], v[168:169]
	s_cmp_eq_u32 s2, 32
	v_add_f64 v[96:97], v[232:233], v[96:97]
	v_add_f64 v[94:95], v[170:171], v[94:95]
	;; [unrolled: 1-line block ×33, first 2 shown]
	s_cbranch_scc0 .LBB147_38
; %bb.39:
	s_load_dwordx2 s[2:3], s[0:1], 0x78
	s_load_dword s4, s[0:1], 0x58
	s_load_dword s5, s[0:1], 0x70
	v_add_u32_e32 v130, s10, v144
	v_add_u32_e32 v170, s11, v145
	s_waitcnt lgkmcnt(0)
	s_lshl_b64 s[0:1], s[2:3], 3
	s_add_u32 s0, s8, s0
	s_addc_u32 s1, s9, s1
	v_add_u32_e32 v128, 4, v130
	v_mad_i64_i32 v[132:133], s[2:3], v170, s5, 0
	v_ashrrev_i32_e32 v131, 31, v130
	v_ashrrev_i32_e32 v129, 31, v128
	v_lshl_add_u64 v[138:139], v[132:133], 3, s[0:1]
	v_mad_i64_i32 v[132:133], s[2:3], v170, s4, 0
	s_mov_b64 vcc, s[6:7]
	s_cbranch_vccz .LBB147_42
; %bb.40:
	v_add_f64 v[134:135], v[126:127], 0
	v_lshl_add_u64 v[136:137], v[130:131], 3, v[138:139]
	s_mov_b64 s[2:3], 0
	global_store_dwordx2 v[136:137], v[134:135], off
	v_lshl_add_u64 v[146:147], v[132:133], 3, s[14:15]
	v_lshlrev_b64 v[134:135], 3, v[130:131]
	s_cbranch_execz .LBB147_43
; %bb.41:
	v_mov_b64_e32 v[136:137], s[2:3]
	s_branch .LBB147_44
.LBB147_42:
	s_mov_b64 s[2:3], -1
	v_lshl_add_u64 v[146:147], v[132:133], 3, s[14:15]
	v_lshlrev_b64 v[134:135], 3, v[130:131]
.LBB147_43:
	v_lshl_add_u64 v[132:133], v[146:147], 0, v[134:135]
	flat_load_dwordx2 v[132:133], v[132:133]
	v_lshl_add_u64 v[136:137], v[138:139], 0, v[134:135]
	s_waitcnt vmcnt(0) lgkmcnt(0)
	v_fmac_f64_e32 v[126:127], s[12:13], v[132:133]
	global_store_dwordx2 v[136:137], v[126:127], off
	v_lshl_add_u64 v[126:127], v[128:129], 3, v[146:147]
	flat_load_dwordx2 v[126:127], v[126:127]
	s_waitcnt vmcnt(0) lgkmcnt(0)
	v_mul_f64 v[136:137], s[12:13], v[126:127]
.LBB147_44:
	v_add_u32_e32 v132, 8, v130
	v_add_u32_e32 v126, 12, v130
	v_ashrrev_i32_e32 v133, 31, v132
	v_ashrrev_i32_e32 v127, 31, v126
	v_add_f64 v[124:125], v[124:125], v[136:137]
	v_lshl_add_u64 v[136:137], v[128:129], 3, v[138:139]
	s_mov_b64 vcc, s[6:7]
	global_store_dwordx2 v[136:137], v[124:125], off
	s_cbranch_vccz .LBB147_47
; %bb.45:
	v_add_f64 v[124:125], v[122:123], 0
	v_lshl_add_u64 v[136:137], v[132:133], 3, v[138:139]
	s_mov_b64 s[2:3], 0
	global_store_dwordx2 v[136:137], v[124:125], off
	v_lshlrev_b64 v[136:137], 3, v[132:133]
	s_cbranch_execz .LBB147_48
; %bb.46:
	v_mov_b64_e32 v[140:141], s[2:3]
	s_branch .LBB147_49
.LBB147_47:
	s_mov_b64 s[2:3], -1
	v_lshlrev_b64 v[136:137], 3, v[132:133]
.LBB147_48:
	v_lshl_add_u64 v[124:125], v[146:147], 0, v[136:137]
	flat_load_dwordx2 v[124:125], v[124:125]
	v_lshl_add_u64 v[140:141], v[138:139], 0, v[136:137]
	s_waitcnt vmcnt(0) lgkmcnt(0)
	v_fmac_f64_e32 v[122:123], s[12:13], v[124:125]
	global_store_dwordx2 v[140:141], v[122:123], off
	v_lshl_add_u64 v[122:123], v[126:127], 3, v[146:147]
	flat_load_dwordx2 v[122:123], v[122:123]
	s_waitcnt vmcnt(0) lgkmcnt(0)
	v_mul_f64 v[140:141], s[12:13], v[122:123]
.LBB147_49:
	v_add_u32_e32 v124, 16, v130
	v_add_u32_e32 v122, 20, v130
	v_ashrrev_i32_e32 v125, 31, v124
	v_ashrrev_i32_e32 v123, 31, v122
	v_add_f64 v[120:121], v[120:121], v[140:141]
	v_lshl_add_u64 v[140:141], v[126:127], 3, v[138:139]
	s_mov_b64 vcc, s[6:7]
	global_store_dwordx2 v[140:141], v[120:121], off
	s_cbranch_vccz .LBB147_52
; %bb.50:
	v_add_f64 v[120:121], v[118:119], 0
	v_lshl_add_u64 v[140:141], v[124:125], 3, v[138:139]
	s_mov_b64 s[2:3], 0
	global_store_dwordx2 v[140:141], v[120:121], off
	v_lshlrev_b64 v[140:141], 3, v[124:125]
	s_cbranch_execz .LBB147_53
; %bb.51:
	v_mov_b64_e32 v[142:143], s[2:3]
	s_branch .LBB147_54
.LBB147_52:
	s_mov_b64 s[2:3], -1
	v_lshlrev_b64 v[140:141], 3, v[124:125]
.LBB147_53:
	v_lshl_add_u64 v[120:121], v[146:147], 0, v[140:141]
	flat_load_dwordx2 v[120:121], v[120:121]
	v_lshl_add_u64 v[142:143], v[138:139], 0, v[140:141]
	s_waitcnt vmcnt(0) lgkmcnt(0)
	v_fmac_f64_e32 v[118:119], s[12:13], v[120:121]
	global_store_dwordx2 v[142:143], v[118:119], off
	v_lshl_add_u64 v[118:119], v[122:123], 3, v[146:147]
	flat_load_dwordx2 v[118:119], v[118:119]
	s_waitcnt vmcnt(0) lgkmcnt(0)
	v_mul_f64 v[142:143], s[12:13], v[118:119]
.LBB147_54:
	;; [unrolled: 34-line block ×15, first 2 shown]
	v_add_f64 v[64:65], v[64:65], v[66:67]
	v_lshl_add_u64 v[66:67], v[70:71], 3, v[138:139]
	global_store_dwordx2 v[66:67], v[64:65], off
	v_add_u32_e32 v66, 64, v170
	v_mad_i64_i32 v[64:65], s[2:3], v66, s5, 0
	v_lshl_add_u64 v[64:65], v[64:65], 3, s[0:1]
	v_mad_i64_i32 v[66:67], s[0:1], v66, s4, 0
	s_mov_b64 vcc, s[6:7]
	s_cbranch_vccz .LBB147_122
; %bb.120:
	v_add_f64 v[138:139], v[62:63], 0
	v_lshl_add_u64 v[130:131], v[130:131], 3, v[64:65]
	s_mov_b64 s[0:1], 0
	global_store_dwordx2 v[130:131], v[138:139], off
	v_lshl_add_u64 v[66:67], v[66:67], 3, s[14:15]
	s_cbranch_execz .LBB147_123
; %bb.121:
	v_mov_b64_e32 v[62:63], s[0:1]
	s_branch .LBB147_124
.LBB147_122:
	s_mov_b64 s[0:1], -1
	v_lshl_add_u64 v[66:67], v[66:67], 3, s[14:15]
.LBB147_123:
	v_lshl_add_u64 v[130:131], v[66:67], 0, v[134:135]
	flat_load_dwordx2 v[130:131], v[130:131]
	v_lshl_add_u64 v[134:135], v[64:65], 0, v[134:135]
	s_waitcnt vmcnt(0) lgkmcnt(0)
	v_fmac_f64_e32 v[62:63], s[12:13], v[130:131]
	global_store_dwordx2 v[134:135], v[62:63], off
	v_lshl_add_u64 v[62:63], v[128:129], 3, v[66:67]
	flat_load_dwordx2 v[62:63], v[62:63]
	s_waitcnt vmcnt(0) lgkmcnt(0)
	v_mul_f64 v[62:63], s[12:13], v[62:63]
.LBB147_124:
	v_add_f64 v[60:61], v[60:61], v[62:63]
	v_lshl_add_u64 v[62:63], v[128:129], 3, v[64:65]
	s_mov_b64 vcc, s[6:7]
	global_store_dwordx2 v[62:63], v[60:61], off
	s_cbranch_vccz .LBB147_127
; %bb.125:
	v_add_f64 v[60:61], v[58:59], 0
	v_lshl_add_u64 v[62:63], v[132:133], 3, v[64:65]
	s_mov_b64 s[0:1], 0
	global_store_dwordx2 v[62:63], v[60:61], off
	s_cbranch_execz .LBB147_128
; %bb.126:
	v_mov_b64_e32 v[58:59], s[0:1]
	s_branch .LBB147_129
.LBB147_127:
	s_mov_b64 s[0:1], -1
.LBB147_128:
	v_lshl_add_u64 v[60:61], v[66:67], 0, v[136:137]
	flat_load_dwordx2 v[60:61], v[60:61]
	v_lshl_add_u64 v[62:63], v[64:65], 0, v[136:137]
	s_waitcnt vmcnt(0) lgkmcnt(0)
	v_fmac_f64_e32 v[58:59], s[12:13], v[60:61]
	global_store_dwordx2 v[62:63], v[58:59], off
	v_lshl_add_u64 v[58:59], v[126:127], 3, v[66:67]
	flat_load_dwordx2 v[58:59], v[58:59]
	s_waitcnt vmcnt(0) lgkmcnt(0)
	v_mul_f64 v[58:59], s[12:13], v[58:59]
.LBB147_129:
	v_add_f64 v[56:57], v[56:57], v[58:59]
	v_lshl_add_u64 v[58:59], v[126:127], 3, v[64:65]
	s_mov_b64 vcc, s[6:7]
	global_store_dwordx2 v[58:59], v[56:57], off
	s_cbranch_vccz .LBB147_132
; %bb.130:
	v_add_f64 v[56:57], v[54:55], 0
	v_lshl_add_u64 v[58:59], v[124:125], 3, v[64:65]
	s_mov_b64 s[0:1], 0
	global_store_dwordx2 v[58:59], v[56:57], off
	s_cbranch_execz .LBB147_133
; %bb.131:
	v_mov_b64_e32 v[54:55], s[0:1]
	s_branch .LBB147_134
.LBB147_132:
	s_mov_b64 s[0:1], -1
.LBB147_133:
	v_lshl_add_u64 v[56:57], v[66:67], 0, v[140:141]
	flat_load_dwordx2 v[56:57], v[56:57]
	v_lshl_add_u64 v[58:59], v[64:65], 0, v[140:141]
	s_waitcnt vmcnt(0) lgkmcnt(0)
	v_fmac_f64_e32 v[54:55], s[12:13], v[56:57]
	global_store_dwordx2 v[58:59], v[54:55], off
	v_lshl_add_u64 v[54:55], v[122:123], 3, v[66:67]
	flat_load_dwordx2 v[54:55], v[54:55]
	s_waitcnt vmcnt(0) lgkmcnt(0)
	v_mul_f64 v[54:55], s[12:13], v[54:55]
.LBB147_134:
	;; [unrolled: 28-line block ×14, first 2 shown]
	v_add_f64 v[4:5], v[4:5], v[6:7]
	v_lshl_add_u64 v[6:7], v[74:75], 3, v[64:65]
	s_mov_b64 vcc, s[6:7]
	global_store_dwordx2 v[6:7], v[4:5], off
	s_cbranch_vccz .LBB147_197
; %bb.195:
	v_add_f64 v[4:5], v[2:3], 0
	v_lshl_add_u64 v[6:7], v[72:73], 3, v[64:65]
	s_mov_b64 s[0:1], 0
	global_store_dwordx2 v[6:7], v[4:5], off
	s_cbranch_execz .LBB147_198
; %bb.196:
	v_mov_b64_e32 v[2:3], s[0:1]
	v_add_f64 v[0:1], v[0:1], v[2:3]
	v_lshl_add_u64 v[2:3], v[70:71], 3, v[64:65]
	global_store_dwordx2 v[2:3], v[0:1], off
	s_endpgm
.LBB147_197:
	s_mov_b64 s[0:1], -1
.LBB147_198:
	v_lshl_add_u64 v[4:5], v[66:67], 0, v[68:69]
	flat_load_dwordx2 v[4:5], v[4:5]
	v_lshl_add_u64 v[6:7], v[64:65], 0, v[68:69]
	s_waitcnt vmcnt(0) lgkmcnt(0)
	v_fmac_f64_e32 v[2:3], s[12:13], v[4:5]
	global_store_dwordx2 v[6:7], v[2:3], off
	v_lshl_add_u64 v[2:3], v[70:71], 3, v[66:67]
	flat_load_dwordx2 v[2:3], v[2:3]
	s_waitcnt vmcnt(0) lgkmcnt(0)
	v_mul_f64 v[2:3], s[12:13], v[2:3]
	v_add_f64 v[0:1], v[0:1], v[2:3]
	v_lshl_add_u64 v[2:3], v[70:71], 3, v[64:65]
	global_store_dwordx2 v[2:3], v[0:1], off
	s_endpgm
	.section	.rodata,"a",@progbits
	.p2align	6, 0x0
	.amdhsa_kernel _ZN12_GLOBAL__N_120geam_min_plus_kernelIdddLi4ELi64ELi128ELi128ELi4ELi4ELi64ELi64ELi4ELc84ELc84ELb0ELb0ELb0EPKdKS2_KPdEEviiiT16_PT17_ilS8_ilS6_S8_ilPT18_ili26rocblas_geam_ex_operation_
		.amdhsa_group_segment_fixed_size 16384
		.amdhsa_private_segment_fixed_size 0
		.amdhsa_kernarg_size 136
		.amdhsa_user_sgpr_count 2
		.amdhsa_user_sgpr_dispatch_ptr 0
		.amdhsa_user_sgpr_queue_ptr 0
		.amdhsa_user_sgpr_kernarg_segment_ptr 1
		.amdhsa_user_sgpr_dispatch_id 0
		.amdhsa_user_sgpr_kernarg_preload_length 0
		.amdhsa_user_sgpr_kernarg_preload_offset 0
		.amdhsa_user_sgpr_private_segment_size 0
		.amdhsa_uses_dynamic_stack 0
		.amdhsa_enable_private_segment 0
		.amdhsa_system_sgpr_workgroup_id_x 1
		.amdhsa_system_sgpr_workgroup_id_y 0
		.amdhsa_system_sgpr_workgroup_id_z 1
		.amdhsa_system_sgpr_workgroup_info 0
		.amdhsa_system_vgpr_workitem_id 1
		.amdhsa_next_free_vgpr 252
		.amdhsa_next_free_sgpr 28
		.amdhsa_accum_offset 252
		.amdhsa_reserve_vcc 1
		.amdhsa_float_round_mode_32 0
		.amdhsa_float_round_mode_16_64 0
		.amdhsa_float_denorm_mode_32 3
		.amdhsa_float_denorm_mode_16_64 3
		.amdhsa_dx10_clamp 1
		.amdhsa_ieee_mode 1
		.amdhsa_fp16_overflow 0
		.amdhsa_tg_split 0
		.amdhsa_exception_fp_ieee_invalid_op 0
		.amdhsa_exception_fp_denorm_src 0
		.amdhsa_exception_fp_ieee_div_zero 0
		.amdhsa_exception_fp_ieee_overflow 0
		.amdhsa_exception_fp_ieee_underflow 0
		.amdhsa_exception_fp_ieee_inexact 0
		.amdhsa_exception_int_div_zero 0
	.end_amdhsa_kernel
	.section	.text._ZN12_GLOBAL__N_120geam_min_plus_kernelIdddLi4ELi64ELi128ELi128ELi4ELi4ELi64ELi64ELi4ELc84ELc84ELb0ELb0ELb0EPKdKS2_KPdEEviiiT16_PT17_ilS8_ilS6_S8_ilPT18_ili26rocblas_geam_ex_operation_,"axG",@progbits,_ZN12_GLOBAL__N_120geam_min_plus_kernelIdddLi4ELi64ELi128ELi128ELi4ELi4ELi64ELi64ELi4ELc84ELc84ELb0ELb0ELb0EPKdKS2_KPdEEviiiT16_PT17_ilS8_ilS6_S8_ilPT18_ili26rocblas_geam_ex_operation_,comdat
.Lfunc_end147:
	.size	_ZN12_GLOBAL__N_120geam_min_plus_kernelIdddLi4ELi64ELi128ELi128ELi4ELi4ELi64ELi64ELi4ELc84ELc84ELb0ELb0ELb0EPKdKS2_KPdEEviiiT16_PT17_ilS8_ilS6_S8_ilPT18_ili26rocblas_geam_ex_operation_, .Lfunc_end147-_ZN12_GLOBAL__N_120geam_min_plus_kernelIdddLi4ELi64ELi128ELi128ELi4ELi4ELi64ELi64ELi4ELc84ELc84ELb0ELb0ELb0EPKdKS2_KPdEEviiiT16_PT17_ilS8_ilS6_S8_ilPT18_ili26rocblas_geam_ex_operation_
                                        ; -- End function
	.section	.AMDGPU.csdata,"",@progbits
; Kernel info:
; codeLenInByte = 13088
; NumSgprs: 34
; NumVgprs: 252
; NumAgprs: 0
; TotalNumVgprs: 252
; ScratchSize: 0
; MemoryBound: 0
; FloatMode: 240
; IeeeMode: 1
; LDSByteSize: 16384 bytes/workgroup (compile time only)
; SGPRBlocks: 4
; VGPRBlocks: 31
; NumSGPRsForWavesPerEU: 34
; NumVGPRsForWavesPerEU: 252
; AccumOffset: 252
; Occupancy: 2
; WaveLimiterHint : 1
; COMPUTE_PGM_RSRC2:SCRATCH_EN: 0
; COMPUTE_PGM_RSRC2:USER_SGPR: 2
; COMPUTE_PGM_RSRC2:TRAP_HANDLER: 0
; COMPUTE_PGM_RSRC2:TGID_X_EN: 1
; COMPUTE_PGM_RSRC2:TGID_Y_EN: 0
; COMPUTE_PGM_RSRC2:TGID_Z_EN: 1
; COMPUTE_PGM_RSRC2:TIDIG_COMP_CNT: 1
; COMPUTE_PGM_RSRC3_GFX90A:ACCUM_OFFSET: 62
; COMPUTE_PGM_RSRC3_GFX90A:TG_SPLIT: 0
	.section	.text._ZN12_GLOBAL__N_120geam_min_plus_kernelIdddLi4ELi64ELi128ELi128ELi4ELi4ELi64ELi64ELi4ELc84ELc84ELb1ELb0ELb0EdKPKdKPdEEviiiT16_PT17_ilS8_ilS6_S8_ilPT18_ili26rocblas_geam_ex_operation_,"axG",@progbits,_ZN12_GLOBAL__N_120geam_min_plus_kernelIdddLi4ELi64ELi128ELi128ELi4ELi4ELi64ELi64ELi4ELc84ELc84ELb1ELb0ELb0EdKPKdKPdEEviiiT16_PT17_ilS8_ilS6_S8_ilPT18_ili26rocblas_geam_ex_operation_,comdat
	.globl	_ZN12_GLOBAL__N_120geam_min_plus_kernelIdddLi4ELi64ELi128ELi128ELi4ELi4ELi64ELi64ELi4ELc84ELc84ELb1ELb0ELb0EdKPKdKPdEEviiiT16_PT17_ilS8_ilS6_S8_ilPT18_ili26rocblas_geam_ex_operation_ ; -- Begin function _ZN12_GLOBAL__N_120geam_min_plus_kernelIdddLi4ELi64ELi128ELi128ELi4ELi4ELi64ELi64ELi4ELc84ELc84ELb1ELb0ELb0EdKPKdKPdEEviiiT16_PT17_ilS8_ilS6_S8_ilPT18_ili26rocblas_geam_ex_operation_
	.p2align	8
	.type	_ZN12_GLOBAL__N_120geam_min_plus_kernelIdddLi4ELi64ELi128ELi128ELi4ELi4ELi64ELi64ELi4ELc84ELc84ELb1ELb0ELb0EdKPKdKPdEEviiiT16_PT17_ilS8_ilS6_S8_ilPT18_ili26rocblas_geam_ex_operation_,@function
_ZN12_GLOBAL__N_120geam_min_plus_kernelIdddLi4ELi64ELi128ELi128ELi4ELi4ELi64ELi64ELi4ELc84ELc84ELb1ELb0ELb0EdKPKdKPdEEviiiT16_PT17_ilS8_ilS6_S8_ilPT18_ili26rocblas_geam_ex_operation_: ; @_ZN12_GLOBAL__N_120geam_min_plus_kernelIdddLi4ELi64ELi128ELi128ELi4ELi4ELi64ELi64ELi4ELc84ELc84ELb1ELb0ELb0EdKPKdKPdEEviiiT16_PT17_ilS8_ilS6_S8_ilPT18_ili26rocblas_geam_ex_operation_
; %bb.0:
	s_load_dwordx4 s[4:7], s[0:1], 0x10
	s_load_dwordx4 s[8:11], s[0:1], 0x28
	s_mov_b32 s18, s3
	s_mov_b64 s[14:15], 0
	s_waitcnt lgkmcnt(0)
	v_cmp_eq_f64_e64 s[12:13], s[4:5], 0
	s_and_b64 vcc, exec, s[12:13]
	s_cbranch_vccnz .LBB148_2
; %bb.1:
	s_mov_b32 s19, 0
	s_lshl_b64 s[4:5], s[18:19], 3
	s_add_u32 s4, s6, s4
	s_addc_u32 s5, s7, s5
	s_load_dwordx2 s[4:5], s[4:5], 0x0
	s_lshl_b64 s[6:7], s[8:9], 3
	s_waitcnt lgkmcnt(0)
	s_add_u32 s14, s4, s6
	s_addc_u32 s15, s5, s7
.LBB148_2:
	s_load_dwordx4 s[4:7], s[0:1], 0x40
	s_load_dwordx2 s[20:21], s[0:1], 0x50
	s_andn2_b64 vcc, exec, s[12:13]
	s_cbranch_vccnz .LBB148_4
; %bb.3:
	s_mov_b32 s19, 0
	s_mov_b64 s[16:17], 0
	s_cbranch_execz .LBB148_5
	s_branch .LBB148_6
.LBB148_4:
                                        ; implicit-def: $sgpr16_sgpr17
.LBB148_5:
	s_mov_b32 s19, 0
	s_lshl_b64 s[8:9], s[18:19], 3
	s_add_u32 s8, s10, s8
	s_addc_u32 s9, s11, s9
	s_load_dwordx2 s[8:9], s[8:9], 0x0
	s_waitcnt lgkmcnt(0)
	s_lshl_b64 s[4:5], s[4:5], 3
	s_add_u32 s16, s8, s4
	s_addc_u32 s17, s9, s5
.LBB148_6:
	s_load_dwordx4 s[8:11], s[0:1], 0x60
	s_waitcnt lgkmcnt(0)
	v_cmp_eq_f64_e64 s[4:5], s[6:7], 0
	s_and_b64 s[4:5], exec, s[4:5]
	s_mov_b64 s[12:13], 0
	s_mov_b64 vcc, s[4:5]
	s_cbranch_vccnz .LBB148_8
; %bb.7:
	s_lshl_b64 s[12:13], s[18:19], 3
	s_add_u32 s12, s20, s12
	s_addc_u32 s13, s21, s13
	s_load_dwordx2 s[12:13], s[12:13], 0x0
	s_lshl_b64 s[8:9], s[8:9], 3
	s_waitcnt lgkmcnt(0)
	s_add_u32 s12, s12, s8
	s_addc_u32 s13, s13, s9
.LBB148_8:
	s_load_dword s20, s[0:1], 0x38
	s_load_dword s3, s[0:1], 0x0
	;; [unrolled: 1-line block ×3, first 2 shown]
	s_lshl_b64 s[8:9], s[18:19], 3
	v_and_b32_e32 v148, 0x3ff, v0
	s_waitcnt lgkmcnt(0)
	s_ashr_i32 s18, s20, 31
	s_add_u32 s8, s10, s8
	s_addc_u32 s9, s11, s9
	s_add_i32 s3, s3, -1
	s_ashr_i32 s10, s3, 31
	s_lshr_b32 s10, s10, 25
	s_add_i32 s3, s3, s10
	s_ashr_i32 s3, s3, 7
	s_add_i32 s10, s3, 1
	v_cvt_f32_u32_e32 v1, s10
	s_not_b32 s3, s3
	v_bfe_u32 v149, v0, 10, 10
	v_lshl_add_u32 v0, v149, 2, v148
	v_rcp_iflag_f32_e32 v1, v1
	v_and_b32_e32 v150, 3, v148
	v_lshrrev_b32_e32 v18, 2, v0
	v_and_b32_e32 v19, 63, v0
	v_mul_f32_e32 v1, 0x4f7ffffe, v1
	v_cvt_u32_f32_e32 v1, v1
	v_lshrrev_b32_e32 v151, 6, v0
	v_lshlrev_b32_e32 v0, 3, v150
	v_add_u32_e32 v152, 4, v151
	v_readfirstlane_b32 s11, v1
	s_mul_i32 s3, s3, s11
	s_mul_hi_u32 s3, s11, s3
	s_add_i32 s11, s11, s3
	s_mul_hi_u32 s3, s2, s11
	s_mul_i32 s11, s3, s10
	s_sub_i32 s11, s2, s11
	s_add_i32 s19, s3, 1
	s_sub_i32 s22, s11, s10
	s_cmp_ge_u32 s11, s10
	s_cselect_b32 s3, s19, s3
	s_cselect_b32 s11, s22, s11
	s_add_i32 s19, s3, 1
	s_cmp_ge_u32 s11, s10
	s_cselect_b32 s3, s19, s3
	s_mul_i32 s10, s3, s10
	s_sub_i32 s2, s2, s10
	s_lshl_b32 s10, s2, 7
	s_lshl_b32 s11, s3, 7
	v_add_u32_e32 v8, s10, v18
	v_mov_b32_e32 v1, 0
	v_or_b32_e32 v132, s11, v19
	v_lshl_add_u64 v[2:3], s[14:15], 0, v[0:1]
	v_mad_i64_i32 v[128:129], s[2:3], v8, s21, 0
	v_add_u32_e32 v1, 64, v8
	v_mad_i64_i32 v[8:9], s[2:3], s20, v151, 0
	v_ashrrev_i32_e32 v133, 31, v132
	v_lshl_add_u64 v[8:9], v[8:9], 3, s[16:17]
	v_lshlrev_b64 v[10:11], 3, v[132:133]
	v_lshl_add_u64 v[4:5], v[128:129], 3, v[2:3]
	v_mad_i64_i32 v[130:131], s[2:3], v1, s21, 0
	v_lshl_add_u64 v[8:9], v[8:9], 0, v[10:11]
	flat_load_dwordx2 v[6:7], v[4:5]
	v_lshl_add_u64 v[2:3], v[130:131], 3, v[2:3]
	flat_load_dwordx2 v[12:13], v[8:9]
	flat_load_dwordx2 v[14:15], v[8:9] offset:512
	flat_load_dwordx2 v[16:17], v[2:3]
	v_mad_i64_i32 v[8:9], s[2:3], s20, v152, 0
	v_lshl_add_u64 v[8:9], v[8:9], 3, s[16:17]
	v_lshl_add_u64 v[8:9], v[8:9], 0, v[10:11]
	flat_load_dwordx2 v[134:135], v[8:9]
	flat_load_dwordx2 v[136:137], v[8:9] offset:512
	flat_load_dwordx2 v[138:139], v[2:3] offset:32
	;; [unrolled: 1-line block ×3, first 2 shown]
	s_load_dwordx2 s[2:3], s[8:9], 0x0
	v_lshl_or_b32 v155, v18, 5, v0
	v_lshlrev_b32_e32 v0, 5, v19
	v_lshlrev_b32_e32 v142, 5, v149
	v_lshl_add_u32 v143, v151, 3, v0
	s_mov_b32 s19, 0
	v_mov_b64_e32 v[126:127], 0
	v_mov_b64_e32 v[124:125], 0
	;; [unrolled: 1-line block ×38, first 2 shown]
	v_lshlrev_b32_e32 v153, 5, v148
	v_add_u32_e32 v154, 0x2000, v142
	v_or_b32_e32 v156, 0x2000, v143
	v_mov_b64_e32 v[50:51], 0
	v_mov_b64_e32 v[48:49], 0
	;; [unrolled: 1-line block ×9, first 2 shown]
	s_waitcnt vmcnt(0) lgkmcnt(0)
	ds_write2st64_b64 v143, v[12:13], v[14:15] offset0:16 offset1:20
	ds_write2st64_b64 v155, v[6:7], v[16:17] offset1:4
	v_mov_b64_e32 v[32:33], 0
	v_mov_b64_e32 v[30:31], 0
	;; [unrolled: 1-line block ×17, first 2 shown]
	s_waitcnt lgkmcnt(0)
	s_barrier
.LBB148_9:                              ; =>This Inner Loop Header: Depth=1
	v_add_u32_e32 v157, s19, v153
	v_add_u32_e32 v186, s19, v154
	ds_read2_b64 v[144:147], v157 offset1:16
	ds_read2_b64 v[158:161], v157 offset0:32 offset1:48
	ds_read2_b64 v[162:165], v157 offset0:64 offset1:80
	;; [unrolled: 1-line block ×7, first 2 shown]
	ds_read2st64_b64 v[186:189], v186 offset1:4
	v_add_u32_e32 v157, 0x800, v157
	ds_read2_b64 v[190:193], v157 offset1:16
	ds_read2_b64 v[194:197], v157 offset0:32 offset1:48
	ds_read2_b64 v[198:201], v157 offset0:64 offset1:80
	;; [unrolled: 1-line block ×7, first 2 shown]
	s_waitcnt lgkmcnt(14)
	v_max_f64 v[144:145], v[144:145], v[144:145]
	v_max_f64 v[146:147], v[146:147], v[146:147]
	;; [unrolled: 1-line block ×6, first 2 shown]
	s_waitcnt lgkmcnt(13)
	v_max_f64 v[166:167], v[166:167], v[166:167]
	v_max_f64 v[168:169], v[168:169], v[168:169]
	s_waitcnt lgkmcnt(12)
	v_max_f64 v[170:171], v[170:171], v[170:171]
	v_max_f64 v[172:173], v[172:173], v[172:173]
	s_waitcnt lgkmcnt(11)
	v_max_f64 v[174:175], v[174:175], v[174:175]
	v_max_f64 v[176:177], v[176:177], v[176:177]
	s_waitcnt lgkmcnt(10)
	v_max_f64 v[178:179], v[178:179], v[178:179]
	v_max_f64 v[180:181], v[180:181], v[180:181]
	s_waitcnt lgkmcnt(9)
	v_max_f64 v[182:183], v[182:183], v[182:183]
	v_max_f64 v[184:185], v[184:185], v[184:185]
	s_waitcnt lgkmcnt(8)
	v_max_f64 v[186:187], v[186:187], v[186:187]
	v_max_f64 v[188:189], v[188:189], v[188:189]
	s_waitcnt lgkmcnt(7)
	v_max_f64 v[190:191], v[190:191], v[190:191]
	v_max_f64 v[192:193], v[192:193], v[192:193]
	s_waitcnt lgkmcnt(6)
	v_max_f64 v[194:195], v[194:195], v[194:195]
	v_max_f64 v[196:197], v[196:197], v[196:197]
	s_waitcnt lgkmcnt(5)
	v_max_f64 v[198:199], v[198:199], v[198:199]
	v_max_f64 v[200:201], v[200:201], v[200:201]
	s_waitcnt lgkmcnt(4)
	v_max_f64 v[202:203], v[202:203], v[202:203]
	v_max_f64 v[204:205], v[204:205], v[204:205]
	s_waitcnt lgkmcnt(3)
	v_max_f64 v[206:207], v[206:207], v[206:207]
	v_max_f64 v[208:209], v[208:209], v[208:209]
	s_waitcnt lgkmcnt(2)
	v_max_f64 v[210:211], v[210:211], v[210:211]
	v_max_f64 v[212:213], v[212:213], v[212:213]
	s_waitcnt lgkmcnt(1)
	v_max_f64 v[214:215], v[214:215], v[214:215]
	v_max_f64 v[216:217], v[216:217], v[216:217]
	s_waitcnt lgkmcnt(0)
	v_max_f64 v[218:219], v[218:219], v[218:219]
	v_max_f64 v[220:221], v[220:221], v[220:221]
	v_min_f64 v[222:223], v[144:145], v[186:187]
	v_min_f64 v[224:225], v[146:147], v[186:187]
	;; [unrolled: 1-line block ×32, first 2 shown]
	s_add_i32 s19, s19, 8
	v_add_f64 v[62:63], v[144:145], v[62:63]
	v_add_f64 v[60:61], v[146:147], v[60:61]
	v_add_f64 v[58:59], v[158:159], v[58:59]
	v_add_f64 v[56:57], v[160:161], v[56:57]
	v_add_f64 v[54:55], v[162:163], v[54:55]
	v_add_f64 v[52:53], v[164:165], v[52:53]
	v_add_f64 v[50:51], v[166:167], v[50:51]
	v_add_f64 v[48:49], v[168:169], v[48:49]
	v_add_f64 v[46:47], v[170:171], v[46:47]
	v_add_f64 v[44:45], v[172:173], v[44:45]
	v_add_f64 v[42:43], v[174:175], v[42:43]
	v_add_f64 v[40:41], v[176:177], v[40:41]
	v_add_f64 v[38:39], v[178:179], v[38:39]
	v_add_f64 v[36:37], v[180:181], v[36:37]
	v_add_f64 v[34:35], v[182:183], v[34:35]
	v_add_f64 v[32:33], v[184:185], v[32:33]
	v_min_f64 v[144:145], v[190:191], v[186:187]
	v_min_f64 v[146:147], v[192:193], v[186:187]
	;; [unrolled: 1-line block ×32, first 2 shown]
	s_cmp_eq_u32 s19, 32
	v_add_f64 v[126:127], v[222:223], v[126:127]
	v_add_f64 v[124:125], v[224:225], v[124:125]
	;; [unrolled: 1-line block ×48, first 2 shown]
	s_cbranch_scc0 .LBB148_9
; %bb.10:
	s_load_dword s19, s[0:1], 0x8
	ds_write2st64_b64 v155, v[140:141], v[138:139] offset0:8 offset1:12
	ds_write2st64_b64 v143, v[134:135], v[136:137] offset0:24 offset1:28
	s_waitcnt lgkmcnt(0)
	s_barrier
	s_cmp_gt_i32 s19, 8
	s_cbranch_scc1 .LBB148_12
; %bb.11:
	v_add_u32_e32 v157, 0x1000, v153
	v_add_u32_e32 v158, 0x3000, v142
	s_cbranch_execz .LBB148_13
	s_branch .LBB148_19
.LBB148_12:
                                        ; implicit-def: $vgpr157
                                        ; implicit-def: $vgpr158
.LBB148_13:
	v_add_u32_e32 v159, 0x1000, v155
	v_or_b32_e32 v160, 0x3000, v143
	s_add_i32 s8, s19, -8
	v_lshl_add_u64 v[132:133], v[132:133], 3, s[16:17]
	v_add_u32_e32 v157, 0x1000, v153
	v_add_u32_e32 v158, 0x3000, v142
	s_mov_b32 s9, 8
	s_mov_b32 s16, 0
	v_mov_b32_e32 v135, 0
.LBB148_14:                             ; =>This Loop Header: Depth=1
                                        ;     Child Loop BB148_15 Depth 2
                                        ;     Child Loop BB148_17 Depth 2
	v_add_u32_e32 v146, s9, v151
	v_or_b32_e32 v134, s9, v150
	v_mad_u64_u32 v[144:145], s[22:23], v146, s20, 0
	v_lshl_add_u64 v[138:139], v[134:135], 3, s[14:15]
	v_mov_b32_e32 v134, v145
	v_mad_u64_u32 v[146:147], s[22:23], v146, s18, v[134:135]
	v_mov_b32_e32 v145, v146
	v_lshl_add_u64 v[136:137], v[128:129], 3, v[138:139]
	v_lshl_add_u64 v[146:147], v[144:145], 3, v[132:133]
	;; [unrolled: 1-line block ×3, first 2 shown]
	flat_load_dwordx2 v[140:141], v[136:137]
	flat_load_dwordx2 v[142:143], v[138:139]
	;; [unrolled: 1-line block ×3, first 2 shown]
	s_nop 0
	flat_load_dwordx2 v[146:147], v[146:147] offset:512
	s_mov_b32 s17, 0
.LBB148_15:                             ;   Parent Loop BB148_14 Depth=1
                                        ; =>  This Inner Loop Header: Depth=2
	v_add_u32_e32 v134, s17, v157
	ds_read2_b64 v[162:165], v134 offset1:16
	ds_read2_b64 v[166:169], v134 offset0:32 offset1:48
	ds_read2_b64 v[170:173], v134 offset0:64 offset1:80
	;; [unrolled: 1-line block ×7, first 2 shown]
	v_add_u32_e32 v134, 0x800, v134
	ds_read2_b64 v[194:197], v134 offset1:16
	ds_read2_b64 v[198:201], v134 offset0:32 offset1:48
	ds_read2_b64 v[202:205], v134 offset0:64 offset1:80
	;; [unrolled: 1-line block ×7, first 2 shown]
	v_add_u32_e32 v134, s17, v158
	ds_read2st64_b64 v[226:229], v134 offset1:4
	s_waitcnt lgkmcnt(0)
	v_max_f64 v[162:163], v[162:163], v[162:163]
	v_max_f64 v[164:165], v[164:165], v[164:165]
	v_max_f64 v[166:167], v[166:167], v[166:167]
	v_max_f64 v[168:169], v[168:169], v[168:169]
	v_max_f64 v[226:227], v[226:227], v[226:227]
	v_min_f64 v[230:231], v[162:163], v[226:227]
	v_add_f64 v[126:127], v[230:231], v[126:127]
	v_min_f64 v[230:231], v[164:165], v[226:227]
	v_add_f64 v[124:125], v[230:231], v[124:125]
	;; [unrolled: 2-line block ×3, first 2 shown]
	v_min_f64 v[230:231], v[168:169], v[226:227]
	v_max_f64 v[170:171], v[170:171], v[170:171]
	v_add_f64 v[120:121], v[230:231], v[120:121]
	v_min_f64 v[230:231], v[170:171], v[226:227]
	v_max_f64 v[172:173], v[172:173], v[172:173]
	v_add_f64 v[118:119], v[230:231], v[118:119]
	;; [unrolled: 3-line block ×26, first 2 shown]
	v_min_f64 v[230:231], v[220:221], v[226:227]
	v_max_f64 v[222:223], v[222:223], v[222:223]
	v_max_f64 v[224:225], v[224:225], v[224:225]
	v_add_f64 v[68:69], v[230:231], v[68:69]
	v_min_f64 v[230:231], v[222:223], v[226:227]
	v_min_f64 v[226:227], v[224:225], v[226:227]
	v_add_f64 v[64:65], v[226:227], v[64:65]
	v_max_f64 v[226:227], v[228:229], v[228:229]
	v_min_f64 v[162:163], v[162:163], v[226:227]
	v_add_f64 v[62:63], v[162:163], v[62:63]
	v_min_f64 v[162:163], v[164:165], v[226:227]
	v_add_f64 v[60:61], v[162:163], v[60:61]
	;; [unrolled: 2-line block ×31, first 2 shown]
	v_min_f64 v[162:163], v[224:225], v[226:227]
	s_add_i32 s17, s17, 8
	v_add_f64 v[66:67], v[230:231], v[66:67]
	v_add_f64 v[0:1], v[162:163], v[0:1]
	s_cmp_eq_u32 s17, 32
	s_cbranch_scc0 .LBB148_15
; %bb.16:                               ;   in Loop: Header=BB148_14 Depth=1
	s_waitcnt vmcnt(0)
	ds_write2st64_b64 v155, v[140:141], v[142:143] offset1:4
	ds_write2st64_b64 v156, v[144:145], v[146:147] offset1:4
	v_add_u32_e32 v142, s9, v152
	v_mad_u64_u32 v[140:141], s[22:23], v142, s20, 0
	v_mov_b32_e32 v134, v141
	v_mad_u64_u32 v[142:143], s[22:23], v142, s18, v[134:135]
	v_mov_b32_e32 v141, v142
	v_lshl_add_u64 v[142:143], v[140:141], 3, v[132:133]
	s_waitcnt lgkmcnt(0)
	s_barrier
	flat_load_dwordx2 v[136:137], v[136:137] offset:32
	s_nop 0
	flat_load_dwordx2 v[138:139], v[138:139] offset:32
	s_nop 0
	flat_load_dwordx2 v[140:141], v[142:143]
	s_nop 0
	flat_load_dwordx2 v[142:143], v[142:143] offset:512
	s_mov_b32 s17, 0
.LBB148_17:                             ;   Parent Loop BB148_14 Depth=1
                                        ; =>  This Inner Loop Header: Depth=2
	v_add_u32_e32 v134, s17, v153
	ds_read2_b64 v[144:147], v134 offset1:16
	ds_read2_b64 v[162:165], v134 offset0:32 offset1:48
	ds_read2_b64 v[166:169], v134 offset0:64 offset1:80
	;; [unrolled: 1-line block ×7, first 2 shown]
	v_add_u32_e32 v134, 0x800, v134
	ds_read2_b64 v[190:193], v134 offset1:16
	ds_read2_b64 v[194:197], v134 offset0:32 offset1:48
	ds_read2_b64 v[198:201], v134 offset0:64 offset1:80
	;; [unrolled: 1-line block ×7, first 2 shown]
	v_add_u32_e32 v134, s17, v154
	ds_read2st64_b64 v[222:225], v134 offset1:4
	s_waitcnt lgkmcnt(0)
	v_max_f64 v[144:145], v[144:145], v[144:145]
	v_max_f64 v[146:147], v[146:147], v[146:147]
	;; [unrolled: 1-line block ×5, first 2 shown]
	v_min_f64 v[226:227], v[144:145], v[222:223]
	v_add_f64 v[126:127], v[226:227], v[126:127]
	v_min_f64 v[226:227], v[146:147], v[222:223]
	v_add_f64 v[124:125], v[226:227], v[124:125]
	v_min_f64 v[226:227], v[162:163], v[222:223]
	v_add_f64 v[122:123], v[226:227], v[122:123]
	v_min_f64 v[226:227], v[164:165], v[222:223]
	v_max_f64 v[166:167], v[166:167], v[166:167]
	v_add_f64 v[120:121], v[226:227], v[120:121]
	v_min_f64 v[226:227], v[166:167], v[222:223]
	v_max_f64 v[168:169], v[168:169], v[168:169]
	v_add_f64 v[118:119], v[226:227], v[118:119]
	;; [unrolled: 3-line block ×26, first 2 shown]
	v_min_f64 v[226:227], v[216:217], v[222:223]
	v_max_f64 v[218:219], v[218:219], v[218:219]
	v_max_f64 v[220:221], v[220:221], v[220:221]
	v_add_f64 v[68:69], v[226:227], v[68:69]
	v_min_f64 v[226:227], v[218:219], v[222:223]
	v_min_f64 v[222:223], v[220:221], v[222:223]
	v_add_f64 v[64:65], v[222:223], v[64:65]
	v_max_f64 v[222:223], v[224:225], v[224:225]
	v_min_f64 v[144:145], v[144:145], v[222:223]
	v_add_f64 v[62:63], v[144:145], v[62:63]
	v_min_f64 v[144:145], v[146:147], v[222:223]
	v_add_f64 v[60:61], v[144:145], v[60:61]
	v_min_f64 v[144:145], v[162:163], v[222:223]
	v_add_f64 v[58:59], v[144:145], v[58:59]
	v_min_f64 v[144:145], v[164:165], v[222:223]
	v_add_f64 v[56:57], v[144:145], v[56:57]
	v_min_f64 v[144:145], v[166:167], v[222:223]
	v_add_f64 v[54:55], v[144:145], v[54:55]
	v_min_f64 v[144:145], v[168:169], v[222:223]
	v_add_f64 v[52:53], v[144:145], v[52:53]
	v_min_f64 v[144:145], v[170:171], v[222:223]
	v_add_f64 v[50:51], v[144:145], v[50:51]
	v_min_f64 v[144:145], v[172:173], v[222:223]
	v_add_f64 v[48:49], v[144:145], v[48:49]
	v_min_f64 v[144:145], v[174:175], v[222:223]
	v_add_f64 v[46:47], v[144:145], v[46:47]
	v_min_f64 v[144:145], v[176:177], v[222:223]
	v_add_f64 v[44:45], v[144:145], v[44:45]
	v_min_f64 v[144:145], v[178:179], v[222:223]
	v_add_f64 v[42:43], v[144:145], v[42:43]
	v_min_f64 v[144:145], v[180:181], v[222:223]
	v_add_f64 v[40:41], v[144:145], v[40:41]
	v_min_f64 v[144:145], v[182:183], v[222:223]
	v_add_f64 v[38:39], v[144:145], v[38:39]
	v_min_f64 v[144:145], v[184:185], v[222:223]
	v_add_f64 v[36:37], v[144:145], v[36:37]
	v_min_f64 v[144:145], v[186:187], v[222:223]
	v_add_f64 v[34:35], v[144:145], v[34:35]
	v_min_f64 v[144:145], v[188:189], v[222:223]
	v_add_f64 v[32:33], v[144:145], v[32:33]
	v_min_f64 v[144:145], v[190:191], v[222:223]
	v_add_f64 v[30:31], v[144:145], v[30:31]
	v_min_f64 v[144:145], v[192:193], v[222:223]
	v_add_f64 v[28:29], v[144:145], v[28:29]
	v_min_f64 v[144:145], v[194:195], v[222:223]
	v_add_f64 v[26:27], v[144:145], v[26:27]
	v_min_f64 v[144:145], v[196:197], v[222:223]
	v_add_f64 v[24:25], v[144:145], v[24:25]
	v_min_f64 v[144:145], v[198:199], v[222:223]
	v_add_f64 v[22:23], v[144:145], v[22:23]
	v_min_f64 v[144:145], v[200:201], v[222:223]
	v_add_f64 v[20:21], v[144:145], v[20:21]
	v_min_f64 v[144:145], v[202:203], v[222:223]
	v_add_f64 v[18:19], v[144:145], v[18:19]
	v_min_f64 v[144:145], v[204:205], v[222:223]
	v_add_f64 v[16:17], v[144:145], v[16:17]
	v_min_f64 v[144:145], v[206:207], v[222:223]
	v_add_f64 v[14:15], v[144:145], v[14:15]
	v_min_f64 v[144:145], v[208:209], v[222:223]
	v_add_f64 v[12:13], v[144:145], v[12:13]
	v_min_f64 v[144:145], v[210:211], v[222:223]
	v_add_f64 v[10:11], v[144:145], v[10:11]
	v_min_f64 v[144:145], v[212:213], v[222:223]
	v_add_f64 v[8:9], v[144:145], v[8:9]
	v_min_f64 v[144:145], v[214:215], v[222:223]
	v_add_f64 v[6:7], v[144:145], v[6:7]
	v_min_f64 v[144:145], v[216:217], v[222:223]
	v_add_f64 v[4:5], v[144:145], v[4:5]
	v_min_f64 v[144:145], v[218:219], v[222:223]
	v_add_f64 v[2:3], v[144:145], v[2:3]
	v_min_f64 v[144:145], v[220:221], v[222:223]
	s_add_i32 s17, s17, 8
	v_add_f64 v[66:67], v[226:227], v[66:67]
	v_add_f64 v[0:1], v[144:145], v[0:1]
	s_cmp_eq_u32 s17, 32
	s_cbranch_scc0 .LBB148_17
; %bb.18:                               ;   in Loop: Header=BB148_14 Depth=1
	s_add_i32 s9, s9, 8
	s_add_i32 s16, s16, 8
	s_cmp_ge_i32 s16, s8
	s_waitcnt vmcnt(0)
	ds_write2st64_b64 v159, v[136:137], v[138:139] offset1:4
	ds_write2st64_b64 v160, v[140:141], v[142:143] offset1:4
	s_waitcnt lgkmcnt(0)
	s_barrier
	s_cbranch_scc0 .LBB148_14
.LBB148_19:
	s_mov_b32 s8, 0
.LBB148_20:                             ; =>This Inner Loop Header: Depth=1
	v_add_u32_e32 v154, s8, v157
	v_add_u32_e32 v155, s8, v158
	ds_read2_b64 v[128:131], v154 offset1:16
	ds_read2_b64 v[132:135], v154 offset0:32 offset1:48
	ds_read2_b64 v[136:139], v154 offset0:64 offset1:80
	;; [unrolled: 1-line block ×7, first 2 shown]
	v_add_u32_e32 v154, 0x800, v154
	ds_read2st64_b64 v[168:171], v155 offset1:4
	ds_read2_b64 v[172:175], v154 offset1:16
	ds_read2_b64 v[176:179], v154 offset0:32 offset1:48
	ds_read2_b64 v[180:183], v154 offset0:64 offset1:80
	;; [unrolled: 1-line block ×7, first 2 shown]
	s_waitcnt lgkmcnt(14)
	v_max_f64 v[128:129], v[128:129], v[128:129]
	v_max_f64 v[130:131], v[130:131], v[130:131]
	;; [unrolled: 1-line block ×3, first 2 shown]
	s_waitcnt lgkmcnt(8)
	v_max_f64 v[154:155], v[168:169], v[168:169]
	v_max_f64 v[134:135], v[134:135], v[134:135]
	;; [unrolled: 1-line block ×15, first 2 shown]
	v_min_f64 v[170:171], v[128:129], v[154:155]
	v_min_f64 v[204:205], v[130:131], v[154:155]
	;; [unrolled: 1-line block ×16, first 2 shown]
	s_waitcnt lgkmcnt(7)
	v_max_f64 v[172:173], v[172:173], v[172:173]
	v_max_f64 v[174:175], v[174:175], v[174:175]
	s_waitcnt lgkmcnt(6)
	v_max_f64 v[176:177], v[176:177], v[176:177]
	v_max_f64 v[178:179], v[178:179], v[178:179]
	;; [unrolled: 3-line block ×8, first 2 shown]
	v_min_f64 v[128:129], v[128:129], v[168:169]
	v_min_f64 v[130:131], v[130:131], v[168:169]
	;; [unrolled: 1-line block ×16, first 2 shown]
	s_add_i32 s8, s8, 8
	v_add_f64 v[126:127], v[170:171], v[126:127]
	v_add_f64 v[124:125], v[204:205], v[124:125]
	;; [unrolled: 1-line block ×15, first 2 shown]
	v_min_f64 v[170:171], v[172:173], v[154:155]
	v_min_f64 v[204:205], v[174:175], v[154:155]
	;; [unrolled: 1-line block ×16, first 2 shown]
	v_add_f64 v[62:63], v[128:129], v[62:63]
	v_add_f64 v[60:61], v[130:131], v[60:61]
	v_add_f64 v[58:59], v[132:133], v[58:59]
	v_add_f64 v[56:57], v[134:135], v[56:57]
	v_add_f64 v[54:55], v[136:137], v[54:55]
	v_add_f64 v[52:53], v[138:139], v[52:53]
	v_add_f64 v[50:51], v[140:141], v[50:51]
	v_add_f64 v[48:49], v[142:143], v[48:49]
	v_add_f64 v[46:47], v[144:145], v[46:47]
	v_add_f64 v[44:45], v[146:147], v[44:45]
	v_add_f64 v[42:43], v[150:151], v[42:43]
	v_add_f64 v[40:41], v[152:153], v[40:41]
	v_add_f64 v[38:39], v[160:161], v[38:39]
	v_add_f64 v[36:37], v[162:163], v[36:37]
	v_add_f64 v[34:35], v[164:165], v[34:35]
	v_add_f64 v[32:33], v[166:167], v[32:33]
	v_min_f64 v[128:129], v[172:173], v[168:169]
	v_min_f64 v[130:131], v[174:175], v[168:169]
	;; [unrolled: 1-line block ×16, first 2 shown]
	s_cmp_eq_u32 s8, 32
	v_add_f64 v[96:97], v[232:233], v[96:97]
	v_add_f64 v[94:95], v[170:171], v[94:95]
	;; [unrolled: 1-line block ×33, first 2 shown]
	s_cbranch_scc0 .LBB148_20
; %bb.21:
	s_load_dwordx2 s[14:15], s[0:1], 0x78
	s_load_dword s8, s[0:1], 0x58
	s_load_dword s9, s[0:1], 0x70
	v_add_u32_e32 v130, s10, v148
	v_add_u32_e32 v170, s11, v149
	s_waitcnt lgkmcnt(0)
	s_lshl_b64 s[0:1], s[14:15], 3
	s_add_u32 s0, s2, s0
	s_addc_u32 s1, s3, s1
	v_add_u32_e32 v128, 4, v130
	v_mad_i64_i32 v[132:133], s[2:3], v170, s9, 0
	v_ashrrev_i32_e32 v131, 31, v130
	v_ashrrev_i32_e32 v129, 31, v128
	v_lshl_add_u64 v[138:139], v[132:133], 3, s[0:1]
	v_mad_i64_i32 v[132:133], s[2:3], v170, s8, 0
	s_mov_b64 vcc, s[4:5]
	s_cbranch_vccz .LBB148_24
; %bb.22:
	v_add_f64 v[134:135], v[126:127], 0
	v_lshl_add_u64 v[136:137], v[130:131], 3, v[138:139]
	s_mov_b64 s[2:3], 0
	global_store_dwordx2 v[136:137], v[134:135], off
	v_lshl_add_u64 v[146:147], v[132:133], 3, s[12:13]
	v_lshlrev_b64 v[134:135], 3, v[130:131]
	s_cbranch_execz .LBB148_25
; %bb.23:
	v_mov_b64_e32 v[136:137], s[2:3]
	s_branch .LBB148_26
.LBB148_24:
	s_mov_b64 s[2:3], -1
	v_lshl_add_u64 v[146:147], v[132:133], 3, s[12:13]
	v_lshlrev_b64 v[134:135], 3, v[130:131]
.LBB148_25:
	v_lshl_add_u64 v[132:133], v[146:147], 0, v[134:135]
	flat_load_dwordx2 v[132:133], v[132:133]
	v_lshl_add_u64 v[136:137], v[138:139], 0, v[134:135]
	s_waitcnt vmcnt(0) lgkmcnt(0)
	v_fmac_f64_e32 v[126:127], s[6:7], v[132:133]
	global_store_dwordx2 v[136:137], v[126:127], off
	v_lshl_add_u64 v[126:127], v[128:129], 3, v[146:147]
	flat_load_dwordx2 v[126:127], v[126:127]
	s_waitcnt vmcnt(0) lgkmcnt(0)
	v_mul_f64 v[136:137], v[126:127], s[6:7]
.LBB148_26:
	v_add_u32_e32 v132, 8, v130
	v_add_u32_e32 v126, 12, v130
	v_ashrrev_i32_e32 v133, 31, v132
	v_ashrrev_i32_e32 v127, 31, v126
	v_add_f64 v[124:125], v[124:125], v[136:137]
	v_lshl_add_u64 v[136:137], v[128:129], 3, v[138:139]
	s_mov_b64 vcc, s[4:5]
	global_store_dwordx2 v[136:137], v[124:125], off
	s_cbranch_vccz .LBB148_29
; %bb.27:
	v_add_f64 v[124:125], v[122:123], 0
	v_lshl_add_u64 v[136:137], v[132:133], 3, v[138:139]
	s_mov_b64 s[2:3], 0
	global_store_dwordx2 v[136:137], v[124:125], off
	v_lshlrev_b64 v[136:137], 3, v[132:133]
	s_cbranch_execz .LBB148_30
; %bb.28:
	v_mov_b64_e32 v[140:141], s[2:3]
	s_branch .LBB148_31
.LBB148_29:
	s_mov_b64 s[2:3], -1
	v_lshlrev_b64 v[136:137], 3, v[132:133]
.LBB148_30:
	v_lshl_add_u64 v[124:125], v[146:147], 0, v[136:137]
	flat_load_dwordx2 v[124:125], v[124:125]
	v_lshl_add_u64 v[140:141], v[138:139], 0, v[136:137]
	s_waitcnt vmcnt(0) lgkmcnt(0)
	v_fmac_f64_e32 v[122:123], s[6:7], v[124:125]
	global_store_dwordx2 v[140:141], v[122:123], off
	v_lshl_add_u64 v[122:123], v[126:127], 3, v[146:147]
	flat_load_dwordx2 v[122:123], v[122:123]
	s_waitcnt vmcnt(0) lgkmcnt(0)
	v_mul_f64 v[140:141], v[122:123], s[6:7]
.LBB148_31:
	v_add_u32_e32 v124, 16, v130
	v_add_u32_e32 v122, 20, v130
	v_ashrrev_i32_e32 v125, 31, v124
	v_ashrrev_i32_e32 v123, 31, v122
	v_add_f64 v[120:121], v[120:121], v[140:141]
	v_lshl_add_u64 v[140:141], v[126:127], 3, v[138:139]
	s_mov_b64 vcc, s[4:5]
	global_store_dwordx2 v[140:141], v[120:121], off
	s_cbranch_vccz .LBB148_34
; %bb.32:
	v_add_f64 v[120:121], v[118:119], 0
	v_lshl_add_u64 v[140:141], v[124:125], 3, v[138:139]
	s_mov_b64 s[2:3], 0
	global_store_dwordx2 v[140:141], v[120:121], off
	v_lshlrev_b64 v[140:141], 3, v[124:125]
	s_cbranch_execz .LBB148_35
; %bb.33:
	v_mov_b64_e32 v[142:143], s[2:3]
	s_branch .LBB148_36
.LBB148_34:
	s_mov_b64 s[2:3], -1
	v_lshlrev_b64 v[140:141], 3, v[124:125]
.LBB148_35:
	v_lshl_add_u64 v[120:121], v[146:147], 0, v[140:141]
	flat_load_dwordx2 v[120:121], v[120:121]
	v_lshl_add_u64 v[142:143], v[138:139], 0, v[140:141]
	s_waitcnt vmcnt(0) lgkmcnt(0)
	v_fmac_f64_e32 v[118:119], s[6:7], v[120:121]
	global_store_dwordx2 v[142:143], v[118:119], off
	v_lshl_add_u64 v[118:119], v[122:123], 3, v[146:147]
	flat_load_dwordx2 v[118:119], v[118:119]
	s_waitcnt vmcnt(0) lgkmcnt(0)
	v_mul_f64 v[142:143], v[118:119], s[6:7]
.LBB148_36:
	;; [unrolled: 34-line block ×15, first 2 shown]
	v_add_f64 v[64:65], v[64:65], v[66:67]
	v_lshl_add_u64 v[66:67], v[70:71], 3, v[138:139]
	global_store_dwordx2 v[66:67], v[64:65], off
	v_add_u32_e32 v66, 64, v170
	v_mad_i64_i32 v[64:65], s[2:3], v66, s9, 0
	v_lshl_add_u64 v[64:65], v[64:65], 3, s[0:1]
	v_mad_i64_i32 v[66:67], s[0:1], v66, s8, 0
	s_mov_b64 vcc, s[4:5]
	s_cbranch_vccz .LBB148_104
; %bb.102:
	v_add_f64 v[138:139], v[62:63], 0
	v_lshl_add_u64 v[130:131], v[130:131], 3, v[64:65]
	s_mov_b64 s[0:1], 0
	global_store_dwordx2 v[130:131], v[138:139], off
	v_lshl_add_u64 v[66:67], v[66:67], 3, s[12:13]
	s_cbranch_execz .LBB148_105
; %bb.103:
	v_mov_b64_e32 v[62:63], s[0:1]
	s_branch .LBB148_106
.LBB148_104:
	s_mov_b64 s[0:1], -1
	v_lshl_add_u64 v[66:67], v[66:67], 3, s[12:13]
.LBB148_105:
	v_lshl_add_u64 v[130:131], v[66:67], 0, v[134:135]
	flat_load_dwordx2 v[130:131], v[130:131]
	v_lshl_add_u64 v[134:135], v[64:65], 0, v[134:135]
	s_waitcnt vmcnt(0) lgkmcnt(0)
	v_fmac_f64_e32 v[62:63], s[6:7], v[130:131]
	global_store_dwordx2 v[134:135], v[62:63], off
	v_lshl_add_u64 v[62:63], v[128:129], 3, v[66:67]
	flat_load_dwordx2 v[62:63], v[62:63]
	s_waitcnt vmcnt(0) lgkmcnt(0)
	v_mul_f64 v[62:63], v[62:63], s[6:7]
.LBB148_106:
	v_add_f64 v[60:61], v[60:61], v[62:63]
	v_lshl_add_u64 v[62:63], v[128:129], 3, v[64:65]
	s_mov_b64 vcc, s[4:5]
	global_store_dwordx2 v[62:63], v[60:61], off
	s_cbranch_vccz .LBB148_109
; %bb.107:
	v_add_f64 v[60:61], v[58:59], 0
	v_lshl_add_u64 v[62:63], v[132:133], 3, v[64:65]
	s_mov_b64 s[0:1], 0
	global_store_dwordx2 v[62:63], v[60:61], off
	s_cbranch_execz .LBB148_110
; %bb.108:
	v_mov_b64_e32 v[58:59], s[0:1]
	s_branch .LBB148_111
.LBB148_109:
	s_mov_b64 s[0:1], -1
.LBB148_110:
	v_lshl_add_u64 v[60:61], v[66:67], 0, v[136:137]
	flat_load_dwordx2 v[60:61], v[60:61]
	v_lshl_add_u64 v[62:63], v[64:65], 0, v[136:137]
	s_waitcnt vmcnt(0) lgkmcnt(0)
	v_fmac_f64_e32 v[58:59], s[6:7], v[60:61]
	global_store_dwordx2 v[62:63], v[58:59], off
	v_lshl_add_u64 v[58:59], v[126:127], 3, v[66:67]
	flat_load_dwordx2 v[58:59], v[58:59]
	s_waitcnt vmcnt(0) lgkmcnt(0)
	v_mul_f64 v[58:59], v[58:59], s[6:7]
.LBB148_111:
	v_add_f64 v[56:57], v[56:57], v[58:59]
	v_lshl_add_u64 v[58:59], v[126:127], 3, v[64:65]
	s_mov_b64 vcc, s[4:5]
	global_store_dwordx2 v[58:59], v[56:57], off
	s_cbranch_vccz .LBB148_114
; %bb.112:
	v_add_f64 v[56:57], v[54:55], 0
	v_lshl_add_u64 v[58:59], v[124:125], 3, v[64:65]
	s_mov_b64 s[0:1], 0
	global_store_dwordx2 v[58:59], v[56:57], off
	s_cbranch_execz .LBB148_115
; %bb.113:
	v_mov_b64_e32 v[54:55], s[0:1]
	s_branch .LBB148_116
.LBB148_114:
	s_mov_b64 s[0:1], -1
.LBB148_115:
	v_lshl_add_u64 v[56:57], v[66:67], 0, v[140:141]
	flat_load_dwordx2 v[56:57], v[56:57]
	v_lshl_add_u64 v[58:59], v[64:65], 0, v[140:141]
	s_waitcnt vmcnt(0) lgkmcnt(0)
	v_fmac_f64_e32 v[54:55], s[6:7], v[56:57]
	global_store_dwordx2 v[58:59], v[54:55], off
	v_lshl_add_u64 v[54:55], v[122:123], 3, v[66:67]
	flat_load_dwordx2 v[54:55], v[54:55]
	s_waitcnt vmcnt(0) lgkmcnt(0)
	v_mul_f64 v[54:55], v[54:55], s[6:7]
.LBB148_116:
	;; [unrolled: 28-line block ×14, first 2 shown]
	v_add_f64 v[4:5], v[4:5], v[6:7]
	v_lshl_add_u64 v[6:7], v[74:75], 3, v[64:65]
	s_mov_b64 vcc, s[4:5]
	global_store_dwordx2 v[6:7], v[4:5], off
	s_cbranch_vccz .LBB148_179
; %bb.177:
	v_add_f64 v[4:5], v[2:3], 0
	v_lshl_add_u64 v[6:7], v[72:73], 3, v[64:65]
	s_mov_b64 s[0:1], 0
	global_store_dwordx2 v[6:7], v[4:5], off
	s_cbranch_execz .LBB148_180
; %bb.178:
	v_mov_b64_e32 v[2:3], s[0:1]
	v_add_f64 v[0:1], v[0:1], v[2:3]
	v_lshl_add_u64 v[2:3], v[70:71], 3, v[64:65]
	global_store_dwordx2 v[2:3], v[0:1], off
	s_endpgm
.LBB148_179:
	s_mov_b64 s[0:1], -1
.LBB148_180:
	v_lshl_add_u64 v[4:5], v[66:67], 0, v[68:69]
	flat_load_dwordx2 v[4:5], v[4:5]
	v_lshl_add_u64 v[6:7], v[64:65], 0, v[68:69]
	s_waitcnt vmcnt(0) lgkmcnt(0)
	v_fmac_f64_e32 v[2:3], s[6:7], v[4:5]
	global_store_dwordx2 v[6:7], v[2:3], off
	v_lshl_add_u64 v[2:3], v[70:71], 3, v[66:67]
	flat_load_dwordx2 v[2:3], v[2:3]
	s_waitcnt vmcnt(0) lgkmcnt(0)
	v_mul_f64 v[2:3], v[2:3], s[6:7]
	v_add_f64 v[0:1], v[0:1], v[2:3]
	v_lshl_add_u64 v[2:3], v[70:71], 3, v[64:65]
	global_store_dwordx2 v[2:3], v[0:1], off
	s_endpgm
	.section	.rodata,"a",@progbits
	.p2align	6, 0x0
	.amdhsa_kernel _ZN12_GLOBAL__N_120geam_min_plus_kernelIdddLi4ELi64ELi128ELi128ELi4ELi4ELi64ELi64ELi4ELc84ELc84ELb1ELb0ELb0EdKPKdKPdEEviiiT16_PT17_ilS8_ilS6_S8_ilPT18_ili26rocblas_geam_ex_operation_
		.amdhsa_group_segment_fixed_size 16384
		.amdhsa_private_segment_fixed_size 0
		.amdhsa_kernarg_size 136
		.amdhsa_user_sgpr_count 2
		.amdhsa_user_sgpr_dispatch_ptr 0
		.amdhsa_user_sgpr_queue_ptr 0
		.amdhsa_user_sgpr_kernarg_segment_ptr 1
		.amdhsa_user_sgpr_dispatch_id 0
		.amdhsa_user_sgpr_kernarg_preload_length 0
		.amdhsa_user_sgpr_kernarg_preload_offset 0
		.amdhsa_user_sgpr_private_segment_size 0
		.amdhsa_uses_dynamic_stack 0
		.amdhsa_enable_private_segment 0
		.amdhsa_system_sgpr_workgroup_id_x 1
		.amdhsa_system_sgpr_workgroup_id_y 0
		.amdhsa_system_sgpr_workgroup_id_z 1
		.amdhsa_system_sgpr_workgroup_info 0
		.amdhsa_system_vgpr_workitem_id 1
		.amdhsa_next_free_vgpr 254
		.amdhsa_next_free_sgpr 24
		.amdhsa_accum_offset 256
		.amdhsa_reserve_vcc 1
		.amdhsa_float_round_mode_32 0
		.amdhsa_float_round_mode_16_64 0
		.amdhsa_float_denorm_mode_32 3
		.amdhsa_float_denorm_mode_16_64 3
		.amdhsa_dx10_clamp 1
		.amdhsa_ieee_mode 1
		.amdhsa_fp16_overflow 0
		.amdhsa_tg_split 0
		.amdhsa_exception_fp_ieee_invalid_op 0
		.amdhsa_exception_fp_denorm_src 0
		.amdhsa_exception_fp_ieee_div_zero 0
		.amdhsa_exception_fp_ieee_overflow 0
		.amdhsa_exception_fp_ieee_underflow 0
		.amdhsa_exception_fp_ieee_inexact 0
		.amdhsa_exception_int_div_zero 0
	.end_amdhsa_kernel
	.section	.text._ZN12_GLOBAL__N_120geam_min_plus_kernelIdddLi4ELi64ELi128ELi128ELi4ELi4ELi64ELi64ELi4ELc84ELc84ELb1ELb0ELb0EdKPKdKPdEEviiiT16_PT17_ilS8_ilS6_S8_ilPT18_ili26rocblas_geam_ex_operation_,"axG",@progbits,_ZN12_GLOBAL__N_120geam_min_plus_kernelIdddLi4ELi64ELi128ELi128ELi4ELi4ELi64ELi64ELi4ELc84ELc84ELb1ELb0ELb0EdKPKdKPdEEviiiT16_PT17_ilS8_ilS6_S8_ilPT18_ili26rocblas_geam_ex_operation_,comdat
.Lfunc_end148:
	.size	_ZN12_GLOBAL__N_120geam_min_plus_kernelIdddLi4ELi64ELi128ELi128ELi4ELi4ELi64ELi64ELi4ELc84ELc84ELb1ELb0ELb0EdKPKdKPdEEviiiT16_PT17_ilS8_ilS6_S8_ilPT18_ili26rocblas_geam_ex_operation_, .Lfunc_end148-_ZN12_GLOBAL__N_120geam_min_plus_kernelIdddLi4ELi64ELi128ELi128ELi4ELi4ELi64ELi64ELi4ELc84ELc84ELb1ELb0ELb0EdKPKdKPdEEviiiT16_PT17_ilS8_ilS6_S8_ilPT18_ili26rocblas_geam_ex_operation_
                                        ; -- End function
	.section	.AMDGPU.csdata,"",@progbits
; Kernel info:
; codeLenInByte = 12640
; NumSgprs: 30
; NumVgprs: 254
; NumAgprs: 0
; TotalNumVgprs: 254
; ScratchSize: 0
; MemoryBound: 0
; FloatMode: 240
; IeeeMode: 1
; LDSByteSize: 16384 bytes/workgroup (compile time only)
; SGPRBlocks: 3
; VGPRBlocks: 31
; NumSGPRsForWavesPerEU: 30
; NumVGPRsForWavesPerEU: 254
; AccumOffset: 256
; Occupancy: 2
; WaveLimiterHint : 1
; COMPUTE_PGM_RSRC2:SCRATCH_EN: 0
; COMPUTE_PGM_RSRC2:USER_SGPR: 2
; COMPUTE_PGM_RSRC2:TRAP_HANDLER: 0
; COMPUTE_PGM_RSRC2:TGID_X_EN: 1
; COMPUTE_PGM_RSRC2:TGID_Y_EN: 0
; COMPUTE_PGM_RSRC2:TGID_Z_EN: 1
; COMPUTE_PGM_RSRC2:TIDIG_COMP_CNT: 1
; COMPUTE_PGM_RSRC3_GFX90A:ACCUM_OFFSET: 63
; COMPUTE_PGM_RSRC3_GFX90A:TG_SPLIT: 0
	.section	.text._ZN12_GLOBAL__N_120geam_min_plus_kernelIdddLi4ELi64ELi128ELi128ELi4ELi4ELi64ELi64ELi4ELc84ELc84ELb0ELb0ELb0EdKPKdKPdEEviiiT16_PT17_ilS8_ilS6_S8_ilPT18_ili26rocblas_geam_ex_operation_,"axG",@progbits,_ZN12_GLOBAL__N_120geam_min_plus_kernelIdddLi4ELi64ELi128ELi128ELi4ELi4ELi64ELi64ELi4ELc84ELc84ELb0ELb0ELb0EdKPKdKPdEEviiiT16_PT17_ilS8_ilS6_S8_ilPT18_ili26rocblas_geam_ex_operation_,comdat
	.globl	_ZN12_GLOBAL__N_120geam_min_plus_kernelIdddLi4ELi64ELi128ELi128ELi4ELi4ELi64ELi64ELi4ELc84ELc84ELb0ELb0ELb0EdKPKdKPdEEviiiT16_PT17_ilS8_ilS6_S8_ilPT18_ili26rocblas_geam_ex_operation_ ; -- Begin function _ZN12_GLOBAL__N_120geam_min_plus_kernelIdddLi4ELi64ELi128ELi128ELi4ELi4ELi64ELi64ELi4ELc84ELc84ELb0ELb0ELb0EdKPKdKPdEEviiiT16_PT17_ilS8_ilS6_S8_ilPT18_ili26rocblas_geam_ex_operation_
	.p2align	8
	.type	_ZN12_GLOBAL__N_120geam_min_plus_kernelIdddLi4ELi64ELi128ELi128ELi4ELi4ELi64ELi64ELi4ELc84ELc84ELb0ELb0ELb0EdKPKdKPdEEviiiT16_PT17_ilS8_ilS6_S8_ilPT18_ili26rocblas_geam_ex_operation_,@function
_ZN12_GLOBAL__N_120geam_min_plus_kernelIdddLi4ELi64ELi128ELi128ELi4ELi4ELi64ELi64ELi4ELc84ELc84ELb0ELb0ELb0EdKPKdKPdEEviiiT16_PT17_ilS8_ilS6_S8_ilPT18_ili26rocblas_geam_ex_operation_: ; @_ZN12_GLOBAL__N_120geam_min_plus_kernelIdddLi4ELi64ELi128ELi128ELi4ELi4ELi64ELi64ELi4ELc84ELc84ELb0ELb0ELb0EdKPKdKPdEEviiiT16_PT17_ilS8_ilS6_S8_ilPT18_ili26rocblas_geam_ex_operation_
; %bb.0:
	s_load_dwordx4 s[12:15], s[0:1], 0x10
	s_load_dwordx4 s[4:7], s[0:1], 0x28
	s_mov_b32 s24, s3
	s_mov_b64 s[20:21], 0
	s_waitcnt lgkmcnt(0)
	v_cmp_eq_f64_e64 s[16:17], s[12:13], 0
	s_and_b64 vcc, exec, s[16:17]
	s_cbranch_vccnz .LBB149_2
; %bb.1:
	s_mov_b32 s25, 0
	s_lshl_b64 s[8:9], s[24:25], 3
	s_add_u32 s8, s14, s8
	s_addc_u32 s9, s15, s9
	s_load_dwordx2 s[8:9], s[8:9], 0x0
	s_lshl_b64 s[4:5], s[4:5], 3
	s_waitcnt lgkmcnt(0)
	s_add_u32 s20, s8, s4
	s_addc_u32 s21, s9, s5
.LBB149_2:
	s_load_dwordx4 s[8:11], s[0:1], 0x40
	s_load_dwordx2 s[4:5], s[0:1], 0x50
	s_andn2_b64 vcc, exec, s[16:17]
	s_cbranch_vccnz .LBB149_4
; %bb.3:
	s_mov_b32 s25, 0
	s_mov_b64 s[22:23], 0
	s_cbranch_execz .LBB149_5
	s_branch .LBB149_6
.LBB149_4:
                                        ; implicit-def: $sgpr22_sgpr23
.LBB149_5:
	s_mov_b32 s25, 0
	s_lshl_b64 s[14:15], s[24:25], 3
	s_add_u32 s6, s6, s14
	s_addc_u32 s7, s7, s15
	s_load_dwordx2 s[6:7], s[6:7], 0x0
	s_waitcnt lgkmcnt(0)
	s_lshl_b64 s[8:9], s[8:9], 3
	s_add_u32 s22, s6, s8
	s_addc_u32 s23, s7, s9
.LBB149_6:
	s_load_dwordx4 s[16:19], s[0:1], 0x60
	s_waitcnt lgkmcnt(0)
	v_cmp_eq_f64_e64 s[6:7], s[10:11], 0
	s_and_b64 s[6:7], exec, s[6:7]
	v_cmp_neq_f64_e64 s[26:27], s[12:13], 0
	s_mov_b64 s[8:9], 0
	s_mov_b64 vcc, s[6:7]
	s_cbranch_vccnz .LBB149_8
; %bb.7:
	s_lshl_b64 s[8:9], s[24:25], 3
	s_add_u32 s4, s4, s8
	s_addc_u32 s5, s5, s9
	s_load_dwordx2 s[4:5], s[4:5], 0x0
	s_lshl_b64 s[8:9], s[16:17], 3
	s_waitcnt lgkmcnt(0)
	s_add_u32 s8, s4, s8
	s_addc_u32 s9, s5, s9
.LBB149_8:
	s_load_dword s3, s[0:1], 0x0
	s_load_dword s28, s[0:1], 0x20
	s_lshl_b64 s[4:5], s[24:25], 3
	s_add_u32 s4, s18, s4
	s_addc_u32 s5, s19, s5
	s_waitcnt lgkmcnt(0)
	s_add_i32 s3, s3, -1
	s_ashr_i32 s14, s3, 31
	s_lshr_b32 s14, s14, 25
	s_add_i32 s3, s3, s14
	s_ashr_i32 s3, s3, 7
	s_add_i32 s16, s3, 1
	v_cvt_f32_u32_e32 v1, s16
	v_and_b32_e32 v144, 0x3ff, v0
	v_bfe_u32 v145, v0, 10, 10
	s_load_dwordx2 s[14:15], s[4:5], 0x0
	v_rcp_iflag_f32_e32 v1, v1
	s_not_b32 s3, s3
	v_lshl_add_u32 v6, v145, 2, v144
	v_lshrrev_b32_e32 v10, 2, v6
	v_mul_f32_e32 v0, 0x4f7ffffe, v1
	v_cvt_u32_f32_e32 v0, v0
	v_and_b32_e32 v146, 3, v144
	v_readfirstlane_b32 s4, v0
	s_mul_i32 s3, s3, s4
	s_mul_hi_u32 s3, s4, s3
	s_add_i32 s4, s4, s3
	s_mul_hi_u32 s3, s2, s4
	s_mul_i32 s4, s3, s16
	s_sub_i32 s4, s2, s4
	s_add_i32 s5, s3, 1
	s_sub_i32 s17, s4, s16
	s_cmp_ge_u32 s4, s16
	s_cselect_b32 s3, s5, s3
	s_cselect_b32 s4, s17, s4
	s_add_i32 s5, s3, 1
	s_cmp_ge_u32 s4, s16
	s_cselect_b32 s3, s5, s3
	s_mul_i32 s4, s3, s16
	s_sub_i32 s2, s2, s4
	s_lshl_b32 s16, s2, 7
	v_cndmask_b32_e64 v0, 0, 1, s[26:27]
	v_add_u32_e32 v139, s16, v10
	v_cmp_ne_u32_e64 s[4:5], 1, v0
	s_andn2_b64 vcc, exec, s[26:27]
	v_lshlrev_b32_e32 v0, 3, v146
	v_add_u32_e32 v138, 64, v139
	s_cbranch_vccnz .LBB149_10
; %bb.9:
	v_mov_b32_e32 v1, 0
	v_lshl_add_u64 v[2:3], s[20:21], 0, v[0:1]
	v_mad_i64_i32 v[4:5], s[18:19], v139, s28, 0
	v_lshl_add_u64 v[4:5], v[4:5], 3, v[2:3]
	v_mad_i64_i32 v[8:9], s[18:19], v138, s28, 0
	v_lshl_add_u64 v[2:3], v[8:9], 3, v[2:3]
	flat_load_dwordx2 v[8:9], v[4:5]
	flat_load_dwordx2 v[12:13], v[2:3]
	s_waitcnt vmcnt(0) lgkmcnt(0)
	v_mul_f64 v[2:3], v[8:9], s[12:13]
	v_mul_f64 v[4:5], v[12:13], s[12:13]
	s_branch .LBB149_11
.LBB149_10:
	v_mov_b64_e32 v[2:3], 0
	v_mov_b64_e32 v[4:5], 0
.LBB149_11:
	s_load_dword s18, s[0:1], 0x38
	v_and_b32_e32 v11, 63, v6
	s_lshl_b32 s17, s3, 7
	v_or_b32_e32 v132, s17, v11
	v_lshrrev_b32_e32 v147, 6, v6
	s_and_b64 vcc, exec, s[4:5]
	s_waitcnt lgkmcnt(0)
	s_ashr_i32 s19, s18, 31
	v_ashrrev_i32_e32 v133, 31, v132
	s_cbranch_vccnz .LBB149_15
; %bb.12:
	v_mad_i64_i32 v[6:7], s[2:3], s18, v147, 0
	v_lshl_add_u64 v[6:7], v[6:7], 3, s[22:23]
	v_lshl_add_u64 v[6:7], v[132:133], 3, v[6:7]
	flat_load_dwordx2 v[8:9], v[6:7]
	flat_load_dwordx2 v[12:13], v[6:7] offset:512
	s_waitcnt vmcnt(0) lgkmcnt(0)
	v_mul_f64 v[6:7], v[8:9], s[12:13]
	v_mul_f64 v[8:9], v[12:13], s[12:13]
	s_and_b64 vcc, exec, s[4:5]
	s_cbranch_vccnz .LBB149_16
.LBB149_13:
	v_mov_b32_e32 v1, 0
	v_lshl_add_u64 v[12:13], s[20:21], 0, v[0:1]
	v_mad_i64_i32 v[14:15], s[2:3], v139, s28, 0
	v_lshl_add_u64 v[14:15], v[14:15], 3, v[12:13]
	v_mad_i64_i32 v[16:17], s[2:3], v138, s28, 0
	v_lshl_add_u64 v[12:13], v[16:17], 3, v[12:13]
	flat_load_dwordx2 v[16:17], v[14:15] offset:32
	flat_load_dwordx2 v[18:19], v[12:13] offset:32
	s_waitcnt vmcnt(0) lgkmcnt(0)
	v_mul_f64 v[128:129], v[16:17], s[12:13]
	v_mul_f64 v[130:131], v[18:19], s[12:13]
	s_and_b64 vcc, exec, s[4:5]
	v_add_u32_e32 v148, 4, v147
	s_cbranch_vccnz .LBB149_17
.LBB149_14:
	v_mad_i64_i32 v[12:13], s[2:3], s18, v148, 0
	v_lshl_add_u64 v[12:13], v[12:13], 3, s[22:23]
	v_lshl_add_u64 v[12:13], v[132:133], 3, v[12:13]
	flat_load_dwordx2 v[14:15], v[12:13]
	flat_load_dwordx2 v[16:17], v[12:13] offset:512
	s_waitcnt vmcnt(0) lgkmcnt(0)
	v_mul_f64 v[134:135], v[14:15], s[12:13]
	v_mul_f64 v[136:137], v[16:17], s[12:13]
	s_branch .LBB149_18
.LBB149_15:
	v_mov_b64_e32 v[6:7], 0
	v_mov_b64_e32 v[8:9], 0
	s_and_b64 vcc, exec, s[4:5]
	s_cbranch_vccz .LBB149_13
.LBB149_16:
	v_mov_b64_e32 v[128:129], 0
	v_mov_b64_e32 v[130:131], 0
	s_and_b64 vcc, exec, s[4:5]
	v_add_u32_e32 v148, 4, v147
	s_cbranch_vccz .LBB149_14
.LBB149_17:
	v_mov_b64_e32 v[134:135], 0
	v_mov_b64_e32 v[136:137], 0
.LBB149_18:
	v_lshl_or_b32 v149, v10, 5, v0
	v_lshlrev_b32_e32 v0, 5, v11
	v_lshl_add_u32 v141, v147, 3, v0
	v_lshlrev_b32_e32 v140, 5, v145
	ds_write2st64_b64 v149, v[2:3], v[4:5] offset1:4
	v_or_b32_e32 v150, 0x2000, v141
	ds_write2st64_b64 v141, v[6:7], v[8:9] offset0:16 offset1:20
	v_lshlrev_b32_e32 v151, 5, v144
	v_add_u32_e32 v152, 0x2000, v140
	s_mov_b32 s2, 0
	v_mov_b64_e32 v[126:127], 0
	v_mov_b64_e32 v[124:125], 0
	;; [unrolled: 1-line block ×64, first 2 shown]
	s_waitcnt lgkmcnt(0)
	s_barrier
.LBB149_19:                             ; =>This Inner Loop Header: Depth=1
	v_add_u32_e32 v142, s2, v151
	v_add_u32_e32 v143, s2, v152
	ds_read2_b64 v[154:157], v142 offset1:16
	ds_read2_b64 v[158:161], v142 offset0:32 offset1:48
	ds_read2_b64 v[162:165], v142 offset0:64 offset1:80
	;; [unrolled: 1-line block ×7, first 2 shown]
	ds_read2st64_b64 v[186:189], v143 offset1:4
	v_add_u32_e32 v142, 0x800, v142
	ds_read2_b64 v[190:193], v142 offset1:16
	ds_read2_b64 v[194:197], v142 offset0:32 offset1:48
	ds_read2_b64 v[198:201], v142 offset0:64 offset1:80
	;; [unrolled: 1-line block ×7, first 2 shown]
	s_waitcnt lgkmcnt(14)
	v_max_f64 v[142:143], v[154:155], v[154:155]
	v_max_f64 v[154:155], v[156:157], v[156:157]
	;; [unrolled: 1-line block ×6, first 2 shown]
	s_waitcnt lgkmcnt(13)
	v_max_f64 v[164:165], v[166:167], v[166:167]
	v_max_f64 v[166:167], v[168:169], v[168:169]
	s_waitcnt lgkmcnt(12)
	v_max_f64 v[168:169], v[170:171], v[170:171]
	v_max_f64 v[170:171], v[172:173], v[172:173]
	;; [unrolled: 3-line block ×14, first 2 shown]
	v_min_f64 v[220:221], v[142:143], v[184:185]
	v_min_f64 v[222:223], v[154:155], v[184:185]
	;; [unrolled: 1-line block ×32, first 2 shown]
	s_add_i32 s2, s2, 8
	v_add_f64 v[62:63], v[142:143], v[62:63]
	v_add_f64 v[60:61], v[154:155], v[60:61]
	;; [unrolled: 1-line block ×16, first 2 shown]
	v_min_f64 v[142:143], v[188:189], v[184:185]
	v_min_f64 v[154:155], v[190:191], v[184:185]
	;; [unrolled: 1-line block ×32, first 2 shown]
	s_cmp_eq_u32 s2, 32
	v_add_f64 v[126:127], v[220:221], v[126:127]
	v_add_f64 v[124:125], v[222:223], v[124:125]
	;; [unrolled: 1-line block ×48, first 2 shown]
	s_cbranch_scc0 .LBB149_19
; %bb.20:
	s_load_dword s24, s[0:1], 0x8
	ds_write2st64_b64 v149, v[128:129], v[130:131] offset0:8 offset1:12
	ds_write2st64_b64 v141, v[134:135], v[136:137] offset0:24 offset1:28
	s_waitcnt lgkmcnt(0)
	s_barrier
	s_cmp_gt_i32 s24, 8
	s_cbranch_scc1 .LBB149_22
; %bb.21:
	v_add_u32_e32 v153, 0x1000, v151
	v_add_u32_e32 v154, 0x3000, v140
	s_cbranch_execz .LBB149_23
	s_branch .LBB149_39
.LBB149_22:
                                        ; implicit-def: $vgpr153
                                        ; implicit-def: $vgpr154
.LBB149_23:
	v_add_u32_e32 v155, 0x1000, v149
	v_or_b32_e32 v156, 0x3000, v141
	s_add_i32 s2, s24, -8
	v_mad_i64_i32 v[128:129], s[24:25], v139, s28, 0
	v_mad_i64_i32 v[130:131], s[24:25], v138, s28, 0
	v_lshl_add_u64 v[132:133], v[132:133], 3, s[22:23]
	v_add_u32_e32 v153, 0x1000, v151
	v_add_u32_e32 v154, 0x3000, v140
	s_mov_b32 s3, 8
	s_mov_b32 s22, 0
	v_mov_b32_e32 v135, 0
.LBB149_24:                             ; =>This Loop Header: Depth=1
                                        ;     Child Loop BB149_30 Depth 2
                                        ;     Child Loop BB149_37 Depth 2
	s_and_b64 vcc, exec, s[4:5]
	s_cbranch_vccnz .LBB149_27
; %bb.25:                               ;   in Loop: Header=BB149_24 Depth=1
	v_or_b32_e32 v134, s3, v146
	v_lshl_add_u64 v[136:137], v[134:135], 3, s[20:21]
	v_lshl_add_u64 v[138:139], v[128:129], 3, v[136:137]
	;; [unrolled: 1-line block ×3, first 2 shown]
	flat_load_dwordx2 v[138:139], v[138:139]
	s_nop 0
	flat_load_dwordx2 v[140:141], v[136:137]
	s_waitcnt vmcnt(0) lgkmcnt(0)
	v_mul_f64 v[136:137], v[138:139], s[12:13]
	v_mul_f64 v[138:139], v[140:141], s[12:13]
	s_and_b64 vcc, exec, s[4:5]
	s_cbranch_vccnz .LBB149_28
.LBB149_26:                             ;   in Loop: Header=BB149_24 Depth=1
	v_add_u32_e32 v142, s3, v147
	v_mad_u64_u32 v[140:141], s[24:25], v142, s18, 0
	v_mov_b32_e32 v134, v141
	v_mad_u64_u32 v[142:143], s[24:25], v142, s19, v[134:135]
	v_mov_b32_e32 v141, v142
	v_lshl_add_u64 v[140:141], v[140:141], 3, v[132:133]
	flat_load_dwordx2 v[142:143], v[140:141]
	flat_load_dwordx2 v[158:159], v[140:141] offset:512
	s_waitcnt vmcnt(0) lgkmcnt(0)
	v_mul_f64 v[140:141], v[142:143], s[12:13]
	v_mul_f64 v[142:143], v[158:159], s[12:13]
	s_branch .LBB149_29
.LBB149_27:                             ;   in Loop: Header=BB149_24 Depth=1
	v_mov_b64_e32 v[136:137], 0
	v_mov_b64_e32 v[138:139], 0
	s_and_b64 vcc, exec, s[4:5]
	s_cbranch_vccz .LBB149_26
.LBB149_28:                             ;   in Loop: Header=BB149_24 Depth=1
	v_mov_b64_e32 v[140:141], 0
	v_mov_b64_e32 v[142:143], 0
.LBB149_29:                             ;   in Loop: Header=BB149_24 Depth=1
	s_mov_b32 s23, 0
.LBB149_30:                             ;   Parent Loop BB149_24 Depth=1
                                        ; =>  This Inner Loop Header: Depth=2
	v_add_u32_e32 v134, s23, v153
	ds_read2_b64 v[158:161], v134 offset1:16
	ds_read2_b64 v[162:165], v134 offset0:32 offset1:48
	ds_read2_b64 v[166:169], v134 offset0:64 offset1:80
	;; [unrolled: 1-line block ×7, first 2 shown]
	v_add_u32_e32 v134, 0x800, v134
	ds_read2_b64 v[190:193], v134 offset1:16
	ds_read2_b64 v[194:197], v134 offset0:32 offset1:48
	ds_read2_b64 v[198:201], v134 offset0:64 offset1:80
	;; [unrolled: 1-line block ×7, first 2 shown]
	v_add_u32_e32 v134, s23, v154
	ds_read2st64_b64 v[222:225], v134 offset1:4
	s_waitcnt lgkmcnt(14)
	v_max_f64 v[158:159], v[158:159], v[158:159]
	v_max_f64 v[160:161], v[160:161], v[160:161]
	v_max_f64 v[162:163], v[162:163], v[162:163]
	v_max_f64 v[164:165], v[164:165], v[164:165]
	s_waitcnt lgkmcnt(0)
	v_max_f64 v[222:223], v[222:223], v[222:223]
	v_min_f64 v[226:227], v[158:159], v[222:223]
	v_add_f64 v[126:127], v[226:227], v[126:127]
	v_min_f64 v[226:227], v[160:161], v[222:223]
	v_add_f64 v[124:125], v[226:227], v[124:125]
	;; [unrolled: 2-line block ×3, first 2 shown]
	v_min_f64 v[226:227], v[164:165], v[222:223]
	v_max_f64 v[166:167], v[166:167], v[166:167]
	v_add_f64 v[120:121], v[226:227], v[120:121]
	v_min_f64 v[226:227], v[166:167], v[222:223]
	v_max_f64 v[168:169], v[168:169], v[168:169]
	v_add_f64 v[118:119], v[226:227], v[118:119]
	;; [unrolled: 3-line block ×26, first 2 shown]
	v_min_f64 v[226:227], v[216:217], v[222:223]
	v_max_f64 v[218:219], v[218:219], v[218:219]
	v_max_f64 v[220:221], v[220:221], v[220:221]
	v_add_f64 v[68:69], v[226:227], v[68:69]
	v_min_f64 v[226:227], v[218:219], v[222:223]
	v_min_f64 v[222:223], v[220:221], v[222:223]
	v_add_f64 v[64:65], v[222:223], v[64:65]
	v_max_f64 v[222:223], v[224:225], v[224:225]
	v_min_f64 v[158:159], v[158:159], v[222:223]
	v_add_f64 v[62:63], v[158:159], v[62:63]
	v_min_f64 v[158:159], v[160:161], v[222:223]
	v_add_f64 v[60:61], v[158:159], v[60:61]
	;; [unrolled: 2-line block ×31, first 2 shown]
	v_min_f64 v[158:159], v[220:221], v[222:223]
	s_add_i32 s23, s23, 8
	v_add_f64 v[66:67], v[226:227], v[66:67]
	v_add_f64 v[0:1], v[158:159], v[0:1]
	s_cmp_eq_u32 s23, 32
	s_cbranch_scc0 .LBB149_30
; %bb.31:                               ;   in Loop: Header=BB149_24 Depth=1
	s_and_b64 vcc, exec, s[4:5]
	ds_write2st64_b64 v149, v[136:137], v[138:139] offset1:4
	ds_write2st64_b64 v150, v[140:141], v[142:143] offset1:4
	s_waitcnt lgkmcnt(0)
	s_barrier
	s_cbranch_vccnz .LBB149_34
; %bb.32:                               ;   in Loop: Header=BB149_24 Depth=1
	v_or_b32_e32 v134, s3, v146
	v_lshl_add_u64 v[136:137], v[134:135], 3, s[20:21]
	v_lshl_add_u64 v[138:139], v[128:129], 3, v[136:137]
	;; [unrolled: 1-line block ×3, first 2 shown]
	flat_load_dwordx2 v[138:139], v[138:139] offset:32
	s_nop 0
	flat_load_dwordx2 v[140:141], v[136:137] offset:32
	s_waitcnt vmcnt(0) lgkmcnt(0)
	v_mul_f64 v[136:137], v[138:139], s[12:13]
	v_mul_f64 v[138:139], v[140:141], s[12:13]
	s_and_b64 vcc, exec, s[4:5]
	s_cbranch_vccnz .LBB149_35
.LBB149_33:                             ;   in Loop: Header=BB149_24 Depth=1
	v_add_u32_e32 v142, s3, v148
	v_mad_u64_u32 v[140:141], s[24:25], v142, s18, 0
	v_mov_b32_e32 v134, v141
	v_mad_u64_u32 v[142:143], s[24:25], v142, s19, v[134:135]
	v_mov_b32_e32 v141, v142
	v_lshl_add_u64 v[140:141], v[140:141], 3, v[132:133]
	flat_load_dwordx2 v[142:143], v[140:141]
	flat_load_dwordx2 v[158:159], v[140:141] offset:512
	s_waitcnt vmcnt(0) lgkmcnt(0)
	v_mul_f64 v[140:141], v[142:143], s[12:13]
	v_mul_f64 v[142:143], v[158:159], s[12:13]
	s_branch .LBB149_36
.LBB149_34:                             ;   in Loop: Header=BB149_24 Depth=1
	v_mov_b64_e32 v[136:137], 0
	v_mov_b64_e32 v[138:139], 0
	s_and_b64 vcc, exec, s[4:5]
	s_cbranch_vccz .LBB149_33
.LBB149_35:                             ;   in Loop: Header=BB149_24 Depth=1
	v_mov_b64_e32 v[140:141], 0
	v_mov_b64_e32 v[142:143], 0
.LBB149_36:                             ;   in Loop: Header=BB149_24 Depth=1
	s_mov_b32 s23, 0
.LBB149_37:                             ;   Parent Loop BB149_24 Depth=1
                                        ; =>  This Inner Loop Header: Depth=2
	v_add_u32_e32 v134, s23, v151
	ds_read2_b64 v[158:161], v134 offset1:16
	ds_read2_b64 v[162:165], v134 offset0:32 offset1:48
	ds_read2_b64 v[166:169], v134 offset0:64 offset1:80
	;; [unrolled: 1-line block ×7, first 2 shown]
	v_add_u32_e32 v134, 0x800, v134
	ds_read2_b64 v[190:193], v134 offset1:16
	ds_read2_b64 v[194:197], v134 offset0:32 offset1:48
	ds_read2_b64 v[198:201], v134 offset0:64 offset1:80
	;; [unrolled: 1-line block ×7, first 2 shown]
	v_add_u32_e32 v134, s23, v152
	ds_read2st64_b64 v[222:225], v134 offset1:4
	s_waitcnt lgkmcnt(14)
	v_max_f64 v[158:159], v[158:159], v[158:159]
	v_max_f64 v[160:161], v[160:161], v[160:161]
	;; [unrolled: 1-line block ×4, first 2 shown]
	s_waitcnt lgkmcnt(0)
	v_max_f64 v[222:223], v[222:223], v[222:223]
	v_min_f64 v[226:227], v[158:159], v[222:223]
	v_add_f64 v[126:127], v[226:227], v[126:127]
	v_min_f64 v[226:227], v[160:161], v[222:223]
	v_add_f64 v[124:125], v[226:227], v[124:125]
	v_min_f64 v[226:227], v[162:163], v[222:223]
	v_add_f64 v[122:123], v[226:227], v[122:123]
	v_min_f64 v[226:227], v[164:165], v[222:223]
	v_max_f64 v[166:167], v[166:167], v[166:167]
	v_add_f64 v[120:121], v[226:227], v[120:121]
	v_min_f64 v[226:227], v[166:167], v[222:223]
	v_max_f64 v[168:169], v[168:169], v[168:169]
	v_add_f64 v[118:119], v[226:227], v[118:119]
	;; [unrolled: 3-line block ×26, first 2 shown]
	v_min_f64 v[226:227], v[216:217], v[222:223]
	v_max_f64 v[218:219], v[218:219], v[218:219]
	v_max_f64 v[220:221], v[220:221], v[220:221]
	v_add_f64 v[68:69], v[226:227], v[68:69]
	v_min_f64 v[226:227], v[218:219], v[222:223]
	v_min_f64 v[222:223], v[220:221], v[222:223]
	v_add_f64 v[64:65], v[222:223], v[64:65]
	v_max_f64 v[222:223], v[224:225], v[224:225]
	v_min_f64 v[158:159], v[158:159], v[222:223]
	v_add_f64 v[62:63], v[158:159], v[62:63]
	v_min_f64 v[158:159], v[160:161], v[222:223]
	v_add_f64 v[60:61], v[158:159], v[60:61]
	v_min_f64 v[158:159], v[162:163], v[222:223]
	v_add_f64 v[58:59], v[158:159], v[58:59]
	v_min_f64 v[158:159], v[164:165], v[222:223]
	v_add_f64 v[56:57], v[158:159], v[56:57]
	v_min_f64 v[158:159], v[166:167], v[222:223]
	v_add_f64 v[54:55], v[158:159], v[54:55]
	v_min_f64 v[158:159], v[168:169], v[222:223]
	v_add_f64 v[52:53], v[158:159], v[52:53]
	v_min_f64 v[158:159], v[170:171], v[222:223]
	v_add_f64 v[50:51], v[158:159], v[50:51]
	v_min_f64 v[158:159], v[172:173], v[222:223]
	v_add_f64 v[48:49], v[158:159], v[48:49]
	v_min_f64 v[158:159], v[174:175], v[222:223]
	v_add_f64 v[46:47], v[158:159], v[46:47]
	v_min_f64 v[158:159], v[176:177], v[222:223]
	v_add_f64 v[44:45], v[158:159], v[44:45]
	v_min_f64 v[158:159], v[178:179], v[222:223]
	v_add_f64 v[42:43], v[158:159], v[42:43]
	v_min_f64 v[158:159], v[180:181], v[222:223]
	v_add_f64 v[40:41], v[158:159], v[40:41]
	v_min_f64 v[158:159], v[182:183], v[222:223]
	v_add_f64 v[38:39], v[158:159], v[38:39]
	v_min_f64 v[158:159], v[184:185], v[222:223]
	v_add_f64 v[36:37], v[158:159], v[36:37]
	v_min_f64 v[158:159], v[186:187], v[222:223]
	v_add_f64 v[34:35], v[158:159], v[34:35]
	v_min_f64 v[158:159], v[188:189], v[222:223]
	v_add_f64 v[32:33], v[158:159], v[32:33]
	v_min_f64 v[158:159], v[190:191], v[222:223]
	v_add_f64 v[30:31], v[158:159], v[30:31]
	v_min_f64 v[158:159], v[192:193], v[222:223]
	v_add_f64 v[28:29], v[158:159], v[28:29]
	v_min_f64 v[158:159], v[194:195], v[222:223]
	v_add_f64 v[26:27], v[158:159], v[26:27]
	v_min_f64 v[158:159], v[196:197], v[222:223]
	v_add_f64 v[24:25], v[158:159], v[24:25]
	v_min_f64 v[158:159], v[198:199], v[222:223]
	v_add_f64 v[22:23], v[158:159], v[22:23]
	v_min_f64 v[158:159], v[200:201], v[222:223]
	v_add_f64 v[20:21], v[158:159], v[20:21]
	v_min_f64 v[158:159], v[202:203], v[222:223]
	v_add_f64 v[18:19], v[158:159], v[18:19]
	v_min_f64 v[158:159], v[204:205], v[222:223]
	v_add_f64 v[16:17], v[158:159], v[16:17]
	v_min_f64 v[158:159], v[206:207], v[222:223]
	v_add_f64 v[14:15], v[158:159], v[14:15]
	v_min_f64 v[158:159], v[208:209], v[222:223]
	v_add_f64 v[12:13], v[158:159], v[12:13]
	v_min_f64 v[158:159], v[210:211], v[222:223]
	v_add_f64 v[10:11], v[158:159], v[10:11]
	v_min_f64 v[158:159], v[212:213], v[222:223]
	v_add_f64 v[8:9], v[158:159], v[8:9]
	v_min_f64 v[158:159], v[214:215], v[222:223]
	v_add_f64 v[6:7], v[158:159], v[6:7]
	v_min_f64 v[158:159], v[216:217], v[222:223]
	v_add_f64 v[4:5], v[158:159], v[4:5]
	v_min_f64 v[158:159], v[218:219], v[222:223]
	v_add_f64 v[2:3], v[158:159], v[2:3]
	v_min_f64 v[158:159], v[220:221], v[222:223]
	s_add_i32 s23, s23, 8
	v_add_f64 v[66:67], v[226:227], v[66:67]
	v_add_f64 v[0:1], v[158:159], v[0:1]
	s_cmp_eq_u32 s23, 32
	s_cbranch_scc0 .LBB149_37
; %bb.38:                               ;   in Loop: Header=BB149_24 Depth=1
	s_add_i32 s3, s3, 8
	s_add_i32 s22, s22, 8
	s_cmp_ge_i32 s22, s2
	ds_write2st64_b64 v155, v[136:137], v[138:139] offset1:4
	ds_write2st64_b64 v156, v[140:141], v[142:143] offset1:4
	s_waitcnt lgkmcnt(0)
	s_barrier
	s_cbranch_scc0 .LBB149_24
.LBB149_39:
	s_mov_b32 s2, 0
.LBB149_40:                             ; =>This Inner Loop Header: Depth=1
	v_add_u32_e32 v150, s2, v153
	v_add_u32_e32 v151, s2, v154
	ds_read2_b64 v[128:131], v150 offset1:16
	ds_read2_b64 v[132:135], v150 offset0:32 offset1:48
	ds_read2_b64 v[136:139], v150 offset0:64 offset1:80
	;; [unrolled: 1-line block ×7, first 2 shown]
	v_add_u32_e32 v150, 0x800, v150
	ds_read2st64_b64 v[168:171], v151 offset1:4
	ds_read2_b64 v[172:175], v150 offset1:16
	ds_read2_b64 v[176:179], v150 offset0:32 offset1:48
	ds_read2_b64 v[180:183], v150 offset0:64 offset1:80
	;; [unrolled: 1-line block ×7, first 2 shown]
	s_waitcnt lgkmcnt(14)
	v_max_f64 v[128:129], v[128:129], v[128:129]
	v_max_f64 v[130:131], v[130:131], v[130:131]
	;; [unrolled: 1-line block ×3, first 2 shown]
	s_waitcnt lgkmcnt(8)
	v_max_f64 v[150:151], v[168:169], v[168:169]
	v_max_f64 v[134:135], v[134:135], v[134:135]
	;; [unrolled: 1-line block ×15, first 2 shown]
	v_min_f64 v[170:171], v[128:129], v[150:151]
	v_min_f64 v[204:205], v[130:131], v[150:151]
	;; [unrolled: 1-line block ×16, first 2 shown]
	s_waitcnt lgkmcnt(7)
	v_max_f64 v[172:173], v[172:173], v[172:173]
	v_max_f64 v[174:175], v[174:175], v[174:175]
	s_waitcnt lgkmcnt(6)
	v_max_f64 v[176:177], v[176:177], v[176:177]
	v_max_f64 v[178:179], v[178:179], v[178:179]
	;; [unrolled: 3-line block ×8, first 2 shown]
	v_min_f64 v[128:129], v[128:129], v[168:169]
	v_min_f64 v[130:131], v[130:131], v[168:169]
	;; [unrolled: 1-line block ×16, first 2 shown]
	s_add_i32 s2, s2, 8
	v_add_f64 v[126:127], v[170:171], v[126:127]
	v_add_f64 v[124:125], v[204:205], v[124:125]
	;; [unrolled: 1-line block ×15, first 2 shown]
	v_min_f64 v[170:171], v[172:173], v[150:151]
	v_min_f64 v[204:205], v[174:175], v[150:151]
	;; [unrolled: 1-line block ×16, first 2 shown]
	v_add_f64 v[62:63], v[128:129], v[62:63]
	v_add_f64 v[60:61], v[130:131], v[60:61]
	;; [unrolled: 1-line block ×16, first 2 shown]
	v_min_f64 v[128:129], v[172:173], v[168:169]
	v_min_f64 v[130:131], v[174:175], v[168:169]
	;; [unrolled: 1-line block ×16, first 2 shown]
	s_cmp_eq_u32 s2, 32
	v_add_f64 v[96:97], v[232:233], v[96:97]
	v_add_f64 v[94:95], v[170:171], v[94:95]
	;; [unrolled: 1-line block ×33, first 2 shown]
	s_cbranch_scc0 .LBB149_40
; %bb.41:
	s_load_dwordx2 s[2:3], s[0:1], 0x78
	s_load_dword s4, s[0:1], 0x58
	s_load_dword s5, s[0:1], 0x70
	v_add_u32_e32 v130, s16, v144
	v_add_u32_e32 v170, s17, v145
	s_waitcnt lgkmcnt(0)
	s_lshl_b64 s[0:1], s[2:3], 3
	s_add_u32 s0, s14, s0
	s_addc_u32 s1, s15, s1
	v_add_u32_e32 v128, 4, v130
	v_mad_i64_i32 v[132:133], s[2:3], v170, s5, 0
	v_ashrrev_i32_e32 v131, 31, v130
	v_ashrrev_i32_e32 v129, 31, v128
	v_lshl_add_u64 v[138:139], v[132:133], 3, s[0:1]
	v_mad_i64_i32 v[132:133], s[2:3], v170, s4, 0
	s_mov_b64 vcc, s[6:7]
	s_cbranch_vccz .LBB149_44
; %bb.42:
	v_add_f64 v[134:135], v[126:127], 0
	v_lshl_add_u64 v[136:137], v[130:131], 3, v[138:139]
	s_mov_b64 s[2:3], 0
	global_store_dwordx2 v[136:137], v[134:135], off
	v_lshl_add_u64 v[146:147], v[132:133], 3, s[8:9]
	v_lshlrev_b64 v[134:135], 3, v[130:131]
	s_cbranch_execz .LBB149_45
; %bb.43:
	v_mov_b64_e32 v[136:137], s[2:3]
	s_branch .LBB149_46
.LBB149_44:
	s_mov_b64 s[2:3], -1
	v_lshl_add_u64 v[146:147], v[132:133], 3, s[8:9]
	v_lshlrev_b64 v[134:135], 3, v[130:131]
.LBB149_45:
	v_lshl_add_u64 v[132:133], v[146:147], 0, v[134:135]
	flat_load_dwordx2 v[132:133], v[132:133]
	v_lshl_add_u64 v[136:137], v[138:139], 0, v[134:135]
	s_waitcnt vmcnt(0) lgkmcnt(0)
	v_fmac_f64_e32 v[126:127], s[10:11], v[132:133]
	global_store_dwordx2 v[136:137], v[126:127], off
	v_lshl_add_u64 v[126:127], v[128:129], 3, v[146:147]
	flat_load_dwordx2 v[126:127], v[126:127]
	s_waitcnt vmcnt(0) lgkmcnt(0)
	v_mul_f64 v[136:137], v[126:127], s[10:11]
.LBB149_46:
	v_add_u32_e32 v132, 8, v130
	v_add_u32_e32 v126, 12, v130
	v_ashrrev_i32_e32 v133, 31, v132
	v_ashrrev_i32_e32 v127, 31, v126
	v_add_f64 v[124:125], v[124:125], v[136:137]
	v_lshl_add_u64 v[136:137], v[128:129], 3, v[138:139]
	s_mov_b64 vcc, s[6:7]
	global_store_dwordx2 v[136:137], v[124:125], off
	s_cbranch_vccz .LBB149_49
; %bb.47:
	v_add_f64 v[124:125], v[122:123], 0
	v_lshl_add_u64 v[136:137], v[132:133], 3, v[138:139]
	s_mov_b64 s[2:3], 0
	global_store_dwordx2 v[136:137], v[124:125], off
	v_lshlrev_b64 v[136:137], 3, v[132:133]
	s_cbranch_execz .LBB149_50
; %bb.48:
	v_mov_b64_e32 v[140:141], s[2:3]
	s_branch .LBB149_51
.LBB149_49:
	s_mov_b64 s[2:3], -1
	v_lshlrev_b64 v[136:137], 3, v[132:133]
.LBB149_50:
	v_lshl_add_u64 v[124:125], v[146:147], 0, v[136:137]
	flat_load_dwordx2 v[124:125], v[124:125]
	v_lshl_add_u64 v[140:141], v[138:139], 0, v[136:137]
	s_waitcnt vmcnt(0) lgkmcnt(0)
	v_fmac_f64_e32 v[122:123], s[10:11], v[124:125]
	global_store_dwordx2 v[140:141], v[122:123], off
	v_lshl_add_u64 v[122:123], v[126:127], 3, v[146:147]
	flat_load_dwordx2 v[122:123], v[122:123]
	s_waitcnt vmcnt(0) lgkmcnt(0)
	v_mul_f64 v[140:141], v[122:123], s[10:11]
.LBB149_51:
	v_add_u32_e32 v124, 16, v130
	v_add_u32_e32 v122, 20, v130
	v_ashrrev_i32_e32 v125, 31, v124
	v_ashrrev_i32_e32 v123, 31, v122
	v_add_f64 v[120:121], v[120:121], v[140:141]
	v_lshl_add_u64 v[140:141], v[126:127], 3, v[138:139]
	s_mov_b64 vcc, s[6:7]
	global_store_dwordx2 v[140:141], v[120:121], off
	s_cbranch_vccz .LBB149_54
; %bb.52:
	v_add_f64 v[120:121], v[118:119], 0
	v_lshl_add_u64 v[140:141], v[124:125], 3, v[138:139]
	s_mov_b64 s[2:3], 0
	global_store_dwordx2 v[140:141], v[120:121], off
	v_lshlrev_b64 v[140:141], 3, v[124:125]
	s_cbranch_execz .LBB149_55
; %bb.53:
	v_mov_b64_e32 v[142:143], s[2:3]
	s_branch .LBB149_56
.LBB149_54:
	s_mov_b64 s[2:3], -1
	v_lshlrev_b64 v[140:141], 3, v[124:125]
.LBB149_55:
	v_lshl_add_u64 v[120:121], v[146:147], 0, v[140:141]
	flat_load_dwordx2 v[120:121], v[120:121]
	v_lshl_add_u64 v[142:143], v[138:139], 0, v[140:141]
	s_waitcnt vmcnt(0) lgkmcnt(0)
	v_fmac_f64_e32 v[118:119], s[10:11], v[120:121]
	global_store_dwordx2 v[142:143], v[118:119], off
	v_lshl_add_u64 v[118:119], v[122:123], 3, v[146:147]
	flat_load_dwordx2 v[118:119], v[118:119]
	s_waitcnt vmcnt(0) lgkmcnt(0)
	v_mul_f64 v[142:143], v[118:119], s[10:11]
.LBB149_56:
	;; [unrolled: 34-line block ×15, first 2 shown]
	v_add_f64 v[64:65], v[64:65], v[66:67]
	v_lshl_add_u64 v[66:67], v[70:71], 3, v[138:139]
	global_store_dwordx2 v[66:67], v[64:65], off
	v_add_u32_e32 v66, 64, v170
	v_mad_i64_i32 v[64:65], s[2:3], v66, s5, 0
	v_lshl_add_u64 v[64:65], v[64:65], 3, s[0:1]
	v_mad_i64_i32 v[66:67], s[0:1], v66, s4, 0
	s_mov_b64 vcc, s[6:7]
	s_cbranch_vccz .LBB149_124
; %bb.122:
	v_add_f64 v[138:139], v[62:63], 0
	v_lshl_add_u64 v[130:131], v[130:131], 3, v[64:65]
	s_mov_b64 s[0:1], 0
	global_store_dwordx2 v[130:131], v[138:139], off
	v_lshl_add_u64 v[66:67], v[66:67], 3, s[8:9]
	s_cbranch_execz .LBB149_125
; %bb.123:
	v_mov_b64_e32 v[62:63], s[0:1]
	s_branch .LBB149_126
.LBB149_124:
	s_mov_b64 s[0:1], -1
	v_lshl_add_u64 v[66:67], v[66:67], 3, s[8:9]
.LBB149_125:
	v_lshl_add_u64 v[130:131], v[66:67], 0, v[134:135]
	flat_load_dwordx2 v[130:131], v[130:131]
	v_lshl_add_u64 v[134:135], v[64:65], 0, v[134:135]
	s_waitcnt vmcnt(0) lgkmcnt(0)
	v_fmac_f64_e32 v[62:63], s[10:11], v[130:131]
	global_store_dwordx2 v[134:135], v[62:63], off
	v_lshl_add_u64 v[62:63], v[128:129], 3, v[66:67]
	flat_load_dwordx2 v[62:63], v[62:63]
	s_waitcnt vmcnt(0) lgkmcnt(0)
	v_mul_f64 v[62:63], v[62:63], s[10:11]
.LBB149_126:
	v_add_f64 v[60:61], v[60:61], v[62:63]
	v_lshl_add_u64 v[62:63], v[128:129], 3, v[64:65]
	s_mov_b64 vcc, s[6:7]
	global_store_dwordx2 v[62:63], v[60:61], off
	s_cbranch_vccz .LBB149_129
; %bb.127:
	v_add_f64 v[60:61], v[58:59], 0
	v_lshl_add_u64 v[62:63], v[132:133], 3, v[64:65]
	s_mov_b64 s[0:1], 0
	global_store_dwordx2 v[62:63], v[60:61], off
	s_cbranch_execz .LBB149_130
; %bb.128:
	v_mov_b64_e32 v[58:59], s[0:1]
	s_branch .LBB149_131
.LBB149_129:
	s_mov_b64 s[0:1], -1
.LBB149_130:
	v_lshl_add_u64 v[60:61], v[66:67], 0, v[136:137]
	flat_load_dwordx2 v[60:61], v[60:61]
	v_lshl_add_u64 v[62:63], v[64:65], 0, v[136:137]
	s_waitcnt vmcnt(0) lgkmcnt(0)
	v_fmac_f64_e32 v[58:59], s[10:11], v[60:61]
	global_store_dwordx2 v[62:63], v[58:59], off
	v_lshl_add_u64 v[58:59], v[126:127], 3, v[66:67]
	flat_load_dwordx2 v[58:59], v[58:59]
	s_waitcnt vmcnt(0) lgkmcnt(0)
	v_mul_f64 v[58:59], v[58:59], s[10:11]
.LBB149_131:
	v_add_f64 v[56:57], v[56:57], v[58:59]
	v_lshl_add_u64 v[58:59], v[126:127], 3, v[64:65]
	s_mov_b64 vcc, s[6:7]
	global_store_dwordx2 v[58:59], v[56:57], off
	s_cbranch_vccz .LBB149_134
; %bb.132:
	v_add_f64 v[56:57], v[54:55], 0
	v_lshl_add_u64 v[58:59], v[124:125], 3, v[64:65]
	s_mov_b64 s[0:1], 0
	global_store_dwordx2 v[58:59], v[56:57], off
	s_cbranch_execz .LBB149_135
; %bb.133:
	v_mov_b64_e32 v[54:55], s[0:1]
	s_branch .LBB149_136
.LBB149_134:
	s_mov_b64 s[0:1], -1
.LBB149_135:
	v_lshl_add_u64 v[56:57], v[66:67], 0, v[140:141]
	flat_load_dwordx2 v[56:57], v[56:57]
	v_lshl_add_u64 v[58:59], v[64:65], 0, v[140:141]
	s_waitcnt vmcnt(0) lgkmcnt(0)
	v_fmac_f64_e32 v[54:55], s[10:11], v[56:57]
	global_store_dwordx2 v[58:59], v[54:55], off
	v_lshl_add_u64 v[54:55], v[122:123], 3, v[66:67]
	flat_load_dwordx2 v[54:55], v[54:55]
	s_waitcnt vmcnt(0) lgkmcnt(0)
	v_mul_f64 v[54:55], v[54:55], s[10:11]
.LBB149_136:
	;; [unrolled: 28-line block ×14, first 2 shown]
	v_add_f64 v[4:5], v[4:5], v[6:7]
	v_lshl_add_u64 v[6:7], v[74:75], 3, v[64:65]
	s_mov_b64 vcc, s[6:7]
	global_store_dwordx2 v[6:7], v[4:5], off
	s_cbranch_vccz .LBB149_199
; %bb.197:
	v_add_f64 v[4:5], v[2:3], 0
	v_lshl_add_u64 v[6:7], v[72:73], 3, v[64:65]
	s_mov_b64 s[0:1], 0
	global_store_dwordx2 v[6:7], v[4:5], off
	s_cbranch_execz .LBB149_200
; %bb.198:
	v_mov_b64_e32 v[2:3], s[0:1]
	v_add_f64 v[0:1], v[0:1], v[2:3]
	v_lshl_add_u64 v[2:3], v[70:71], 3, v[64:65]
	global_store_dwordx2 v[2:3], v[0:1], off
	s_endpgm
.LBB149_199:
	s_mov_b64 s[0:1], -1
.LBB149_200:
	v_lshl_add_u64 v[4:5], v[66:67], 0, v[68:69]
	flat_load_dwordx2 v[4:5], v[4:5]
	v_lshl_add_u64 v[6:7], v[64:65], 0, v[68:69]
	s_waitcnt vmcnt(0) lgkmcnt(0)
	v_fmac_f64_e32 v[2:3], s[10:11], v[4:5]
	global_store_dwordx2 v[6:7], v[2:3], off
	v_lshl_add_u64 v[2:3], v[70:71], 3, v[66:67]
	flat_load_dwordx2 v[2:3], v[2:3]
	s_waitcnt vmcnt(0) lgkmcnt(0)
	v_mul_f64 v[2:3], v[2:3], s[10:11]
	v_add_f64 v[0:1], v[0:1], v[2:3]
	v_lshl_add_u64 v[2:3], v[70:71], 3, v[64:65]
	global_store_dwordx2 v[2:3], v[0:1], off
	s_endpgm
	.section	.rodata,"a",@progbits
	.p2align	6, 0x0
	.amdhsa_kernel _ZN12_GLOBAL__N_120geam_min_plus_kernelIdddLi4ELi64ELi128ELi128ELi4ELi4ELi64ELi64ELi4ELc84ELc84ELb0ELb0ELb0EdKPKdKPdEEviiiT16_PT17_ilS8_ilS6_S8_ilPT18_ili26rocblas_geam_ex_operation_
		.amdhsa_group_segment_fixed_size 16384
		.amdhsa_private_segment_fixed_size 0
		.amdhsa_kernarg_size 136
		.amdhsa_user_sgpr_count 2
		.amdhsa_user_sgpr_dispatch_ptr 0
		.amdhsa_user_sgpr_queue_ptr 0
		.amdhsa_user_sgpr_kernarg_segment_ptr 1
		.amdhsa_user_sgpr_dispatch_id 0
		.amdhsa_user_sgpr_kernarg_preload_length 0
		.amdhsa_user_sgpr_kernarg_preload_offset 0
		.amdhsa_user_sgpr_private_segment_size 0
		.amdhsa_uses_dynamic_stack 0
		.amdhsa_enable_private_segment 0
		.amdhsa_system_sgpr_workgroup_id_x 1
		.amdhsa_system_sgpr_workgroup_id_y 0
		.amdhsa_system_sgpr_workgroup_id_z 1
		.amdhsa_system_sgpr_workgroup_info 0
		.amdhsa_system_vgpr_workitem_id 1
		.amdhsa_next_free_vgpr 252
		.amdhsa_next_free_sgpr 29
		.amdhsa_accum_offset 252
		.amdhsa_reserve_vcc 1
		.amdhsa_float_round_mode_32 0
		.amdhsa_float_round_mode_16_64 0
		.amdhsa_float_denorm_mode_32 3
		.amdhsa_float_denorm_mode_16_64 3
		.amdhsa_dx10_clamp 1
		.amdhsa_ieee_mode 1
		.amdhsa_fp16_overflow 0
		.amdhsa_tg_split 0
		.amdhsa_exception_fp_ieee_invalid_op 0
		.amdhsa_exception_fp_denorm_src 0
		.amdhsa_exception_fp_ieee_div_zero 0
		.amdhsa_exception_fp_ieee_overflow 0
		.amdhsa_exception_fp_ieee_underflow 0
		.amdhsa_exception_fp_ieee_inexact 0
		.amdhsa_exception_int_div_zero 0
	.end_amdhsa_kernel
	.section	.text._ZN12_GLOBAL__N_120geam_min_plus_kernelIdddLi4ELi64ELi128ELi128ELi4ELi4ELi64ELi64ELi4ELc84ELc84ELb0ELb0ELb0EdKPKdKPdEEviiiT16_PT17_ilS8_ilS6_S8_ilPT18_ili26rocblas_geam_ex_operation_,"axG",@progbits,_ZN12_GLOBAL__N_120geam_min_plus_kernelIdddLi4ELi64ELi128ELi128ELi4ELi4ELi64ELi64ELi4ELc84ELc84ELb0ELb0ELb0EdKPKdKPdEEviiiT16_PT17_ilS8_ilS6_S8_ilPT18_ili26rocblas_geam_ex_operation_,comdat
.Lfunc_end149:
	.size	_ZN12_GLOBAL__N_120geam_min_plus_kernelIdddLi4ELi64ELi128ELi128ELi4ELi4ELi64ELi64ELi4ELc84ELc84ELb0ELb0ELb0EdKPKdKPdEEviiiT16_PT17_ilS8_ilS6_S8_ilPT18_ili26rocblas_geam_ex_operation_, .Lfunc_end149-_ZN12_GLOBAL__N_120geam_min_plus_kernelIdddLi4ELi64ELi128ELi128ELi4ELi4ELi64ELi64ELi4ELc84ELc84ELb0ELb0ELb0EdKPKdKPdEEviiiT16_PT17_ilS8_ilS6_S8_ilPT18_ili26rocblas_geam_ex_operation_
                                        ; -- End function
	.section	.AMDGPU.csdata,"",@progbits
; Kernel info:
; codeLenInByte = 13076
; NumSgprs: 35
; NumVgprs: 252
; NumAgprs: 0
; TotalNumVgprs: 252
; ScratchSize: 0
; MemoryBound: 0
; FloatMode: 240
; IeeeMode: 1
; LDSByteSize: 16384 bytes/workgroup (compile time only)
; SGPRBlocks: 4
; VGPRBlocks: 31
; NumSGPRsForWavesPerEU: 35
; NumVGPRsForWavesPerEU: 252
; AccumOffset: 252
; Occupancy: 2
; WaveLimiterHint : 1
; COMPUTE_PGM_RSRC2:SCRATCH_EN: 0
; COMPUTE_PGM_RSRC2:USER_SGPR: 2
; COMPUTE_PGM_RSRC2:TRAP_HANDLER: 0
; COMPUTE_PGM_RSRC2:TGID_X_EN: 1
; COMPUTE_PGM_RSRC2:TGID_Y_EN: 0
; COMPUTE_PGM_RSRC2:TGID_Z_EN: 1
; COMPUTE_PGM_RSRC2:TIDIG_COMP_CNT: 1
; COMPUTE_PGM_RSRC3_GFX90A:ACCUM_OFFSET: 62
; COMPUTE_PGM_RSRC3_GFX90A:TG_SPLIT: 0
	.section	.text._ZN12_GLOBAL__N_120geam_min_plus_kernelIdddLi4ELi64ELi128ELi128ELi4ELi4ELi64ELi64ELi4ELc84ELc84ELb0ELb1ELb0EPKdKS2_KPdEEviiiT16_PT17_ilS8_ilS6_S8_ilPT18_ili26rocblas_geam_ex_operation_,"axG",@progbits,_ZN12_GLOBAL__N_120geam_min_plus_kernelIdddLi4ELi64ELi128ELi128ELi4ELi4ELi64ELi64ELi4ELc84ELc84ELb0ELb1ELb0EPKdKS2_KPdEEviiiT16_PT17_ilS8_ilS6_S8_ilPT18_ili26rocblas_geam_ex_operation_,comdat
	.globl	_ZN12_GLOBAL__N_120geam_min_plus_kernelIdddLi4ELi64ELi128ELi128ELi4ELi4ELi64ELi64ELi4ELc84ELc84ELb0ELb1ELb0EPKdKS2_KPdEEviiiT16_PT17_ilS8_ilS6_S8_ilPT18_ili26rocblas_geam_ex_operation_ ; -- Begin function _ZN12_GLOBAL__N_120geam_min_plus_kernelIdddLi4ELi64ELi128ELi128ELi4ELi4ELi64ELi64ELi4ELc84ELc84ELb0ELb1ELb0EPKdKS2_KPdEEviiiT16_PT17_ilS8_ilS6_S8_ilPT18_ili26rocblas_geam_ex_operation_
	.p2align	8
	.type	_ZN12_GLOBAL__N_120geam_min_plus_kernelIdddLi4ELi64ELi128ELi128ELi4ELi4ELi64ELi64ELi4ELc84ELc84ELb0ELb1ELb0EPKdKS2_KPdEEviiiT16_PT17_ilS8_ilS6_S8_ilPT18_ili26rocblas_geam_ex_operation_,@function
_ZN12_GLOBAL__N_120geam_min_plus_kernelIdddLi4ELi64ELi128ELi128ELi4ELi4ELi64ELi64ELi4ELc84ELc84ELb0ELb1ELb0EPKdKS2_KPdEEviiiT16_PT17_ilS8_ilS6_S8_ilPT18_ili26rocblas_geam_ex_operation_: ; @_ZN12_GLOBAL__N_120geam_min_plus_kernelIdddLi4ELi64ELi128ELi128ELi4ELi4ELi64ELi64ELi4ELc84ELc84ELb0ELb1ELb0EPKdKS2_KPdEEviiiT16_PT17_ilS8_ilS6_S8_ilPT18_ili26rocblas_geam_ex_operation_
; %bb.0:
	s_load_dwordx4 s[12:15], s[0:1], 0x10
	s_load_dwordx4 s[4:7], s[0:1], 0x28
	s_mov_b32 s8, s3
	s_mov_b32 s9, 0
	s_lshl_b64 s[22:23], s[8:9], 3
	s_waitcnt lgkmcnt(0)
	s_add_u32 s18, s12, s22
	s_load_dwordx4 s[8:11], s[0:1], 0x40
	s_addc_u32 s19, s13, s23
	s_load_dwordx2 s[16:17], s[18:19], 0x0
	s_load_dwordx2 s[12:13], s[0:1], 0x50
	s_mov_b64 s[18:19], 0
	s_waitcnt lgkmcnt(0)
	s_add_u32 s10, s10, s22
	v_cmp_eq_f64_e64 s[20:21], s[16:17], 0
	s_addc_u32 s11, s11, s23
	v_cmp_neq_f64_e64 s[24:25], s[16:17], 0
	s_and_b64 vcc, exec, s[20:21]
	s_mov_b64 s[20:21], 0
	s_cbranch_vccnz .LBB150_2
; %bb.1:
	s_add_u32 s14, s14, s22
	s_addc_u32 s15, s15, s23
	s_load_dwordx2 s[14:15], s[14:15], 0x0
	s_lshl_b64 s[4:5], s[4:5], 3
	s_waitcnt lgkmcnt(0)
	s_add_u32 s20, s14, s4
	s_addc_u32 s21, s15, s5
.LBB150_2:
	s_load_dwordx2 s[70:71], s[10:11], 0x0
	s_andn2_b64 vcc, exec, s[24:25]
	s_cbranch_vccnz .LBB150_4
; %bb.3:
	s_add_u32 s4, s6, s22
	s_addc_u32 s5, s7, s23
	s_load_dwordx2 s[4:5], s[4:5], 0x0
	s_lshl_b64 s[6:7], s[8:9], 3
	s_waitcnt lgkmcnt(0)
	s_add_u32 s18, s4, s6
	s_addc_u32 s19, s5, s7
.LBB150_4:
	s_load_dwordx4 s[4:7], s[0:1], 0x60
	s_waitcnt lgkmcnt(0)
	v_cmp_eq_f64_e64 s[8:9], s[70:71], 0
	s_mov_b64 s[76:77], 0
	v_cmp_neq_f64_e64 s[10:11], s[70:71], 0
	s_and_b64 vcc, exec, s[8:9]
	s_cbranch_vccnz .LBB150_6
; %bb.5:
	s_add_u32 s8, s12, s22
	s_addc_u32 s9, s13, s23
	s_load_dwordx2 s[8:9], s[8:9], 0x0
	s_lshl_b64 s[4:5], s[4:5], 3
	s_waitcnt lgkmcnt(0)
	s_add_u32 s76, s8, s4
	s_addc_u32 s77, s9, s5
.LBB150_6:
	s_load_dwordx4 s[72:75], s[0:1], 0x0
	s_load_dword s29, s[0:1], 0x20
	s_add_u32 s4, s6, s22
	s_addc_u32 s5, s7, s23
	v_and_b32_e32 v144, 0x3ff, v0
	s_waitcnt lgkmcnt(0)
	s_add_i32 s3, s72, -1
	s_ashr_i32 s6, s3, 31
	s_lshr_b32 s6, s6, 25
	s_add_i32 s3, s3, s6
	s_ashr_i32 s3, s3, 7
	s_add_i32 s6, s3, 1
	v_cvt_f32_u32_e32 v1, s6
	v_bfe_u32 v145, v0, 10, 10
	s_load_dwordx2 s[12:13], s[4:5], 0x0
	s_not_b32 s3, s3
	v_rcp_iflag_f32_e32 v0, v1
	v_lshl_add_u32 v8, v145, 2, v144
	v_lshrrev_b32_e32 v10, 2, v8
	v_and_b32_e32 v146, 3, v144
	v_mul_f32_e32 v0, 0x4f7ffffe, v0
	v_cvt_u32_f32_e32 v0, v0
	v_cmp_le_i32_e32 vcc, s74, v146
	v_cmp_eq_f64_e64 s[14:15], s[16:17], 0
	v_readfirstlane_b32 s4, v0
	s_mul_i32 s3, s3, s4
	s_mul_hi_u32 s3, s4, s3
	s_add_i32 s4, s4, s3
	s_mul_hi_u32 s3, s2, s4
	s_mul_i32 s4, s3, s6
	s_sub_i32 s4, s2, s4
	s_add_i32 s5, s3, 1
	s_sub_i32 s7, s4, s6
	s_cmp_ge_u32 s4, s6
	s_cselect_b32 s3, s5, s3
	s_cselect_b32 s4, s7, s4
	s_add_i32 s5, s3, 1
	s_cmp_ge_u32 s4, s6
	s_cselect_b32 s8, s5, s3
	s_mul_i32 s3, s8, s6
	s_sub_i32 s2, s2, s3
	s_lshl_b32 s24, s2, 7
	v_add_u32_e32 v138, s24, v10
	s_add_i32 s26, s74, -1
	v_cmp_le_i32_e64 s[2:3], s72, v138
	v_min_i32_e32 v2, s26, v146
	s_or_b64 s[4:5], vcc, s[2:3]
	v_mov_b64_e32 v[0:1], 0
	v_ashrrev_i32_e32 v3, 31, v2
	s_or_b64 s[4:5], s[14:15], s[4:5]
	v_lshl_add_u64 v[6:7], v[2:3], 3, s[20:21]
	s_xor_b64 s[6:7], s[4:5], -1
	v_mov_b64_e32 v[2:3], v[0:1]
	s_and_saveexec_b64 s[4:5], s[6:7]
	s_cbranch_execz .LBB150_8
; %bb.7:
	v_mad_i64_i32 v[2:3], s[6:7], v138, s29, 0
	v_lshl_add_u64 v[2:3], v[2:3], 3, v[6:7]
	flat_load_dwordx2 v[2:3], v[2:3]
	s_waitcnt vmcnt(0) lgkmcnt(0)
	v_mul_f64 v[2:3], s[16:17], v[2:3]
.LBB150_8:
	s_or_b64 exec, exec, s[4:5]
	v_add_u32_e32 v139, 64, v138
	v_cmp_le_i32_e64 s[4:5], s72, v139
	s_or_b64 s[6:7], vcc, s[4:5]
	s_or_b64 s[6:7], s[14:15], s[6:7]
	s_xor_b64 s[22:23], s[6:7], -1
	v_mov_b64_e32 v[4:5], v[0:1]
	s_and_saveexec_b64 s[6:7], s[22:23]
	s_cbranch_execz .LBB150_10
; %bb.9:
	v_mad_i64_i32 v[4:5], s[22:23], v139, s29, 0
	v_lshl_add_u64 v[4:5], v[4:5], 3, v[6:7]
	flat_load_dwordx2 v[4:5], v[4:5]
	s_waitcnt vmcnt(0) lgkmcnt(0)
	v_mul_f64 v[4:5], s[16:17], v[4:5]
.LBB150_10:
	s_or_b64 exec, exec, s[6:7]
	s_load_dword s27, s[0:1], 0x38
	v_lshrrev_b32_e32 v147, 6, v8
	v_and_b32_e32 v11, 63, v8
	s_lshl_b32 s25, s8, 7
	v_min_i32_e32 v6, s26, v147
	v_or_b32_e32 v128, s25, v11
	s_waitcnt lgkmcnt(0)
	v_mad_i64_i32 v[6:7], s[6:7], s27, v6, 0
	v_cmp_le_i32_e32 vcc, s74, v147
	v_cmp_le_i32_e64 s[6:7], s73, v128
	s_or_b64 s[8:9], s[6:7], vcc
	s_or_b64 s[8:9], s[14:15], s[8:9]
	v_lshl_add_u64 v[8:9], v[6:7], 3, s[18:19]
	s_xor_b64 s[22:23], s[8:9], -1
	v_ashrrev_i32_e32 v129, 31, v128
	s_and_saveexec_b64 s[8:9], s[22:23]
	s_cbranch_execz .LBB150_12
; %bb.11:
	v_lshl_add_u64 v[0:1], v[128:129], 3, v[8:9]
	flat_load_dwordx2 v[0:1], v[0:1]
	s_waitcnt vmcnt(0) lgkmcnt(0)
	v_mul_f64 v[0:1], s[16:17], v[0:1]
.LBB150_12:
	s_or_b64 exec, exec, s[8:9]
	v_or_b32_e32 v6, 64, v128
	v_cmp_le_i32_e64 s[8:9], s73, v6
	s_or_b64 s[22:23], s[8:9], vcc
	s_or_b64 s[22:23], s[14:15], s[22:23]
	v_mov_b64_e32 v[130:131], 0
	s_xor_b64 s[30:31], s[22:23], -1
	v_mov_b64_e32 v[6:7], v[130:131]
	s_and_saveexec_b64 s[22:23], s[30:31]
	s_cbranch_execz .LBB150_14
; %bb.13:
	v_lshl_add_u64 v[6:7], v[128:129], 3, v[8:9]
	flat_load_dwordx2 v[6:7], v[6:7] offset:512
	s_waitcnt vmcnt(0) lgkmcnt(0)
	v_mul_f64 v[6:7], s[16:17], v[6:7]
.LBB150_14:
	s_or_b64 exec, exec, s[22:23]
	v_or_b32_e32 v8, 4, v146
	v_cmp_le_i32_e32 vcc, s74, v8
	v_min_i32_e32 v8, s26, v8
	s_or_b64 s[22:23], vcc, s[2:3]
	v_ashrrev_i32_e32 v9, 31, v8
	s_or_b64 s[22:23], s[14:15], s[22:23]
	v_lshl_add_u64 v[8:9], v[8:9], 3, s[20:21]
	s_xor_b64 s[30:31], s[22:23], -1
	s_and_saveexec_b64 s[22:23], s[30:31]
	s_cbranch_execz .LBB150_16
; %bb.15:
	v_mad_i64_i32 v[12:13], s[30:31], v138, s29, 0
	v_lshl_add_u64 v[12:13], v[12:13], 3, v[8:9]
	flat_load_dwordx2 v[12:13], v[12:13]
	s_waitcnt vmcnt(0) lgkmcnt(0)
	v_mul_f64 v[130:131], s[16:17], v[12:13]
.LBB150_16:
	s_or_b64 exec, exec, s[22:23]
	s_or_b64 s[22:23], vcc, s[4:5]
	s_or_b64 s[22:23], s[14:15], s[22:23]
	v_mov_b64_e32 v[132:133], 0
	s_xor_b64 s[30:31], s[22:23], -1
	v_mov_b64_e32 v[134:135], v[132:133]
	s_and_saveexec_b64 s[22:23], s[30:31]
	s_cbranch_execz .LBB150_18
; %bb.17:
	v_mad_i64_i32 v[12:13], s[30:31], v139, s29, 0
	v_lshl_add_u64 v[8:9], v[12:13], 3, v[8:9]
	flat_load_dwordx2 v[8:9], v[8:9]
	s_waitcnt vmcnt(0) lgkmcnt(0)
	v_mul_f64 v[134:135], s[16:17], v[8:9]
.LBB150_18:
	s_or_b64 exec, exec, s[22:23]
	v_add_u32_e32 v8, 4, v147
	v_cmp_le_i32_e32 vcc, s74, v8
	v_min_i32_e32 v8, s26, v8
	v_mad_i64_i32 v[8:9], s[22:23], s27, v8, 0
	s_or_b64 s[22:23], s[6:7], vcc
	s_or_b64 s[22:23], s[14:15], s[22:23]
	v_lshl_add_u64 v[8:9], v[8:9], 3, s[18:19]
	s_xor_b64 s[30:31], s[22:23], -1
	s_and_saveexec_b64 s[22:23], s[30:31]
	s_cbranch_execz .LBB150_20
; %bb.19:
	v_lshl_add_u64 v[12:13], v[128:129], 3, v[8:9]
	flat_load_dwordx2 v[12:13], v[12:13]
	s_waitcnt vmcnt(0) lgkmcnt(0)
	v_mul_f64 v[132:133], s[16:17], v[12:13]
.LBB150_20:
	s_or_b64 exec, exec, s[22:23]
	s_or_b64 s[22:23], s[8:9], vcc
	s_or_b64 s[22:23], s[14:15], s[22:23]
	v_mov_b64_e32 v[126:127], 0
	s_xor_b64 s[30:31], s[22:23], -1
	v_mov_b64_e32 v[136:137], v[126:127]
	s_and_saveexec_b64 s[22:23], s[30:31]
	s_cbranch_execz .LBB150_22
; %bb.21:
	v_lshl_add_u64 v[8:9], v[128:129], 3, v[8:9]
	flat_load_dwordx2 v[8:9], v[8:9] offset:512
	s_waitcnt vmcnt(0) lgkmcnt(0)
	v_mul_f64 v[136:137], s[16:17], v[8:9]
.LBB150_22:
	s_or_b64 exec, exec, s[22:23]
	v_lshlrev_b32_e32 v8, 3, v146
	v_lshl_or_b32 v148, v10, 5, v8
	ds_write2st64_b64 v148, v[2:3], v[4:5] offset1:4
	v_lshlrev_b32_e32 v2, 5, v11
	v_lshl_add_u32 v141, v147, 3, v2
	v_lshlrev_b32_e32 v140, 5, v145
	v_or_b32_e32 v149, 0x2000, v141
	ds_write2st64_b64 v141, v[0:1], v[6:7] offset0:16 offset1:20
	v_lshlrev_b32_e32 v150, 5, v144
	v_add_u32_e32 v151, 0x2000, v140
	s_mov_b32 s22, 0
	v_mov_b64_e32 v[124:125], v[126:127]
	v_mov_b64_e32 v[122:123], v[126:127]
	;; [unrolled: 1-line block ×63, first 2 shown]
	s_waitcnt lgkmcnt(0)
	s_barrier
.LBB150_23:                             ; =>This Inner Loop Header: Depth=1
	v_add_u32_e32 v142, s22, v150
	v_add_u32_e32 v143, s22, v151
	ds_read2_b64 v[152:155], v142 offset1:16
	ds_read2_b64 v[156:159], v142 offset0:32 offset1:48
	ds_read2_b64 v[160:163], v142 offset0:64 offset1:80
	;; [unrolled: 1-line block ×7, first 2 shown]
	ds_read2st64_b64 v[184:187], v143 offset1:4
	v_add_u32_e32 v142, 0x800, v142
	ds_read2_b64 v[188:191], v142 offset1:16
	ds_read2_b64 v[192:195], v142 offset0:32 offset1:48
	ds_read2_b64 v[196:199], v142 offset0:64 offset1:80
	;; [unrolled: 1-line block ×7, first 2 shown]
	s_waitcnt lgkmcnt(14)
	v_max_f64 v[142:143], v[152:153], v[152:153]
	v_max_f64 v[152:153], v[154:155], v[154:155]
	;; [unrolled: 1-line block ×6, first 2 shown]
	s_waitcnt lgkmcnt(13)
	v_max_f64 v[162:163], v[164:165], v[164:165]
	v_max_f64 v[164:165], v[166:167], v[166:167]
	s_waitcnt lgkmcnt(12)
	v_max_f64 v[166:167], v[168:169], v[168:169]
	v_max_f64 v[168:169], v[170:171], v[170:171]
	;; [unrolled: 3-line block ×14, first 2 shown]
	v_min_f64 v[218:219], v[142:143], v[182:183]
	v_min_f64 v[220:221], v[152:153], v[182:183]
	;; [unrolled: 1-line block ×32, first 2 shown]
	s_add_i32 s22, s22, 8
	v_add_f64 v[62:63], v[142:143], v[62:63]
	v_add_f64 v[60:61], v[152:153], v[60:61]
	;; [unrolled: 1-line block ×16, first 2 shown]
	v_min_f64 v[142:143], v[186:187], v[182:183]
	v_min_f64 v[152:153], v[188:189], v[182:183]
	;; [unrolled: 1-line block ×32, first 2 shown]
	s_cmp_eq_u32 s22, 32
	v_add_f64 v[126:127], v[218:219], v[126:127]
	v_add_f64 v[124:125], v[220:221], v[124:125]
	;; [unrolled: 1-line block ×48, first 2 shown]
	s_cbranch_scc0 .LBB150_23
; %bb.24:
	s_cmp_gt_i32 s74, 8
	ds_write2st64_b64 v148, v[130:131], v[134:135] offset0:8 offset1:12
	ds_write2st64_b64 v141, v[132:133], v[136:137] offset0:24 offset1:28
	s_waitcnt lgkmcnt(0)
	s_barrier
	s_cbranch_scc1 .LBB150_26
; %bb.25:
	v_add_u32_e32 v152, 0x1000, v150
	v_add_u32_e32 v153, 0x3000, v140
	s_cbranch_execz .LBB150_27
	s_branch .LBB150_49
.LBB150_26:
                                        ; implicit-def: $vgpr152
                                        ; implicit-def: $vgpr153
.LBB150_27:
	v_add_u32_e32 v154, 0x1000, v148
	v_or_b32_e32 v155, 0x3000, v141
	s_add_i32 s28, s74, -8
	v_mad_i64_i32 v[130:131], s[22:23], v138, s29, 0
	v_mad_i64_i32 v[132:133], s[22:23], v139, s29, 0
	v_add_u32_e32 v152, 0x1000, v150
	v_add_u32_e32 v153, 0x3000, v140
	s_mov_b32 s29, 8
	s_mov_b32 s30, 0
.LBB150_28:                             ; =>This Loop Header: Depth=1
                                        ;     Child Loop BB150_37 Depth 2
                                        ;     Child Loop BB150_47 Depth 2
	v_or_b32_e32 v156, s29, v146
	v_cmp_le_i32_e32 vcc, s74, v156
	v_min_i32_e32 v134, s26, v156
	v_ashrrev_i32_e32 v135, 31, v134
	s_or_b64 s[22:23], s[2:3], vcc
	v_lshl_add_u64 v[138:139], v[134:135], 3, s[20:21]
	s_or_b64 s[22:23], s[14:15], s[22:23]
	v_mov_b64_e32 v[134:135], 0
	s_xor_b64 s[34:35], s[22:23], -1
	v_mov_b64_e32 v[136:137], v[134:135]
	s_and_saveexec_b64 s[22:23], s[34:35]
	s_cbranch_execz .LBB150_30
; %bb.29:                               ;   in Loop: Header=BB150_28 Depth=1
	v_lshl_add_u64 v[136:137], v[130:131], 3, v[138:139]
	flat_load_dwordx2 v[136:137], v[136:137]
	s_waitcnt vmcnt(0) lgkmcnt(0)
	v_mul_f64 v[136:137], s[16:17], v[136:137]
.LBB150_30:                             ;   in Loop: Header=BB150_28 Depth=1
	s_or_b64 exec, exec, s[22:23]
	s_or_b64 s[22:23], s[4:5], vcc
	s_or_b64 s[22:23], s[14:15], s[22:23]
	s_xor_b64 s[34:35], s[22:23], -1
	s_and_saveexec_b64 s[22:23], s[34:35]
	s_cbranch_execz .LBB150_32
; %bb.31:                               ;   in Loop: Header=BB150_28 Depth=1
	v_lshl_add_u64 v[134:135], v[132:133], 3, v[138:139]
	flat_load_dwordx2 v[134:135], v[134:135]
	s_waitcnt vmcnt(0) lgkmcnt(0)
	v_mul_f64 v[134:135], s[16:17], v[134:135]
.LBB150_32:                             ;   in Loop: Header=BB150_28 Depth=1
	s_or_b64 exec, exec, s[22:23]
	v_add_u32_e32 v138, s29, v147
	v_cmp_le_i32_e32 vcc, s74, v138
	v_min_i32_e32 v138, s26, v138
	v_mad_i64_i32 v[138:139], s[22:23], v138, s27, 0
	s_or_b64 s[22:23], s[6:7], vcc
	v_lshl_add_u64 v[140:141], v[138:139], 3, s[18:19]
	s_or_b64 s[22:23], s[14:15], s[22:23]
	v_mov_b64_e32 v[138:139], 0
	s_xor_b64 s[34:35], s[22:23], -1
	v_lshl_add_u64 v[142:143], v[128:129], 3, v[140:141]
	v_mov_b64_e32 v[140:141], v[138:139]
	s_and_saveexec_b64 s[22:23], s[34:35]
	s_cbranch_execz .LBB150_34
; %bb.33:                               ;   in Loop: Header=BB150_28 Depth=1
	flat_load_dwordx2 v[140:141], v[142:143]
	s_waitcnt vmcnt(0) lgkmcnt(0)
	v_mul_f64 v[140:141], s[16:17], v[140:141]
.LBB150_34:                             ;   in Loop: Header=BB150_28 Depth=1
	s_or_b64 exec, exec, s[22:23]
	s_or_b64 s[22:23], s[8:9], vcc
	s_or_b64 s[22:23], s[14:15], s[22:23]
	s_xor_b64 s[34:35], s[22:23], -1
	s_and_saveexec_b64 s[22:23], s[34:35]
	s_cbranch_execz .LBB150_36
; %bb.35:                               ;   in Loop: Header=BB150_28 Depth=1
	flat_load_dwordx2 v[138:139], v[142:143] offset:512
	s_waitcnt vmcnt(0) lgkmcnt(0)
	v_mul_f64 v[138:139], s[16:17], v[138:139]
.LBB150_36:                             ;   in Loop: Header=BB150_28 Depth=1
	s_or_b64 exec, exec, s[22:23]
	s_mov_b32 s22, 0
.LBB150_37:                             ;   Parent Loop BB150_28 Depth=1
                                        ; =>  This Inner Loop Header: Depth=2
	v_add_u32_e32 v142, s22, v152
	ds_read2_b64 v[158:161], v142 offset1:16
	ds_read2_b64 v[162:165], v142 offset0:32 offset1:48
	ds_read2_b64 v[166:169], v142 offset0:64 offset1:80
	;; [unrolled: 1-line block ×7, first 2 shown]
	v_add_u32_e32 v142, 0x800, v142
	ds_read2_b64 v[190:193], v142 offset1:16
	ds_read2_b64 v[194:197], v142 offset0:32 offset1:48
	ds_read2_b64 v[198:201], v142 offset0:64 offset1:80
	;; [unrolled: 1-line block ×7, first 2 shown]
	v_add_u32_e32 v142, s22, v153
	ds_read2st64_b64 v[222:225], v142 offset1:4
	s_waitcnt lgkmcnt(14)
	v_max_f64 v[158:159], v[158:159], v[158:159]
	v_max_f64 v[160:161], v[160:161], v[160:161]
	v_max_f64 v[162:163], v[162:163], v[162:163]
	v_max_f64 v[164:165], v[164:165], v[164:165]
	s_waitcnt lgkmcnt(0)
	v_max_f64 v[142:143], v[222:223], v[222:223]
	v_min_f64 v[222:223], v[158:159], v[142:143]
	v_add_f64 v[126:127], v[222:223], v[126:127]
	v_min_f64 v[222:223], v[160:161], v[142:143]
	v_add_f64 v[124:125], v[222:223], v[124:125]
	;; [unrolled: 2-line block ×3, first 2 shown]
	v_min_f64 v[222:223], v[164:165], v[142:143]
	v_max_f64 v[166:167], v[166:167], v[166:167]
	v_add_f64 v[120:121], v[222:223], v[120:121]
	v_min_f64 v[222:223], v[166:167], v[142:143]
	v_max_f64 v[168:169], v[168:169], v[168:169]
	v_add_f64 v[118:119], v[222:223], v[118:119]
	;; [unrolled: 3-line block ×26, first 2 shown]
	v_min_f64 v[222:223], v[216:217], v[142:143]
	v_max_f64 v[218:219], v[218:219], v[218:219]
	v_max_f64 v[220:221], v[220:221], v[220:221]
	v_add_f64 v[68:69], v[222:223], v[68:69]
	v_min_f64 v[222:223], v[218:219], v[142:143]
	v_min_f64 v[142:143], v[220:221], v[142:143]
	v_add_f64 v[64:65], v[142:143], v[64:65]
	v_max_f64 v[142:143], v[224:225], v[224:225]
	v_min_f64 v[158:159], v[158:159], v[142:143]
	v_add_f64 v[62:63], v[158:159], v[62:63]
	v_min_f64 v[158:159], v[160:161], v[142:143]
	v_add_f64 v[60:61], v[158:159], v[60:61]
	;; [unrolled: 2-line block ×30, first 2 shown]
	v_min_f64 v[158:159], v[218:219], v[142:143]
	v_min_f64 v[142:143], v[220:221], v[142:143]
	s_add_i32 s22, s22, 8
	v_add_f64 v[66:67], v[222:223], v[66:67]
	v_add_f64 v[2:3], v[158:159], v[2:3]
	;; [unrolled: 1-line block ×3, first 2 shown]
	s_cmp_eq_u32 s22, 32
	s_cbranch_scc0 .LBB150_37
; %bb.38:                               ;   in Loop: Header=BB150_28 Depth=1
	ds_write2st64_b64 v148, v[136:137], v[134:135] offset1:4
	ds_write2st64_b64 v149, v[140:141], v[138:139] offset1:4
	v_or_b32_e32 v134, 4, v156
	v_cmp_le_i32_e32 vcc, s74, v134
	v_min_i32_e32 v134, s26, v134
	v_ashrrev_i32_e32 v135, 31, v134
	s_or_b64 s[22:23], s[2:3], vcc
	v_lshl_add_u64 v[138:139], v[134:135], 3, s[20:21]
	s_or_b64 s[22:23], s[14:15], s[22:23]
	v_mov_b64_e32 v[134:135], 0
	s_xor_b64 s[34:35], s[22:23], -1
	v_mov_b64_e32 v[136:137], v[134:135]
	s_waitcnt lgkmcnt(0)
	s_barrier
	s_and_saveexec_b64 s[22:23], s[34:35]
	s_cbranch_execz .LBB150_40
; %bb.39:                               ;   in Loop: Header=BB150_28 Depth=1
	v_lshl_add_u64 v[136:137], v[130:131], 3, v[138:139]
	flat_load_dwordx2 v[136:137], v[136:137]
	s_waitcnt vmcnt(0) lgkmcnt(0)
	v_mul_f64 v[136:137], s[16:17], v[136:137]
.LBB150_40:                             ;   in Loop: Header=BB150_28 Depth=1
	s_or_b64 exec, exec, s[22:23]
	s_or_b64 s[22:23], s[4:5], vcc
	s_or_b64 s[22:23], s[14:15], s[22:23]
	s_xor_b64 s[34:35], s[22:23], -1
	s_and_saveexec_b64 s[22:23], s[34:35]
	s_cbranch_execz .LBB150_42
; %bb.41:                               ;   in Loop: Header=BB150_28 Depth=1
	v_lshl_add_u64 v[134:135], v[132:133], 3, v[138:139]
	flat_load_dwordx2 v[134:135], v[134:135]
	s_waitcnt vmcnt(0) lgkmcnt(0)
	v_mul_f64 v[134:135], s[16:17], v[134:135]
.LBB150_42:                             ;   in Loop: Header=BB150_28 Depth=1
	s_or_b64 exec, exec, s[22:23]
	v_add3_u32 v138, v147, s29, 4
	v_cmp_le_i32_e32 vcc, s74, v138
	v_min_i32_e32 v138, s26, v138
	v_mad_i64_i32 v[138:139], s[22:23], v138, s27, 0
	s_or_b64 s[22:23], s[6:7], vcc
	v_lshl_add_u64 v[140:141], v[138:139], 3, s[18:19]
	s_or_b64 s[22:23], s[14:15], s[22:23]
	v_mov_b64_e32 v[138:139], 0
	s_xor_b64 s[34:35], s[22:23], -1
	v_lshl_add_u64 v[142:143], v[128:129], 3, v[140:141]
	v_mov_b64_e32 v[140:141], v[138:139]
	s_and_saveexec_b64 s[22:23], s[34:35]
	s_cbranch_execz .LBB150_44
; %bb.43:                               ;   in Loop: Header=BB150_28 Depth=1
	flat_load_dwordx2 v[140:141], v[142:143]
	s_waitcnt vmcnt(0) lgkmcnt(0)
	v_mul_f64 v[140:141], s[16:17], v[140:141]
.LBB150_44:                             ;   in Loop: Header=BB150_28 Depth=1
	s_or_b64 exec, exec, s[22:23]
	s_or_b64 s[22:23], s[8:9], vcc
	s_or_b64 s[22:23], s[14:15], s[22:23]
	s_xor_b64 s[34:35], s[22:23], -1
	s_and_saveexec_b64 s[22:23], s[34:35]
	s_cbranch_execz .LBB150_46
; %bb.45:                               ;   in Loop: Header=BB150_28 Depth=1
	flat_load_dwordx2 v[138:139], v[142:143] offset:512
	s_waitcnt vmcnt(0) lgkmcnt(0)
	v_mul_f64 v[138:139], s[16:17], v[138:139]
.LBB150_46:                             ;   in Loop: Header=BB150_28 Depth=1
	s_or_b64 exec, exec, s[22:23]
	s_mov_b32 s22, 0
.LBB150_47:                             ;   Parent Loop BB150_28 Depth=1
                                        ; =>  This Inner Loop Header: Depth=2
	v_add_u32_e32 v142, s22, v150
	v_add_u32_e32 v143, s22, v151
	ds_read2_b64 v[156:159], v142 offset1:16
	ds_read2_b64 v[160:163], v142 offset0:32 offset1:48
	ds_read2_b64 v[164:167], v142 offset0:64 offset1:80
	;; [unrolled: 1-line block ×7, first 2 shown]
	v_add_u32_e32 v142, 0x800, v142
	ds_read2st64_b64 v[188:191], v143 offset1:4
	ds_read2_b64 v[192:195], v142 offset1:16
	ds_read2_b64 v[196:199], v142 offset0:32 offset1:48
	ds_read2_b64 v[200:203], v142 offset0:64 offset1:80
	;; [unrolled: 1-line block ×7, first 2 shown]
	s_waitcnt lgkmcnt(14)
	v_max_f64 v[156:157], v[156:157], v[156:157]
	v_max_f64 v[158:159], v[158:159], v[158:159]
	;; [unrolled: 1-line block ×3, first 2 shown]
	s_waitcnt lgkmcnt(8)
	v_max_f64 v[142:143], v[188:189], v[188:189]
	v_max_f64 v[162:163], v[162:163], v[162:163]
	;; [unrolled: 1-line block ×15, first 2 shown]
	v_min_f64 v[190:191], v[156:157], v[142:143]
	v_min_f64 v[224:225], v[158:159], v[142:143]
	;; [unrolled: 1-line block ×16, first 2 shown]
	s_waitcnt lgkmcnt(7)
	v_max_f64 v[192:193], v[192:193], v[192:193]
	v_max_f64 v[194:195], v[194:195], v[194:195]
	s_waitcnt lgkmcnt(6)
	v_max_f64 v[196:197], v[196:197], v[196:197]
	v_max_f64 v[198:199], v[198:199], v[198:199]
	;; [unrolled: 3-line block ×8, first 2 shown]
	v_min_f64 v[156:157], v[156:157], v[188:189]
	v_min_f64 v[158:159], v[158:159], v[188:189]
	;; [unrolled: 1-line block ×16, first 2 shown]
	s_add_i32 s22, s22, 8
	v_add_f64 v[126:127], v[190:191], v[126:127]
	v_add_f64 v[124:125], v[224:225], v[124:125]
	;; [unrolled: 1-line block ×15, first 2 shown]
	v_min_f64 v[190:191], v[192:193], v[142:143]
	v_min_f64 v[224:225], v[194:195], v[142:143]
	;; [unrolled: 1-line block ×16, first 2 shown]
	v_add_f64 v[62:63], v[156:157], v[62:63]
	v_add_f64 v[60:61], v[158:159], v[60:61]
	;; [unrolled: 1-line block ×16, first 2 shown]
	v_min_f64 v[156:157], v[192:193], v[188:189]
	v_min_f64 v[158:159], v[194:195], v[188:189]
	v_min_f64 v[160:161], v[196:197], v[188:189]
	v_min_f64 v[162:163], v[198:199], v[188:189]
	v_min_f64 v[164:165], v[200:201], v[188:189]
	v_min_f64 v[166:167], v[202:203], v[188:189]
	v_min_f64 v[168:169], v[204:205], v[188:189]
	v_min_f64 v[170:171], v[206:207], v[188:189]
	v_min_f64 v[172:173], v[208:209], v[188:189]
	v_min_f64 v[174:175], v[210:211], v[188:189]
	v_min_f64 v[176:177], v[212:213], v[188:189]
	v_min_f64 v[178:179], v[214:215], v[188:189]
	v_min_f64 v[180:181], v[216:217], v[188:189]
	v_min_f64 v[182:183], v[218:219], v[188:189]
	v_min_f64 v[184:185], v[220:221], v[188:189]
	v_min_f64 v[186:187], v[222:223], v[188:189]
	s_cmp_eq_u32 s22, 32
	v_add_f64 v[96:97], v[252:253], v[96:97]
	v_add_f64 v[94:95], v[190:191], v[94:95]
	;; [unrolled: 1-line block ×33, first 2 shown]
	s_cbranch_scc0 .LBB150_47
; %bb.48:                               ;   in Loop: Header=BB150_28 Depth=1
	s_add_i32 s29, s29, 8
	s_add_i32 s30, s30, 8
	s_cmp_ge_i32 s30, s28
	ds_write2st64_b64 v154, v[136:137], v[134:135] offset1:4
	ds_write2st64_b64 v155, v[140:141], v[138:139] offset1:4
	s_waitcnt lgkmcnt(0)
	s_barrier
	s_cbranch_scc0 .LBB150_28
.LBB150_49:
	s_mov_b32 s2, 0
.LBB150_50:                             ; =>This Inner Loop Header: Depth=1
	v_add_u32_e32 v150, s2, v152
	v_add_u32_e32 v151, s2, v153
	ds_read2_b64 v[128:131], v150 offset1:16
	ds_read2_b64 v[132:135], v150 offset0:32 offset1:48
	ds_read2_b64 v[136:139], v150 offset0:64 offset1:80
	;; [unrolled: 1-line block ×7, first 2 shown]
	v_add_u32_e32 v150, 0x800, v150
	ds_read2st64_b64 v[166:169], v151 offset1:4
	ds_read2_b64 v[170:173], v150 offset1:16
	ds_read2_b64 v[174:177], v150 offset0:32 offset1:48
	ds_read2_b64 v[178:181], v150 offset0:64 offset1:80
	;; [unrolled: 1-line block ×7, first 2 shown]
	s_waitcnt lgkmcnt(14)
	v_max_f64 v[128:129], v[128:129], v[128:129]
	v_max_f64 v[130:131], v[130:131], v[130:131]
	;; [unrolled: 1-line block ×3, first 2 shown]
	s_waitcnt lgkmcnt(8)
	v_max_f64 v[150:151], v[166:167], v[166:167]
	v_max_f64 v[134:135], v[134:135], v[134:135]
	;; [unrolled: 1-line block ×15, first 2 shown]
	v_min_f64 v[168:169], v[128:129], v[150:151]
	v_min_f64 v[202:203], v[130:131], v[150:151]
	;; [unrolled: 1-line block ×16, first 2 shown]
	s_waitcnt lgkmcnt(7)
	v_max_f64 v[170:171], v[170:171], v[170:171]
	v_max_f64 v[172:173], v[172:173], v[172:173]
	s_waitcnt lgkmcnt(6)
	v_max_f64 v[174:175], v[174:175], v[174:175]
	v_max_f64 v[176:177], v[176:177], v[176:177]
	;; [unrolled: 3-line block ×8, first 2 shown]
	v_min_f64 v[128:129], v[128:129], v[166:167]
	v_min_f64 v[130:131], v[130:131], v[166:167]
	;; [unrolled: 1-line block ×16, first 2 shown]
	s_add_i32 s2, s2, 8
	v_add_f64 v[126:127], v[168:169], v[126:127]
	v_add_f64 v[124:125], v[202:203], v[124:125]
	;; [unrolled: 1-line block ×15, first 2 shown]
	v_min_f64 v[168:169], v[170:171], v[150:151]
	v_min_f64 v[202:203], v[172:173], v[150:151]
	;; [unrolled: 1-line block ×16, first 2 shown]
	v_add_f64 v[62:63], v[128:129], v[62:63]
	v_add_f64 v[60:61], v[130:131], v[60:61]
	;; [unrolled: 1-line block ×16, first 2 shown]
	v_min_f64 v[128:129], v[170:171], v[166:167]
	v_min_f64 v[130:131], v[172:173], v[166:167]
	;; [unrolled: 1-line block ×16, first 2 shown]
	s_cmp_eq_u32 s2, 32
	v_add_f64 v[96:97], v[230:231], v[96:97]
	v_add_f64 v[94:95], v[168:169], v[94:95]
	;; [unrolled: 1-line block ×33, first 2 shown]
	s_cbranch_scc0 .LBB150_50
; %bb.51:
	s_load_dwordx2 s[2:3], s[0:1], 0x78
	s_load_dword s78, s[0:1], 0x58
	s_load_dword s33, s[0:1], 0x70
	v_add_u32_e32 v136, s25, v145
	v_add_u32_e32 v128, s24, v144
	s_waitcnt lgkmcnt(0)
	s_lshl_b64 s[0:1], s[2:3], 3
	s_add_u32 s74, s12, s0
	s_addc_u32 s75, s13, s1
	v_mad_i64_i32 v[130:131], s[0:1], v136, s78, 0
	v_cmp_gt_i32_e64 s[24:25], s73, v136
	v_lshl_add_u64 v[132:133], v[130:131], 3, s[76:77]
	v_mad_i64_i32 v[130:131], s[0:1], v136, s33, 0
	v_cmp_gt_i32_e64 s[2:3], s72, v128
	v_cndmask_b32_e64 v134, 0, 1, s[10:11]
	v_lshl_add_u64 v[130:131], v[130:131], 3, s[74:75]
	s_and_b64 s[6:7], s[24:25], s[2:3]
	v_ashrrev_i32_e32 v129, 31, v128
	v_cmp_ne_u32_e64 s[0:1], 1, v134
	s_and_saveexec_b64 s[4:5], s[6:7]
	s_cbranch_execz .LBB150_56
; %bb.52:
	s_and_b64 vcc, exec, s[0:1]
	s_cbranch_vccnz .LBB150_54
; %bb.53:
	v_lshl_add_u64 v[134:135], v[128:129], 3, v[132:133]
	flat_load_dwordx2 v[134:135], v[134:135]
	s_waitcnt vmcnt(0) lgkmcnt(0)
	v_mul_f64 v[134:135], s[70:71], v[134:135]
	s_branch .LBB150_55
.LBB150_54:
	v_mov_b64_e32 v[134:135], 0
.LBB150_55:
	v_add_f64 v[126:127], v[126:127], v[134:135]
	v_lshl_add_u64 v[134:135], v[128:129], 3, v[130:131]
	global_store_dwordx2 v[134:135], v[126:127], off
.LBB150_56:
	s_or_b64 exec, exec, s[4:5]
	v_add_u32_e32 v126, 4, v128
	v_cmp_gt_i32_e64 s[4:5], s72, v126
	s_and_b64 s[8:9], s[24:25], s[4:5]
	v_ashrrev_i32_e32 v127, 31, v126
	s_and_saveexec_b64 s[6:7], s[8:9]
	s_cbranch_execz .LBB150_61
; %bb.57:
	s_and_b64 vcc, exec, s[0:1]
	s_cbranch_vccnz .LBB150_59
; %bb.58:
	v_lshl_add_u64 v[134:135], v[126:127], 3, v[132:133]
	flat_load_dwordx2 v[134:135], v[134:135]
	s_waitcnt vmcnt(0) lgkmcnt(0)
	v_mul_f64 v[134:135], s[70:71], v[134:135]
	s_branch .LBB150_60
.LBB150_59:
	v_mov_b64_e32 v[134:135], 0
.LBB150_60:
	v_add_f64 v[124:125], v[124:125], v[134:135]
	v_lshl_add_u64 v[134:135], v[126:127], 3, v[130:131]
	global_store_dwordx2 v[134:135], v[124:125], off
.LBB150_61:
	s_or_b64 exec, exec, s[6:7]
	v_add_u32_e32 v124, 8, v128
	v_cmp_gt_i32_e64 s[6:7], s72, v124
	s_and_b64 s[10:11], s[24:25], s[6:7]
	v_ashrrev_i32_e32 v125, 31, v124
	;; [unrolled: 23-line block ×31, first 2 shown]
	s_and_saveexec_b64 s[24:25], s[80:81]
	s_cbranch_execz .LBB150_211
; %bb.207:
	s_and_b64 vcc, exec, s[0:1]
	s_cbranch_vccnz .LBB150_209
; %bb.208:
	v_lshl_add_u64 v[132:133], v[66:67], 3, v[132:133]
	flat_load_dwordx2 v[132:133], v[132:133]
	s_waitcnt vmcnt(0) lgkmcnt(0)
	v_mul_f64 v[132:133], s[70:71], v[132:133]
	s_branch .LBB150_210
.LBB150_209:
	v_mov_b64_e32 v[132:133], 0
.LBB150_210:
	v_add_f64 v[64:65], v[64:65], v[132:133]
	v_lshl_add_u64 v[130:131], v[66:67], 3, v[130:131]
	global_store_dwordx2 v[130:131], v[64:65], off
.LBB150_211:
	s_or_b64 exec, exec, s[24:25]
	v_add_u32_e32 v132, 64, v136
	v_cmp_gt_i32_e64 s[24:25], s73, v132
	v_mad_i64_i32 v[64:65], s[72:73], v132, s78, 0
	v_lshl_add_u64 v[130:131], v[64:65], 3, s[76:77]
	v_mad_i64_i32 v[64:65], s[72:73], v132, s33, 0
	v_lshl_add_u64 v[64:65], v[64:65], 3, s[74:75]
	s_and_b64 s[2:3], s[24:25], s[2:3]
	s_and_saveexec_b64 s[72:73], s[2:3]
	s_xor_b64 s[2:3], exec, s[72:73]
	s_cbranch_execnz .LBB150_244
; %bb.212:
	s_or_b64 exec, exec, s[2:3]
	s_and_b64 s[4:5], s[24:25], s[4:5]
	s_and_saveexec_b64 s[2:3], s[4:5]
	s_cbranch_execnz .LBB150_248
.LBB150_213:
	s_or_b64 exec, exec, s[2:3]
	s_and_b64 s[4:5], s[24:25], s[6:7]
	s_and_saveexec_b64 s[2:3], s[4:5]
	s_cbranch_execnz .LBB150_252
.LBB150_214:
	s_or_b64 exec, exec, s[2:3]
	s_and_b64 s[4:5], s[24:25], s[8:9]
	s_and_saveexec_b64 s[2:3], s[4:5]
	s_cbranch_execnz .LBB150_256
.LBB150_215:
	s_or_b64 exec, exec, s[2:3]
	s_and_b64 s[4:5], s[24:25], s[10:11]
	s_and_saveexec_b64 s[2:3], s[4:5]
	s_cbranch_execnz .LBB150_260
.LBB150_216:
	s_or_b64 exec, exec, s[2:3]
	s_and_b64 s[4:5], s[24:25], s[12:13]
	s_and_saveexec_b64 s[2:3], s[4:5]
	s_cbranch_execnz .LBB150_264
.LBB150_217:
	s_or_b64 exec, exec, s[2:3]
	s_and_b64 s[4:5], s[24:25], s[14:15]
	s_and_saveexec_b64 s[2:3], s[4:5]
	s_cbranch_execnz .LBB150_268
.LBB150_218:
	s_or_b64 exec, exec, s[2:3]
	s_and_b64 s[4:5], s[24:25], s[16:17]
	s_and_saveexec_b64 s[2:3], s[4:5]
	s_cbranch_execnz .LBB150_272
.LBB150_219:
	s_or_b64 exec, exec, s[2:3]
	s_and_b64 s[4:5], s[24:25], s[18:19]
	s_and_saveexec_b64 s[2:3], s[4:5]
	s_cbranch_execnz .LBB150_276
.LBB150_220:
	s_or_b64 exec, exec, s[2:3]
	s_and_b64 s[4:5], s[24:25], s[20:21]
	s_and_saveexec_b64 s[2:3], s[4:5]
	s_cbranch_execnz .LBB150_280
.LBB150_221:
	s_or_b64 exec, exec, s[2:3]
	s_and_b64 s[4:5], s[24:25], s[22:23]
	s_and_saveexec_b64 s[2:3], s[4:5]
	s_cbranch_execnz .LBB150_284
.LBB150_222:
	s_or_b64 exec, exec, s[2:3]
	s_and_b64 s[4:5], s[24:25], s[26:27]
	s_and_saveexec_b64 s[2:3], s[4:5]
	s_cbranch_execnz .LBB150_288
.LBB150_223:
	s_or_b64 exec, exec, s[2:3]
	s_and_b64 s[4:5], s[24:25], s[28:29]
	s_and_saveexec_b64 s[2:3], s[4:5]
	s_cbranch_execnz .LBB150_292
.LBB150_224:
	s_or_b64 exec, exec, s[2:3]
	s_and_b64 s[4:5], s[24:25], s[30:31]
	s_and_saveexec_b64 s[2:3], s[4:5]
	s_cbranch_execnz .LBB150_296
.LBB150_225:
	s_or_b64 exec, exec, s[2:3]
	s_and_b64 s[4:5], s[24:25], s[34:35]
	s_and_saveexec_b64 s[2:3], s[4:5]
	s_cbranch_execnz .LBB150_300
.LBB150_226:
	s_or_b64 exec, exec, s[2:3]
	s_and_b64 s[4:5], s[24:25], s[36:37]
	s_and_saveexec_b64 s[2:3], s[4:5]
	s_cbranch_execnz .LBB150_304
.LBB150_227:
	s_or_b64 exec, exec, s[2:3]
	s_and_b64 s[4:5], s[24:25], s[38:39]
	s_and_saveexec_b64 s[2:3], s[4:5]
	s_cbranch_execnz .LBB150_308
.LBB150_228:
	s_or_b64 exec, exec, s[2:3]
	s_and_b64 s[4:5], s[24:25], s[40:41]
	s_and_saveexec_b64 s[2:3], s[4:5]
	s_cbranch_execnz .LBB150_312
.LBB150_229:
	s_or_b64 exec, exec, s[2:3]
	s_and_b64 s[4:5], s[24:25], s[42:43]
	s_and_saveexec_b64 s[2:3], s[4:5]
	s_cbranch_execnz .LBB150_316
.LBB150_230:
	s_or_b64 exec, exec, s[2:3]
	s_and_b64 s[4:5], s[24:25], s[44:45]
	s_and_saveexec_b64 s[2:3], s[4:5]
	s_cbranch_execnz .LBB150_320
.LBB150_231:
	s_or_b64 exec, exec, s[2:3]
	s_and_b64 s[4:5], s[24:25], s[46:47]
	s_and_saveexec_b64 s[2:3], s[4:5]
	s_cbranch_execnz .LBB150_324
.LBB150_232:
	s_or_b64 exec, exec, s[2:3]
	s_and_b64 s[4:5], s[24:25], s[48:49]
	s_and_saveexec_b64 s[2:3], s[4:5]
	s_cbranch_execnz .LBB150_328
.LBB150_233:
	s_or_b64 exec, exec, s[2:3]
	s_and_b64 s[4:5], s[24:25], s[50:51]
	s_and_saveexec_b64 s[2:3], s[4:5]
	s_cbranch_execnz .LBB150_332
.LBB150_234:
	s_or_b64 exec, exec, s[2:3]
	s_and_b64 s[4:5], s[24:25], s[52:53]
	s_and_saveexec_b64 s[2:3], s[4:5]
	s_cbranch_execnz .LBB150_336
.LBB150_235:
	s_or_b64 exec, exec, s[2:3]
	s_and_b64 s[4:5], s[24:25], s[54:55]
	s_and_saveexec_b64 s[2:3], s[4:5]
	s_cbranch_execnz .LBB150_340
.LBB150_236:
	s_or_b64 exec, exec, s[2:3]
	s_and_b64 s[4:5], s[24:25], s[56:57]
	s_and_saveexec_b64 s[2:3], s[4:5]
	s_cbranch_execnz .LBB150_344
.LBB150_237:
	s_or_b64 exec, exec, s[2:3]
	s_and_b64 s[4:5], s[24:25], s[58:59]
	s_and_saveexec_b64 s[2:3], s[4:5]
	s_cbranch_execnz .LBB150_348
.LBB150_238:
	s_or_b64 exec, exec, s[2:3]
	s_and_b64 s[4:5], s[24:25], s[60:61]
	s_and_saveexec_b64 s[2:3], s[4:5]
	s_cbranch_execnz .LBB150_352
.LBB150_239:
	s_or_b64 exec, exec, s[2:3]
	s_and_b64 s[4:5], s[24:25], s[62:63]
	s_and_saveexec_b64 s[2:3], s[4:5]
	s_cbranch_execnz .LBB150_356
.LBB150_240:
	s_or_b64 exec, exec, s[2:3]
	s_and_b64 s[4:5], s[24:25], s[64:65]
	s_and_saveexec_b64 s[2:3], s[4:5]
	s_cbranch_execnz .LBB150_360
.LBB150_241:
	s_or_b64 exec, exec, s[2:3]
	s_and_b64 s[4:5], s[24:25], s[66:67]
	s_and_saveexec_b64 s[2:3], s[4:5]
	s_cbranch_execnz .LBB150_364
.LBB150_242:
	s_or_b64 exec, exec, s[2:3]
	s_and_b64 s[2:3], s[24:25], s[68:69]
	s_and_saveexec_b64 s[4:5], s[2:3]
	s_cbranch_execnz .LBB150_368
.LBB150_243:
	s_endpgm
.LBB150_244:
	s_and_b64 vcc, exec, s[0:1]
	s_cbranch_vccnz .LBB150_246
; %bb.245:
	v_lshl_add_u64 v[132:133], v[128:129], 3, v[130:131]
	flat_load_dwordx2 v[132:133], v[132:133]
	s_waitcnt vmcnt(0) lgkmcnt(0)
	v_mul_f64 v[132:133], s[70:71], v[132:133]
	s_branch .LBB150_247
.LBB150_246:
	v_mov_b64_e32 v[132:133], 0
.LBB150_247:
	v_add_f64 v[62:63], v[62:63], v[132:133]
	v_lshl_add_u64 v[128:129], v[128:129], 3, v[64:65]
	global_store_dwordx2 v[128:129], v[62:63], off
	s_or_b64 exec, exec, s[2:3]
	s_and_b64 s[4:5], s[24:25], s[4:5]
	s_and_saveexec_b64 s[2:3], s[4:5]
	s_cbranch_execz .LBB150_213
.LBB150_248:
	s_and_b64 vcc, exec, s[0:1]
	s_cbranch_vccnz .LBB150_250
; %bb.249:
	v_lshl_add_u64 v[62:63], v[126:127], 3, v[130:131]
	flat_load_dwordx2 v[62:63], v[62:63]
	s_waitcnt vmcnt(0) lgkmcnt(0)
	v_mul_f64 v[62:63], s[70:71], v[62:63]
	s_branch .LBB150_251
.LBB150_250:
	v_mov_b64_e32 v[62:63], 0
.LBB150_251:
	v_add_f64 v[60:61], v[60:61], v[62:63]
	v_lshl_add_u64 v[62:63], v[126:127], 3, v[64:65]
	global_store_dwordx2 v[62:63], v[60:61], off
	s_or_b64 exec, exec, s[2:3]
	s_and_b64 s[4:5], s[24:25], s[6:7]
	s_and_saveexec_b64 s[2:3], s[4:5]
	s_cbranch_execz .LBB150_214
.LBB150_252:
	s_and_b64 vcc, exec, s[0:1]
	s_cbranch_vccnz .LBB150_254
; %bb.253:
	v_lshl_add_u64 v[60:61], v[124:125], 3, v[130:131]
	flat_load_dwordx2 v[60:61], v[60:61]
	s_waitcnt vmcnt(0) lgkmcnt(0)
	v_mul_f64 v[60:61], s[70:71], v[60:61]
	s_branch .LBB150_255
.LBB150_254:
	v_mov_b64_e32 v[60:61], 0
.LBB150_255:
	v_add_f64 v[58:59], v[58:59], v[60:61]
	v_lshl_add_u64 v[60:61], v[124:125], 3, v[64:65]
	global_store_dwordx2 v[60:61], v[58:59], off
	s_or_b64 exec, exec, s[2:3]
	s_and_b64 s[4:5], s[24:25], s[8:9]
	s_and_saveexec_b64 s[2:3], s[4:5]
	s_cbranch_execz .LBB150_215
.LBB150_256:
	s_and_b64 vcc, exec, s[0:1]
	s_cbranch_vccnz .LBB150_258
; %bb.257:
	v_lshl_add_u64 v[58:59], v[122:123], 3, v[130:131]
	flat_load_dwordx2 v[58:59], v[58:59]
	s_waitcnt vmcnt(0) lgkmcnt(0)
	v_mul_f64 v[58:59], s[70:71], v[58:59]
	s_branch .LBB150_259
.LBB150_258:
	v_mov_b64_e32 v[58:59], 0
.LBB150_259:
	v_add_f64 v[56:57], v[56:57], v[58:59]
	v_lshl_add_u64 v[58:59], v[122:123], 3, v[64:65]
	global_store_dwordx2 v[58:59], v[56:57], off
	s_or_b64 exec, exec, s[2:3]
	s_and_b64 s[4:5], s[24:25], s[10:11]
	s_and_saveexec_b64 s[2:3], s[4:5]
	s_cbranch_execz .LBB150_216
.LBB150_260:
	s_and_b64 vcc, exec, s[0:1]
	s_cbranch_vccnz .LBB150_262
; %bb.261:
	v_lshl_add_u64 v[56:57], v[120:121], 3, v[130:131]
	flat_load_dwordx2 v[56:57], v[56:57]
	s_waitcnt vmcnt(0) lgkmcnt(0)
	v_mul_f64 v[56:57], s[70:71], v[56:57]
	s_branch .LBB150_263
.LBB150_262:
	v_mov_b64_e32 v[56:57], 0
.LBB150_263:
	v_add_f64 v[54:55], v[54:55], v[56:57]
	v_lshl_add_u64 v[56:57], v[120:121], 3, v[64:65]
	global_store_dwordx2 v[56:57], v[54:55], off
	s_or_b64 exec, exec, s[2:3]
	s_and_b64 s[4:5], s[24:25], s[12:13]
	s_and_saveexec_b64 s[2:3], s[4:5]
	s_cbranch_execz .LBB150_217
.LBB150_264:
	s_and_b64 vcc, exec, s[0:1]
	s_cbranch_vccnz .LBB150_266
; %bb.265:
	v_lshl_add_u64 v[54:55], v[118:119], 3, v[130:131]
	flat_load_dwordx2 v[54:55], v[54:55]
	s_waitcnt vmcnt(0) lgkmcnt(0)
	v_mul_f64 v[54:55], s[70:71], v[54:55]
	s_branch .LBB150_267
.LBB150_266:
	v_mov_b64_e32 v[54:55], 0
.LBB150_267:
	v_add_f64 v[52:53], v[52:53], v[54:55]
	v_lshl_add_u64 v[54:55], v[118:119], 3, v[64:65]
	global_store_dwordx2 v[54:55], v[52:53], off
	s_or_b64 exec, exec, s[2:3]
	s_and_b64 s[4:5], s[24:25], s[14:15]
	s_and_saveexec_b64 s[2:3], s[4:5]
	s_cbranch_execz .LBB150_218
.LBB150_268:
	s_and_b64 vcc, exec, s[0:1]
	s_cbranch_vccnz .LBB150_270
; %bb.269:
	v_lshl_add_u64 v[52:53], v[116:117], 3, v[130:131]
	flat_load_dwordx2 v[52:53], v[52:53]
	s_waitcnt vmcnt(0) lgkmcnt(0)
	v_mul_f64 v[52:53], s[70:71], v[52:53]
	s_branch .LBB150_271
.LBB150_270:
	v_mov_b64_e32 v[52:53], 0
.LBB150_271:
	v_add_f64 v[50:51], v[50:51], v[52:53]
	v_lshl_add_u64 v[52:53], v[116:117], 3, v[64:65]
	global_store_dwordx2 v[52:53], v[50:51], off
	s_or_b64 exec, exec, s[2:3]
	s_and_b64 s[4:5], s[24:25], s[16:17]
	s_and_saveexec_b64 s[2:3], s[4:5]
	s_cbranch_execz .LBB150_219
.LBB150_272:
	s_and_b64 vcc, exec, s[0:1]
	s_cbranch_vccnz .LBB150_274
; %bb.273:
	v_lshl_add_u64 v[50:51], v[114:115], 3, v[130:131]
	flat_load_dwordx2 v[50:51], v[50:51]
	s_waitcnt vmcnt(0) lgkmcnt(0)
	v_mul_f64 v[50:51], s[70:71], v[50:51]
	s_branch .LBB150_275
.LBB150_274:
	v_mov_b64_e32 v[50:51], 0
.LBB150_275:
	v_add_f64 v[48:49], v[48:49], v[50:51]
	v_lshl_add_u64 v[50:51], v[114:115], 3, v[64:65]
	global_store_dwordx2 v[50:51], v[48:49], off
	s_or_b64 exec, exec, s[2:3]
	s_and_b64 s[4:5], s[24:25], s[18:19]
	s_and_saveexec_b64 s[2:3], s[4:5]
	s_cbranch_execz .LBB150_220
.LBB150_276:
	s_and_b64 vcc, exec, s[0:1]
	s_cbranch_vccnz .LBB150_278
; %bb.277:
	v_lshl_add_u64 v[48:49], v[112:113], 3, v[130:131]
	flat_load_dwordx2 v[48:49], v[48:49]
	s_waitcnt vmcnt(0) lgkmcnt(0)
	v_mul_f64 v[48:49], s[70:71], v[48:49]
	s_branch .LBB150_279
.LBB150_278:
	v_mov_b64_e32 v[48:49], 0
.LBB150_279:
	v_add_f64 v[46:47], v[46:47], v[48:49]
	v_lshl_add_u64 v[48:49], v[112:113], 3, v[64:65]
	global_store_dwordx2 v[48:49], v[46:47], off
	s_or_b64 exec, exec, s[2:3]
	s_and_b64 s[4:5], s[24:25], s[20:21]
	s_and_saveexec_b64 s[2:3], s[4:5]
	s_cbranch_execz .LBB150_221
.LBB150_280:
	s_and_b64 vcc, exec, s[0:1]
	s_cbranch_vccnz .LBB150_282
; %bb.281:
	v_lshl_add_u64 v[46:47], v[110:111], 3, v[130:131]
	flat_load_dwordx2 v[46:47], v[46:47]
	s_waitcnt vmcnt(0) lgkmcnt(0)
	v_mul_f64 v[46:47], s[70:71], v[46:47]
	s_branch .LBB150_283
.LBB150_282:
	v_mov_b64_e32 v[46:47], 0
.LBB150_283:
	v_add_f64 v[44:45], v[44:45], v[46:47]
	v_lshl_add_u64 v[46:47], v[110:111], 3, v[64:65]
	global_store_dwordx2 v[46:47], v[44:45], off
	s_or_b64 exec, exec, s[2:3]
	s_and_b64 s[4:5], s[24:25], s[22:23]
	s_and_saveexec_b64 s[2:3], s[4:5]
	s_cbranch_execz .LBB150_222
.LBB150_284:
	s_and_b64 vcc, exec, s[0:1]
	s_cbranch_vccnz .LBB150_286
; %bb.285:
	v_lshl_add_u64 v[44:45], v[108:109], 3, v[130:131]
	flat_load_dwordx2 v[44:45], v[44:45]
	s_waitcnt vmcnt(0) lgkmcnt(0)
	v_mul_f64 v[44:45], s[70:71], v[44:45]
	s_branch .LBB150_287
.LBB150_286:
	v_mov_b64_e32 v[44:45], 0
.LBB150_287:
	v_add_f64 v[42:43], v[42:43], v[44:45]
	v_lshl_add_u64 v[44:45], v[108:109], 3, v[64:65]
	global_store_dwordx2 v[44:45], v[42:43], off
	s_or_b64 exec, exec, s[2:3]
	s_and_b64 s[4:5], s[24:25], s[26:27]
	s_and_saveexec_b64 s[2:3], s[4:5]
	s_cbranch_execz .LBB150_223
.LBB150_288:
	s_and_b64 vcc, exec, s[0:1]
	s_cbranch_vccnz .LBB150_290
; %bb.289:
	v_lshl_add_u64 v[42:43], v[106:107], 3, v[130:131]
	flat_load_dwordx2 v[42:43], v[42:43]
	s_waitcnt vmcnt(0) lgkmcnt(0)
	v_mul_f64 v[42:43], s[70:71], v[42:43]
	s_branch .LBB150_291
.LBB150_290:
	v_mov_b64_e32 v[42:43], 0
.LBB150_291:
	v_add_f64 v[40:41], v[40:41], v[42:43]
	v_lshl_add_u64 v[42:43], v[106:107], 3, v[64:65]
	global_store_dwordx2 v[42:43], v[40:41], off
	s_or_b64 exec, exec, s[2:3]
	s_and_b64 s[4:5], s[24:25], s[28:29]
	s_and_saveexec_b64 s[2:3], s[4:5]
	s_cbranch_execz .LBB150_224
.LBB150_292:
	s_and_b64 vcc, exec, s[0:1]
	s_cbranch_vccnz .LBB150_294
; %bb.293:
	v_lshl_add_u64 v[40:41], v[104:105], 3, v[130:131]
	flat_load_dwordx2 v[40:41], v[40:41]
	s_waitcnt vmcnt(0) lgkmcnt(0)
	v_mul_f64 v[40:41], s[70:71], v[40:41]
	s_branch .LBB150_295
.LBB150_294:
	v_mov_b64_e32 v[40:41], 0
.LBB150_295:
	v_add_f64 v[38:39], v[38:39], v[40:41]
	v_lshl_add_u64 v[40:41], v[104:105], 3, v[64:65]
	global_store_dwordx2 v[40:41], v[38:39], off
	s_or_b64 exec, exec, s[2:3]
	s_and_b64 s[4:5], s[24:25], s[30:31]
	s_and_saveexec_b64 s[2:3], s[4:5]
	s_cbranch_execz .LBB150_225
.LBB150_296:
	s_and_b64 vcc, exec, s[0:1]
	s_cbranch_vccnz .LBB150_298
; %bb.297:
	v_lshl_add_u64 v[38:39], v[102:103], 3, v[130:131]
	flat_load_dwordx2 v[38:39], v[38:39]
	s_waitcnt vmcnt(0) lgkmcnt(0)
	v_mul_f64 v[38:39], s[70:71], v[38:39]
	s_branch .LBB150_299
.LBB150_298:
	v_mov_b64_e32 v[38:39], 0
.LBB150_299:
	v_add_f64 v[36:37], v[36:37], v[38:39]
	v_lshl_add_u64 v[38:39], v[102:103], 3, v[64:65]
	global_store_dwordx2 v[38:39], v[36:37], off
	s_or_b64 exec, exec, s[2:3]
	s_and_b64 s[4:5], s[24:25], s[34:35]
	s_and_saveexec_b64 s[2:3], s[4:5]
	s_cbranch_execz .LBB150_226
.LBB150_300:
	s_and_b64 vcc, exec, s[0:1]
	s_cbranch_vccnz .LBB150_302
; %bb.301:
	v_lshl_add_u64 v[36:37], v[100:101], 3, v[130:131]
	flat_load_dwordx2 v[36:37], v[36:37]
	s_waitcnt vmcnt(0) lgkmcnt(0)
	v_mul_f64 v[36:37], s[70:71], v[36:37]
	s_branch .LBB150_303
.LBB150_302:
	v_mov_b64_e32 v[36:37], 0
.LBB150_303:
	v_add_f64 v[34:35], v[34:35], v[36:37]
	v_lshl_add_u64 v[36:37], v[100:101], 3, v[64:65]
	global_store_dwordx2 v[36:37], v[34:35], off
	s_or_b64 exec, exec, s[2:3]
	s_and_b64 s[4:5], s[24:25], s[36:37]
	s_and_saveexec_b64 s[2:3], s[4:5]
	s_cbranch_execz .LBB150_227
.LBB150_304:
	s_and_b64 vcc, exec, s[0:1]
	s_cbranch_vccnz .LBB150_306
; %bb.305:
	v_lshl_add_u64 v[34:35], v[98:99], 3, v[130:131]
	flat_load_dwordx2 v[34:35], v[34:35]
	s_waitcnt vmcnt(0) lgkmcnt(0)
	v_mul_f64 v[34:35], s[70:71], v[34:35]
	s_branch .LBB150_307
.LBB150_306:
	v_mov_b64_e32 v[34:35], 0
.LBB150_307:
	v_add_f64 v[32:33], v[32:33], v[34:35]
	v_lshl_add_u64 v[34:35], v[98:99], 3, v[64:65]
	global_store_dwordx2 v[34:35], v[32:33], off
	s_or_b64 exec, exec, s[2:3]
	s_and_b64 s[4:5], s[24:25], s[38:39]
	s_and_saveexec_b64 s[2:3], s[4:5]
	s_cbranch_execz .LBB150_228
.LBB150_308:
	s_and_b64 vcc, exec, s[0:1]
	s_cbranch_vccnz .LBB150_310
; %bb.309:
	v_lshl_add_u64 v[32:33], v[96:97], 3, v[130:131]
	flat_load_dwordx2 v[32:33], v[32:33]
	s_waitcnt vmcnt(0) lgkmcnt(0)
	v_mul_f64 v[32:33], s[70:71], v[32:33]
	s_branch .LBB150_311
.LBB150_310:
	v_mov_b64_e32 v[32:33], 0
.LBB150_311:
	v_add_f64 v[30:31], v[30:31], v[32:33]
	v_lshl_add_u64 v[32:33], v[96:97], 3, v[64:65]
	global_store_dwordx2 v[32:33], v[30:31], off
	s_or_b64 exec, exec, s[2:3]
	s_and_b64 s[4:5], s[24:25], s[40:41]
	s_and_saveexec_b64 s[2:3], s[4:5]
	s_cbranch_execz .LBB150_229
.LBB150_312:
	s_and_b64 vcc, exec, s[0:1]
	s_cbranch_vccnz .LBB150_314
; %bb.313:
	v_lshl_add_u64 v[30:31], v[94:95], 3, v[130:131]
	flat_load_dwordx2 v[30:31], v[30:31]
	s_waitcnt vmcnt(0) lgkmcnt(0)
	v_mul_f64 v[30:31], s[70:71], v[30:31]
	s_branch .LBB150_315
.LBB150_314:
	v_mov_b64_e32 v[30:31], 0
.LBB150_315:
	v_add_f64 v[28:29], v[28:29], v[30:31]
	v_lshl_add_u64 v[30:31], v[94:95], 3, v[64:65]
	global_store_dwordx2 v[30:31], v[28:29], off
	s_or_b64 exec, exec, s[2:3]
	s_and_b64 s[4:5], s[24:25], s[42:43]
	s_and_saveexec_b64 s[2:3], s[4:5]
	s_cbranch_execz .LBB150_230
.LBB150_316:
	s_and_b64 vcc, exec, s[0:1]
	s_cbranch_vccnz .LBB150_318
; %bb.317:
	v_lshl_add_u64 v[28:29], v[92:93], 3, v[130:131]
	flat_load_dwordx2 v[28:29], v[28:29]
	s_waitcnt vmcnt(0) lgkmcnt(0)
	v_mul_f64 v[28:29], s[70:71], v[28:29]
	s_branch .LBB150_319
.LBB150_318:
	v_mov_b64_e32 v[28:29], 0
.LBB150_319:
	v_add_f64 v[26:27], v[26:27], v[28:29]
	v_lshl_add_u64 v[28:29], v[92:93], 3, v[64:65]
	global_store_dwordx2 v[28:29], v[26:27], off
	s_or_b64 exec, exec, s[2:3]
	s_and_b64 s[4:5], s[24:25], s[44:45]
	s_and_saveexec_b64 s[2:3], s[4:5]
	s_cbranch_execz .LBB150_231
.LBB150_320:
	s_and_b64 vcc, exec, s[0:1]
	s_cbranch_vccnz .LBB150_322
; %bb.321:
	v_lshl_add_u64 v[26:27], v[90:91], 3, v[130:131]
	flat_load_dwordx2 v[26:27], v[26:27]
	s_waitcnt vmcnt(0) lgkmcnt(0)
	v_mul_f64 v[26:27], s[70:71], v[26:27]
	s_branch .LBB150_323
.LBB150_322:
	v_mov_b64_e32 v[26:27], 0
.LBB150_323:
	v_add_f64 v[24:25], v[24:25], v[26:27]
	v_lshl_add_u64 v[26:27], v[90:91], 3, v[64:65]
	global_store_dwordx2 v[26:27], v[24:25], off
	s_or_b64 exec, exec, s[2:3]
	s_and_b64 s[4:5], s[24:25], s[46:47]
	s_and_saveexec_b64 s[2:3], s[4:5]
	s_cbranch_execz .LBB150_232
.LBB150_324:
	s_and_b64 vcc, exec, s[0:1]
	s_cbranch_vccnz .LBB150_326
; %bb.325:
	v_lshl_add_u64 v[24:25], v[88:89], 3, v[130:131]
	flat_load_dwordx2 v[24:25], v[24:25]
	s_waitcnt vmcnt(0) lgkmcnt(0)
	v_mul_f64 v[24:25], s[70:71], v[24:25]
	s_branch .LBB150_327
.LBB150_326:
	v_mov_b64_e32 v[24:25], 0
.LBB150_327:
	v_add_f64 v[22:23], v[22:23], v[24:25]
	v_lshl_add_u64 v[24:25], v[88:89], 3, v[64:65]
	global_store_dwordx2 v[24:25], v[22:23], off
	s_or_b64 exec, exec, s[2:3]
	s_and_b64 s[4:5], s[24:25], s[48:49]
	s_and_saveexec_b64 s[2:3], s[4:5]
	s_cbranch_execz .LBB150_233
.LBB150_328:
	s_and_b64 vcc, exec, s[0:1]
	s_cbranch_vccnz .LBB150_330
; %bb.329:
	v_lshl_add_u64 v[22:23], v[86:87], 3, v[130:131]
	flat_load_dwordx2 v[22:23], v[22:23]
	s_waitcnt vmcnt(0) lgkmcnt(0)
	v_mul_f64 v[22:23], s[70:71], v[22:23]
	s_branch .LBB150_331
.LBB150_330:
	v_mov_b64_e32 v[22:23], 0
.LBB150_331:
	v_add_f64 v[20:21], v[20:21], v[22:23]
	v_lshl_add_u64 v[22:23], v[86:87], 3, v[64:65]
	global_store_dwordx2 v[22:23], v[20:21], off
	s_or_b64 exec, exec, s[2:3]
	s_and_b64 s[4:5], s[24:25], s[50:51]
	s_and_saveexec_b64 s[2:3], s[4:5]
	s_cbranch_execz .LBB150_234
.LBB150_332:
	s_and_b64 vcc, exec, s[0:1]
	s_cbranch_vccnz .LBB150_334
; %bb.333:
	v_lshl_add_u64 v[20:21], v[84:85], 3, v[130:131]
	flat_load_dwordx2 v[20:21], v[20:21]
	s_waitcnt vmcnt(0) lgkmcnt(0)
	v_mul_f64 v[20:21], s[70:71], v[20:21]
	s_branch .LBB150_335
.LBB150_334:
	v_mov_b64_e32 v[20:21], 0
.LBB150_335:
	v_add_f64 v[18:19], v[18:19], v[20:21]
	v_lshl_add_u64 v[20:21], v[84:85], 3, v[64:65]
	global_store_dwordx2 v[20:21], v[18:19], off
	s_or_b64 exec, exec, s[2:3]
	s_and_b64 s[4:5], s[24:25], s[52:53]
	s_and_saveexec_b64 s[2:3], s[4:5]
	s_cbranch_execz .LBB150_235
.LBB150_336:
	s_and_b64 vcc, exec, s[0:1]
	s_cbranch_vccnz .LBB150_338
; %bb.337:
	v_lshl_add_u64 v[18:19], v[82:83], 3, v[130:131]
	flat_load_dwordx2 v[18:19], v[18:19]
	s_waitcnt vmcnt(0) lgkmcnt(0)
	v_mul_f64 v[18:19], s[70:71], v[18:19]
	s_branch .LBB150_339
.LBB150_338:
	v_mov_b64_e32 v[18:19], 0
.LBB150_339:
	v_add_f64 v[16:17], v[16:17], v[18:19]
	v_lshl_add_u64 v[18:19], v[82:83], 3, v[64:65]
	global_store_dwordx2 v[18:19], v[16:17], off
	s_or_b64 exec, exec, s[2:3]
	s_and_b64 s[4:5], s[24:25], s[54:55]
	s_and_saveexec_b64 s[2:3], s[4:5]
	s_cbranch_execz .LBB150_236
.LBB150_340:
	s_and_b64 vcc, exec, s[0:1]
	s_cbranch_vccnz .LBB150_342
; %bb.341:
	v_lshl_add_u64 v[16:17], v[80:81], 3, v[130:131]
	flat_load_dwordx2 v[16:17], v[16:17]
	s_waitcnt vmcnt(0) lgkmcnt(0)
	v_mul_f64 v[16:17], s[70:71], v[16:17]
	s_branch .LBB150_343
.LBB150_342:
	v_mov_b64_e32 v[16:17], 0
.LBB150_343:
	v_add_f64 v[14:15], v[14:15], v[16:17]
	v_lshl_add_u64 v[16:17], v[80:81], 3, v[64:65]
	global_store_dwordx2 v[16:17], v[14:15], off
	s_or_b64 exec, exec, s[2:3]
	s_and_b64 s[4:5], s[24:25], s[56:57]
	s_and_saveexec_b64 s[2:3], s[4:5]
	s_cbranch_execz .LBB150_237
.LBB150_344:
	s_and_b64 vcc, exec, s[0:1]
	s_cbranch_vccnz .LBB150_346
; %bb.345:
	v_lshl_add_u64 v[14:15], v[78:79], 3, v[130:131]
	flat_load_dwordx2 v[14:15], v[14:15]
	s_waitcnt vmcnt(0) lgkmcnt(0)
	v_mul_f64 v[14:15], s[70:71], v[14:15]
	s_branch .LBB150_347
.LBB150_346:
	v_mov_b64_e32 v[14:15], 0
.LBB150_347:
	v_add_f64 v[12:13], v[12:13], v[14:15]
	v_lshl_add_u64 v[14:15], v[78:79], 3, v[64:65]
	global_store_dwordx2 v[14:15], v[12:13], off
	s_or_b64 exec, exec, s[2:3]
	s_and_b64 s[4:5], s[24:25], s[58:59]
	s_and_saveexec_b64 s[2:3], s[4:5]
	s_cbranch_execz .LBB150_238
.LBB150_348:
	s_and_b64 vcc, exec, s[0:1]
	s_cbranch_vccnz .LBB150_350
; %bb.349:
	v_lshl_add_u64 v[12:13], v[76:77], 3, v[130:131]
	flat_load_dwordx2 v[12:13], v[12:13]
	s_waitcnt vmcnt(0) lgkmcnt(0)
	v_mul_f64 v[12:13], s[70:71], v[12:13]
	s_branch .LBB150_351
.LBB150_350:
	v_mov_b64_e32 v[12:13], 0
.LBB150_351:
	v_add_f64 v[10:11], v[10:11], v[12:13]
	v_lshl_add_u64 v[12:13], v[76:77], 3, v[64:65]
	global_store_dwordx2 v[12:13], v[10:11], off
	s_or_b64 exec, exec, s[2:3]
	s_and_b64 s[4:5], s[24:25], s[60:61]
	s_and_saveexec_b64 s[2:3], s[4:5]
	s_cbranch_execz .LBB150_239
.LBB150_352:
	s_and_b64 vcc, exec, s[0:1]
	s_cbranch_vccnz .LBB150_354
; %bb.353:
	v_lshl_add_u64 v[10:11], v[74:75], 3, v[130:131]
	flat_load_dwordx2 v[10:11], v[10:11]
	s_waitcnt vmcnt(0) lgkmcnt(0)
	v_mul_f64 v[10:11], s[70:71], v[10:11]
	s_branch .LBB150_355
.LBB150_354:
	v_mov_b64_e32 v[10:11], 0
.LBB150_355:
	v_add_f64 v[8:9], v[8:9], v[10:11]
	v_lshl_add_u64 v[10:11], v[74:75], 3, v[64:65]
	global_store_dwordx2 v[10:11], v[8:9], off
	s_or_b64 exec, exec, s[2:3]
	s_and_b64 s[4:5], s[24:25], s[62:63]
	s_and_saveexec_b64 s[2:3], s[4:5]
	s_cbranch_execz .LBB150_240
.LBB150_356:
	s_and_b64 vcc, exec, s[0:1]
	s_cbranch_vccnz .LBB150_358
; %bb.357:
	v_lshl_add_u64 v[8:9], v[72:73], 3, v[130:131]
	flat_load_dwordx2 v[8:9], v[8:9]
	s_waitcnt vmcnt(0) lgkmcnt(0)
	v_mul_f64 v[8:9], s[70:71], v[8:9]
	s_branch .LBB150_359
.LBB150_358:
	v_mov_b64_e32 v[8:9], 0
.LBB150_359:
	v_add_f64 v[6:7], v[6:7], v[8:9]
	v_lshl_add_u64 v[8:9], v[72:73], 3, v[64:65]
	global_store_dwordx2 v[8:9], v[6:7], off
	s_or_b64 exec, exec, s[2:3]
	s_and_b64 s[4:5], s[24:25], s[64:65]
	s_and_saveexec_b64 s[2:3], s[4:5]
	s_cbranch_execz .LBB150_241
.LBB150_360:
	s_and_b64 vcc, exec, s[0:1]
	s_cbranch_vccnz .LBB150_362
; %bb.361:
	v_lshl_add_u64 v[6:7], v[70:71], 3, v[130:131]
	flat_load_dwordx2 v[6:7], v[6:7]
	s_waitcnt vmcnt(0) lgkmcnt(0)
	v_mul_f64 v[6:7], s[70:71], v[6:7]
	s_branch .LBB150_363
.LBB150_362:
	v_mov_b64_e32 v[6:7], 0
.LBB150_363:
	v_add_f64 v[4:5], v[4:5], v[6:7]
	v_lshl_add_u64 v[6:7], v[70:71], 3, v[64:65]
	global_store_dwordx2 v[6:7], v[4:5], off
	s_or_b64 exec, exec, s[2:3]
	s_and_b64 s[4:5], s[24:25], s[66:67]
	s_and_saveexec_b64 s[2:3], s[4:5]
	s_cbranch_execz .LBB150_242
.LBB150_364:
	s_and_b64 vcc, exec, s[0:1]
	s_cbranch_vccnz .LBB150_366
; %bb.365:
	v_lshl_add_u64 v[4:5], v[68:69], 3, v[130:131]
	flat_load_dwordx2 v[4:5], v[4:5]
	s_waitcnt vmcnt(0) lgkmcnt(0)
	v_mul_f64 v[4:5], s[70:71], v[4:5]
	s_branch .LBB150_367
.LBB150_366:
	v_mov_b64_e32 v[4:5], 0
.LBB150_367:
	v_add_f64 v[2:3], v[2:3], v[4:5]
	v_lshl_add_u64 v[4:5], v[68:69], 3, v[64:65]
	global_store_dwordx2 v[4:5], v[2:3], off
	s_or_b64 exec, exec, s[2:3]
	s_and_b64 s[2:3], s[24:25], s[68:69]
	s_and_saveexec_b64 s[4:5], s[2:3]
	s_cbranch_execz .LBB150_243
.LBB150_368:
	s_and_b64 vcc, exec, s[0:1]
	s_cbranch_vccnz .LBB150_370
; %bb.369:
	v_lshl_add_u64 v[2:3], v[66:67], 3, v[130:131]
	flat_load_dwordx2 v[2:3], v[2:3]
	s_waitcnt vmcnt(0) lgkmcnt(0)
	v_mul_f64 v[2:3], s[70:71], v[2:3]
	v_add_f64 v[0:1], v[0:1], v[2:3]
	v_lshl_add_u64 v[2:3], v[66:67], 3, v[64:65]
	global_store_dwordx2 v[2:3], v[0:1], off
	s_endpgm
.LBB150_370:
	v_mov_b64_e32 v[2:3], 0
	v_add_f64 v[0:1], v[0:1], v[2:3]
	v_lshl_add_u64 v[2:3], v[66:67], 3, v[64:65]
	global_store_dwordx2 v[2:3], v[0:1], off
	s_endpgm
	.section	.rodata,"a",@progbits
	.p2align	6, 0x0
	.amdhsa_kernel _ZN12_GLOBAL__N_120geam_min_plus_kernelIdddLi4ELi64ELi128ELi128ELi4ELi4ELi64ELi64ELi4ELc84ELc84ELb0ELb1ELb0EPKdKS2_KPdEEviiiT16_PT17_ilS8_ilS6_S8_ilPT18_ili26rocblas_geam_ex_operation_
		.amdhsa_group_segment_fixed_size 16384
		.amdhsa_private_segment_fixed_size 0
		.amdhsa_kernarg_size 136
		.amdhsa_user_sgpr_count 2
		.amdhsa_user_sgpr_dispatch_ptr 0
		.amdhsa_user_sgpr_queue_ptr 0
		.amdhsa_user_sgpr_kernarg_segment_ptr 1
		.amdhsa_user_sgpr_dispatch_id 0
		.amdhsa_user_sgpr_kernarg_preload_length 0
		.amdhsa_user_sgpr_kernarg_preload_offset 0
		.amdhsa_user_sgpr_private_segment_size 0
		.amdhsa_uses_dynamic_stack 0
		.amdhsa_enable_private_segment 0
		.amdhsa_system_sgpr_workgroup_id_x 1
		.amdhsa_system_sgpr_workgroup_id_y 0
		.amdhsa_system_sgpr_workgroup_id_z 1
		.amdhsa_system_sgpr_workgroup_info 0
		.amdhsa_system_vgpr_workitem_id 1
		.amdhsa_next_free_vgpr 254
		.amdhsa_next_free_sgpr 82
		.amdhsa_accum_offset 256
		.amdhsa_reserve_vcc 1
		.amdhsa_float_round_mode_32 0
		.amdhsa_float_round_mode_16_64 0
		.amdhsa_float_denorm_mode_32 3
		.amdhsa_float_denorm_mode_16_64 3
		.amdhsa_dx10_clamp 1
		.amdhsa_ieee_mode 1
		.amdhsa_fp16_overflow 0
		.amdhsa_tg_split 0
		.amdhsa_exception_fp_ieee_invalid_op 0
		.amdhsa_exception_fp_denorm_src 0
		.amdhsa_exception_fp_ieee_div_zero 0
		.amdhsa_exception_fp_ieee_overflow 0
		.amdhsa_exception_fp_ieee_underflow 0
		.amdhsa_exception_fp_ieee_inexact 0
		.amdhsa_exception_int_div_zero 0
	.end_amdhsa_kernel
	.section	.text._ZN12_GLOBAL__N_120geam_min_plus_kernelIdddLi4ELi64ELi128ELi128ELi4ELi4ELi64ELi64ELi4ELc84ELc84ELb0ELb1ELb0EPKdKS2_KPdEEviiiT16_PT17_ilS8_ilS6_S8_ilPT18_ili26rocblas_geam_ex_operation_,"axG",@progbits,_ZN12_GLOBAL__N_120geam_min_plus_kernelIdddLi4ELi64ELi128ELi128ELi4ELi4ELi64ELi64ELi4ELc84ELc84ELb0ELb1ELb0EPKdKS2_KPdEEviiiT16_PT17_ilS8_ilS6_S8_ilPT18_ili26rocblas_geam_ex_operation_,comdat
.Lfunc_end150:
	.size	_ZN12_GLOBAL__N_120geam_min_plus_kernelIdddLi4ELi64ELi128ELi128ELi4ELi4ELi64ELi64ELi4ELc84ELc84ELb0ELb1ELb0EPKdKS2_KPdEEviiiT16_PT17_ilS8_ilS6_S8_ilPT18_ili26rocblas_geam_ex_operation_, .Lfunc_end150-_ZN12_GLOBAL__N_120geam_min_plus_kernelIdddLi4ELi64ELi128ELi128ELi4ELi4ELi64ELi64ELi4ELc84ELc84ELb0ELb1ELb0EPKdKS2_KPdEEviiiT16_PT17_ilS8_ilS6_S8_ilPT18_ili26rocblas_geam_ex_operation_
                                        ; -- End function
	.section	.AMDGPU.csdata,"",@progbits
; Kernel info:
; codeLenInByte = 14784
; NumSgprs: 88
; NumVgprs: 254
; NumAgprs: 0
; TotalNumVgprs: 254
; ScratchSize: 0
; MemoryBound: 0
; FloatMode: 240
; IeeeMode: 1
; LDSByteSize: 16384 bytes/workgroup (compile time only)
; SGPRBlocks: 10
; VGPRBlocks: 31
; NumSGPRsForWavesPerEU: 88
; NumVGPRsForWavesPerEU: 254
; AccumOffset: 256
; Occupancy: 2
; WaveLimiterHint : 1
; COMPUTE_PGM_RSRC2:SCRATCH_EN: 0
; COMPUTE_PGM_RSRC2:USER_SGPR: 2
; COMPUTE_PGM_RSRC2:TRAP_HANDLER: 0
; COMPUTE_PGM_RSRC2:TGID_X_EN: 1
; COMPUTE_PGM_RSRC2:TGID_Y_EN: 0
; COMPUTE_PGM_RSRC2:TGID_Z_EN: 1
; COMPUTE_PGM_RSRC2:TIDIG_COMP_CNT: 1
; COMPUTE_PGM_RSRC3_GFX90A:ACCUM_OFFSET: 63
; COMPUTE_PGM_RSRC3_GFX90A:TG_SPLIT: 0
	.section	.text._ZN12_GLOBAL__N_120geam_min_plus_kernelIdddLi4ELi64ELi128ELi128ELi4ELi4ELi64ELi64ELi4ELc84ELc84ELb1ELb1ELb0EdKPKdKPdEEviiiT16_PT17_ilS8_ilS6_S8_ilPT18_ili26rocblas_geam_ex_operation_,"axG",@progbits,_ZN12_GLOBAL__N_120geam_min_plus_kernelIdddLi4ELi64ELi128ELi128ELi4ELi4ELi64ELi64ELi4ELc84ELc84ELb1ELb1ELb0EdKPKdKPdEEviiiT16_PT17_ilS8_ilS6_S8_ilPT18_ili26rocblas_geam_ex_operation_,comdat
	.globl	_ZN12_GLOBAL__N_120geam_min_plus_kernelIdddLi4ELi64ELi128ELi128ELi4ELi4ELi64ELi64ELi4ELc84ELc84ELb1ELb1ELb0EdKPKdKPdEEviiiT16_PT17_ilS8_ilS6_S8_ilPT18_ili26rocblas_geam_ex_operation_ ; -- Begin function _ZN12_GLOBAL__N_120geam_min_plus_kernelIdddLi4ELi64ELi128ELi128ELi4ELi4ELi64ELi64ELi4ELc84ELc84ELb1ELb1ELb0EdKPKdKPdEEviiiT16_PT17_ilS8_ilS6_S8_ilPT18_ili26rocblas_geam_ex_operation_
	.p2align	8
	.type	_ZN12_GLOBAL__N_120geam_min_plus_kernelIdddLi4ELi64ELi128ELi128ELi4ELi4ELi64ELi64ELi4ELc84ELc84ELb1ELb1ELb0EdKPKdKPdEEviiiT16_PT17_ilS8_ilS6_S8_ilPT18_ili26rocblas_geam_ex_operation_,@function
_ZN12_GLOBAL__N_120geam_min_plus_kernelIdddLi4ELi64ELi128ELi128ELi4ELi4ELi64ELi64ELi4ELc84ELc84ELb1ELb1ELb0EdKPKdKPdEEviiiT16_PT17_ilS8_ilS6_S8_ilPT18_ili26rocblas_geam_ex_operation_: ; @_ZN12_GLOBAL__N_120geam_min_plus_kernelIdddLi4ELi64ELi128ELi128ELi4ELi4ELi64ELi64ELi4ELc84ELc84ELb1ELb1ELb0EdKPKdKPdEEviiiT16_PT17_ilS8_ilS6_S8_ilPT18_ili26rocblas_geam_ex_operation_
; %bb.0:
	s_load_dwordx4 s[8:11], s[0:1], 0x10
	s_load_dwordx4 s[4:7], s[0:1], 0x28
	s_mov_b32 s12, s3
	s_mov_b64 s[14:15], 0
	s_waitcnt lgkmcnt(0)
	v_cmp_eq_f64_e64 s[16:17], s[8:9], 0
	s_and_b64 vcc, exec, s[16:17]
	s_cbranch_vccnz .LBB151_2
; %bb.1:
	s_mov_b32 s13, 0
	s_lshl_b64 s[8:9], s[12:13], 3
	s_add_u32 s8, s10, s8
	s_addc_u32 s9, s11, s9
	s_load_dwordx2 s[8:9], s[8:9], 0x0
	s_lshl_b64 s[4:5], s[4:5], 3
	s_waitcnt lgkmcnt(0)
	s_add_u32 s14, s8, s4
	s_addc_u32 s15, s9, s5
.LBB151_2:
	s_load_dwordx4 s[68:71], s[0:1], 0x40
	s_load_dwordx2 s[8:9], s[0:1], 0x50
	s_andn2_b64 vcc, exec, s[16:17]
	s_cbranch_vccnz .LBB151_4
; %bb.3:
	s_mov_b32 s13, 0
	s_mov_b64 s[16:17], 0
	s_cbranch_execz .LBB151_5
	s_branch .LBB151_6
.LBB151_4:
                                        ; implicit-def: $sgpr16_sgpr17
.LBB151_5:
	s_mov_b32 s13, 0
	s_lshl_b64 s[4:5], s[12:13], 3
	s_add_u32 s4, s6, s4
	s_addc_u32 s5, s7, s5
	s_load_dwordx2 s[4:5], s[4:5], 0x0
	s_waitcnt lgkmcnt(0)
	s_lshl_b64 s[6:7], s[68:69], 3
	s_add_u32 s16, s4, s6
	s_addc_u32 s17, s5, s7
.LBB151_6:
	s_load_dwordx4 s[4:7], s[0:1], 0x60
	s_waitcnt lgkmcnt(0)
	v_cmp_eq_f64_e64 s[18:19], s[70:71], 0
	s_mov_b64 s[76:77], 0
	v_cmp_neq_f64_e64 s[10:11], s[70:71], 0
	s_and_b64 vcc, exec, s[18:19]
	s_cbranch_vccnz .LBB151_8
; %bb.7:
	s_lshl_b64 s[18:19], s[12:13], 3
	s_add_u32 s8, s8, s18
	s_addc_u32 s9, s9, s19
	s_load_dwordx2 s[8:9], s[8:9], 0x0
	s_lshl_b64 s[4:5], s[4:5], 3
	s_waitcnt lgkmcnt(0)
	s_add_u32 s76, s8, s4
	s_addc_u32 s77, s9, s5
.LBB151_8:
	s_load_dwordx4 s[72:75], s[0:1], 0x0
	s_load_dword s25, s[0:1], 0x20
	s_lshl_b64 s[4:5], s[12:13], 3
	s_add_u32 s4, s6, s4
	s_addc_u32 s5, s7, s5
	s_waitcnt lgkmcnt(0)
	s_add_i32 s3, s72, -1
	s_ashr_i32 s6, s3, 31
	s_lshr_b32 s6, s6, 25
	s_add_i32 s3, s3, s6
	s_ashr_i32 s3, s3, 7
	s_add_i32 s6, s3, 1
	v_cvt_f32_u32_e32 v1, s6
	v_and_b32_e32 v150, 0x3ff, v0
	v_bfe_u32 v151, v0, 10, 10
	s_load_dwordx2 s[12:13], s[4:5], 0x0
	v_rcp_iflag_f32_e32 v1, v1
	s_not_b32 s3, s3
	v_lshl_add_u32 v8, v151, 2, v150
	v_lshrrev_b32_e32 v14, 2, v8
	v_mul_f32_e32 v0, 0x4f7ffffe, v1
	v_cvt_u32_f32_e32 v0, v0
	v_and_b32_e32 v152, 3, v150
	v_cmp_le_i32_e32 vcc, s74, v152
	v_mov_b32_e32 v1, 0
	v_readfirstlane_b32 s4, v0
	s_mul_i32 s3, s3, s4
	s_mul_hi_u32 s3, s4, s3
	s_add_i32 s4, s4, s3
	s_mul_hi_u32 s3, s2, s4
	s_mul_i32 s4, s3, s6
	s_sub_i32 s4, s2, s4
	s_add_i32 s5, s3, 1
	s_sub_i32 s7, s4, s6
	s_cmp_ge_u32 s4, s6
	s_cselect_b32 s3, s5, s3
	s_cselect_b32 s4, s7, s4
	s_add_i32 s5, s3, 1
	s_cmp_ge_u32 s4, s6
	s_cselect_b32 s8, s5, s3
	s_mul_i32 s3, s8, s6
	s_sub_i32 s2, s2, s3
	s_lshl_b32 s20, s2, 7
	v_add_u32_e32 v138, s20, v14
	v_cmp_le_i32_e64 s[2:3], s72, v138
	v_lshlrev_b32_e32 v0, 3, v152
	s_or_b64 s[4:5], vcc, s[2:3]
	v_mov_b64_e32 v[2:3], 0
	v_lshl_add_u64 v[6:7], s[14:15], 0, v[0:1]
	s_xor_b64 s[6:7], s[4:5], -1
	v_mov_b64_e32 v[4:5], v[2:3]
	s_and_saveexec_b64 s[4:5], s[6:7]
	s_cbranch_execz .LBB151_10
; %bb.9:
	v_mad_i64_i32 v[4:5], s[6:7], v138, s25, 0
	v_lshl_add_u64 v[4:5], v[4:5], 3, v[6:7]
	flat_load_dwordx2 v[4:5], v[4:5]
.LBB151_10:
	s_or_b64 exec, exec, s[4:5]
	v_add_u32_e32 v139, 64, v138
	v_cmp_le_i32_e64 s[4:5], s72, v139
	s_or_b64 s[6:7], vcc, s[4:5]
	s_xor_b64 s[18:19], s[6:7], -1
	s_and_saveexec_b64 s[6:7], s[18:19]
	s_cbranch_execz .LBB151_12
; %bb.11:
	v_mad_i64_i32 v[2:3], s[18:19], v139, s25, 0
	v_lshl_add_u64 v[2:3], v[2:3], 3, v[6:7]
	flat_load_dwordx2 v[2:3], v[2:3]
.LBB151_12:
	s_or_b64 exec, exec, s[6:7]
	s_load_dword s22, s[0:1], 0x38
	v_and_b32_e32 v1, 63, v8
	v_lshrrev_b32_e32 v153, 6, v8
	s_lshl_b32 s21, s8, 7
	v_or_b32_e32 v128, s21, v1
	s_waitcnt lgkmcnt(0)
	v_mad_i64_i32 v[8:9], s[6:7], s22, v153, 0
	v_cmp_le_i32_e32 vcc, s74, v153
	v_cmp_le_i32_e64 s[6:7], s73, v128
	v_lshl_add_u64 v[12:13], v[8:9], 3, s[16:17]
	s_or_b64 s[8:9], s[6:7], vcc
	v_mov_b64_e32 v[8:9], 0
	s_xor_b64 s[18:19], s[8:9], -1
	v_ashrrev_i32_e32 v129, 31, v128
	v_mov_b64_e32 v[10:11], v[8:9]
	s_and_saveexec_b64 s[8:9], s[18:19]
	s_cbranch_execz .LBB151_14
; %bb.13:
	v_lshl_add_u64 v[10:11], v[128:129], 3, v[12:13]
	flat_load_dwordx2 v[10:11], v[10:11]
.LBB151_14:
	s_or_b64 exec, exec, s[8:9]
	v_or_b32_e32 v15, 64, v128
	v_cmp_le_i32_e64 s[8:9], s73, v15
	s_or_b64 s[18:19], s[8:9], vcc
	s_ashr_i32 s23, s22, 31
	s_xor_b64 s[26:27], s[18:19], -1
	s_and_saveexec_b64 s[18:19], s[26:27]
	s_cbranch_execz .LBB151_16
; %bb.15:
	v_lshl_add_u64 v[8:9], v[128:129], 3, v[12:13]
	flat_load_dwordx2 v[8:9], v[8:9] offset:512
.LBB151_16:
	s_or_b64 exec, exec, s[18:19]
	v_or_b32_e32 v12, 4, v152
	v_cmp_le_i32_e32 vcc, s74, v12
	s_or_b64 s[18:19], vcc, s[2:3]
	v_mov_b64_e32 v[130:131], 0
	s_xor_b64 s[26:27], s[18:19], -1
	v_mov_b64_e32 v[132:133], v[130:131]
	s_and_saveexec_b64 s[18:19], s[26:27]
	s_cbranch_execz .LBB151_18
; %bb.17:
	v_mad_i64_i32 v[12:13], s[26:27], v138, s25, 0
	v_lshl_add_u64 v[12:13], v[12:13], 3, v[6:7]
	flat_load_dwordx2 v[132:133], v[12:13] offset:32
.LBB151_18:
	s_or_b64 exec, exec, s[18:19]
	s_or_b64 s[18:19], vcc, s[4:5]
	s_xor_b64 s[26:27], s[18:19], -1
	s_and_saveexec_b64 s[18:19], s[26:27]
	s_cbranch_execz .LBB151_20
; %bb.19:
	v_mad_i64_i32 v[12:13], s[26:27], v139, s25, 0
	v_lshl_add_u64 v[6:7], v[12:13], 3, v[6:7]
	flat_load_dwordx2 v[130:131], v[6:7] offset:32
.LBB151_20:
	s_or_b64 exec, exec, s[18:19]
	v_add_u32_e32 v6, 4, v153
	v_cmp_le_i32_e32 vcc, s74, v6
	v_mad_i64_i32 v[6:7], s[18:19], s22, v6, 0
	s_or_b64 s[18:19], s[6:7], vcc
	v_mov_b64_e32 v[134:135], 0
	v_lshl_add_u64 v[6:7], v[6:7], 3, s[16:17]
	s_xor_b64 s[26:27], s[18:19], -1
	v_mov_b64_e32 v[136:137], v[134:135]
	s_and_saveexec_b64 s[18:19], s[26:27]
	s_cbranch_execz .LBB151_22
; %bb.21:
	v_lshl_add_u64 v[12:13], v[128:129], 3, v[6:7]
	flat_load_dwordx2 v[136:137], v[12:13]
.LBB151_22:
	s_or_b64 exec, exec, s[18:19]
	s_or_b64 s[18:19], s[8:9], vcc
	s_xor_b64 s[26:27], s[18:19], -1
	s_and_saveexec_b64 s[18:19], s[26:27]
	s_cbranch_execz .LBB151_24
; %bb.23:
	v_lshl_add_u64 v[6:7], v[128:129], 3, v[6:7]
	flat_load_dwordx2 v[134:135], v[6:7] offset:512
.LBB151_24:
	s_or_b64 exec, exec, s[18:19]
	v_lshl_or_b32 v154, v14, 5, v0
	v_lshlrev_b32_e32 v0, 5, v1
	v_lshl_add_u32 v141, v153, 3, v0
	v_lshlrev_b32_e32 v140, 5, v151
	v_mov_b64_e32 v[126:127], 0
	s_waitcnt vmcnt(0)
	ds_write2st64_b64 v154, v[4:5], v[2:3] offset1:4
	v_or_b32_e32 v155, 0x2000, v141
	s_waitcnt lgkmcnt(0)
	ds_write2st64_b64 v141, v[10:11], v[8:9] offset0:16 offset1:20
	v_lshlrev_b32_e32 v156, 5, v150
	v_add_u32_e32 v157, 0x2000, v140
	s_mov_b32 s18, 0
	v_mov_b64_e32 v[124:125], v[126:127]
	v_mov_b64_e32 v[122:123], v[126:127]
	;; [unrolled: 1-line block ×63, first 2 shown]
	s_waitcnt lgkmcnt(0)
	s_barrier
.LBB151_25:                             ; =>This Inner Loop Header: Depth=1
	v_add_u32_e32 v186, s18, v156
	v_add_u32_e32 v182, s18, v157
	ds_read2_b64 v[142:145], v186 offset1:16
	ds_read2_b64 v[146:149], v186 offset0:32 offset1:48
	ds_read2_b64 v[158:161], v186 offset0:64 offset1:80
	;; [unrolled: 1-line block ×7, first 2 shown]
	ds_read2st64_b64 v[182:185], v182 offset1:4
	v_add_u32_e32 v214, 0x800, v186
	ds_read2_b64 v[186:189], v214 offset1:16
	ds_read2_b64 v[190:193], v214 offset0:32 offset1:48
	ds_read2_b64 v[194:197], v214 offset0:64 offset1:80
	;; [unrolled: 1-line block ×7, first 2 shown]
	s_waitcnt lgkmcnt(14)
	v_max_f64 v[142:143], v[142:143], v[142:143]
	v_max_f64 v[144:145], v[144:145], v[144:145]
	;; [unrolled: 1-line block ×6, first 2 shown]
	s_waitcnt lgkmcnt(13)
	v_max_f64 v[162:163], v[162:163], v[162:163]
	v_max_f64 v[164:165], v[164:165], v[164:165]
	s_waitcnt lgkmcnt(12)
	v_max_f64 v[166:167], v[166:167], v[166:167]
	v_max_f64 v[168:169], v[168:169], v[168:169]
	;; [unrolled: 3-line block ×14, first 2 shown]
	v_min_f64 v[218:219], v[142:143], v[182:183]
	v_min_f64 v[220:221], v[144:145], v[182:183]
	;; [unrolled: 1-line block ×32, first 2 shown]
	s_add_i32 s18, s18, 8
	v_add_f64 v[62:63], v[142:143], v[62:63]
	v_add_f64 v[60:61], v[144:145], v[60:61]
	;; [unrolled: 1-line block ×16, first 2 shown]
	v_min_f64 v[142:143], v[186:187], v[182:183]
	v_min_f64 v[144:145], v[188:189], v[182:183]
	;; [unrolled: 1-line block ×32, first 2 shown]
	s_cmp_eq_u32 s18, 32
	v_add_f64 v[126:127], v[218:219], v[126:127]
	v_add_f64 v[124:125], v[220:221], v[124:125]
	;; [unrolled: 1-line block ×48, first 2 shown]
	s_cbranch_scc0 .LBB151_25
; %bb.26:
	s_cmp_gt_i32 s74, 8
	ds_write2st64_b64 v154, v[132:133], v[130:131] offset0:8 offset1:12
	ds_write2st64_b64 v141, v[136:137], v[134:135] offset0:24 offset1:28
	s_waitcnt lgkmcnt(0)
	s_barrier
	s_cbranch_scc1 .LBB151_28
; %bb.27:
	v_add_u32_e32 v158, 0x1000, v156
	v_add_u32_e32 v159, 0x3000, v140
	s_cbranch_execz .LBB151_29
	s_branch .LBB151_51
.LBB151_28:
                                        ; implicit-def: $vgpr158
                                        ; implicit-def: $vgpr159
.LBB151_29:
	v_add_u32_e32 v160, 0x1000, v154
	v_or_b32_e32 v161, 0x3000, v141
	s_add_i32 s24, s74, -8
	v_mad_i64_i32 v[130:131], s[18:19], v138, s25, 0
	v_mad_i64_i32 v[132:133], s[18:19], v139, s25, 0
	v_add_u32_e32 v158, 0x1000, v156
	v_add_u32_e32 v159, 0x3000, v140
	s_mov_b32 s25, 8
	s_mov_b32 s26, 0
	v_mov_b32_e32 v135, 0
.LBB151_30:                             ; =>This Loop Header: Depth=1
                                        ;     Child Loop BB151_39 Depth 2
                                        ;     Child Loop BB151_49 Depth 2
	v_or_b32_e32 v134, s25, v152
	v_cmp_le_i32_e32 vcc, s74, v134
	v_lshl_add_u64 v[138:139], v[134:135], 3, s[14:15]
	s_or_b64 s[18:19], s[2:3], vcc
	v_mov_b64_e32 v[140:141], 0
	s_xor_b64 s[28:29], s[18:19], -1
	v_lshl_add_u64 v[136:137], v[130:131], 3, v[138:139]
	v_mov_b64_e32 v[142:143], v[140:141]
	s_and_saveexec_b64 s[18:19], s[28:29]
	s_cbranch_execz .LBB151_32
; %bb.31:                               ;   in Loop: Header=BB151_30 Depth=1
	flat_load_dwordx2 v[142:143], v[136:137]
.LBB151_32:                             ;   in Loop: Header=BB151_30 Depth=1
	s_or_b64 exec, exec, s[18:19]
	s_or_b64 s[18:19], s[4:5], vcc
	s_xor_b64 s[28:29], s[18:19], -1
	v_lshl_add_u64 v[138:139], v[132:133], 3, v[138:139]
	s_and_saveexec_b64 s[18:19], s[28:29]
	s_cbranch_execz .LBB151_34
; %bb.33:                               ;   in Loop: Header=BB151_30 Depth=1
	flat_load_dwordx2 v[140:141], v[138:139]
.LBB151_34:                             ;   in Loop: Header=BB151_30 Depth=1
	s_or_b64 exec, exec, s[18:19]
	v_add_u32_e32 v147, s25, v153
	v_mad_u64_u32 v[144:145], s[18:19], v147, s22, 0
	v_mov_b32_e32 v146, v145
	v_cmp_le_i32_e32 vcc, s74, v147
	v_mad_u64_u32 v[146:147], s[18:19], v147, s23, v[146:147]
	v_mov_b32_e32 v145, v146
	v_lshl_add_u64 v[146:147], v[144:145], 3, s[16:17]
	s_or_b64 s[18:19], s[6:7], vcc
	v_mov_b64_e32 v[144:145], 0
	s_xor_b64 s[28:29], s[18:19], -1
	v_lshl_add_u64 v[148:149], v[128:129], 3, v[146:147]
	v_mov_b64_e32 v[146:147], v[144:145]
	s_and_saveexec_b64 s[18:19], s[28:29]
	s_cbranch_execz .LBB151_36
; %bb.35:                               ;   in Loop: Header=BB151_30 Depth=1
	flat_load_dwordx2 v[146:147], v[148:149]
.LBB151_36:                             ;   in Loop: Header=BB151_30 Depth=1
	s_or_b64 exec, exec, s[18:19]
	s_or_b64 s[18:19], s[8:9], vcc
	s_xor_b64 s[28:29], s[18:19], -1
	s_and_saveexec_b64 s[18:19], s[28:29]
	s_cbranch_execz .LBB151_38
; %bb.37:                               ;   in Loop: Header=BB151_30 Depth=1
	flat_load_dwordx2 v[144:145], v[148:149] offset:512
.LBB151_38:                             ;   in Loop: Header=BB151_30 Depth=1
	s_or_b64 exec, exec, s[18:19]
	s_mov_b32 s18, 0
.LBB151_39:                             ;   Parent Loop BB151_30 Depth=1
                                        ; =>  This Inner Loop Header: Depth=2
	v_add_u32_e32 v148, s18, v158
	ds_read2_b64 v[162:165], v148 offset1:16
	ds_read2_b64 v[166:169], v148 offset0:32 offset1:48
	ds_read2_b64 v[170:173], v148 offset0:64 offset1:80
	;; [unrolled: 1-line block ×7, first 2 shown]
	v_add_u32_e32 v148, 0x800, v148
	ds_read2_b64 v[194:197], v148 offset1:16
	ds_read2_b64 v[198:201], v148 offset0:32 offset1:48
	ds_read2_b64 v[202:205], v148 offset0:64 offset1:80
	ds_read2_b64 v[206:209], v148 offset0:96 offset1:112
	ds_read2_b64 v[210:213], v148 offset0:128 offset1:144
	ds_read2_b64 v[214:217], v148 offset0:160 offset1:176
	ds_read2_b64 v[218:221], v148 offset0:192 offset1:208
	ds_read2_b64 v[222:225], v148 offset0:224 offset1:240
	v_add_u32_e32 v148, s18, v159
	ds_read2st64_b64 v[226:229], v148 offset1:4
	s_waitcnt lgkmcnt(0)
	v_max_f64 v[162:163], v[162:163], v[162:163]
	v_max_f64 v[164:165], v[164:165], v[164:165]
	;; [unrolled: 1-line block ×5, first 2 shown]
	v_min_f64 v[226:227], v[162:163], v[148:149]
	v_add_f64 v[126:127], v[226:227], v[126:127]
	v_min_f64 v[226:227], v[164:165], v[148:149]
	v_add_f64 v[124:125], v[226:227], v[124:125]
	;; [unrolled: 2-line block ×3, first 2 shown]
	v_min_f64 v[226:227], v[168:169], v[148:149]
	v_max_f64 v[170:171], v[170:171], v[170:171]
	v_add_f64 v[120:121], v[226:227], v[120:121]
	v_min_f64 v[226:227], v[170:171], v[148:149]
	v_max_f64 v[172:173], v[172:173], v[172:173]
	v_add_f64 v[118:119], v[226:227], v[118:119]
	;; [unrolled: 3-line block ×26, first 2 shown]
	v_min_f64 v[226:227], v[220:221], v[148:149]
	v_max_f64 v[222:223], v[222:223], v[222:223]
	v_max_f64 v[224:225], v[224:225], v[224:225]
	v_add_f64 v[68:69], v[226:227], v[68:69]
	v_min_f64 v[226:227], v[222:223], v[148:149]
	v_min_f64 v[148:149], v[224:225], v[148:149]
	v_add_f64 v[64:65], v[148:149], v[64:65]
	v_max_f64 v[148:149], v[228:229], v[228:229]
	v_min_f64 v[162:163], v[162:163], v[148:149]
	v_add_f64 v[62:63], v[162:163], v[62:63]
	v_min_f64 v[162:163], v[164:165], v[148:149]
	v_add_f64 v[60:61], v[162:163], v[60:61]
	;; [unrolled: 2-line block ×30, first 2 shown]
	v_min_f64 v[162:163], v[222:223], v[148:149]
	v_min_f64 v[148:149], v[224:225], v[148:149]
	s_add_i32 s18, s18, 8
	v_add_f64 v[66:67], v[226:227], v[66:67]
	v_add_f64 v[2:3], v[162:163], v[2:3]
	;; [unrolled: 1-line block ×3, first 2 shown]
	s_cmp_eq_u32 s18, 32
	s_cbranch_scc0 .LBB151_39
; %bb.40:                               ;   in Loop: Header=BB151_30 Depth=1
	v_or_b32_e32 v134, 4, v134
	v_cmp_le_i32_e32 vcc, s74, v134
	s_waitcnt vmcnt(0)
	ds_write2st64_b64 v154, v[142:143], v[140:141] offset1:4
	ds_write2st64_b64 v155, v[146:147], v[144:145] offset1:4
	s_or_b64 s[18:19], s[2:3], vcc
	v_mov_b64_e32 v[140:141], 0
	s_xor_b64 s[28:29], s[18:19], -1
	v_mov_b64_e32 v[142:143], v[140:141]
	s_waitcnt lgkmcnt(0)
	s_barrier
	s_and_saveexec_b64 s[18:19], s[28:29]
	s_cbranch_execz .LBB151_42
; %bb.41:                               ;   in Loop: Header=BB151_30 Depth=1
	flat_load_dwordx2 v[142:143], v[136:137] offset:32
.LBB151_42:                             ;   in Loop: Header=BB151_30 Depth=1
	s_or_b64 exec, exec, s[18:19]
	s_or_b64 s[18:19], s[4:5], vcc
	s_xor_b64 s[28:29], s[18:19], -1
	s_and_saveexec_b64 s[18:19], s[28:29]
	s_cbranch_execz .LBB151_44
; %bb.43:                               ;   in Loop: Header=BB151_30 Depth=1
	flat_load_dwordx2 v[140:141], v[138:139] offset:32
.LBB151_44:                             ;   in Loop: Header=BB151_30 Depth=1
	s_or_b64 exec, exec, s[18:19]
	v_add3_u32 v138, v153, s25, 4
	v_mad_u64_u32 v[136:137], s[18:19], v138, s22, 0
	v_mov_b32_e32 v134, v137
	v_cmp_le_i32_e32 vcc, s74, v138
	v_mad_u64_u32 v[138:139], s[18:19], v138, s23, v[134:135]
	v_mov_b32_e32 v137, v138
	v_lshl_add_u64 v[138:139], v[136:137], 3, s[16:17]
	s_or_b64 s[18:19], s[6:7], vcc
	v_mov_b64_e32 v[136:137], 0
	s_xor_b64 s[28:29], s[18:19], -1
	v_lshl_add_u64 v[144:145], v[128:129], 3, v[138:139]
	v_mov_b64_e32 v[138:139], v[136:137]
	s_and_saveexec_b64 s[18:19], s[28:29]
	s_cbranch_execz .LBB151_46
; %bb.45:                               ;   in Loop: Header=BB151_30 Depth=1
	flat_load_dwordx2 v[138:139], v[144:145]
.LBB151_46:                             ;   in Loop: Header=BB151_30 Depth=1
	s_or_b64 exec, exec, s[18:19]
	s_or_b64 s[18:19], s[8:9], vcc
	s_xor_b64 s[28:29], s[18:19], -1
	s_and_saveexec_b64 s[18:19], s[28:29]
	s_cbranch_execz .LBB151_48
; %bb.47:                               ;   in Loop: Header=BB151_30 Depth=1
	flat_load_dwordx2 v[136:137], v[144:145] offset:512
.LBB151_48:                             ;   in Loop: Header=BB151_30 Depth=1
	s_or_b64 exec, exec, s[18:19]
	s_mov_b32 s18, 0
.LBB151_49:                             ;   Parent Loop BB151_30 Depth=1
                                        ; =>  This Inner Loop Header: Depth=2
	v_add_u32_e32 v134, s18, v156
	ds_read2_b64 v[144:147], v134 offset1:16
	ds_read2_b64 v[162:165], v134 offset0:32 offset1:48
	ds_read2_b64 v[166:169], v134 offset0:64 offset1:80
	;; [unrolled: 1-line block ×7, first 2 shown]
	v_add_u32_e32 v134, 0x800, v134
	ds_read2_b64 v[190:193], v134 offset1:16
	ds_read2_b64 v[194:197], v134 offset0:32 offset1:48
	ds_read2_b64 v[198:201], v134 offset0:64 offset1:80
	;; [unrolled: 1-line block ×7, first 2 shown]
	v_add_u32_e32 v134, s18, v157
	ds_read2st64_b64 v[222:225], v134 offset1:4
	s_waitcnt lgkmcnt(0)
	v_max_f64 v[144:145], v[144:145], v[144:145]
	v_max_f64 v[146:147], v[146:147], v[146:147]
	;; [unrolled: 1-line block ×5, first 2 shown]
	v_min_f64 v[222:223], v[144:145], v[148:149]
	v_add_f64 v[126:127], v[222:223], v[126:127]
	v_min_f64 v[222:223], v[146:147], v[148:149]
	v_add_f64 v[124:125], v[222:223], v[124:125]
	;; [unrolled: 2-line block ×3, first 2 shown]
	v_min_f64 v[222:223], v[164:165], v[148:149]
	v_max_f64 v[166:167], v[166:167], v[166:167]
	v_add_f64 v[120:121], v[222:223], v[120:121]
	v_min_f64 v[222:223], v[166:167], v[148:149]
	v_max_f64 v[168:169], v[168:169], v[168:169]
	v_add_f64 v[118:119], v[222:223], v[118:119]
	;; [unrolled: 3-line block ×26, first 2 shown]
	v_min_f64 v[222:223], v[216:217], v[148:149]
	v_max_f64 v[218:219], v[218:219], v[218:219]
	v_max_f64 v[220:221], v[220:221], v[220:221]
	v_add_f64 v[68:69], v[222:223], v[68:69]
	v_min_f64 v[222:223], v[218:219], v[148:149]
	v_min_f64 v[148:149], v[220:221], v[148:149]
	v_add_f64 v[64:65], v[148:149], v[64:65]
	v_max_f64 v[148:149], v[224:225], v[224:225]
	v_min_f64 v[144:145], v[144:145], v[148:149]
	v_add_f64 v[62:63], v[144:145], v[62:63]
	v_min_f64 v[144:145], v[146:147], v[148:149]
	v_add_f64 v[60:61], v[144:145], v[60:61]
	;; [unrolled: 2-line block ×31, first 2 shown]
	v_min_f64 v[144:145], v[220:221], v[148:149]
	s_add_i32 s18, s18, 8
	v_add_f64 v[66:67], v[222:223], v[66:67]
	v_add_f64 v[0:1], v[144:145], v[0:1]
	s_cmp_eq_u32 s18, 32
	s_cbranch_scc0 .LBB151_49
; %bb.50:                               ;   in Loop: Header=BB151_30 Depth=1
	s_add_i32 s25, s25, 8
	s_add_i32 s26, s26, 8
	s_cmp_ge_i32 s26, s24
	s_waitcnt vmcnt(0)
	ds_write2st64_b64 v160, v[142:143], v[140:141] offset1:4
	ds_write2st64_b64 v161, v[138:139], v[136:137] offset1:4
	s_waitcnt lgkmcnt(0)
	s_barrier
	s_cbranch_scc0 .LBB151_30
.LBB151_51:
	s_mov_b32 s2, 0
.LBB151_52:                             ; =>This Inner Loop Header: Depth=1
	v_add_u32_e32 v148, s2, v158
	v_add_u32_e32 v149, s2, v159
	ds_read2_b64 v[128:131], v148 offset1:16
	ds_read2_b64 v[132:135], v148 offset0:32 offset1:48
	ds_read2_b64 v[136:139], v148 offset0:64 offset1:80
	;; [unrolled: 1-line block ×7, first 2 shown]
	v_add_u32_e32 v148, 0x800, v148
	ds_read2st64_b64 v[168:171], v149 offset1:4
	ds_read2_b64 v[172:175], v148 offset1:16
	ds_read2_b64 v[176:179], v148 offset0:32 offset1:48
	ds_read2_b64 v[180:183], v148 offset0:64 offset1:80
	;; [unrolled: 1-line block ×7, first 2 shown]
	s_waitcnt lgkmcnt(14)
	v_max_f64 v[128:129], v[128:129], v[128:129]
	v_max_f64 v[130:131], v[130:131], v[130:131]
	;; [unrolled: 1-line block ×3, first 2 shown]
	s_waitcnt lgkmcnt(8)
	v_max_f64 v[148:149], v[168:169], v[168:169]
	v_max_f64 v[134:135], v[134:135], v[134:135]
	;; [unrolled: 1-line block ×15, first 2 shown]
	v_min_f64 v[168:169], v[128:129], v[148:149]
	v_min_f64 v[170:171], v[130:131], v[148:149]
	;; [unrolled: 1-line block ×16, first 2 shown]
	s_waitcnt lgkmcnt(7)
	v_max_f64 v[172:173], v[172:173], v[172:173]
	v_max_f64 v[174:175], v[174:175], v[174:175]
	s_waitcnt lgkmcnt(6)
	v_max_f64 v[176:177], v[176:177], v[176:177]
	v_max_f64 v[178:179], v[178:179], v[178:179]
	;; [unrolled: 3-line block ×8, first 2 shown]
	v_min_f64 v[128:129], v[128:129], v[166:167]
	v_min_f64 v[130:131], v[130:131], v[166:167]
	;; [unrolled: 1-line block ×16, first 2 shown]
	s_add_i32 s2, s2, 8
	v_add_f64 v[126:127], v[168:169], v[126:127]
	v_add_f64 v[124:125], v[170:171], v[124:125]
	;; [unrolled: 1-line block ×15, first 2 shown]
	v_min_f64 v[168:169], v[172:173], v[148:149]
	v_min_f64 v[170:171], v[174:175], v[148:149]
	;; [unrolled: 1-line block ×16, first 2 shown]
	v_add_f64 v[62:63], v[128:129], v[62:63]
	v_add_f64 v[60:61], v[130:131], v[60:61]
	;; [unrolled: 1-line block ×16, first 2 shown]
	v_min_f64 v[128:129], v[172:173], v[166:167]
	v_min_f64 v[130:131], v[174:175], v[166:167]
	;; [unrolled: 1-line block ×16, first 2 shown]
	s_cmp_eq_u32 s2, 32
	v_add_f64 v[96:97], v[230:231], v[96:97]
	v_add_f64 v[94:95], v[168:169], v[94:95]
	;; [unrolled: 1-line block ×33, first 2 shown]
	s_cbranch_scc0 .LBB151_52
; %bb.53:
	s_load_dwordx2 s[2:3], s[0:1], 0x78
	s_load_dword s78, s[0:1], 0x58
	s_load_dword s33, s[0:1], 0x70
	v_add_u32_e32 v136, s21, v151
	v_add_u32_e32 v128, s20, v150
	s_waitcnt lgkmcnt(0)
	s_lshl_b64 s[0:1], s[2:3], 3
	s_add_u32 s74, s12, s0
	s_addc_u32 s75, s13, s1
	v_mad_i64_i32 v[130:131], s[0:1], v136, s78, 0
	v_cmp_gt_i32_e64 s[24:25], s73, v136
	v_lshl_add_u64 v[132:133], v[130:131], 3, s[76:77]
	v_mad_i64_i32 v[130:131], s[0:1], v136, s33, 0
	v_cmp_gt_i32_e64 s[2:3], s72, v128
	v_cndmask_b32_e64 v134, 0, 1, s[10:11]
	v_lshl_add_u64 v[130:131], v[130:131], 3, s[74:75]
	s_and_b64 s[6:7], s[24:25], s[2:3]
	v_ashrrev_i32_e32 v129, 31, v128
	v_cmp_ne_u32_e64 s[0:1], 1, v134
	s_and_saveexec_b64 s[4:5], s[6:7]
	s_cbranch_execz .LBB151_58
; %bb.54:
	s_and_b64 vcc, exec, s[0:1]
	s_cbranch_vccnz .LBB151_56
; %bb.55:
	v_lshl_add_u64 v[134:135], v[128:129], 3, v[132:133]
	flat_load_dwordx2 v[134:135], v[134:135]
	s_waitcnt vmcnt(0) lgkmcnt(0)
	v_mul_f64 v[134:135], v[134:135], s[70:71]
	s_branch .LBB151_57
.LBB151_56:
	v_mov_b64_e32 v[134:135], 0
.LBB151_57:
	v_add_f64 v[126:127], v[126:127], v[134:135]
	v_lshl_add_u64 v[134:135], v[128:129], 3, v[130:131]
	global_store_dwordx2 v[134:135], v[126:127], off
.LBB151_58:
	s_or_b64 exec, exec, s[4:5]
	v_add_u32_e32 v126, 4, v128
	v_cmp_gt_i32_e64 s[4:5], s72, v126
	s_and_b64 s[8:9], s[24:25], s[4:5]
	v_ashrrev_i32_e32 v127, 31, v126
	s_and_saveexec_b64 s[6:7], s[8:9]
	s_cbranch_execz .LBB151_63
; %bb.59:
	s_and_b64 vcc, exec, s[0:1]
	s_cbranch_vccnz .LBB151_61
; %bb.60:
	v_lshl_add_u64 v[134:135], v[126:127], 3, v[132:133]
	flat_load_dwordx2 v[134:135], v[134:135]
	s_waitcnt vmcnt(0) lgkmcnt(0)
	v_mul_f64 v[134:135], v[134:135], s[70:71]
	s_branch .LBB151_62
.LBB151_61:
	v_mov_b64_e32 v[134:135], 0
.LBB151_62:
	v_add_f64 v[124:125], v[124:125], v[134:135]
	v_lshl_add_u64 v[134:135], v[126:127], 3, v[130:131]
	global_store_dwordx2 v[134:135], v[124:125], off
.LBB151_63:
	s_or_b64 exec, exec, s[6:7]
	v_add_u32_e32 v124, 8, v128
	v_cmp_gt_i32_e64 s[6:7], s72, v124
	s_and_b64 s[10:11], s[24:25], s[6:7]
	v_ashrrev_i32_e32 v125, 31, v124
	;; [unrolled: 23-line block ×31, first 2 shown]
	s_and_saveexec_b64 s[24:25], s[80:81]
	s_cbranch_execz .LBB151_213
; %bb.209:
	s_and_b64 vcc, exec, s[0:1]
	s_cbranch_vccnz .LBB151_211
; %bb.210:
	v_lshl_add_u64 v[132:133], v[66:67], 3, v[132:133]
	flat_load_dwordx2 v[132:133], v[132:133]
	s_waitcnt vmcnt(0) lgkmcnt(0)
	v_mul_f64 v[132:133], v[132:133], s[70:71]
	s_branch .LBB151_212
.LBB151_211:
	v_mov_b64_e32 v[132:133], 0
.LBB151_212:
	v_add_f64 v[64:65], v[64:65], v[132:133]
	v_lshl_add_u64 v[130:131], v[66:67], 3, v[130:131]
	global_store_dwordx2 v[130:131], v[64:65], off
.LBB151_213:
	s_or_b64 exec, exec, s[24:25]
	v_add_u32_e32 v132, 64, v136
	v_cmp_gt_i32_e64 s[24:25], s73, v132
	v_mad_i64_i32 v[64:65], s[72:73], v132, s78, 0
	v_lshl_add_u64 v[130:131], v[64:65], 3, s[76:77]
	v_mad_i64_i32 v[64:65], s[72:73], v132, s33, 0
	v_lshl_add_u64 v[64:65], v[64:65], 3, s[74:75]
	s_and_b64 s[2:3], s[24:25], s[2:3]
	s_and_saveexec_b64 s[72:73], s[2:3]
	s_xor_b64 s[2:3], exec, s[72:73]
	s_cbranch_execnz .LBB151_246
; %bb.214:
	s_or_b64 exec, exec, s[2:3]
	s_and_b64 s[4:5], s[24:25], s[4:5]
	s_and_saveexec_b64 s[2:3], s[4:5]
	s_cbranch_execnz .LBB151_250
.LBB151_215:
	s_or_b64 exec, exec, s[2:3]
	s_and_b64 s[4:5], s[24:25], s[6:7]
	s_and_saveexec_b64 s[2:3], s[4:5]
	s_cbranch_execnz .LBB151_254
.LBB151_216:
	s_or_b64 exec, exec, s[2:3]
	s_and_b64 s[4:5], s[24:25], s[8:9]
	s_and_saveexec_b64 s[2:3], s[4:5]
	s_cbranch_execnz .LBB151_258
.LBB151_217:
	s_or_b64 exec, exec, s[2:3]
	s_and_b64 s[4:5], s[24:25], s[10:11]
	s_and_saveexec_b64 s[2:3], s[4:5]
	s_cbranch_execnz .LBB151_262
.LBB151_218:
	s_or_b64 exec, exec, s[2:3]
	s_and_b64 s[4:5], s[24:25], s[12:13]
	s_and_saveexec_b64 s[2:3], s[4:5]
	s_cbranch_execnz .LBB151_266
.LBB151_219:
	s_or_b64 exec, exec, s[2:3]
	s_and_b64 s[4:5], s[24:25], s[14:15]
	s_and_saveexec_b64 s[2:3], s[4:5]
	s_cbranch_execnz .LBB151_270
.LBB151_220:
	s_or_b64 exec, exec, s[2:3]
	s_and_b64 s[4:5], s[24:25], s[16:17]
	s_and_saveexec_b64 s[2:3], s[4:5]
	s_cbranch_execnz .LBB151_274
.LBB151_221:
	s_or_b64 exec, exec, s[2:3]
	s_and_b64 s[4:5], s[24:25], s[18:19]
	s_and_saveexec_b64 s[2:3], s[4:5]
	s_cbranch_execnz .LBB151_278
.LBB151_222:
	s_or_b64 exec, exec, s[2:3]
	s_and_b64 s[4:5], s[24:25], s[20:21]
	s_and_saveexec_b64 s[2:3], s[4:5]
	s_cbranch_execnz .LBB151_282
.LBB151_223:
	s_or_b64 exec, exec, s[2:3]
	s_and_b64 s[4:5], s[24:25], s[22:23]
	s_and_saveexec_b64 s[2:3], s[4:5]
	s_cbranch_execnz .LBB151_286
.LBB151_224:
	s_or_b64 exec, exec, s[2:3]
	s_and_b64 s[4:5], s[24:25], s[26:27]
	s_and_saveexec_b64 s[2:3], s[4:5]
	s_cbranch_execnz .LBB151_290
.LBB151_225:
	s_or_b64 exec, exec, s[2:3]
	s_and_b64 s[4:5], s[24:25], s[28:29]
	s_and_saveexec_b64 s[2:3], s[4:5]
	s_cbranch_execnz .LBB151_294
.LBB151_226:
	s_or_b64 exec, exec, s[2:3]
	s_and_b64 s[4:5], s[24:25], s[30:31]
	s_and_saveexec_b64 s[2:3], s[4:5]
	s_cbranch_execnz .LBB151_298
.LBB151_227:
	s_or_b64 exec, exec, s[2:3]
	s_and_b64 s[4:5], s[24:25], s[34:35]
	s_and_saveexec_b64 s[2:3], s[4:5]
	s_cbranch_execnz .LBB151_302
.LBB151_228:
	s_or_b64 exec, exec, s[2:3]
	s_and_b64 s[4:5], s[24:25], s[36:37]
	s_and_saveexec_b64 s[2:3], s[4:5]
	s_cbranch_execnz .LBB151_306
.LBB151_229:
	s_or_b64 exec, exec, s[2:3]
	s_and_b64 s[4:5], s[24:25], s[38:39]
	s_and_saveexec_b64 s[2:3], s[4:5]
	s_cbranch_execnz .LBB151_310
.LBB151_230:
	s_or_b64 exec, exec, s[2:3]
	s_and_b64 s[4:5], s[24:25], s[40:41]
	s_and_saveexec_b64 s[2:3], s[4:5]
	s_cbranch_execnz .LBB151_314
.LBB151_231:
	s_or_b64 exec, exec, s[2:3]
	s_and_b64 s[4:5], s[24:25], s[42:43]
	s_and_saveexec_b64 s[2:3], s[4:5]
	s_cbranch_execnz .LBB151_318
.LBB151_232:
	s_or_b64 exec, exec, s[2:3]
	s_and_b64 s[4:5], s[24:25], s[44:45]
	s_and_saveexec_b64 s[2:3], s[4:5]
	s_cbranch_execnz .LBB151_322
.LBB151_233:
	s_or_b64 exec, exec, s[2:3]
	s_and_b64 s[4:5], s[24:25], s[46:47]
	s_and_saveexec_b64 s[2:3], s[4:5]
	s_cbranch_execnz .LBB151_326
.LBB151_234:
	s_or_b64 exec, exec, s[2:3]
	s_and_b64 s[4:5], s[24:25], s[48:49]
	s_and_saveexec_b64 s[2:3], s[4:5]
	s_cbranch_execnz .LBB151_330
.LBB151_235:
	s_or_b64 exec, exec, s[2:3]
	s_and_b64 s[4:5], s[24:25], s[50:51]
	s_and_saveexec_b64 s[2:3], s[4:5]
	s_cbranch_execnz .LBB151_334
.LBB151_236:
	s_or_b64 exec, exec, s[2:3]
	s_and_b64 s[4:5], s[24:25], s[52:53]
	s_and_saveexec_b64 s[2:3], s[4:5]
	s_cbranch_execnz .LBB151_338
.LBB151_237:
	s_or_b64 exec, exec, s[2:3]
	s_and_b64 s[4:5], s[24:25], s[54:55]
	s_and_saveexec_b64 s[2:3], s[4:5]
	s_cbranch_execnz .LBB151_342
.LBB151_238:
	s_or_b64 exec, exec, s[2:3]
	s_and_b64 s[4:5], s[24:25], s[56:57]
	s_and_saveexec_b64 s[2:3], s[4:5]
	s_cbranch_execnz .LBB151_346
.LBB151_239:
	s_or_b64 exec, exec, s[2:3]
	s_and_b64 s[4:5], s[24:25], s[58:59]
	s_and_saveexec_b64 s[2:3], s[4:5]
	s_cbranch_execnz .LBB151_350
.LBB151_240:
	s_or_b64 exec, exec, s[2:3]
	s_and_b64 s[4:5], s[24:25], s[60:61]
	s_and_saveexec_b64 s[2:3], s[4:5]
	s_cbranch_execnz .LBB151_354
.LBB151_241:
	s_or_b64 exec, exec, s[2:3]
	s_and_b64 s[4:5], s[24:25], s[62:63]
	s_and_saveexec_b64 s[2:3], s[4:5]
	s_cbranch_execnz .LBB151_358
.LBB151_242:
	s_or_b64 exec, exec, s[2:3]
	s_and_b64 s[4:5], s[24:25], s[64:65]
	s_and_saveexec_b64 s[2:3], s[4:5]
	s_cbranch_execnz .LBB151_362
.LBB151_243:
	s_or_b64 exec, exec, s[2:3]
	s_and_b64 s[4:5], s[24:25], s[66:67]
	s_and_saveexec_b64 s[2:3], s[4:5]
	s_cbranch_execnz .LBB151_366
.LBB151_244:
	s_or_b64 exec, exec, s[2:3]
	s_and_b64 s[2:3], s[24:25], s[68:69]
	s_and_saveexec_b64 s[4:5], s[2:3]
	s_cbranch_execnz .LBB151_370
.LBB151_245:
	s_endpgm
.LBB151_246:
	s_and_b64 vcc, exec, s[0:1]
	s_cbranch_vccnz .LBB151_248
; %bb.247:
	v_lshl_add_u64 v[132:133], v[128:129], 3, v[130:131]
	flat_load_dwordx2 v[132:133], v[132:133]
	s_waitcnt vmcnt(0) lgkmcnt(0)
	v_mul_f64 v[132:133], v[132:133], s[70:71]
	s_branch .LBB151_249
.LBB151_248:
	v_mov_b64_e32 v[132:133], 0
.LBB151_249:
	v_add_f64 v[62:63], v[62:63], v[132:133]
	v_lshl_add_u64 v[128:129], v[128:129], 3, v[64:65]
	global_store_dwordx2 v[128:129], v[62:63], off
	s_or_b64 exec, exec, s[2:3]
	s_and_b64 s[4:5], s[24:25], s[4:5]
	s_and_saveexec_b64 s[2:3], s[4:5]
	s_cbranch_execz .LBB151_215
.LBB151_250:
	s_and_b64 vcc, exec, s[0:1]
	s_cbranch_vccnz .LBB151_252
; %bb.251:
	v_lshl_add_u64 v[62:63], v[126:127], 3, v[130:131]
	flat_load_dwordx2 v[62:63], v[62:63]
	s_waitcnt vmcnt(0) lgkmcnt(0)
	v_mul_f64 v[62:63], v[62:63], s[70:71]
	s_branch .LBB151_253
.LBB151_252:
	v_mov_b64_e32 v[62:63], 0
.LBB151_253:
	v_add_f64 v[60:61], v[60:61], v[62:63]
	v_lshl_add_u64 v[62:63], v[126:127], 3, v[64:65]
	global_store_dwordx2 v[62:63], v[60:61], off
	s_or_b64 exec, exec, s[2:3]
	s_and_b64 s[4:5], s[24:25], s[6:7]
	s_and_saveexec_b64 s[2:3], s[4:5]
	s_cbranch_execz .LBB151_216
.LBB151_254:
	s_and_b64 vcc, exec, s[0:1]
	s_cbranch_vccnz .LBB151_256
; %bb.255:
	v_lshl_add_u64 v[60:61], v[124:125], 3, v[130:131]
	flat_load_dwordx2 v[60:61], v[60:61]
	s_waitcnt vmcnt(0) lgkmcnt(0)
	v_mul_f64 v[60:61], v[60:61], s[70:71]
	s_branch .LBB151_257
.LBB151_256:
	v_mov_b64_e32 v[60:61], 0
.LBB151_257:
	v_add_f64 v[58:59], v[58:59], v[60:61]
	v_lshl_add_u64 v[60:61], v[124:125], 3, v[64:65]
	global_store_dwordx2 v[60:61], v[58:59], off
	s_or_b64 exec, exec, s[2:3]
	s_and_b64 s[4:5], s[24:25], s[8:9]
	s_and_saveexec_b64 s[2:3], s[4:5]
	s_cbranch_execz .LBB151_217
.LBB151_258:
	s_and_b64 vcc, exec, s[0:1]
	s_cbranch_vccnz .LBB151_260
; %bb.259:
	v_lshl_add_u64 v[58:59], v[122:123], 3, v[130:131]
	flat_load_dwordx2 v[58:59], v[58:59]
	s_waitcnt vmcnt(0) lgkmcnt(0)
	v_mul_f64 v[58:59], v[58:59], s[70:71]
	s_branch .LBB151_261
.LBB151_260:
	v_mov_b64_e32 v[58:59], 0
.LBB151_261:
	v_add_f64 v[56:57], v[56:57], v[58:59]
	v_lshl_add_u64 v[58:59], v[122:123], 3, v[64:65]
	global_store_dwordx2 v[58:59], v[56:57], off
	s_or_b64 exec, exec, s[2:3]
	s_and_b64 s[4:5], s[24:25], s[10:11]
	s_and_saveexec_b64 s[2:3], s[4:5]
	s_cbranch_execz .LBB151_218
.LBB151_262:
	s_and_b64 vcc, exec, s[0:1]
	s_cbranch_vccnz .LBB151_264
; %bb.263:
	v_lshl_add_u64 v[56:57], v[120:121], 3, v[130:131]
	flat_load_dwordx2 v[56:57], v[56:57]
	s_waitcnt vmcnt(0) lgkmcnt(0)
	v_mul_f64 v[56:57], v[56:57], s[70:71]
	s_branch .LBB151_265
.LBB151_264:
	v_mov_b64_e32 v[56:57], 0
.LBB151_265:
	v_add_f64 v[54:55], v[54:55], v[56:57]
	v_lshl_add_u64 v[56:57], v[120:121], 3, v[64:65]
	global_store_dwordx2 v[56:57], v[54:55], off
	s_or_b64 exec, exec, s[2:3]
	s_and_b64 s[4:5], s[24:25], s[12:13]
	s_and_saveexec_b64 s[2:3], s[4:5]
	s_cbranch_execz .LBB151_219
.LBB151_266:
	s_and_b64 vcc, exec, s[0:1]
	s_cbranch_vccnz .LBB151_268
; %bb.267:
	v_lshl_add_u64 v[54:55], v[118:119], 3, v[130:131]
	flat_load_dwordx2 v[54:55], v[54:55]
	s_waitcnt vmcnt(0) lgkmcnt(0)
	v_mul_f64 v[54:55], v[54:55], s[70:71]
	s_branch .LBB151_269
.LBB151_268:
	v_mov_b64_e32 v[54:55], 0
.LBB151_269:
	v_add_f64 v[52:53], v[52:53], v[54:55]
	v_lshl_add_u64 v[54:55], v[118:119], 3, v[64:65]
	global_store_dwordx2 v[54:55], v[52:53], off
	s_or_b64 exec, exec, s[2:3]
	s_and_b64 s[4:5], s[24:25], s[14:15]
	s_and_saveexec_b64 s[2:3], s[4:5]
	s_cbranch_execz .LBB151_220
.LBB151_270:
	s_and_b64 vcc, exec, s[0:1]
	s_cbranch_vccnz .LBB151_272
; %bb.271:
	v_lshl_add_u64 v[52:53], v[116:117], 3, v[130:131]
	flat_load_dwordx2 v[52:53], v[52:53]
	s_waitcnt vmcnt(0) lgkmcnt(0)
	v_mul_f64 v[52:53], v[52:53], s[70:71]
	s_branch .LBB151_273
.LBB151_272:
	v_mov_b64_e32 v[52:53], 0
.LBB151_273:
	v_add_f64 v[50:51], v[50:51], v[52:53]
	v_lshl_add_u64 v[52:53], v[116:117], 3, v[64:65]
	global_store_dwordx2 v[52:53], v[50:51], off
	s_or_b64 exec, exec, s[2:3]
	s_and_b64 s[4:5], s[24:25], s[16:17]
	s_and_saveexec_b64 s[2:3], s[4:5]
	s_cbranch_execz .LBB151_221
.LBB151_274:
	s_and_b64 vcc, exec, s[0:1]
	s_cbranch_vccnz .LBB151_276
; %bb.275:
	v_lshl_add_u64 v[50:51], v[114:115], 3, v[130:131]
	flat_load_dwordx2 v[50:51], v[50:51]
	s_waitcnt vmcnt(0) lgkmcnt(0)
	v_mul_f64 v[50:51], v[50:51], s[70:71]
	s_branch .LBB151_277
.LBB151_276:
	v_mov_b64_e32 v[50:51], 0
.LBB151_277:
	v_add_f64 v[48:49], v[48:49], v[50:51]
	v_lshl_add_u64 v[50:51], v[114:115], 3, v[64:65]
	global_store_dwordx2 v[50:51], v[48:49], off
	s_or_b64 exec, exec, s[2:3]
	s_and_b64 s[4:5], s[24:25], s[18:19]
	s_and_saveexec_b64 s[2:3], s[4:5]
	s_cbranch_execz .LBB151_222
.LBB151_278:
	s_and_b64 vcc, exec, s[0:1]
	s_cbranch_vccnz .LBB151_280
; %bb.279:
	v_lshl_add_u64 v[48:49], v[112:113], 3, v[130:131]
	flat_load_dwordx2 v[48:49], v[48:49]
	s_waitcnt vmcnt(0) lgkmcnt(0)
	v_mul_f64 v[48:49], v[48:49], s[70:71]
	s_branch .LBB151_281
.LBB151_280:
	v_mov_b64_e32 v[48:49], 0
.LBB151_281:
	v_add_f64 v[46:47], v[46:47], v[48:49]
	v_lshl_add_u64 v[48:49], v[112:113], 3, v[64:65]
	global_store_dwordx2 v[48:49], v[46:47], off
	s_or_b64 exec, exec, s[2:3]
	s_and_b64 s[4:5], s[24:25], s[20:21]
	s_and_saveexec_b64 s[2:3], s[4:5]
	s_cbranch_execz .LBB151_223
.LBB151_282:
	s_and_b64 vcc, exec, s[0:1]
	s_cbranch_vccnz .LBB151_284
; %bb.283:
	v_lshl_add_u64 v[46:47], v[110:111], 3, v[130:131]
	flat_load_dwordx2 v[46:47], v[46:47]
	s_waitcnt vmcnt(0) lgkmcnt(0)
	v_mul_f64 v[46:47], v[46:47], s[70:71]
	s_branch .LBB151_285
.LBB151_284:
	v_mov_b64_e32 v[46:47], 0
.LBB151_285:
	v_add_f64 v[44:45], v[44:45], v[46:47]
	v_lshl_add_u64 v[46:47], v[110:111], 3, v[64:65]
	global_store_dwordx2 v[46:47], v[44:45], off
	s_or_b64 exec, exec, s[2:3]
	s_and_b64 s[4:5], s[24:25], s[22:23]
	s_and_saveexec_b64 s[2:3], s[4:5]
	s_cbranch_execz .LBB151_224
.LBB151_286:
	s_and_b64 vcc, exec, s[0:1]
	s_cbranch_vccnz .LBB151_288
; %bb.287:
	v_lshl_add_u64 v[44:45], v[108:109], 3, v[130:131]
	flat_load_dwordx2 v[44:45], v[44:45]
	s_waitcnt vmcnt(0) lgkmcnt(0)
	v_mul_f64 v[44:45], v[44:45], s[70:71]
	s_branch .LBB151_289
.LBB151_288:
	v_mov_b64_e32 v[44:45], 0
.LBB151_289:
	v_add_f64 v[42:43], v[42:43], v[44:45]
	v_lshl_add_u64 v[44:45], v[108:109], 3, v[64:65]
	global_store_dwordx2 v[44:45], v[42:43], off
	s_or_b64 exec, exec, s[2:3]
	s_and_b64 s[4:5], s[24:25], s[26:27]
	s_and_saveexec_b64 s[2:3], s[4:5]
	s_cbranch_execz .LBB151_225
.LBB151_290:
	s_and_b64 vcc, exec, s[0:1]
	s_cbranch_vccnz .LBB151_292
; %bb.291:
	v_lshl_add_u64 v[42:43], v[106:107], 3, v[130:131]
	flat_load_dwordx2 v[42:43], v[42:43]
	s_waitcnt vmcnt(0) lgkmcnt(0)
	v_mul_f64 v[42:43], v[42:43], s[70:71]
	s_branch .LBB151_293
.LBB151_292:
	v_mov_b64_e32 v[42:43], 0
.LBB151_293:
	v_add_f64 v[40:41], v[40:41], v[42:43]
	v_lshl_add_u64 v[42:43], v[106:107], 3, v[64:65]
	global_store_dwordx2 v[42:43], v[40:41], off
	s_or_b64 exec, exec, s[2:3]
	s_and_b64 s[4:5], s[24:25], s[28:29]
	s_and_saveexec_b64 s[2:3], s[4:5]
	s_cbranch_execz .LBB151_226
.LBB151_294:
	s_and_b64 vcc, exec, s[0:1]
	s_cbranch_vccnz .LBB151_296
; %bb.295:
	v_lshl_add_u64 v[40:41], v[104:105], 3, v[130:131]
	flat_load_dwordx2 v[40:41], v[40:41]
	s_waitcnt vmcnt(0) lgkmcnt(0)
	v_mul_f64 v[40:41], v[40:41], s[70:71]
	s_branch .LBB151_297
.LBB151_296:
	v_mov_b64_e32 v[40:41], 0
.LBB151_297:
	v_add_f64 v[38:39], v[38:39], v[40:41]
	v_lshl_add_u64 v[40:41], v[104:105], 3, v[64:65]
	global_store_dwordx2 v[40:41], v[38:39], off
	s_or_b64 exec, exec, s[2:3]
	s_and_b64 s[4:5], s[24:25], s[30:31]
	s_and_saveexec_b64 s[2:3], s[4:5]
	s_cbranch_execz .LBB151_227
.LBB151_298:
	s_and_b64 vcc, exec, s[0:1]
	s_cbranch_vccnz .LBB151_300
; %bb.299:
	v_lshl_add_u64 v[38:39], v[102:103], 3, v[130:131]
	flat_load_dwordx2 v[38:39], v[38:39]
	s_waitcnt vmcnt(0) lgkmcnt(0)
	v_mul_f64 v[38:39], v[38:39], s[70:71]
	s_branch .LBB151_301
.LBB151_300:
	v_mov_b64_e32 v[38:39], 0
.LBB151_301:
	v_add_f64 v[36:37], v[36:37], v[38:39]
	v_lshl_add_u64 v[38:39], v[102:103], 3, v[64:65]
	global_store_dwordx2 v[38:39], v[36:37], off
	s_or_b64 exec, exec, s[2:3]
	s_and_b64 s[4:5], s[24:25], s[34:35]
	s_and_saveexec_b64 s[2:3], s[4:5]
	s_cbranch_execz .LBB151_228
.LBB151_302:
	s_and_b64 vcc, exec, s[0:1]
	s_cbranch_vccnz .LBB151_304
; %bb.303:
	v_lshl_add_u64 v[36:37], v[100:101], 3, v[130:131]
	flat_load_dwordx2 v[36:37], v[36:37]
	s_waitcnt vmcnt(0) lgkmcnt(0)
	v_mul_f64 v[36:37], v[36:37], s[70:71]
	s_branch .LBB151_305
.LBB151_304:
	v_mov_b64_e32 v[36:37], 0
.LBB151_305:
	v_add_f64 v[34:35], v[34:35], v[36:37]
	v_lshl_add_u64 v[36:37], v[100:101], 3, v[64:65]
	global_store_dwordx2 v[36:37], v[34:35], off
	s_or_b64 exec, exec, s[2:3]
	s_and_b64 s[4:5], s[24:25], s[36:37]
	s_and_saveexec_b64 s[2:3], s[4:5]
	s_cbranch_execz .LBB151_229
.LBB151_306:
	s_and_b64 vcc, exec, s[0:1]
	s_cbranch_vccnz .LBB151_308
; %bb.307:
	v_lshl_add_u64 v[34:35], v[98:99], 3, v[130:131]
	flat_load_dwordx2 v[34:35], v[34:35]
	s_waitcnt vmcnt(0) lgkmcnt(0)
	v_mul_f64 v[34:35], v[34:35], s[70:71]
	s_branch .LBB151_309
.LBB151_308:
	v_mov_b64_e32 v[34:35], 0
.LBB151_309:
	v_add_f64 v[32:33], v[32:33], v[34:35]
	v_lshl_add_u64 v[34:35], v[98:99], 3, v[64:65]
	global_store_dwordx2 v[34:35], v[32:33], off
	s_or_b64 exec, exec, s[2:3]
	s_and_b64 s[4:5], s[24:25], s[38:39]
	s_and_saveexec_b64 s[2:3], s[4:5]
	s_cbranch_execz .LBB151_230
.LBB151_310:
	s_and_b64 vcc, exec, s[0:1]
	s_cbranch_vccnz .LBB151_312
; %bb.311:
	v_lshl_add_u64 v[32:33], v[96:97], 3, v[130:131]
	flat_load_dwordx2 v[32:33], v[32:33]
	s_waitcnt vmcnt(0) lgkmcnt(0)
	v_mul_f64 v[32:33], v[32:33], s[70:71]
	s_branch .LBB151_313
.LBB151_312:
	v_mov_b64_e32 v[32:33], 0
.LBB151_313:
	v_add_f64 v[30:31], v[30:31], v[32:33]
	v_lshl_add_u64 v[32:33], v[96:97], 3, v[64:65]
	global_store_dwordx2 v[32:33], v[30:31], off
	s_or_b64 exec, exec, s[2:3]
	s_and_b64 s[4:5], s[24:25], s[40:41]
	s_and_saveexec_b64 s[2:3], s[4:5]
	s_cbranch_execz .LBB151_231
.LBB151_314:
	s_and_b64 vcc, exec, s[0:1]
	s_cbranch_vccnz .LBB151_316
; %bb.315:
	v_lshl_add_u64 v[30:31], v[94:95], 3, v[130:131]
	flat_load_dwordx2 v[30:31], v[30:31]
	s_waitcnt vmcnt(0) lgkmcnt(0)
	v_mul_f64 v[30:31], v[30:31], s[70:71]
	s_branch .LBB151_317
.LBB151_316:
	v_mov_b64_e32 v[30:31], 0
.LBB151_317:
	v_add_f64 v[28:29], v[28:29], v[30:31]
	v_lshl_add_u64 v[30:31], v[94:95], 3, v[64:65]
	global_store_dwordx2 v[30:31], v[28:29], off
	s_or_b64 exec, exec, s[2:3]
	s_and_b64 s[4:5], s[24:25], s[42:43]
	s_and_saveexec_b64 s[2:3], s[4:5]
	s_cbranch_execz .LBB151_232
.LBB151_318:
	s_and_b64 vcc, exec, s[0:1]
	s_cbranch_vccnz .LBB151_320
; %bb.319:
	v_lshl_add_u64 v[28:29], v[92:93], 3, v[130:131]
	flat_load_dwordx2 v[28:29], v[28:29]
	s_waitcnt vmcnt(0) lgkmcnt(0)
	v_mul_f64 v[28:29], v[28:29], s[70:71]
	s_branch .LBB151_321
.LBB151_320:
	v_mov_b64_e32 v[28:29], 0
.LBB151_321:
	v_add_f64 v[26:27], v[26:27], v[28:29]
	v_lshl_add_u64 v[28:29], v[92:93], 3, v[64:65]
	global_store_dwordx2 v[28:29], v[26:27], off
	s_or_b64 exec, exec, s[2:3]
	s_and_b64 s[4:5], s[24:25], s[44:45]
	s_and_saveexec_b64 s[2:3], s[4:5]
	s_cbranch_execz .LBB151_233
.LBB151_322:
	s_and_b64 vcc, exec, s[0:1]
	s_cbranch_vccnz .LBB151_324
; %bb.323:
	v_lshl_add_u64 v[26:27], v[90:91], 3, v[130:131]
	flat_load_dwordx2 v[26:27], v[26:27]
	s_waitcnt vmcnt(0) lgkmcnt(0)
	v_mul_f64 v[26:27], v[26:27], s[70:71]
	s_branch .LBB151_325
.LBB151_324:
	v_mov_b64_e32 v[26:27], 0
.LBB151_325:
	v_add_f64 v[24:25], v[24:25], v[26:27]
	v_lshl_add_u64 v[26:27], v[90:91], 3, v[64:65]
	global_store_dwordx2 v[26:27], v[24:25], off
	s_or_b64 exec, exec, s[2:3]
	s_and_b64 s[4:5], s[24:25], s[46:47]
	s_and_saveexec_b64 s[2:3], s[4:5]
	s_cbranch_execz .LBB151_234
.LBB151_326:
	s_and_b64 vcc, exec, s[0:1]
	s_cbranch_vccnz .LBB151_328
; %bb.327:
	v_lshl_add_u64 v[24:25], v[88:89], 3, v[130:131]
	flat_load_dwordx2 v[24:25], v[24:25]
	s_waitcnt vmcnt(0) lgkmcnt(0)
	v_mul_f64 v[24:25], v[24:25], s[70:71]
	s_branch .LBB151_329
.LBB151_328:
	v_mov_b64_e32 v[24:25], 0
.LBB151_329:
	v_add_f64 v[22:23], v[22:23], v[24:25]
	v_lshl_add_u64 v[24:25], v[88:89], 3, v[64:65]
	global_store_dwordx2 v[24:25], v[22:23], off
	s_or_b64 exec, exec, s[2:3]
	s_and_b64 s[4:5], s[24:25], s[48:49]
	s_and_saveexec_b64 s[2:3], s[4:5]
	s_cbranch_execz .LBB151_235
.LBB151_330:
	s_and_b64 vcc, exec, s[0:1]
	s_cbranch_vccnz .LBB151_332
; %bb.331:
	v_lshl_add_u64 v[22:23], v[86:87], 3, v[130:131]
	flat_load_dwordx2 v[22:23], v[22:23]
	s_waitcnt vmcnt(0) lgkmcnt(0)
	v_mul_f64 v[22:23], v[22:23], s[70:71]
	s_branch .LBB151_333
.LBB151_332:
	v_mov_b64_e32 v[22:23], 0
.LBB151_333:
	v_add_f64 v[20:21], v[20:21], v[22:23]
	v_lshl_add_u64 v[22:23], v[86:87], 3, v[64:65]
	global_store_dwordx2 v[22:23], v[20:21], off
	s_or_b64 exec, exec, s[2:3]
	s_and_b64 s[4:5], s[24:25], s[50:51]
	s_and_saveexec_b64 s[2:3], s[4:5]
	s_cbranch_execz .LBB151_236
.LBB151_334:
	s_and_b64 vcc, exec, s[0:1]
	s_cbranch_vccnz .LBB151_336
; %bb.335:
	v_lshl_add_u64 v[20:21], v[84:85], 3, v[130:131]
	flat_load_dwordx2 v[20:21], v[20:21]
	s_waitcnt vmcnt(0) lgkmcnt(0)
	v_mul_f64 v[20:21], v[20:21], s[70:71]
	s_branch .LBB151_337
.LBB151_336:
	v_mov_b64_e32 v[20:21], 0
.LBB151_337:
	v_add_f64 v[18:19], v[18:19], v[20:21]
	v_lshl_add_u64 v[20:21], v[84:85], 3, v[64:65]
	global_store_dwordx2 v[20:21], v[18:19], off
	s_or_b64 exec, exec, s[2:3]
	s_and_b64 s[4:5], s[24:25], s[52:53]
	s_and_saveexec_b64 s[2:3], s[4:5]
	s_cbranch_execz .LBB151_237
.LBB151_338:
	s_and_b64 vcc, exec, s[0:1]
	s_cbranch_vccnz .LBB151_340
; %bb.339:
	v_lshl_add_u64 v[18:19], v[82:83], 3, v[130:131]
	flat_load_dwordx2 v[18:19], v[18:19]
	s_waitcnt vmcnt(0) lgkmcnt(0)
	v_mul_f64 v[18:19], v[18:19], s[70:71]
	s_branch .LBB151_341
.LBB151_340:
	v_mov_b64_e32 v[18:19], 0
.LBB151_341:
	v_add_f64 v[16:17], v[16:17], v[18:19]
	v_lshl_add_u64 v[18:19], v[82:83], 3, v[64:65]
	global_store_dwordx2 v[18:19], v[16:17], off
	s_or_b64 exec, exec, s[2:3]
	s_and_b64 s[4:5], s[24:25], s[54:55]
	s_and_saveexec_b64 s[2:3], s[4:5]
	s_cbranch_execz .LBB151_238
.LBB151_342:
	s_and_b64 vcc, exec, s[0:1]
	s_cbranch_vccnz .LBB151_344
; %bb.343:
	v_lshl_add_u64 v[16:17], v[80:81], 3, v[130:131]
	flat_load_dwordx2 v[16:17], v[16:17]
	s_waitcnt vmcnt(0) lgkmcnt(0)
	v_mul_f64 v[16:17], v[16:17], s[70:71]
	s_branch .LBB151_345
.LBB151_344:
	v_mov_b64_e32 v[16:17], 0
.LBB151_345:
	v_add_f64 v[14:15], v[14:15], v[16:17]
	v_lshl_add_u64 v[16:17], v[80:81], 3, v[64:65]
	global_store_dwordx2 v[16:17], v[14:15], off
	s_or_b64 exec, exec, s[2:3]
	s_and_b64 s[4:5], s[24:25], s[56:57]
	s_and_saveexec_b64 s[2:3], s[4:5]
	s_cbranch_execz .LBB151_239
.LBB151_346:
	s_and_b64 vcc, exec, s[0:1]
	s_cbranch_vccnz .LBB151_348
; %bb.347:
	v_lshl_add_u64 v[14:15], v[78:79], 3, v[130:131]
	flat_load_dwordx2 v[14:15], v[14:15]
	s_waitcnt vmcnt(0) lgkmcnt(0)
	v_mul_f64 v[14:15], v[14:15], s[70:71]
	s_branch .LBB151_349
.LBB151_348:
	v_mov_b64_e32 v[14:15], 0
.LBB151_349:
	v_add_f64 v[12:13], v[12:13], v[14:15]
	v_lshl_add_u64 v[14:15], v[78:79], 3, v[64:65]
	global_store_dwordx2 v[14:15], v[12:13], off
	s_or_b64 exec, exec, s[2:3]
	s_and_b64 s[4:5], s[24:25], s[58:59]
	s_and_saveexec_b64 s[2:3], s[4:5]
	s_cbranch_execz .LBB151_240
.LBB151_350:
	s_and_b64 vcc, exec, s[0:1]
	s_cbranch_vccnz .LBB151_352
; %bb.351:
	v_lshl_add_u64 v[12:13], v[76:77], 3, v[130:131]
	flat_load_dwordx2 v[12:13], v[12:13]
	s_waitcnt vmcnt(0) lgkmcnt(0)
	v_mul_f64 v[12:13], v[12:13], s[70:71]
	s_branch .LBB151_353
.LBB151_352:
	v_mov_b64_e32 v[12:13], 0
.LBB151_353:
	v_add_f64 v[10:11], v[10:11], v[12:13]
	v_lshl_add_u64 v[12:13], v[76:77], 3, v[64:65]
	global_store_dwordx2 v[12:13], v[10:11], off
	s_or_b64 exec, exec, s[2:3]
	s_and_b64 s[4:5], s[24:25], s[60:61]
	s_and_saveexec_b64 s[2:3], s[4:5]
	s_cbranch_execz .LBB151_241
.LBB151_354:
	s_and_b64 vcc, exec, s[0:1]
	s_cbranch_vccnz .LBB151_356
; %bb.355:
	v_lshl_add_u64 v[10:11], v[74:75], 3, v[130:131]
	flat_load_dwordx2 v[10:11], v[10:11]
	s_waitcnt vmcnt(0) lgkmcnt(0)
	v_mul_f64 v[10:11], v[10:11], s[70:71]
	s_branch .LBB151_357
.LBB151_356:
	v_mov_b64_e32 v[10:11], 0
.LBB151_357:
	v_add_f64 v[8:9], v[8:9], v[10:11]
	v_lshl_add_u64 v[10:11], v[74:75], 3, v[64:65]
	global_store_dwordx2 v[10:11], v[8:9], off
	s_or_b64 exec, exec, s[2:3]
	s_and_b64 s[4:5], s[24:25], s[62:63]
	s_and_saveexec_b64 s[2:3], s[4:5]
	s_cbranch_execz .LBB151_242
.LBB151_358:
	s_and_b64 vcc, exec, s[0:1]
	s_cbranch_vccnz .LBB151_360
; %bb.359:
	v_lshl_add_u64 v[8:9], v[72:73], 3, v[130:131]
	flat_load_dwordx2 v[8:9], v[8:9]
	s_waitcnt vmcnt(0) lgkmcnt(0)
	v_mul_f64 v[8:9], v[8:9], s[70:71]
	s_branch .LBB151_361
.LBB151_360:
	v_mov_b64_e32 v[8:9], 0
.LBB151_361:
	v_add_f64 v[6:7], v[6:7], v[8:9]
	v_lshl_add_u64 v[8:9], v[72:73], 3, v[64:65]
	global_store_dwordx2 v[8:9], v[6:7], off
	s_or_b64 exec, exec, s[2:3]
	s_and_b64 s[4:5], s[24:25], s[64:65]
	s_and_saveexec_b64 s[2:3], s[4:5]
	s_cbranch_execz .LBB151_243
.LBB151_362:
	s_and_b64 vcc, exec, s[0:1]
	s_cbranch_vccnz .LBB151_364
; %bb.363:
	v_lshl_add_u64 v[6:7], v[70:71], 3, v[130:131]
	flat_load_dwordx2 v[6:7], v[6:7]
	s_waitcnt vmcnt(0) lgkmcnt(0)
	v_mul_f64 v[6:7], v[6:7], s[70:71]
	s_branch .LBB151_365
.LBB151_364:
	v_mov_b64_e32 v[6:7], 0
.LBB151_365:
	v_add_f64 v[4:5], v[4:5], v[6:7]
	v_lshl_add_u64 v[6:7], v[70:71], 3, v[64:65]
	global_store_dwordx2 v[6:7], v[4:5], off
	s_or_b64 exec, exec, s[2:3]
	s_and_b64 s[4:5], s[24:25], s[66:67]
	s_and_saveexec_b64 s[2:3], s[4:5]
	s_cbranch_execz .LBB151_244
.LBB151_366:
	s_and_b64 vcc, exec, s[0:1]
	s_cbranch_vccnz .LBB151_368
; %bb.367:
	v_lshl_add_u64 v[4:5], v[68:69], 3, v[130:131]
	flat_load_dwordx2 v[4:5], v[4:5]
	s_waitcnt vmcnt(0) lgkmcnt(0)
	v_mul_f64 v[4:5], v[4:5], s[70:71]
	s_branch .LBB151_369
.LBB151_368:
	v_mov_b64_e32 v[4:5], 0
.LBB151_369:
	v_add_f64 v[2:3], v[2:3], v[4:5]
	v_lshl_add_u64 v[4:5], v[68:69], 3, v[64:65]
	global_store_dwordx2 v[4:5], v[2:3], off
	s_or_b64 exec, exec, s[2:3]
	s_and_b64 s[2:3], s[24:25], s[68:69]
	s_and_saveexec_b64 s[4:5], s[2:3]
	s_cbranch_execz .LBB151_245
.LBB151_370:
	s_and_b64 vcc, exec, s[0:1]
	s_cbranch_vccnz .LBB151_372
; %bb.371:
	v_lshl_add_u64 v[2:3], v[66:67], 3, v[130:131]
	flat_load_dwordx2 v[2:3], v[2:3]
	s_waitcnt vmcnt(0) lgkmcnt(0)
	v_mul_f64 v[2:3], v[2:3], s[70:71]
	v_add_f64 v[0:1], v[0:1], v[2:3]
	v_lshl_add_u64 v[2:3], v[66:67], 3, v[64:65]
	global_store_dwordx2 v[2:3], v[0:1], off
	s_endpgm
.LBB151_372:
	v_mov_b64_e32 v[2:3], 0
	v_add_f64 v[0:1], v[0:1], v[2:3]
	v_lshl_add_u64 v[2:3], v[66:67], 3, v[64:65]
	global_store_dwordx2 v[2:3], v[0:1], off
	s_endpgm
	.section	.rodata,"a",@progbits
	.p2align	6, 0x0
	.amdhsa_kernel _ZN12_GLOBAL__N_120geam_min_plus_kernelIdddLi4ELi64ELi128ELi128ELi4ELi4ELi64ELi64ELi4ELc84ELc84ELb1ELb1ELb0EdKPKdKPdEEviiiT16_PT17_ilS8_ilS6_S8_ilPT18_ili26rocblas_geam_ex_operation_
		.amdhsa_group_segment_fixed_size 16384
		.amdhsa_private_segment_fixed_size 0
		.amdhsa_kernarg_size 136
		.amdhsa_user_sgpr_count 2
		.amdhsa_user_sgpr_dispatch_ptr 0
		.amdhsa_user_sgpr_queue_ptr 0
		.amdhsa_user_sgpr_kernarg_segment_ptr 1
		.amdhsa_user_sgpr_dispatch_id 0
		.amdhsa_user_sgpr_kernarg_preload_length 0
		.amdhsa_user_sgpr_kernarg_preload_offset 0
		.amdhsa_user_sgpr_private_segment_size 0
		.amdhsa_uses_dynamic_stack 0
		.amdhsa_enable_private_segment 0
		.amdhsa_system_sgpr_workgroup_id_x 1
		.amdhsa_system_sgpr_workgroup_id_y 0
		.amdhsa_system_sgpr_workgroup_id_z 1
		.amdhsa_system_sgpr_workgroup_info 0
		.amdhsa_system_vgpr_workitem_id 1
		.amdhsa_next_free_vgpr 250
		.amdhsa_next_free_sgpr 82
		.amdhsa_accum_offset 252
		.amdhsa_reserve_vcc 1
		.amdhsa_float_round_mode_32 0
		.amdhsa_float_round_mode_16_64 0
		.amdhsa_float_denorm_mode_32 3
		.amdhsa_float_denorm_mode_16_64 3
		.amdhsa_dx10_clamp 1
		.amdhsa_ieee_mode 1
		.amdhsa_fp16_overflow 0
		.amdhsa_tg_split 0
		.amdhsa_exception_fp_ieee_invalid_op 0
		.amdhsa_exception_fp_denorm_src 0
		.amdhsa_exception_fp_ieee_div_zero 0
		.amdhsa_exception_fp_ieee_overflow 0
		.amdhsa_exception_fp_ieee_underflow 0
		.amdhsa_exception_fp_ieee_inexact 0
		.amdhsa_exception_int_div_zero 0
	.end_amdhsa_kernel
	.section	.text._ZN12_GLOBAL__N_120geam_min_plus_kernelIdddLi4ELi64ELi128ELi128ELi4ELi4ELi64ELi64ELi4ELc84ELc84ELb1ELb1ELb0EdKPKdKPdEEviiiT16_PT17_ilS8_ilS6_S8_ilPT18_ili26rocblas_geam_ex_operation_,"axG",@progbits,_ZN12_GLOBAL__N_120geam_min_plus_kernelIdddLi4ELi64ELi128ELi128ELi4ELi4ELi64ELi64ELi4ELc84ELc84ELb1ELb1ELb0EdKPKdKPdEEviiiT16_PT17_ilS8_ilS6_S8_ilPT18_ili26rocblas_geam_ex_operation_,comdat
.Lfunc_end151:
	.size	_ZN12_GLOBAL__N_120geam_min_plus_kernelIdddLi4ELi64ELi128ELi128ELi4ELi4ELi64ELi64ELi4ELc84ELc84ELb1ELb1ELb0EdKPKdKPdEEviiiT16_PT17_ilS8_ilS6_S8_ilPT18_ili26rocblas_geam_ex_operation_, .Lfunc_end151-_ZN12_GLOBAL__N_120geam_min_plus_kernelIdddLi4ELi64ELi128ELi128ELi4ELi4ELi64ELi64ELi4ELc84ELc84ELb1ELb1ELb0EdKPKdKPdEEviiiT16_PT17_ilS8_ilS6_S8_ilPT18_ili26rocblas_geam_ex_operation_
                                        ; -- End function
	.section	.AMDGPU.csdata,"",@progbits
; Kernel info:
; codeLenInByte = 14440
; NumSgprs: 88
; NumVgprs: 250
; NumAgprs: 0
; TotalNumVgprs: 250
; ScratchSize: 0
; MemoryBound: 0
; FloatMode: 240
; IeeeMode: 1
; LDSByteSize: 16384 bytes/workgroup (compile time only)
; SGPRBlocks: 10
; VGPRBlocks: 31
; NumSGPRsForWavesPerEU: 88
; NumVGPRsForWavesPerEU: 250
; AccumOffset: 252
; Occupancy: 2
; WaveLimiterHint : 1
; COMPUTE_PGM_RSRC2:SCRATCH_EN: 0
; COMPUTE_PGM_RSRC2:USER_SGPR: 2
; COMPUTE_PGM_RSRC2:TRAP_HANDLER: 0
; COMPUTE_PGM_RSRC2:TGID_X_EN: 1
; COMPUTE_PGM_RSRC2:TGID_Y_EN: 0
; COMPUTE_PGM_RSRC2:TGID_Z_EN: 1
; COMPUTE_PGM_RSRC2:TIDIG_COMP_CNT: 1
; COMPUTE_PGM_RSRC3_GFX90A:ACCUM_OFFSET: 62
; COMPUTE_PGM_RSRC3_GFX90A:TG_SPLIT: 0
	.section	.text._ZN12_GLOBAL__N_120geam_min_plus_kernelIdddLi4ELi64ELi128ELi128ELi4ELi4ELi64ELi64ELi4ELc84ELc84ELb0ELb1ELb0EdKPKdKPdEEviiiT16_PT17_ilS8_ilS6_S8_ilPT18_ili26rocblas_geam_ex_operation_,"axG",@progbits,_ZN12_GLOBAL__N_120geam_min_plus_kernelIdddLi4ELi64ELi128ELi128ELi4ELi4ELi64ELi64ELi4ELc84ELc84ELb0ELb1ELb0EdKPKdKPdEEviiiT16_PT17_ilS8_ilS6_S8_ilPT18_ili26rocblas_geam_ex_operation_,comdat
	.globl	_ZN12_GLOBAL__N_120geam_min_plus_kernelIdddLi4ELi64ELi128ELi128ELi4ELi4ELi64ELi64ELi4ELc84ELc84ELb0ELb1ELb0EdKPKdKPdEEviiiT16_PT17_ilS8_ilS6_S8_ilPT18_ili26rocblas_geam_ex_operation_ ; -- Begin function _ZN12_GLOBAL__N_120geam_min_plus_kernelIdddLi4ELi64ELi128ELi128ELi4ELi4ELi64ELi64ELi4ELc84ELc84ELb0ELb1ELb0EdKPKdKPdEEviiiT16_PT17_ilS8_ilS6_S8_ilPT18_ili26rocblas_geam_ex_operation_
	.p2align	8
	.type	_ZN12_GLOBAL__N_120geam_min_plus_kernelIdddLi4ELi64ELi128ELi128ELi4ELi4ELi64ELi64ELi4ELc84ELc84ELb0ELb1ELb0EdKPKdKPdEEviiiT16_PT17_ilS8_ilS6_S8_ilPT18_ili26rocblas_geam_ex_operation_,@function
_ZN12_GLOBAL__N_120geam_min_plus_kernelIdddLi4ELi64ELi128ELi128ELi4ELi4ELi64ELi64ELi4ELc84ELc84ELb0ELb1ELb0EdKPKdKPdEEviiiT16_PT17_ilS8_ilS6_S8_ilPT18_ili26rocblas_geam_ex_operation_: ; @_ZN12_GLOBAL__N_120geam_min_plus_kernelIdddLi4ELi64ELi128ELi128ELi4ELi4ELi64ELi64ELi4ELc84ELc84ELb0ELb1ELb0EdKPKdKPdEEviiiT16_PT17_ilS8_ilS6_S8_ilPT18_ili26rocblas_geam_ex_operation_
; %bb.0:
	s_load_dwordx4 s[12:15], s[0:1], 0x10
	s_load_dwordx4 s[4:7], s[0:1], 0x28
	s_mov_b32 s8, s3
	s_mov_b64 s[16:17], 0
	s_waitcnt lgkmcnt(0)
	v_cmp_eq_f64_e64 s[10:11], s[12:13], 0
	s_and_b64 vcc, exec, s[10:11]
	s_cbranch_vccnz .LBB152_2
; %bb.1:
	s_mov_b32 s9, 0
	s_lshl_b64 s[16:17], s[8:9], 3
	s_add_u32 s14, s14, s16
	s_addc_u32 s15, s15, s17
	s_load_dwordx2 s[14:15], s[14:15], 0x0
	s_lshl_b64 s[4:5], s[4:5], 3
	s_waitcnt lgkmcnt(0)
	s_add_u32 s16, s14, s4
	s_addc_u32 s17, s15, s5
.LBB152_2:
	s_load_dwordx4 s[68:71], s[0:1], 0x40
	s_load_dwordx2 s[14:15], s[0:1], 0x50
	s_andn2_b64 vcc, exec, s[10:11]
	s_cbranch_vccnz .LBB152_4
; %bb.3:
	s_mov_b32 s9, 0
	s_mov_b64 s[18:19], 0
	s_cbranch_execz .LBB152_5
	s_branch .LBB152_6
.LBB152_4:
                                        ; implicit-def: $sgpr18_sgpr19
.LBB152_5:
	s_mov_b32 s9, 0
	s_lshl_b64 s[4:5], s[8:9], 3
	s_add_u32 s4, s6, s4
	s_addc_u32 s5, s7, s5
	s_load_dwordx2 s[4:5], s[4:5], 0x0
	s_waitcnt lgkmcnt(0)
	s_lshl_b64 s[6:7], s[68:69], 3
	s_add_u32 s18, s4, s6
	s_addc_u32 s19, s5, s7
.LBB152_6:
	s_load_dwordx4 s[4:7], s[0:1], 0x60
	s_waitcnt lgkmcnt(0)
	v_cmp_eq_f64_e64 s[20:21], s[70:71], 0
	s_mov_b64 s[76:77], 0
	v_cmp_neq_f64_e64 s[10:11], s[70:71], 0
	s_and_b64 vcc, exec, s[20:21]
	s_cbranch_vccnz .LBB152_8
; %bb.7:
	s_lshl_b64 s[20:21], s[8:9], 3
	s_add_u32 s14, s14, s20
	s_addc_u32 s15, s15, s21
	s_load_dwordx2 s[14:15], s[14:15], 0x0
	s_lshl_b64 s[4:5], s[4:5], 3
	s_waitcnt lgkmcnt(0)
	s_add_u32 s76, s14, s4
	s_addc_u32 s77, s15, s5
.LBB152_8:
	s_load_dwordx4 s[72:75], s[0:1], 0x0
	s_load_dword s29, s[0:1], 0x20
	s_lshl_b64 s[4:5], s[8:9], 3
	s_add_u32 s4, s6, s4
	s_addc_u32 s5, s7, s5
	s_waitcnt lgkmcnt(0)
	s_add_i32 s3, s72, -1
	s_ashr_i32 s6, s3, 31
	s_lshr_b32 s6, s6, 25
	s_add_i32 s3, s3, s6
	s_ashr_i32 s3, s3, 7
	s_add_i32 s6, s3, 1
	v_cvt_f32_u32_e32 v1, s6
	v_and_b32_e32 v144, 0x3ff, v0
	v_bfe_u32 v145, v0, 10, 10
	s_load_dwordx2 s[14:15], s[4:5], 0x0
	v_rcp_iflag_f32_e32 v1, v1
	s_not_b32 s3, s3
	v_lshl_add_u32 v8, v145, 2, v144
	v_lshrrev_b32_e32 v10, 2, v8
	v_mul_f32_e32 v0, 0x4f7ffffe, v1
	v_cvt_u32_f32_e32 v0, v0
	v_and_b32_e32 v146, 3, v144
	v_cmp_le_i32_e32 vcc, s74, v146
	v_cmp_eq_f64_e64 s[20:21], s[12:13], 0
	v_readfirstlane_b32 s4, v0
	s_mul_i32 s3, s3, s4
	s_mul_hi_u32 s3, s4, s3
	s_add_i32 s4, s4, s3
	s_mul_hi_u32 s3, s2, s4
	s_mul_i32 s4, s3, s6
	s_sub_i32 s4, s2, s4
	s_add_i32 s5, s3, 1
	s_sub_i32 s7, s4, s6
	s_cmp_ge_u32 s4, s6
	s_cselect_b32 s3, s5, s3
	s_cselect_b32 s4, s7, s4
	s_add_i32 s5, s3, 1
	s_cmp_ge_u32 s4, s6
	s_cselect_b32 s8, s5, s3
	s_mul_i32 s3, s8, s6
	s_sub_i32 s2, s2, s3
	s_lshl_b32 s24, s2, 7
	v_add_u32_e32 v138, s24, v10
	s_add_i32 s26, s74, -1
	v_cmp_le_i32_e64 s[2:3], s72, v138
	v_min_i32_e32 v2, s26, v146
	s_or_b64 s[4:5], vcc, s[2:3]
	v_mov_b64_e32 v[0:1], 0
	v_ashrrev_i32_e32 v3, 31, v2
	s_or_b64 s[4:5], s[20:21], s[4:5]
	v_lshl_add_u64 v[6:7], v[2:3], 3, s[16:17]
	s_xor_b64 s[6:7], s[4:5], -1
	v_mov_b64_e32 v[2:3], v[0:1]
	s_and_saveexec_b64 s[4:5], s[6:7]
	s_cbranch_execz .LBB152_10
; %bb.9:
	v_mad_i64_i32 v[2:3], s[6:7], v138, s29, 0
	v_lshl_add_u64 v[2:3], v[2:3], 3, v[6:7]
	flat_load_dwordx2 v[2:3], v[2:3]
	s_waitcnt vmcnt(0) lgkmcnt(0)
	v_mul_f64 v[2:3], v[2:3], s[12:13]
.LBB152_10:
	s_or_b64 exec, exec, s[4:5]
	v_add_u32_e32 v139, 64, v138
	v_cmp_le_i32_e64 s[4:5], s72, v139
	s_or_b64 s[6:7], vcc, s[4:5]
	s_or_b64 s[6:7], s[20:21], s[6:7]
	s_xor_b64 s[22:23], s[6:7], -1
	v_mov_b64_e32 v[4:5], v[0:1]
	s_and_saveexec_b64 s[6:7], s[22:23]
	s_cbranch_execz .LBB152_12
; %bb.11:
	v_mad_i64_i32 v[4:5], s[22:23], v139, s29, 0
	v_lshl_add_u64 v[4:5], v[4:5], 3, v[6:7]
	flat_load_dwordx2 v[4:5], v[4:5]
	s_waitcnt vmcnt(0) lgkmcnt(0)
	v_mul_f64 v[4:5], v[4:5], s[12:13]
.LBB152_12:
	s_or_b64 exec, exec, s[6:7]
	s_load_dword s27, s[0:1], 0x38
	v_lshrrev_b32_e32 v147, 6, v8
	v_and_b32_e32 v11, 63, v8
	s_lshl_b32 s25, s8, 7
	v_min_i32_e32 v6, s26, v147
	v_or_b32_e32 v128, s25, v11
	s_waitcnt lgkmcnt(0)
	v_mad_i64_i32 v[6:7], s[6:7], s27, v6, 0
	v_cmp_le_i32_e32 vcc, s74, v147
	v_cmp_le_i32_e64 s[6:7], s73, v128
	s_or_b64 s[8:9], s[6:7], vcc
	s_or_b64 s[8:9], s[20:21], s[8:9]
	v_lshl_add_u64 v[8:9], v[6:7], 3, s[18:19]
	s_xor_b64 s[22:23], s[8:9], -1
	v_ashrrev_i32_e32 v129, 31, v128
	s_and_saveexec_b64 s[8:9], s[22:23]
	s_cbranch_execz .LBB152_14
; %bb.13:
	v_lshl_add_u64 v[0:1], v[128:129], 3, v[8:9]
	flat_load_dwordx2 v[0:1], v[0:1]
	s_waitcnt vmcnt(0) lgkmcnt(0)
	v_mul_f64 v[0:1], v[0:1], s[12:13]
.LBB152_14:
	s_or_b64 exec, exec, s[8:9]
	v_or_b32_e32 v6, 64, v128
	v_cmp_le_i32_e64 s[8:9], s73, v6
	s_or_b64 s[22:23], s[8:9], vcc
	s_or_b64 s[22:23], s[20:21], s[22:23]
	v_mov_b64_e32 v[130:131], 0
	s_xor_b64 s[30:31], s[22:23], -1
	v_mov_b64_e32 v[6:7], v[130:131]
	s_and_saveexec_b64 s[22:23], s[30:31]
	s_cbranch_execz .LBB152_16
; %bb.15:
	v_lshl_add_u64 v[6:7], v[128:129], 3, v[8:9]
	flat_load_dwordx2 v[6:7], v[6:7] offset:512
	s_waitcnt vmcnt(0) lgkmcnt(0)
	v_mul_f64 v[6:7], v[6:7], s[12:13]
.LBB152_16:
	s_or_b64 exec, exec, s[22:23]
	v_or_b32_e32 v8, 4, v146
	v_cmp_le_i32_e32 vcc, s74, v8
	v_min_i32_e32 v8, s26, v8
	s_or_b64 s[22:23], vcc, s[2:3]
	v_ashrrev_i32_e32 v9, 31, v8
	s_or_b64 s[22:23], s[20:21], s[22:23]
	v_lshl_add_u64 v[8:9], v[8:9], 3, s[16:17]
	s_xor_b64 s[30:31], s[22:23], -1
	s_and_saveexec_b64 s[22:23], s[30:31]
	s_cbranch_execz .LBB152_18
; %bb.17:
	v_mad_i64_i32 v[12:13], s[30:31], v138, s29, 0
	v_lshl_add_u64 v[12:13], v[12:13], 3, v[8:9]
	flat_load_dwordx2 v[12:13], v[12:13]
	s_waitcnt vmcnt(0) lgkmcnt(0)
	v_mul_f64 v[130:131], v[12:13], s[12:13]
.LBB152_18:
	s_or_b64 exec, exec, s[22:23]
	s_or_b64 s[22:23], vcc, s[4:5]
	s_or_b64 s[22:23], s[20:21], s[22:23]
	v_mov_b64_e32 v[132:133], 0
	s_xor_b64 s[30:31], s[22:23], -1
	v_mov_b64_e32 v[134:135], v[132:133]
	s_and_saveexec_b64 s[22:23], s[30:31]
	s_cbranch_execz .LBB152_20
; %bb.19:
	v_mad_i64_i32 v[12:13], s[30:31], v139, s29, 0
	v_lshl_add_u64 v[8:9], v[12:13], 3, v[8:9]
	flat_load_dwordx2 v[8:9], v[8:9]
	s_waitcnt vmcnt(0) lgkmcnt(0)
	v_mul_f64 v[134:135], v[8:9], s[12:13]
.LBB152_20:
	s_or_b64 exec, exec, s[22:23]
	v_add_u32_e32 v8, 4, v147
	v_cmp_le_i32_e32 vcc, s74, v8
	v_min_i32_e32 v8, s26, v8
	v_mad_i64_i32 v[8:9], s[22:23], s27, v8, 0
	s_or_b64 s[22:23], s[6:7], vcc
	s_or_b64 s[22:23], s[20:21], s[22:23]
	v_lshl_add_u64 v[8:9], v[8:9], 3, s[18:19]
	s_xor_b64 s[30:31], s[22:23], -1
	s_and_saveexec_b64 s[22:23], s[30:31]
	s_cbranch_execz .LBB152_22
; %bb.21:
	v_lshl_add_u64 v[12:13], v[128:129], 3, v[8:9]
	flat_load_dwordx2 v[12:13], v[12:13]
	s_waitcnt vmcnt(0) lgkmcnt(0)
	v_mul_f64 v[132:133], v[12:13], s[12:13]
.LBB152_22:
	s_or_b64 exec, exec, s[22:23]
	s_or_b64 s[22:23], s[8:9], vcc
	s_or_b64 s[22:23], s[20:21], s[22:23]
	v_mov_b64_e32 v[126:127], 0
	s_xor_b64 s[30:31], s[22:23], -1
	v_mov_b64_e32 v[136:137], v[126:127]
	s_and_saveexec_b64 s[22:23], s[30:31]
	s_cbranch_execz .LBB152_24
; %bb.23:
	v_lshl_add_u64 v[8:9], v[128:129], 3, v[8:9]
	flat_load_dwordx2 v[8:9], v[8:9] offset:512
	s_waitcnt vmcnt(0) lgkmcnt(0)
	v_mul_f64 v[136:137], v[8:9], s[12:13]
.LBB152_24:
	s_or_b64 exec, exec, s[22:23]
	v_lshlrev_b32_e32 v8, 3, v146
	v_lshl_or_b32 v148, v10, 5, v8
	ds_write2st64_b64 v148, v[2:3], v[4:5] offset1:4
	v_lshlrev_b32_e32 v2, 5, v11
	v_lshl_add_u32 v141, v147, 3, v2
	v_lshlrev_b32_e32 v140, 5, v145
	v_or_b32_e32 v149, 0x2000, v141
	ds_write2st64_b64 v141, v[0:1], v[6:7] offset0:16 offset1:20
	v_lshlrev_b32_e32 v150, 5, v144
	v_add_u32_e32 v151, 0x2000, v140
	s_mov_b32 s22, 0
	v_mov_b64_e32 v[124:125], v[126:127]
	v_mov_b64_e32 v[122:123], v[126:127]
	;; [unrolled: 1-line block ×63, first 2 shown]
	s_waitcnt lgkmcnt(0)
	s_barrier
.LBB152_25:                             ; =>This Inner Loop Header: Depth=1
	v_add_u32_e32 v142, s22, v150
	v_add_u32_e32 v143, s22, v151
	ds_read2_b64 v[152:155], v142 offset1:16
	ds_read2_b64 v[156:159], v142 offset0:32 offset1:48
	ds_read2_b64 v[160:163], v142 offset0:64 offset1:80
	;; [unrolled: 1-line block ×7, first 2 shown]
	ds_read2st64_b64 v[184:187], v143 offset1:4
	v_add_u32_e32 v142, 0x800, v142
	ds_read2_b64 v[188:191], v142 offset1:16
	ds_read2_b64 v[192:195], v142 offset0:32 offset1:48
	ds_read2_b64 v[196:199], v142 offset0:64 offset1:80
	;; [unrolled: 1-line block ×7, first 2 shown]
	s_waitcnt lgkmcnt(14)
	v_max_f64 v[142:143], v[152:153], v[152:153]
	v_max_f64 v[152:153], v[154:155], v[154:155]
	;; [unrolled: 1-line block ×6, first 2 shown]
	s_waitcnt lgkmcnt(13)
	v_max_f64 v[162:163], v[164:165], v[164:165]
	v_max_f64 v[164:165], v[166:167], v[166:167]
	s_waitcnt lgkmcnt(12)
	v_max_f64 v[166:167], v[168:169], v[168:169]
	v_max_f64 v[168:169], v[170:171], v[170:171]
	;; [unrolled: 3-line block ×14, first 2 shown]
	v_min_f64 v[218:219], v[142:143], v[182:183]
	v_min_f64 v[220:221], v[152:153], v[182:183]
	;; [unrolled: 1-line block ×32, first 2 shown]
	s_add_i32 s22, s22, 8
	v_add_f64 v[62:63], v[142:143], v[62:63]
	v_add_f64 v[60:61], v[152:153], v[60:61]
	;; [unrolled: 1-line block ×16, first 2 shown]
	v_min_f64 v[142:143], v[186:187], v[182:183]
	v_min_f64 v[152:153], v[188:189], v[182:183]
	v_min_f64 v[154:155], v[190:191], v[182:183]
	v_min_f64 v[156:157], v[192:193], v[182:183]
	v_min_f64 v[158:159], v[194:195], v[182:183]
	v_min_f64 v[160:161], v[196:197], v[182:183]
	v_min_f64 v[162:163], v[198:199], v[182:183]
	v_min_f64 v[164:165], v[200:201], v[182:183]
	v_min_f64 v[166:167], v[202:203], v[182:183]
	v_min_f64 v[168:169], v[204:205], v[182:183]
	v_min_f64 v[170:171], v[206:207], v[182:183]
	v_min_f64 v[172:173], v[208:209], v[182:183]
	v_min_f64 v[174:175], v[210:211], v[182:183]
	v_min_f64 v[176:177], v[212:213], v[182:183]
	v_min_f64 v[178:179], v[214:215], v[182:183]
	v_min_f64 v[180:181], v[216:217], v[182:183]
	v_min_f64 v[182:183], v[186:187], v[184:185]
	v_min_f64 v[186:187], v[188:189], v[184:185]
	v_min_f64 v[188:189], v[190:191], v[184:185]
	v_min_f64 v[190:191], v[192:193], v[184:185]
	v_min_f64 v[192:193], v[194:195], v[184:185]
	v_min_f64 v[194:195], v[196:197], v[184:185]
	v_min_f64 v[196:197], v[198:199], v[184:185]
	v_min_f64 v[198:199], v[200:201], v[184:185]
	v_min_f64 v[200:201], v[202:203], v[184:185]
	v_min_f64 v[202:203], v[204:205], v[184:185]
	v_min_f64 v[204:205], v[206:207], v[184:185]
	v_min_f64 v[206:207], v[208:209], v[184:185]
	v_min_f64 v[208:209], v[210:211], v[184:185]
	v_min_f64 v[210:211], v[212:213], v[184:185]
	v_min_f64 v[212:213], v[214:215], v[184:185]
	v_min_f64 v[184:185], v[216:217], v[184:185]
	s_cmp_eq_u32 s22, 32
	v_add_f64 v[126:127], v[218:219], v[126:127]
	v_add_f64 v[124:125], v[220:221], v[124:125]
	v_add_f64 v[122:123], v[222:223], v[122:123]
	v_add_f64 v[120:121], v[224:225], v[120:121]
	v_add_f64 v[118:119], v[226:227], v[118:119]
	v_add_f64 v[116:117], v[228:229], v[116:117]
	v_add_f64 v[114:115], v[230:231], v[114:115]
	v_add_f64 v[112:113], v[232:233], v[112:113]
	v_add_f64 v[110:111], v[234:235], v[110:111]
	v_add_f64 v[108:109], v[236:237], v[108:109]
	v_add_f64 v[106:107], v[238:239], v[106:107]
	v_add_f64 v[104:105], v[240:241], v[104:105]
	v_add_f64 v[102:103], v[242:243], v[102:103]
	v_add_f64 v[100:101], v[244:245], v[100:101]
	v_add_f64 v[98:99], v[246:247], v[98:99]
	v_add_f64 v[96:97], v[248:249], v[96:97]
	v_add_f64 v[94:95], v[142:143], v[94:95]
	v_add_f64 v[92:93], v[152:153], v[92:93]
	v_add_f64 v[90:91], v[154:155], v[90:91]
	v_add_f64 v[88:89], v[156:157], v[88:89]
	v_add_f64 v[86:87], v[158:159], v[86:87]
	v_add_f64 v[84:85], v[160:161], v[84:85]
	v_add_f64 v[82:83], v[162:163], v[82:83]
	v_add_f64 v[80:81], v[164:165], v[80:81]
	v_add_f64 v[78:79], v[166:167], v[78:79]
	v_add_f64 v[76:77], v[168:169], v[76:77]
	v_add_f64 v[74:75], v[170:171], v[74:75]
	v_add_f64 v[72:73], v[172:173], v[72:73]
	v_add_f64 v[70:71], v[174:175], v[70:71]
	v_add_f64 v[68:69], v[176:177], v[68:69]
	v_add_f64 v[66:67], v[178:179], v[66:67]
	v_add_f64 v[64:65], v[180:181], v[64:65]
	v_add_f64 v[30:31], v[182:183], v[30:31]
	v_add_f64 v[28:29], v[186:187], v[28:29]
	v_add_f64 v[26:27], v[188:189], v[26:27]
	v_add_f64 v[24:25], v[190:191], v[24:25]
	v_add_f64 v[22:23], v[192:193], v[22:23]
	v_add_f64 v[20:21], v[194:195], v[20:21]
	v_add_f64 v[18:19], v[196:197], v[18:19]
	v_add_f64 v[16:17], v[198:199], v[16:17]
	v_add_f64 v[14:15], v[200:201], v[14:15]
	v_add_f64 v[12:13], v[202:203], v[12:13]
	v_add_f64 v[10:11], v[204:205], v[10:11]
	v_add_f64 v[8:9], v[206:207], v[8:9]
	v_add_f64 v[6:7], v[208:209], v[6:7]
	v_add_f64 v[4:5], v[210:211], v[4:5]
	v_add_f64 v[2:3], v[212:213], v[2:3]
	v_add_f64 v[0:1], v[184:185], v[0:1]
	s_cbranch_scc0 .LBB152_25
; %bb.26:
	s_cmp_gt_i32 s74, 8
	ds_write2st64_b64 v148, v[130:131], v[134:135] offset0:8 offset1:12
	ds_write2st64_b64 v141, v[132:133], v[136:137] offset0:24 offset1:28
	s_waitcnt lgkmcnt(0)
	s_barrier
	s_cbranch_scc1 .LBB152_28
; %bb.27:
	v_add_u32_e32 v152, 0x1000, v150
	v_add_u32_e32 v153, 0x3000, v140
	s_cbranch_execz .LBB152_29
	s_branch .LBB152_51
.LBB152_28:
                                        ; implicit-def: $vgpr152
                                        ; implicit-def: $vgpr153
.LBB152_29:
	v_add_u32_e32 v154, 0x1000, v148
	v_or_b32_e32 v155, 0x3000, v141
	s_add_i32 s28, s74, -8
	v_mad_i64_i32 v[130:131], s[22:23], v138, s29, 0
	v_mad_i64_i32 v[132:133], s[22:23], v139, s29, 0
	v_add_u32_e32 v152, 0x1000, v150
	v_add_u32_e32 v153, 0x3000, v140
	s_mov_b32 s29, 8
	s_mov_b32 s30, 0
.LBB152_30:                             ; =>This Loop Header: Depth=1
                                        ;     Child Loop BB152_39 Depth 2
                                        ;     Child Loop BB152_49 Depth 2
	v_or_b32_e32 v156, s29, v146
	v_cmp_le_i32_e32 vcc, s74, v156
	v_min_i32_e32 v134, s26, v156
	v_ashrrev_i32_e32 v135, 31, v134
	s_or_b64 s[22:23], s[2:3], vcc
	v_lshl_add_u64 v[138:139], v[134:135], 3, s[16:17]
	s_or_b64 s[22:23], s[20:21], s[22:23]
	v_mov_b64_e32 v[134:135], 0
	s_xor_b64 s[34:35], s[22:23], -1
	v_mov_b64_e32 v[136:137], v[134:135]
	s_and_saveexec_b64 s[22:23], s[34:35]
	s_cbranch_execz .LBB152_32
; %bb.31:                               ;   in Loop: Header=BB152_30 Depth=1
	v_lshl_add_u64 v[136:137], v[130:131], 3, v[138:139]
	flat_load_dwordx2 v[136:137], v[136:137]
	s_waitcnt vmcnt(0) lgkmcnt(0)
	v_mul_f64 v[136:137], v[136:137], s[12:13]
.LBB152_32:                             ;   in Loop: Header=BB152_30 Depth=1
	s_or_b64 exec, exec, s[22:23]
	s_or_b64 s[22:23], s[4:5], vcc
	s_or_b64 s[22:23], s[20:21], s[22:23]
	s_xor_b64 s[34:35], s[22:23], -1
	s_and_saveexec_b64 s[22:23], s[34:35]
	s_cbranch_execz .LBB152_34
; %bb.33:                               ;   in Loop: Header=BB152_30 Depth=1
	v_lshl_add_u64 v[134:135], v[132:133], 3, v[138:139]
	flat_load_dwordx2 v[134:135], v[134:135]
	s_waitcnt vmcnt(0) lgkmcnt(0)
	v_mul_f64 v[134:135], v[134:135], s[12:13]
.LBB152_34:                             ;   in Loop: Header=BB152_30 Depth=1
	s_or_b64 exec, exec, s[22:23]
	v_add_u32_e32 v138, s29, v147
	v_cmp_le_i32_e32 vcc, s74, v138
	v_min_i32_e32 v138, s26, v138
	v_mad_i64_i32 v[138:139], s[22:23], v138, s27, 0
	s_or_b64 s[22:23], s[6:7], vcc
	v_lshl_add_u64 v[140:141], v[138:139], 3, s[18:19]
	s_or_b64 s[22:23], s[20:21], s[22:23]
	v_mov_b64_e32 v[138:139], 0
	s_xor_b64 s[34:35], s[22:23], -1
	v_lshl_add_u64 v[142:143], v[128:129], 3, v[140:141]
	v_mov_b64_e32 v[140:141], v[138:139]
	s_and_saveexec_b64 s[22:23], s[34:35]
	s_cbranch_execz .LBB152_36
; %bb.35:                               ;   in Loop: Header=BB152_30 Depth=1
	flat_load_dwordx2 v[140:141], v[142:143]
	s_waitcnt vmcnt(0) lgkmcnt(0)
	v_mul_f64 v[140:141], v[140:141], s[12:13]
.LBB152_36:                             ;   in Loop: Header=BB152_30 Depth=1
	s_or_b64 exec, exec, s[22:23]
	s_or_b64 s[22:23], s[8:9], vcc
	s_or_b64 s[22:23], s[20:21], s[22:23]
	s_xor_b64 s[34:35], s[22:23], -1
	s_and_saveexec_b64 s[22:23], s[34:35]
	s_cbranch_execz .LBB152_38
; %bb.37:                               ;   in Loop: Header=BB152_30 Depth=1
	flat_load_dwordx2 v[138:139], v[142:143] offset:512
	s_waitcnt vmcnt(0) lgkmcnt(0)
	v_mul_f64 v[138:139], v[138:139], s[12:13]
.LBB152_38:                             ;   in Loop: Header=BB152_30 Depth=1
	s_or_b64 exec, exec, s[22:23]
	s_mov_b32 s22, 0
.LBB152_39:                             ;   Parent Loop BB152_30 Depth=1
                                        ; =>  This Inner Loop Header: Depth=2
	v_add_u32_e32 v142, s22, v152
	ds_read2_b64 v[158:161], v142 offset1:16
	ds_read2_b64 v[162:165], v142 offset0:32 offset1:48
	ds_read2_b64 v[166:169], v142 offset0:64 offset1:80
	ds_read2_b64 v[170:173], v142 offset0:96 offset1:112
	ds_read2_b64 v[174:177], v142 offset0:128 offset1:144
	ds_read2_b64 v[178:181], v142 offset0:160 offset1:176
	ds_read2_b64 v[182:185], v142 offset0:192 offset1:208
	ds_read2_b64 v[186:189], v142 offset0:224 offset1:240
	v_add_u32_e32 v142, 0x800, v142
	ds_read2_b64 v[190:193], v142 offset1:16
	ds_read2_b64 v[194:197], v142 offset0:32 offset1:48
	ds_read2_b64 v[198:201], v142 offset0:64 offset1:80
	;; [unrolled: 1-line block ×7, first 2 shown]
	v_add_u32_e32 v142, s22, v153
	ds_read2st64_b64 v[222:225], v142 offset1:4
	s_waitcnt lgkmcnt(14)
	v_max_f64 v[158:159], v[158:159], v[158:159]
	v_max_f64 v[160:161], v[160:161], v[160:161]
	;; [unrolled: 1-line block ×4, first 2 shown]
	s_waitcnt lgkmcnt(0)
	v_max_f64 v[142:143], v[222:223], v[222:223]
	v_min_f64 v[222:223], v[158:159], v[142:143]
	v_add_f64 v[126:127], v[222:223], v[126:127]
	v_min_f64 v[222:223], v[160:161], v[142:143]
	v_add_f64 v[124:125], v[222:223], v[124:125]
	;; [unrolled: 2-line block ×3, first 2 shown]
	v_min_f64 v[222:223], v[164:165], v[142:143]
	v_max_f64 v[166:167], v[166:167], v[166:167]
	v_add_f64 v[120:121], v[222:223], v[120:121]
	v_min_f64 v[222:223], v[166:167], v[142:143]
	v_max_f64 v[168:169], v[168:169], v[168:169]
	v_add_f64 v[118:119], v[222:223], v[118:119]
	;; [unrolled: 3-line block ×26, first 2 shown]
	v_min_f64 v[222:223], v[216:217], v[142:143]
	v_max_f64 v[218:219], v[218:219], v[218:219]
	v_max_f64 v[220:221], v[220:221], v[220:221]
	v_add_f64 v[68:69], v[222:223], v[68:69]
	v_min_f64 v[222:223], v[218:219], v[142:143]
	v_min_f64 v[142:143], v[220:221], v[142:143]
	v_add_f64 v[64:65], v[142:143], v[64:65]
	v_max_f64 v[142:143], v[224:225], v[224:225]
	v_min_f64 v[158:159], v[158:159], v[142:143]
	v_add_f64 v[62:63], v[158:159], v[62:63]
	v_min_f64 v[158:159], v[160:161], v[142:143]
	v_add_f64 v[60:61], v[158:159], v[60:61]
	;; [unrolled: 2-line block ×30, first 2 shown]
	v_min_f64 v[158:159], v[218:219], v[142:143]
	v_min_f64 v[142:143], v[220:221], v[142:143]
	s_add_i32 s22, s22, 8
	v_add_f64 v[66:67], v[222:223], v[66:67]
	v_add_f64 v[2:3], v[158:159], v[2:3]
	;; [unrolled: 1-line block ×3, first 2 shown]
	s_cmp_eq_u32 s22, 32
	s_cbranch_scc0 .LBB152_39
; %bb.40:                               ;   in Loop: Header=BB152_30 Depth=1
	ds_write2st64_b64 v148, v[136:137], v[134:135] offset1:4
	ds_write2st64_b64 v149, v[140:141], v[138:139] offset1:4
	v_or_b32_e32 v134, 4, v156
	v_cmp_le_i32_e32 vcc, s74, v134
	v_min_i32_e32 v134, s26, v134
	v_ashrrev_i32_e32 v135, 31, v134
	s_or_b64 s[22:23], s[2:3], vcc
	v_lshl_add_u64 v[138:139], v[134:135], 3, s[16:17]
	s_or_b64 s[22:23], s[20:21], s[22:23]
	v_mov_b64_e32 v[134:135], 0
	s_xor_b64 s[34:35], s[22:23], -1
	v_mov_b64_e32 v[136:137], v[134:135]
	s_waitcnt lgkmcnt(0)
	s_barrier
	s_and_saveexec_b64 s[22:23], s[34:35]
	s_cbranch_execz .LBB152_42
; %bb.41:                               ;   in Loop: Header=BB152_30 Depth=1
	v_lshl_add_u64 v[136:137], v[130:131], 3, v[138:139]
	flat_load_dwordx2 v[136:137], v[136:137]
	s_waitcnt vmcnt(0) lgkmcnt(0)
	v_mul_f64 v[136:137], v[136:137], s[12:13]
.LBB152_42:                             ;   in Loop: Header=BB152_30 Depth=1
	s_or_b64 exec, exec, s[22:23]
	s_or_b64 s[22:23], s[4:5], vcc
	s_or_b64 s[22:23], s[20:21], s[22:23]
	s_xor_b64 s[34:35], s[22:23], -1
	s_and_saveexec_b64 s[22:23], s[34:35]
	s_cbranch_execz .LBB152_44
; %bb.43:                               ;   in Loop: Header=BB152_30 Depth=1
	v_lshl_add_u64 v[134:135], v[132:133], 3, v[138:139]
	flat_load_dwordx2 v[134:135], v[134:135]
	s_waitcnt vmcnt(0) lgkmcnt(0)
	v_mul_f64 v[134:135], v[134:135], s[12:13]
.LBB152_44:                             ;   in Loop: Header=BB152_30 Depth=1
	s_or_b64 exec, exec, s[22:23]
	v_add3_u32 v138, v147, s29, 4
	v_cmp_le_i32_e32 vcc, s74, v138
	v_min_i32_e32 v138, s26, v138
	v_mad_i64_i32 v[138:139], s[22:23], v138, s27, 0
	s_or_b64 s[22:23], s[6:7], vcc
	v_lshl_add_u64 v[140:141], v[138:139], 3, s[18:19]
	s_or_b64 s[22:23], s[20:21], s[22:23]
	v_mov_b64_e32 v[138:139], 0
	s_xor_b64 s[34:35], s[22:23], -1
	v_lshl_add_u64 v[142:143], v[128:129], 3, v[140:141]
	v_mov_b64_e32 v[140:141], v[138:139]
	s_and_saveexec_b64 s[22:23], s[34:35]
	s_cbranch_execz .LBB152_46
; %bb.45:                               ;   in Loop: Header=BB152_30 Depth=1
	flat_load_dwordx2 v[140:141], v[142:143]
	s_waitcnt vmcnt(0) lgkmcnt(0)
	v_mul_f64 v[140:141], v[140:141], s[12:13]
.LBB152_46:                             ;   in Loop: Header=BB152_30 Depth=1
	s_or_b64 exec, exec, s[22:23]
	s_or_b64 s[22:23], s[8:9], vcc
	s_or_b64 s[22:23], s[20:21], s[22:23]
	s_xor_b64 s[34:35], s[22:23], -1
	s_and_saveexec_b64 s[22:23], s[34:35]
	s_cbranch_execz .LBB152_48
; %bb.47:                               ;   in Loop: Header=BB152_30 Depth=1
	flat_load_dwordx2 v[138:139], v[142:143] offset:512
	s_waitcnt vmcnt(0) lgkmcnt(0)
	v_mul_f64 v[138:139], v[138:139], s[12:13]
.LBB152_48:                             ;   in Loop: Header=BB152_30 Depth=1
	s_or_b64 exec, exec, s[22:23]
	s_mov_b32 s22, 0
.LBB152_49:                             ;   Parent Loop BB152_30 Depth=1
                                        ; =>  This Inner Loop Header: Depth=2
	v_add_u32_e32 v142, s22, v150
	v_add_u32_e32 v143, s22, v151
	ds_read2_b64 v[156:159], v142 offset1:16
	ds_read2_b64 v[160:163], v142 offset0:32 offset1:48
	ds_read2_b64 v[164:167], v142 offset0:64 offset1:80
	;; [unrolled: 1-line block ×7, first 2 shown]
	v_add_u32_e32 v142, 0x800, v142
	ds_read2st64_b64 v[188:191], v143 offset1:4
	ds_read2_b64 v[192:195], v142 offset1:16
	ds_read2_b64 v[196:199], v142 offset0:32 offset1:48
	ds_read2_b64 v[200:203], v142 offset0:64 offset1:80
	;; [unrolled: 1-line block ×7, first 2 shown]
	s_waitcnt lgkmcnt(14)
	v_max_f64 v[156:157], v[156:157], v[156:157]
	v_max_f64 v[158:159], v[158:159], v[158:159]
	v_max_f64 v[160:161], v[160:161], v[160:161]
	s_waitcnt lgkmcnt(8)
	v_max_f64 v[142:143], v[188:189], v[188:189]
	v_max_f64 v[162:163], v[162:163], v[162:163]
	;; [unrolled: 1-line block ×15, first 2 shown]
	v_min_f64 v[190:191], v[156:157], v[142:143]
	v_min_f64 v[224:225], v[158:159], v[142:143]
	;; [unrolled: 1-line block ×16, first 2 shown]
	s_waitcnt lgkmcnt(7)
	v_max_f64 v[192:193], v[192:193], v[192:193]
	v_max_f64 v[194:195], v[194:195], v[194:195]
	s_waitcnt lgkmcnt(6)
	v_max_f64 v[196:197], v[196:197], v[196:197]
	v_max_f64 v[198:199], v[198:199], v[198:199]
	;; [unrolled: 3-line block ×8, first 2 shown]
	v_min_f64 v[156:157], v[156:157], v[188:189]
	v_min_f64 v[158:159], v[158:159], v[188:189]
	;; [unrolled: 1-line block ×16, first 2 shown]
	s_add_i32 s22, s22, 8
	v_add_f64 v[126:127], v[190:191], v[126:127]
	v_add_f64 v[124:125], v[224:225], v[124:125]
	;; [unrolled: 1-line block ×15, first 2 shown]
	v_min_f64 v[190:191], v[192:193], v[142:143]
	v_min_f64 v[224:225], v[194:195], v[142:143]
	;; [unrolled: 1-line block ×16, first 2 shown]
	v_add_f64 v[62:63], v[156:157], v[62:63]
	v_add_f64 v[60:61], v[158:159], v[60:61]
	;; [unrolled: 1-line block ×16, first 2 shown]
	v_min_f64 v[156:157], v[192:193], v[188:189]
	v_min_f64 v[158:159], v[194:195], v[188:189]
	;; [unrolled: 1-line block ×16, first 2 shown]
	s_cmp_eq_u32 s22, 32
	v_add_f64 v[96:97], v[252:253], v[96:97]
	v_add_f64 v[94:95], v[190:191], v[94:95]
	;; [unrolled: 1-line block ×33, first 2 shown]
	s_cbranch_scc0 .LBB152_49
; %bb.50:                               ;   in Loop: Header=BB152_30 Depth=1
	s_add_i32 s29, s29, 8
	s_add_i32 s30, s30, 8
	s_cmp_ge_i32 s30, s28
	ds_write2st64_b64 v154, v[136:137], v[134:135] offset1:4
	ds_write2st64_b64 v155, v[140:141], v[138:139] offset1:4
	s_waitcnt lgkmcnt(0)
	s_barrier
	s_cbranch_scc0 .LBB152_30
.LBB152_51:
	s_mov_b32 s2, 0
.LBB152_52:                             ; =>This Inner Loop Header: Depth=1
	v_add_u32_e32 v150, s2, v152
	v_add_u32_e32 v151, s2, v153
	ds_read2_b64 v[128:131], v150 offset1:16
	ds_read2_b64 v[132:135], v150 offset0:32 offset1:48
	ds_read2_b64 v[136:139], v150 offset0:64 offset1:80
	;; [unrolled: 1-line block ×7, first 2 shown]
	v_add_u32_e32 v150, 0x800, v150
	ds_read2st64_b64 v[166:169], v151 offset1:4
	ds_read2_b64 v[170:173], v150 offset1:16
	ds_read2_b64 v[174:177], v150 offset0:32 offset1:48
	ds_read2_b64 v[178:181], v150 offset0:64 offset1:80
	;; [unrolled: 1-line block ×7, first 2 shown]
	s_waitcnt lgkmcnt(14)
	v_max_f64 v[128:129], v[128:129], v[128:129]
	v_max_f64 v[130:131], v[130:131], v[130:131]
	;; [unrolled: 1-line block ×3, first 2 shown]
	s_waitcnt lgkmcnt(8)
	v_max_f64 v[150:151], v[166:167], v[166:167]
	v_max_f64 v[134:135], v[134:135], v[134:135]
	;; [unrolled: 1-line block ×15, first 2 shown]
	v_min_f64 v[168:169], v[128:129], v[150:151]
	v_min_f64 v[202:203], v[130:131], v[150:151]
	;; [unrolled: 1-line block ×16, first 2 shown]
	s_waitcnt lgkmcnt(7)
	v_max_f64 v[170:171], v[170:171], v[170:171]
	v_max_f64 v[172:173], v[172:173], v[172:173]
	s_waitcnt lgkmcnt(6)
	v_max_f64 v[174:175], v[174:175], v[174:175]
	v_max_f64 v[176:177], v[176:177], v[176:177]
	;; [unrolled: 3-line block ×8, first 2 shown]
	v_min_f64 v[128:129], v[128:129], v[166:167]
	v_min_f64 v[130:131], v[130:131], v[166:167]
	;; [unrolled: 1-line block ×16, first 2 shown]
	s_add_i32 s2, s2, 8
	v_add_f64 v[126:127], v[168:169], v[126:127]
	v_add_f64 v[124:125], v[202:203], v[124:125]
	;; [unrolled: 1-line block ×15, first 2 shown]
	v_min_f64 v[168:169], v[170:171], v[150:151]
	v_min_f64 v[202:203], v[172:173], v[150:151]
	;; [unrolled: 1-line block ×16, first 2 shown]
	v_add_f64 v[62:63], v[128:129], v[62:63]
	v_add_f64 v[60:61], v[130:131], v[60:61]
	;; [unrolled: 1-line block ×16, first 2 shown]
	v_min_f64 v[128:129], v[170:171], v[166:167]
	v_min_f64 v[130:131], v[172:173], v[166:167]
	;; [unrolled: 1-line block ×16, first 2 shown]
	s_cmp_eq_u32 s2, 32
	v_add_f64 v[96:97], v[230:231], v[96:97]
	v_add_f64 v[94:95], v[168:169], v[94:95]
	;; [unrolled: 1-line block ×33, first 2 shown]
	s_cbranch_scc0 .LBB152_52
; %bb.53:
	s_load_dwordx2 s[2:3], s[0:1], 0x78
	s_load_dword s78, s[0:1], 0x58
	s_load_dword s33, s[0:1], 0x70
	v_add_u32_e32 v136, s25, v145
	v_add_u32_e32 v128, s24, v144
	s_waitcnt lgkmcnt(0)
	s_lshl_b64 s[0:1], s[2:3], 3
	s_add_u32 s74, s14, s0
	s_addc_u32 s75, s15, s1
	v_mad_i64_i32 v[130:131], s[0:1], v136, s78, 0
	v_cmp_gt_i32_e64 s[24:25], s73, v136
	v_lshl_add_u64 v[132:133], v[130:131], 3, s[76:77]
	v_mad_i64_i32 v[130:131], s[0:1], v136, s33, 0
	v_cmp_gt_i32_e64 s[2:3], s72, v128
	v_cndmask_b32_e64 v134, 0, 1, s[10:11]
	v_lshl_add_u64 v[130:131], v[130:131], 3, s[74:75]
	s_and_b64 s[6:7], s[24:25], s[2:3]
	v_ashrrev_i32_e32 v129, 31, v128
	v_cmp_ne_u32_e64 s[0:1], 1, v134
	s_and_saveexec_b64 s[4:5], s[6:7]
	s_cbranch_execz .LBB152_58
; %bb.54:
	s_and_b64 vcc, exec, s[0:1]
	s_cbranch_vccnz .LBB152_56
; %bb.55:
	v_lshl_add_u64 v[134:135], v[128:129], 3, v[132:133]
	flat_load_dwordx2 v[134:135], v[134:135]
	s_waitcnt vmcnt(0) lgkmcnt(0)
	v_mul_f64 v[134:135], v[134:135], s[70:71]
	s_branch .LBB152_57
.LBB152_56:
	v_mov_b64_e32 v[134:135], 0
.LBB152_57:
	v_add_f64 v[126:127], v[126:127], v[134:135]
	v_lshl_add_u64 v[134:135], v[128:129], 3, v[130:131]
	global_store_dwordx2 v[134:135], v[126:127], off
.LBB152_58:
	s_or_b64 exec, exec, s[4:5]
	v_add_u32_e32 v126, 4, v128
	v_cmp_gt_i32_e64 s[4:5], s72, v126
	s_and_b64 s[8:9], s[24:25], s[4:5]
	v_ashrrev_i32_e32 v127, 31, v126
	s_and_saveexec_b64 s[6:7], s[8:9]
	s_cbranch_execz .LBB152_63
; %bb.59:
	s_and_b64 vcc, exec, s[0:1]
	s_cbranch_vccnz .LBB152_61
; %bb.60:
	v_lshl_add_u64 v[134:135], v[126:127], 3, v[132:133]
	flat_load_dwordx2 v[134:135], v[134:135]
	s_waitcnt vmcnt(0) lgkmcnt(0)
	v_mul_f64 v[134:135], v[134:135], s[70:71]
	s_branch .LBB152_62
.LBB152_61:
	v_mov_b64_e32 v[134:135], 0
.LBB152_62:
	v_add_f64 v[124:125], v[124:125], v[134:135]
	v_lshl_add_u64 v[134:135], v[126:127], 3, v[130:131]
	global_store_dwordx2 v[134:135], v[124:125], off
.LBB152_63:
	s_or_b64 exec, exec, s[6:7]
	v_add_u32_e32 v124, 8, v128
	v_cmp_gt_i32_e64 s[6:7], s72, v124
	s_and_b64 s[10:11], s[24:25], s[6:7]
	v_ashrrev_i32_e32 v125, 31, v124
	;; [unrolled: 23-line block ×31, first 2 shown]
	s_and_saveexec_b64 s[24:25], s[80:81]
	s_cbranch_execz .LBB152_213
; %bb.209:
	s_and_b64 vcc, exec, s[0:1]
	s_cbranch_vccnz .LBB152_211
; %bb.210:
	v_lshl_add_u64 v[132:133], v[66:67], 3, v[132:133]
	flat_load_dwordx2 v[132:133], v[132:133]
	s_waitcnt vmcnt(0) lgkmcnt(0)
	v_mul_f64 v[132:133], v[132:133], s[70:71]
	s_branch .LBB152_212
.LBB152_211:
	v_mov_b64_e32 v[132:133], 0
.LBB152_212:
	v_add_f64 v[64:65], v[64:65], v[132:133]
	v_lshl_add_u64 v[130:131], v[66:67], 3, v[130:131]
	global_store_dwordx2 v[130:131], v[64:65], off
.LBB152_213:
	s_or_b64 exec, exec, s[24:25]
	v_add_u32_e32 v132, 64, v136
	v_cmp_gt_i32_e64 s[24:25], s73, v132
	v_mad_i64_i32 v[64:65], s[72:73], v132, s78, 0
	v_lshl_add_u64 v[130:131], v[64:65], 3, s[76:77]
	v_mad_i64_i32 v[64:65], s[72:73], v132, s33, 0
	v_lshl_add_u64 v[64:65], v[64:65], 3, s[74:75]
	s_and_b64 s[2:3], s[24:25], s[2:3]
	s_and_saveexec_b64 s[72:73], s[2:3]
	s_xor_b64 s[2:3], exec, s[72:73]
	s_cbranch_execnz .LBB152_246
; %bb.214:
	s_or_b64 exec, exec, s[2:3]
	s_and_b64 s[4:5], s[24:25], s[4:5]
	s_and_saveexec_b64 s[2:3], s[4:5]
	s_cbranch_execnz .LBB152_250
.LBB152_215:
	s_or_b64 exec, exec, s[2:3]
	s_and_b64 s[4:5], s[24:25], s[6:7]
	s_and_saveexec_b64 s[2:3], s[4:5]
	s_cbranch_execnz .LBB152_254
.LBB152_216:
	s_or_b64 exec, exec, s[2:3]
	s_and_b64 s[4:5], s[24:25], s[8:9]
	s_and_saveexec_b64 s[2:3], s[4:5]
	s_cbranch_execnz .LBB152_258
.LBB152_217:
	s_or_b64 exec, exec, s[2:3]
	s_and_b64 s[4:5], s[24:25], s[10:11]
	s_and_saveexec_b64 s[2:3], s[4:5]
	s_cbranch_execnz .LBB152_262
.LBB152_218:
	s_or_b64 exec, exec, s[2:3]
	s_and_b64 s[4:5], s[24:25], s[12:13]
	s_and_saveexec_b64 s[2:3], s[4:5]
	s_cbranch_execnz .LBB152_266
.LBB152_219:
	s_or_b64 exec, exec, s[2:3]
	s_and_b64 s[4:5], s[24:25], s[14:15]
	s_and_saveexec_b64 s[2:3], s[4:5]
	s_cbranch_execnz .LBB152_270
.LBB152_220:
	s_or_b64 exec, exec, s[2:3]
	s_and_b64 s[4:5], s[24:25], s[16:17]
	s_and_saveexec_b64 s[2:3], s[4:5]
	s_cbranch_execnz .LBB152_274
.LBB152_221:
	s_or_b64 exec, exec, s[2:3]
	s_and_b64 s[4:5], s[24:25], s[18:19]
	s_and_saveexec_b64 s[2:3], s[4:5]
	s_cbranch_execnz .LBB152_278
.LBB152_222:
	s_or_b64 exec, exec, s[2:3]
	s_and_b64 s[4:5], s[24:25], s[20:21]
	s_and_saveexec_b64 s[2:3], s[4:5]
	s_cbranch_execnz .LBB152_282
.LBB152_223:
	s_or_b64 exec, exec, s[2:3]
	s_and_b64 s[4:5], s[24:25], s[22:23]
	s_and_saveexec_b64 s[2:3], s[4:5]
	s_cbranch_execnz .LBB152_286
.LBB152_224:
	s_or_b64 exec, exec, s[2:3]
	s_and_b64 s[4:5], s[24:25], s[26:27]
	s_and_saveexec_b64 s[2:3], s[4:5]
	s_cbranch_execnz .LBB152_290
.LBB152_225:
	s_or_b64 exec, exec, s[2:3]
	s_and_b64 s[4:5], s[24:25], s[28:29]
	s_and_saveexec_b64 s[2:3], s[4:5]
	s_cbranch_execnz .LBB152_294
.LBB152_226:
	s_or_b64 exec, exec, s[2:3]
	s_and_b64 s[4:5], s[24:25], s[30:31]
	s_and_saveexec_b64 s[2:3], s[4:5]
	s_cbranch_execnz .LBB152_298
.LBB152_227:
	s_or_b64 exec, exec, s[2:3]
	s_and_b64 s[4:5], s[24:25], s[34:35]
	s_and_saveexec_b64 s[2:3], s[4:5]
	s_cbranch_execnz .LBB152_302
.LBB152_228:
	s_or_b64 exec, exec, s[2:3]
	s_and_b64 s[4:5], s[24:25], s[36:37]
	s_and_saveexec_b64 s[2:3], s[4:5]
	s_cbranch_execnz .LBB152_306
.LBB152_229:
	s_or_b64 exec, exec, s[2:3]
	s_and_b64 s[4:5], s[24:25], s[38:39]
	s_and_saveexec_b64 s[2:3], s[4:5]
	s_cbranch_execnz .LBB152_310
.LBB152_230:
	s_or_b64 exec, exec, s[2:3]
	s_and_b64 s[4:5], s[24:25], s[40:41]
	s_and_saveexec_b64 s[2:3], s[4:5]
	s_cbranch_execnz .LBB152_314
.LBB152_231:
	s_or_b64 exec, exec, s[2:3]
	s_and_b64 s[4:5], s[24:25], s[42:43]
	s_and_saveexec_b64 s[2:3], s[4:5]
	s_cbranch_execnz .LBB152_318
.LBB152_232:
	s_or_b64 exec, exec, s[2:3]
	s_and_b64 s[4:5], s[24:25], s[44:45]
	s_and_saveexec_b64 s[2:3], s[4:5]
	s_cbranch_execnz .LBB152_322
.LBB152_233:
	s_or_b64 exec, exec, s[2:3]
	s_and_b64 s[4:5], s[24:25], s[46:47]
	s_and_saveexec_b64 s[2:3], s[4:5]
	s_cbranch_execnz .LBB152_326
.LBB152_234:
	s_or_b64 exec, exec, s[2:3]
	s_and_b64 s[4:5], s[24:25], s[48:49]
	s_and_saveexec_b64 s[2:3], s[4:5]
	s_cbranch_execnz .LBB152_330
.LBB152_235:
	s_or_b64 exec, exec, s[2:3]
	s_and_b64 s[4:5], s[24:25], s[50:51]
	s_and_saveexec_b64 s[2:3], s[4:5]
	s_cbranch_execnz .LBB152_334
.LBB152_236:
	s_or_b64 exec, exec, s[2:3]
	s_and_b64 s[4:5], s[24:25], s[52:53]
	s_and_saveexec_b64 s[2:3], s[4:5]
	s_cbranch_execnz .LBB152_338
.LBB152_237:
	s_or_b64 exec, exec, s[2:3]
	s_and_b64 s[4:5], s[24:25], s[54:55]
	s_and_saveexec_b64 s[2:3], s[4:5]
	s_cbranch_execnz .LBB152_342
.LBB152_238:
	s_or_b64 exec, exec, s[2:3]
	s_and_b64 s[4:5], s[24:25], s[56:57]
	s_and_saveexec_b64 s[2:3], s[4:5]
	s_cbranch_execnz .LBB152_346
.LBB152_239:
	s_or_b64 exec, exec, s[2:3]
	s_and_b64 s[4:5], s[24:25], s[58:59]
	s_and_saveexec_b64 s[2:3], s[4:5]
	s_cbranch_execnz .LBB152_350
.LBB152_240:
	s_or_b64 exec, exec, s[2:3]
	s_and_b64 s[4:5], s[24:25], s[60:61]
	s_and_saveexec_b64 s[2:3], s[4:5]
	s_cbranch_execnz .LBB152_354
.LBB152_241:
	s_or_b64 exec, exec, s[2:3]
	s_and_b64 s[4:5], s[24:25], s[62:63]
	s_and_saveexec_b64 s[2:3], s[4:5]
	s_cbranch_execnz .LBB152_358
.LBB152_242:
	s_or_b64 exec, exec, s[2:3]
	s_and_b64 s[4:5], s[24:25], s[64:65]
	s_and_saveexec_b64 s[2:3], s[4:5]
	s_cbranch_execnz .LBB152_362
.LBB152_243:
	s_or_b64 exec, exec, s[2:3]
	s_and_b64 s[4:5], s[24:25], s[66:67]
	s_and_saveexec_b64 s[2:3], s[4:5]
	s_cbranch_execnz .LBB152_366
.LBB152_244:
	s_or_b64 exec, exec, s[2:3]
	s_and_b64 s[2:3], s[24:25], s[68:69]
	s_and_saveexec_b64 s[4:5], s[2:3]
	s_cbranch_execnz .LBB152_370
.LBB152_245:
	s_endpgm
.LBB152_246:
	s_and_b64 vcc, exec, s[0:1]
	s_cbranch_vccnz .LBB152_248
; %bb.247:
	v_lshl_add_u64 v[132:133], v[128:129], 3, v[130:131]
	flat_load_dwordx2 v[132:133], v[132:133]
	s_waitcnt vmcnt(0) lgkmcnt(0)
	v_mul_f64 v[132:133], v[132:133], s[70:71]
	s_branch .LBB152_249
.LBB152_248:
	v_mov_b64_e32 v[132:133], 0
.LBB152_249:
	v_add_f64 v[62:63], v[62:63], v[132:133]
	v_lshl_add_u64 v[128:129], v[128:129], 3, v[64:65]
	global_store_dwordx2 v[128:129], v[62:63], off
	s_or_b64 exec, exec, s[2:3]
	s_and_b64 s[4:5], s[24:25], s[4:5]
	s_and_saveexec_b64 s[2:3], s[4:5]
	s_cbranch_execz .LBB152_215
.LBB152_250:
	s_and_b64 vcc, exec, s[0:1]
	s_cbranch_vccnz .LBB152_252
; %bb.251:
	v_lshl_add_u64 v[62:63], v[126:127], 3, v[130:131]
	flat_load_dwordx2 v[62:63], v[62:63]
	s_waitcnt vmcnt(0) lgkmcnt(0)
	v_mul_f64 v[62:63], v[62:63], s[70:71]
	s_branch .LBB152_253
.LBB152_252:
	v_mov_b64_e32 v[62:63], 0
.LBB152_253:
	v_add_f64 v[60:61], v[60:61], v[62:63]
	v_lshl_add_u64 v[62:63], v[126:127], 3, v[64:65]
	global_store_dwordx2 v[62:63], v[60:61], off
	s_or_b64 exec, exec, s[2:3]
	s_and_b64 s[4:5], s[24:25], s[6:7]
	s_and_saveexec_b64 s[2:3], s[4:5]
	s_cbranch_execz .LBB152_216
.LBB152_254:
	s_and_b64 vcc, exec, s[0:1]
	s_cbranch_vccnz .LBB152_256
; %bb.255:
	v_lshl_add_u64 v[60:61], v[124:125], 3, v[130:131]
	flat_load_dwordx2 v[60:61], v[60:61]
	s_waitcnt vmcnt(0) lgkmcnt(0)
	v_mul_f64 v[60:61], v[60:61], s[70:71]
	s_branch .LBB152_257
.LBB152_256:
	v_mov_b64_e32 v[60:61], 0
.LBB152_257:
	v_add_f64 v[58:59], v[58:59], v[60:61]
	v_lshl_add_u64 v[60:61], v[124:125], 3, v[64:65]
	global_store_dwordx2 v[60:61], v[58:59], off
	s_or_b64 exec, exec, s[2:3]
	s_and_b64 s[4:5], s[24:25], s[8:9]
	s_and_saveexec_b64 s[2:3], s[4:5]
	s_cbranch_execz .LBB152_217
.LBB152_258:
	s_and_b64 vcc, exec, s[0:1]
	s_cbranch_vccnz .LBB152_260
; %bb.259:
	v_lshl_add_u64 v[58:59], v[122:123], 3, v[130:131]
	flat_load_dwordx2 v[58:59], v[58:59]
	s_waitcnt vmcnt(0) lgkmcnt(0)
	v_mul_f64 v[58:59], v[58:59], s[70:71]
	s_branch .LBB152_261
.LBB152_260:
	v_mov_b64_e32 v[58:59], 0
.LBB152_261:
	v_add_f64 v[56:57], v[56:57], v[58:59]
	v_lshl_add_u64 v[58:59], v[122:123], 3, v[64:65]
	global_store_dwordx2 v[58:59], v[56:57], off
	s_or_b64 exec, exec, s[2:3]
	s_and_b64 s[4:5], s[24:25], s[10:11]
	s_and_saveexec_b64 s[2:3], s[4:5]
	s_cbranch_execz .LBB152_218
.LBB152_262:
	s_and_b64 vcc, exec, s[0:1]
	s_cbranch_vccnz .LBB152_264
; %bb.263:
	v_lshl_add_u64 v[56:57], v[120:121], 3, v[130:131]
	flat_load_dwordx2 v[56:57], v[56:57]
	s_waitcnt vmcnt(0) lgkmcnt(0)
	v_mul_f64 v[56:57], v[56:57], s[70:71]
	s_branch .LBB152_265
.LBB152_264:
	v_mov_b64_e32 v[56:57], 0
.LBB152_265:
	v_add_f64 v[54:55], v[54:55], v[56:57]
	v_lshl_add_u64 v[56:57], v[120:121], 3, v[64:65]
	global_store_dwordx2 v[56:57], v[54:55], off
	s_or_b64 exec, exec, s[2:3]
	s_and_b64 s[4:5], s[24:25], s[12:13]
	s_and_saveexec_b64 s[2:3], s[4:5]
	s_cbranch_execz .LBB152_219
.LBB152_266:
	s_and_b64 vcc, exec, s[0:1]
	s_cbranch_vccnz .LBB152_268
; %bb.267:
	v_lshl_add_u64 v[54:55], v[118:119], 3, v[130:131]
	flat_load_dwordx2 v[54:55], v[54:55]
	s_waitcnt vmcnt(0) lgkmcnt(0)
	v_mul_f64 v[54:55], v[54:55], s[70:71]
	s_branch .LBB152_269
.LBB152_268:
	v_mov_b64_e32 v[54:55], 0
.LBB152_269:
	v_add_f64 v[52:53], v[52:53], v[54:55]
	v_lshl_add_u64 v[54:55], v[118:119], 3, v[64:65]
	global_store_dwordx2 v[54:55], v[52:53], off
	s_or_b64 exec, exec, s[2:3]
	s_and_b64 s[4:5], s[24:25], s[14:15]
	s_and_saveexec_b64 s[2:3], s[4:5]
	s_cbranch_execz .LBB152_220
.LBB152_270:
	s_and_b64 vcc, exec, s[0:1]
	s_cbranch_vccnz .LBB152_272
; %bb.271:
	v_lshl_add_u64 v[52:53], v[116:117], 3, v[130:131]
	flat_load_dwordx2 v[52:53], v[52:53]
	s_waitcnt vmcnt(0) lgkmcnt(0)
	v_mul_f64 v[52:53], v[52:53], s[70:71]
	s_branch .LBB152_273
.LBB152_272:
	v_mov_b64_e32 v[52:53], 0
.LBB152_273:
	v_add_f64 v[50:51], v[50:51], v[52:53]
	v_lshl_add_u64 v[52:53], v[116:117], 3, v[64:65]
	global_store_dwordx2 v[52:53], v[50:51], off
	s_or_b64 exec, exec, s[2:3]
	s_and_b64 s[4:5], s[24:25], s[16:17]
	s_and_saveexec_b64 s[2:3], s[4:5]
	s_cbranch_execz .LBB152_221
.LBB152_274:
	s_and_b64 vcc, exec, s[0:1]
	s_cbranch_vccnz .LBB152_276
; %bb.275:
	v_lshl_add_u64 v[50:51], v[114:115], 3, v[130:131]
	flat_load_dwordx2 v[50:51], v[50:51]
	s_waitcnt vmcnt(0) lgkmcnt(0)
	v_mul_f64 v[50:51], v[50:51], s[70:71]
	s_branch .LBB152_277
.LBB152_276:
	v_mov_b64_e32 v[50:51], 0
.LBB152_277:
	v_add_f64 v[48:49], v[48:49], v[50:51]
	v_lshl_add_u64 v[50:51], v[114:115], 3, v[64:65]
	global_store_dwordx2 v[50:51], v[48:49], off
	s_or_b64 exec, exec, s[2:3]
	s_and_b64 s[4:5], s[24:25], s[18:19]
	s_and_saveexec_b64 s[2:3], s[4:5]
	s_cbranch_execz .LBB152_222
.LBB152_278:
	s_and_b64 vcc, exec, s[0:1]
	s_cbranch_vccnz .LBB152_280
; %bb.279:
	v_lshl_add_u64 v[48:49], v[112:113], 3, v[130:131]
	flat_load_dwordx2 v[48:49], v[48:49]
	s_waitcnt vmcnt(0) lgkmcnt(0)
	v_mul_f64 v[48:49], v[48:49], s[70:71]
	s_branch .LBB152_281
.LBB152_280:
	v_mov_b64_e32 v[48:49], 0
.LBB152_281:
	v_add_f64 v[46:47], v[46:47], v[48:49]
	v_lshl_add_u64 v[48:49], v[112:113], 3, v[64:65]
	global_store_dwordx2 v[48:49], v[46:47], off
	s_or_b64 exec, exec, s[2:3]
	s_and_b64 s[4:5], s[24:25], s[20:21]
	s_and_saveexec_b64 s[2:3], s[4:5]
	s_cbranch_execz .LBB152_223
.LBB152_282:
	s_and_b64 vcc, exec, s[0:1]
	s_cbranch_vccnz .LBB152_284
; %bb.283:
	v_lshl_add_u64 v[46:47], v[110:111], 3, v[130:131]
	flat_load_dwordx2 v[46:47], v[46:47]
	s_waitcnt vmcnt(0) lgkmcnt(0)
	v_mul_f64 v[46:47], v[46:47], s[70:71]
	s_branch .LBB152_285
.LBB152_284:
	v_mov_b64_e32 v[46:47], 0
.LBB152_285:
	v_add_f64 v[44:45], v[44:45], v[46:47]
	v_lshl_add_u64 v[46:47], v[110:111], 3, v[64:65]
	global_store_dwordx2 v[46:47], v[44:45], off
	s_or_b64 exec, exec, s[2:3]
	s_and_b64 s[4:5], s[24:25], s[22:23]
	s_and_saveexec_b64 s[2:3], s[4:5]
	s_cbranch_execz .LBB152_224
.LBB152_286:
	s_and_b64 vcc, exec, s[0:1]
	s_cbranch_vccnz .LBB152_288
; %bb.287:
	v_lshl_add_u64 v[44:45], v[108:109], 3, v[130:131]
	flat_load_dwordx2 v[44:45], v[44:45]
	s_waitcnt vmcnt(0) lgkmcnt(0)
	v_mul_f64 v[44:45], v[44:45], s[70:71]
	s_branch .LBB152_289
.LBB152_288:
	v_mov_b64_e32 v[44:45], 0
.LBB152_289:
	v_add_f64 v[42:43], v[42:43], v[44:45]
	v_lshl_add_u64 v[44:45], v[108:109], 3, v[64:65]
	global_store_dwordx2 v[44:45], v[42:43], off
	s_or_b64 exec, exec, s[2:3]
	s_and_b64 s[4:5], s[24:25], s[26:27]
	s_and_saveexec_b64 s[2:3], s[4:5]
	s_cbranch_execz .LBB152_225
.LBB152_290:
	s_and_b64 vcc, exec, s[0:1]
	s_cbranch_vccnz .LBB152_292
; %bb.291:
	v_lshl_add_u64 v[42:43], v[106:107], 3, v[130:131]
	flat_load_dwordx2 v[42:43], v[42:43]
	s_waitcnt vmcnt(0) lgkmcnt(0)
	v_mul_f64 v[42:43], v[42:43], s[70:71]
	s_branch .LBB152_293
.LBB152_292:
	v_mov_b64_e32 v[42:43], 0
.LBB152_293:
	v_add_f64 v[40:41], v[40:41], v[42:43]
	v_lshl_add_u64 v[42:43], v[106:107], 3, v[64:65]
	global_store_dwordx2 v[42:43], v[40:41], off
	s_or_b64 exec, exec, s[2:3]
	s_and_b64 s[4:5], s[24:25], s[28:29]
	s_and_saveexec_b64 s[2:3], s[4:5]
	s_cbranch_execz .LBB152_226
.LBB152_294:
	s_and_b64 vcc, exec, s[0:1]
	s_cbranch_vccnz .LBB152_296
; %bb.295:
	v_lshl_add_u64 v[40:41], v[104:105], 3, v[130:131]
	flat_load_dwordx2 v[40:41], v[40:41]
	s_waitcnt vmcnt(0) lgkmcnt(0)
	v_mul_f64 v[40:41], v[40:41], s[70:71]
	s_branch .LBB152_297
.LBB152_296:
	v_mov_b64_e32 v[40:41], 0
.LBB152_297:
	v_add_f64 v[38:39], v[38:39], v[40:41]
	v_lshl_add_u64 v[40:41], v[104:105], 3, v[64:65]
	global_store_dwordx2 v[40:41], v[38:39], off
	s_or_b64 exec, exec, s[2:3]
	s_and_b64 s[4:5], s[24:25], s[30:31]
	s_and_saveexec_b64 s[2:3], s[4:5]
	s_cbranch_execz .LBB152_227
.LBB152_298:
	s_and_b64 vcc, exec, s[0:1]
	s_cbranch_vccnz .LBB152_300
; %bb.299:
	v_lshl_add_u64 v[38:39], v[102:103], 3, v[130:131]
	flat_load_dwordx2 v[38:39], v[38:39]
	s_waitcnt vmcnt(0) lgkmcnt(0)
	v_mul_f64 v[38:39], v[38:39], s[70:71]
	s_branch .LBB152_301
.LBB152_300:
	v_mov_b64_e32 v[38:39], 0
.LBB152_301:
	v_add_f64 v[36:37], v[36:37], v[38:39]
	v_lshl_add_u64 v[38:39], v[102:103], 3, v[64:65]
	global_store_dwordx2 v[38:39], v[36:37], off
	s_or_b64 exec, exec, s[2:3]
	s_and_b64 s[4:5], s[24:25], s[34:35]
	s_and_saveexec_b64 s[2:3], s[4:5]
	s_cbranch_execz .LBB152_228
.LBB152_302:
	s_and_b64 vcc, exec, s[0:1]
	s_cbranch_vccnz .LBB152_304
; %bb.303:
	v_lshl_add_u64 v[36:37], v[100:101], 3, v[130:131]
	flat_load_dwordx2 v[36:37], v[36:37]
	s_waitcnt vmcnt(0) lgkmcnt(0)
	v_mul_f64 v[36:37], v[36:37], s[70:71]
	s_branch .LBB152_305
.LBB152_304:
	v_mov_b64_e32 v[36:37], 0
.LBB152_305:
	v_add_f64 v[34:35], v[34:35], v[36:37]
	v_lshl_add_u64 v[36:37], v[100:101], 3, v[64:65]
	global_store_dwordx2 v[36:37], v[34:35], off
	s_or_b64 exec, exec, s[2:3]
	s_and_b64 s[4:5], s[24:25], s[36:37]
	s_and_saveexec_b64 s[2:3], s[4:5]
	s_cbranch_execz .LBB152_229
.LBB152_306:
	s_and_b64 vcc, exec, s[0:1]
	s_cbranch_vccnz .LBB152_308
; %bb.307:
	v_lshl_add_u64 v[34:35], v[98:99], 3, v[130:131]
	flat_load_dwordx2 v[34:35], v[34:35]
	s_waitcnt vmcnt(0) lgkmcnt(0)
	v_mul_f64 v[34:35], v[34:35], s[70:71]
	s_branch .LBB152_309
.LBB152_308:
	v_mov_b64_e32 v[34:35], 0
.LBB152_309:
	v_add_f64 v[32:33], v[32:33], v[34:35]
	v_lshl_add_u64 v[34:35], v[98:99], 3, v[64:65]
	global_store_dwordx2 v[34:35], v[32:33], off
	s_or_b64 exec, exec, s[2:3]
	s_and_b64 s[4:5], s[24:25], s[38:39]
	s_and_saveexec_b64 s[2:3], s[4:5]
	s_cbranch_execz .LBB152_230
.LBB152_310:
	s_and_b64 vcc, exec, s[0:1]
	s_cbranch_vccnz .LBB152_312
; %bb.311:
	v_lshl_add_u64 v[32:33], v[96:97], 3, v[130:131]
	flat_load_dwordx2 v[32:33], v[32:33]
	s_waitcnt vmcnt(0) lgkmcnt(0)
	v_mul_f64 v[32:33], v[32:33], s[70:71]
	s_branch .LBB152_313
.LBB152_312:
	v_mov_b64_e32 v[32:33], 0
.LBB152_313:
	v_add_f64 v[30:31], v[30:31], v[32:33]
	v_lshl_add_u64 v[32:33], v[96:97], 3, v[64:65]
	global_store_dwordx2 v[32:33], v[30:31], off
	s_or_b64 exec, exec, s[2:3]
	s_and_b64 s[4:5], s[24:25], s[40:41]
	s_and_saveexec_b64 s[2:3], s[4:5]
	s_cbranch_execz .LBB152_231
.LBB152_314:
	s_and_b64 vcc, exec, s[0:1]
	s_cbranch_vccnz .LBB152_316
; %bb.315:
	v_lshl_add_u64 v[30:31], v[94:95], 3, v[130:131]
	flat_load_dwordx2 v[30:31], v[30:31]
	s_waitcnt vmcnt(0) lgkmcnt(0)
	v_mul_f64 v[30:31], v[30:31], s[70:71]
	s_branch .LBB152_317
.LBB152_316:
	v_mov_b64_e32 v[30:31], 0
.LBB152_317:
	v_add_f64 v[28:29], v[28:29], v[30:31]
	v_lshl_add_u64 v[30:31], v[94:95], 3, v[64:65]
	global_store_dwordx2 v[30:31], v[28:29], off
	s_or_b64 exec, exec, s[2:3]
	s_and_b64 s[4:5], s[24:25], s[42:43]
	s_and_saveexec_b64 s[2:3], s[4:5]
	s_cbranch_execz .LBB152_232
.LBB152_318:
	s_and_b64 vcc, exec, s[0:1]
	s_cbranch_vccnz .LBB152_320
; %bb.319:
	v_lshl_add_u64 v[28:29], v[92:93], 3, v[130:131]
	flat_load_dwordx2 v[28:29], v[28:29]
	s_waitcnt vmcnt(0) lgkmcnt(0)
	v_mul_f64 v[28:29], v[28:29], s[70:71]
	s_branch .LBB152_321
.LBB152_320:
	v_mov_b64_e32 v[28:29], 0
.LBB152_321:
	v_add_f64 v[26:27], v[26:27], v[28:29]
	v_lshl_add_u64 v[28:29], v[92:93], 3, v[64:65]
	global_store_dwordx2 v[28:29], v[26:27], off
	s_or_b64 exec, exec, s[2:3]
	s_and_b64 s[4:5], s[24:25], s[44:45]
	s_and_saveexec_b64 s[2:3], s[4:5]
	s_cbranch_execz .LBB152_233
.LBB152_322:
	s_and_b64 vcc, exec, s[0:1]
	s_cbranch_vccnz .LBB152_324
; %bb.323:
	v_lshl_add_u64 v[26:27], v[90:91], 3, v[130:131]
	flat_load_dwordx2 v[26:27], v[26:27]
	s_waitcnt vmcnt(0) lgkmcnt(0)
	v_mul_f64 v[26:27], v[26:27], s[70:71]
	s_branch .LBB152_325
.LBB152_324:
	v_mov_b64_e32 v[26:27], 0
.LBB152_325:
	v_add_f64 v[24:25], v[24:25], v[26:27]
	v_lshl_add_u64 v[26:27], v[90:91], 3, v[64:65]
	global_store_dwordx2 v[26:27], v[24:25], off
	s_or_b64 exec, exec, s[2:3]
	s_and_b64 s[4:5], s[24:25], s[46:47]
	s_and_saveexec_b64 s[2:3], s[4:5]
	s_cbranch_execz .LBB152_234
.LBB152_326:
	s_and_b64 vcc, exec, s[0:1]
	s_cbranch_vccnz .LBB152_328
; %bb.327:
	v_lshl_add_u64 v[24:25], v[88:89], 3, v[130:131]
	flat_load_dwordx2 v[24:25], v[24:25]
	s_waitcnt vmcnt(0) lgkmcnt(0)
	v_mul_f64 v[24:25], v[24:25], s[70:71]
	s_branch .LBB152_329
.LBB152_328:
	v_mov_b64_e32 v[24:25], 0
.LBB152_329:
	v_add_f64 v[22:23], v[22:23], v[24:25]
	v_lshl_add_u64 v[24:25], v[88:89], 3, v[64:65]
	global_store_dwordx2 v[24:25], v[22:23], off
	s_or_b64 exec, exec, s[2:3]
	s_and_b64 s[4:5], s[24:25], s[48:49]
	s_and_saveexec_b64 s[2:3], s[4:5]
	s_cbranch_execz .LBB152_235
.LBB152_330:
	s_and_b64 vcc, exec, s[0:1]
	s_cbranch_vccnz .LBB152_332
; %bb.331:
	v_lshl_add_u64 v[22:23], v[86:87], 3, v[130:131]
	flat_load_dwordx2 v[22:23], v[22:23]
	s_waitcnt vmcnt(0) lgkmcnt(0)
	v_mul_f64 v[22:23], v[22:23], s[70:71]
	s_branch .LBB152_333
.LBB152_332:
	v_mov_b64_e32 v[22:23], 0
.LBB152_333:
	v_add_f64 v[20:21], v[20:21], v[22:23]
	v_lshl_add_u64 v[22:23], v[86:87], 3, v[64:65]
	global_store_dwordx2 v[22:23], v[20:21], off
	s_or_b64 exec, exec, s[2:3]
	s_and_b64 s[4:5], s[24:25], s[50:51]
	s_and_saveexec_b64 s[2:3], s[4:5]
	s_cbranch_execz .LBB152_236
.LBB152_334:
	s_and_b64 vcc, exec, s[0:1]
	s_cbranch_vccnz .LBB152_336
; %bb.335:
	v_lshl_add_u64 v[20:21], v[84:85], 3, v[130:131]
	flat_load_dwordx2 v[20:21], v[20:21]
	s_waitcnt vmcnt(0) lgkmcnt(0)
	v_mul_f64 v[20:21], v[20:21], s[70:71]
	s_branch .LBB152_337
.LBB152_336:
	v_mov_b64_e32 v[20:21], 0
.LBB152_337:
	v_add_f64 v[18:19], v[18:19], v[20:21]
	v_lshl_add_u64 v[20:21], v[84:85], 3, v[64:65]
	global_store_dwordx2 v[20:21], v[18:19], off
	s_or_b64 exec, exec, s[2:3]
	s_and_b64 s[4:5], s[24:25], s[52:53]
	s_and_saveexec_b64 s[2:3], s[4:5]
	s_cbranch_execz .LBB152_237
.LBB152_338:
	s_and_b64 vcc, exec, s[0:1]
	s_cbranch_vccnz .LBB152_340
; %bb.339:
	v_lshl_add_u64 v[18:19], v[82:83], 3, v[130:131]
	flat_load_dwordx2 v[18:19], v[18:19]
	s_waitcnt vmcnt(0) lgkmcnt(0)
	v_mul_f64 v[18:19], v[18:19], s[70:71]
	s_branch .LBB152_341
.LBB152_340:
	v_mov_b64_e32 v[18:19], 0
.LBB152_341:
	v_add_f64 v[16:17], v[16:17], v[18:19]
	v_lshl_add_u64 v[18:19], v[82:83], 3, v[64:65]
	global_store_dwordx2 v[18:19], v[16:17], off
	s_or_b64 exec, exec, s[2:3]
	s_and_b64 s[4:5], s[24:25], s[54:55]
	s_and_saveexec_b64 s[2:3], s[4:5]
	s_cbranch_execz .LBB152_238
.LBB152_342:
	s_and_b64 vcc, exec, s[0:1]
	s_cbranch_vccnz .LBB152_344
; %bb.343:
	v_lshl_add_u64 v[16:17], v[80:81], 3, v[130:131]
	flat_load_dwordx2 v[16:17], v[16:17]
	s_waitcnt vmcnt(0) lgkmcnt(0)
	v_mul_f64 v[16:17], v[16:17], s[70:71]
	s_branch .LBB152_345
.LBB152_344:
	v_mov_b64_e32 v[16:17], 0
.LBB152_345:
	v_add_f64 v[14:15], v[14:15], v[16:17]
	v_lshl_add_u64 v[16:17], v[80:81], 3, v[64:65]
	global_store_dwordx2 v[16:17], v[14:15], off
	s_or_b64 exec, exec, s[2:3]
	s_and_b64 s[4:5], s[24:25], s[56:57]
	s_and_saveexec_b64 s[2:3], s[4:5]
	s_cbranch_execz .LBB152_239
.LBB152_346:
	s_and_b64 vcc, exec, s[0:1]
	s_cbranch_vccnz .LBB152_348
; %bb.347:
	v_lshl_add_u64 v[14:15], v[78:79], 3, v[130:131]
	flat_load_dwordx2 v[14:15], v[14:15]
	s_waitcnt vmcnt(0) lgkmcnt(0)
	v_mul_f64 v[14:15], v[14:15], s[70:71]
	s_branch .LBB152_349
.LBB152_348:
	v_mov_b64_e32 v[14:15], 0
.LBB152_349:
	v_add_f64 v[12:13], v[12:13], v[14:15]
	v_lshl_add_u64 v[14:15], v[78:79], 3, v[64:65]
	global_store_dwordx2 v[14:15], v[12:13], off
	s_or_b64 exec, exec, s[2:3]
	s_and_b64 s[4:5], s[24:25], s[58:59]
	s_and_saveexec_b64 s[2:3], s[4:5]
	s_cbranch_execz .LBB152_240
.LBB152_350:
	s_and_b64 vcc, exec, s[0:1]
	s_cbranch_vccnz .LBB152_352
; %bb.351:
	v_lshl_add_u64 v[12:13], v[76:77], 3, v[130:131]
	flat_load_dwordx2 v[12:13], v[12:13]
	s_waitcnt vmcnt(0) lgkmcnt(0)
	v_mul_f64 v[12:13], v[12:13], s[70:71]
	s_branch .LBB152_353
.LBB152_352:
	v_mov_b64_e32 v[12:13], 0
.LBB152_353:
	v_add_f64 v[10:11], v[10:11], v[12:13]
	v_lshl_add_u64 v[12:13], v[76:77], 3, v[64:65]
	global_store_dwordx2 v[12:13], v[10:11], off
	s_or_b64 exec, exec, s[2:3]
	s_and_b64 s[4:5], s[24:25], s[60:61]
	s_and_saveexec_b64 s[2:3], s[4:5]
	s_cbranch_execz .LBB152_241
.LBB152_354:
	s_and_b64 vcc, exec, s[0:1]
	s_cbranch_vccnz .LBB152_356
; %bb.355:
	v_lshl_add_u64 v[10:11], v[74:75], 3, v[130:131]
	flat_load_dwordx2 v[10:11], v[10:11]
	s_waitcnt vmcnt(0) lgkmcnt(0)
	v_mul_f64 v[10:11], v[10:11], s[70:71]
	s_branch .LBB152_357
.LBB152_356:
	v_mov_b64_e32 v[10:11], 0
.LBB152_357:
	v_add_f64 v[8:9], v[8:9], v[10:11]
	v_lshl_add_u64 v[10:11], v[74:75], 3, v[64:65]
	global_store_dwordx2 v[10:11], v[8:9], off
	s_or_b64 exec, exec, s[2:3]
	s_and_b64 s[4:5], s[24:25], s[62:63]
	s_and_saveexec_b64 s[2:3], s[4:5]
	s_cbranch_execz .LBB152_242
.LBB152_358:
	s_and_b64 vcc, exec, s[0:1]
	s_cbranch_vccnz .LBB152_360
; %bb.359:
	v_lshl_add_u64 v[8:9], v[72:73], 3, v[130:131]
	flat_load_dwordx2 v[8:9], v[8:9]
	s_waitcnt vmcnt(0) lgkmcnt(0)
	v_mul_f64 v[8:9], v[8:9], s[70:71]
	s_branch .LBB152_361
.LBB152_360:
	v_mov_b64_e32 v[8:9], 0
.LBB152_361:
	v_add_f64 v[6:7], v[6:7], v[8:9]
	v_lshl_add_u64 v[8:9], v[72:73], 3, v[64:65]
	global_store_dwordx2 v[8:9], v[6:7], off
	s_or_b64 exec, exec, s[2:3]
	s_and_b64 s[4:5], s[24:25], s[64:65]
	s_and_saveexec_b64 s[2:3], s[4:5]
	s_cbranch_execz .LBB152_243
.LBB152_362:
	s_and_b64 vcc, exec, s[0:1]
	s_cbranch_vccnz .LBB152_364
; %bb.363:
	v_lshl_add_u64 v[6:7], v[70:71], 3, v[130:131]
	flat_load_dwordx2 v[6:7], v[6:7]
	s_waitcnt vmcnt(0) lgkmcnt(0)
	v_mul_f64 v[6:7], v[6:7], s[70:71]
	s_branch .LBB152_365
.LBB152_364:
	v_mov_b64_e32 v[6:7], 0
.LBB152_365:
	v_add_f64 v[4:5], v[4:5], v[6:7]
	v_lshl_add_u64 v[6:7], v[70:71], 3, v[64:65]
	global_store_dwordx2 v[6:7], v[4:5], off
	s_or_b64 exec, exec, s[2:3]
	s_and_b64 s[4:5], s[24:25], s[66:67]
	s_and_saveexec_b64 s[2:3], s[4:5]
	s_cbranch_execz .LBB152_244
.LBB152_366:
	s_and_b64 vcc, exec, s[0:1]
	s_cbranch_vccnz .LBB152_368
; %bb.367:
	v_lshl_add_u64 v[4:5], v[68:69], 3, v[130:131]
	flat_load_dwordx2 v[4:5], v[4:5]
	s_waitcnt vmcnt(0) lgkmcnt(0)
	v_mul_f64 v[4:5], v[4:5], s[70:71]
	s_branch .LBB152_369
.LBB152_368:
	v_mov_b64_e32 v[4:5], 0
.LBB152_369:
	v_add_f64 v[2:3], v[2:3], v[4:5]
	v_lshl_add_u64 v[4:5], v[68:69], 3, v[64:65]
	global_store_dwordx2 v[4:5], v[2:3], off
	s_or_b64 exec, exec, s[2:3]
	s_and_b64 s[2:3], s[24:25], s[68:69]
	s_and_saveexec_b64 s[4:5], s[2:3]
	s_cbranch_execz .LBB152_245
.LBB152_370:
	s_and_b64 vcc, exec, s[0:1]
	s_cbranch_vccnz .LBB152_372
; %bb.371:
	v_lshl_add_u64 v[2:3], v[66:67], 3, v[130:131]
	flat_load_dwordx2 v[2:3], v[2:3]
	s_waitcnt vmcnt(0) lgkmcnt(0)
	v_mul_f64 v[2:3], v[2:3], s[70:71]
	v_add_f64 v[0:1], v[0:1], v[2:3]
	v_lshl_add_u64 v[2:3], v[66:67], 3, v[64:65]
	global_store_dwordx2 v[2:3], v[0:1], off
	s_endpgm
.LBB152_372:
	v_mov_b64_e32 v[2:3], 0
	v_add_f64 v[0:1], v[0:1], v[2:3]
	v_lshl_add_u64 v[2:3], v[66:67], 3, v[64:65]
	global_store_dwordx2 v[2:3], v[0:1], off
	s_endpgm
	.section	.rodata,"a",@progbits
	.p2align	6, 0x0
	.amdhsa_kernel _ZN12_GLOBAL__N_120geam_min_plus_kernelIdddLi4ELi64ELi128ELi128ELi4ELi4ELi64ELi64ELi4ELc84ELc84ELb0ELb1ELb0EdKPKdKPdEEviiiT16_PT17_ilS8_ilS6_S8_ilPT18_ili26rocblas_geam_ex_operation_
		.amdhsa_group_segment_fixed_size 16384
		.amdhsa_private_segment_fixed_size 0
		.amdhsa_kernarg_size 136
		.amdhsa_user_sgpr_count 2
		.amdhsa_user_sgpr_dispatch_ptr 0
		.amdhsa_user_sgpr_queue_ptr 0
		.amdhsa_user_sgpr_kernarg_segment_ptr 1
		.amdhsa_user_sgpr_dispatch_id 0
		.amdhsa_user_sgpr_kernarg_preload_length 0
		.amdhsa_user_sgpr_kernarg_preload_offset 0
		.amdhsa_user_sgpr_private_segment_size 0
		.amdhsa_uses_dynamic_stack 0
		.amdhsa_enable_private_segment 0
		.amdhsa_system_sgpr_workgroup_id_x 1
		.amdhsa_system_sgpr_workgroup_id_y 0
		.amdhsa_system_sgpr_workgroup_id_z 1
		.amdhsa_system_sgpr_workgroup_info 0
		.amdhsa_system_vgpr_workitem_id 1
		.amdhsa_next_free_vgpr 254
		.amdhsa_next_free_sgpr 82
		.amdhsa_accum_offset 256
		.amdhsa_reserve_vcc 1
		.amdhsa_float_round_mode_32 0
		.amdhsa_float_round_mode_16_64 0
		.amdhsa_float_denorm_mode_32 3
		.amdhsa_float_denorm_mode_16_64 3
		.amdhsa_dx10_clamp 1
		.amdhsa_ieee_mode 1
		.amdhsa_fp16_overflow 0
		.amdhsa_tg_split 0
		.amdhsa_exception_fp_ieee_invalid_op 0
		.amdhsa_exception_fp_denorm_src 0
		.amdhsa_exception_fp_ieee_div_zero 0
		.amdhsa_exception_fp_ieee_overflow 0
		.amdhsa_exception_fp_ieee_underflow 0
		.amdhsa_exception_fp_ieee_inexact 0
		.amdhsa_exception_int_div_zero 0
	.end_amdhsa_kernel
	.section	.text._ZN12_GLOBAL__N_120geam_min_plus_kernelIdddLi4ELi64ELi128ELi128ELi4ELi4ELi64ELi64ELi4ELc84ELc84ELb0ELb1ELb0EdKPKdKPdEEviiiT16_PT17_ilS8_ilS6_S8_ilPT18_ili26rocblas_geam_ex_operation_,"axG",@progbits,_ZN12_GLOBAL__N_120geam_min_plus_kernelIdddLi4ELi64ELi128ELi128ELi4ELi4ELi64ELi64ELi4ELc84ELc84ELb0ELb1ELb0EdKPKdKPdEEviiiT16_PT17_ilS8_ilS6_S8_ilPT18_ili26rocblas_geam_ex_operation_,comdat
.Lfunc_end152:
	.size	_ZN12_GLOBAL__N_120geam_min_plus_kernelIdddLi4ELi64ELi128ELi128ELi4ELi4ELi64ELi64ELi4ELc84ELc84ELb0ELb1ELb0EdKPKdKPdEEviiiT16_PT17_ilS8_ilS6_S8_ilPT18_ili26rocblas_geam_ex_operation_, .Lfunc_end152-_ZN12_GLOBAL__N_120geam_min_plus_kernelIdddLi4ELi64ELi128ELi128ELi4ELi4ELi64ELi64ELi4ELc84ELc84ELb0ELb1ELb0EdKPKdKPdEEviiiT16_PT17_ilS8_ilS6_S8_ilPT18_ili26rocblas_geam_ex_operation_
                                        ; -- End function
	.section	.AMDGPU.csdata,"",@progbits
; Kernel info:
; codeLenInByte = 14768
; NumSgprs: 88
; NumVgprs: 254
; NumAgprs: 0
; TotalNumVgprs: 254
; ScratchSize: 0
; MemoryBound: 0
; FloatMode: 240
; IeeeMode: 1
; LDSByteSize: 16384 bytes/workgroup (compile time only)
; SGPRBlocks: 10
; VGPRBlocks: 31
; NumSGPRsForWavesPerEU: 88
; NumVGPRsForWavesPerEU: 254
; AccumOffset: 256
; Occupancy: 2
; WaveLimiterHint : 1
; COMPUTE_PGM_RSRC2:SCRATCH_EN: 0
; COMPUTE_PGM_RSRC2:USER_SGPR: 2
; COMPUTE_PGM_RSRC2:TRAP_HANDLER: 0
; COMPUTE_PGM_RSRC2:TGID_X_EN: 1
; COMPUTE_PGM_RSRC2:TGID_Y_EN: 0
; COMPUTE_PGM_RSRC2:TGID_Z_EN: 1
; COMPUTE_PGM_RSRC2:TIDIG_COMP_CNT: 1
; COMPUTE_PGM_RSRC3_GFX90A:ACCUM_OFFSET: 63
; COMPUTE_PGM_RSRC3_GFX90A:TG_SPLIT: 0
	.section	.text._ZN12_GLOBAL__N_120geam_ex_scale_kernelILi32ELi32EddPKdPdEEviiT2_T3_lilT4_lil,"axG",@progbits,_ZN12_GLOBAL__N_120geam_ex_scale_kernelILi32ELi32EddPKdPdEEviiT2_T3_lilT4_lil,comdat
	.globl	_ZN12_GLOBAL__N_120geam_ex_scale_kernelILi32ELi32EddPKdPdEEviiT2_T3_lilT4_lil ; -- Begin function _ZN12_GLOBAL__N_120geam_ex_scale_kernelILi32ELi32EddPKdPdEEviiT2_T3_lilT4_lil
	.p2align	8
	.type	_ZN12_GLOBAL__N_120geam_ex_scale_kernelILi32ELi32EddPKdPdEEviiT2_T3_lilT4_lil,@function
_ZN12_GLOBAL__N_120geam_ex_scale_kernelILi32ELi32EddPKdPdEEviiT2_T3_lilT4_lil: ; @_ZN12_GLOBAL__N_120geam_ex_scale_kernelILi32ELi32EddPKdPdEEviiT2_T3_lilT4_lil
; %bb.0:
	s_load_dwordx4 s[8:11], s[0:1], 0x8
	s_load_dwordx4 s[4:7], s[0:1], 0x28
	s_load_dwordx2 s[12:13], s[0:1], 0x38
	s_mov_b64 s[14:15], 0
	s_waitcnt lgkmcnt(0)
	v_cmp_eq_f64_e64 s[16:17], s[8:9], 0
	s_and_b64 vcc, exec, s[16:17]
	s_cbranch_vccnz .LBB153_2
; %bb.1:
	s_load_dwordx2 s[14:15], s[0:1], 0x18
	s_mul_i32 s5, s3, s5
	s_mul_hi_u32 s18, s3, s4
	s_add_i32 s5, s18, s5
	s_mul_i32 s4, s3, s4
	s_lshl_b64 s[4:5], s[4:5], 3
	s_add_u32 s10, s10, s4
	s_addc_u32 s11, s11, s5
	s_waitcnt lgkmcnt(0)
	s_lshl_b64 s[4:5], s[14:15], 3
	s_add_u32 s14, s10, s4
	s_addc_u32 s15, s11, s5
.LBB153_2:
	s_load_dwordx2 s[4:5], s[0:1], 0x0
	v_and_b32_e32 v2, 0x3ff, v0
	v_bfe_u32 v0, v0, 10, 10
	s_waitcnt lgkmcnt(0)
	s_add_i32 s10, s4, -1
	s_ashr_i32 s11, s10, 31
	s_lshr_b32 s11, s11, 27
	s_add_i32 s10, s10, s11
	s_ashr_i32 s10, s10, 5
	s_add_i32 s11, s10, 1
	v_cvt_f32_u32_e32 v1, s11
	s_not_b32 s10, s10
	v_rcp_iflag_f32_e32 v1, v1
	s_nop 0
	v_mul_f32_e32 v1, 0x4f7ffffe, v1
	v_cvt_u32_f32_e32 v1, v1
	s_nop 0
	v_readfirstlane_b32 s18, v1
	s_mul_i32 s10, s10, s18
	s_mul_hi_u32 s10, s18, s10
	s_add_i32 s18, s18, s10
	s_mul_hi_u32 s10, s2, s18
	s_mul_i32 s18, s10, s11
	s_sub_i32 s18, s2, s18
	s_add_i32 s19, s10, 1
	s_sub_i32 s20, s18, s11
	s_cmp_ge_u32 s18, s11
	s_cselect_b32 s10, s19, s10
	s_cselect_b32 s18, s20, s18
	s_add_i32 s19, s10, 1
	s_cmp_ge_u32 s18, s11
	s_cselect_b32 s10, s19, s10
	s_mul_i32 s11, s10, s11
	s_sub_i32 s2, s2, s11
	v_lshl_add_u32 v4, s10, 5, v0
	v_lshl_add_u32 v0, s2, 5, v2
	v_cmp_gt_u32_e32 vcc, s4, v0
	v_cmp_gt_u32_e64 s[4:5], s5, v4
	s_and_b64 s[4:5], vcc, s[4:5]
	s_and_saveexec_b64 s[10:11], s[4:5]
	s_cbranch_execz .LBB153_8
; %bb.3:
	s_andn2_b64 vcc, exec, s[16:17]
	v_mov_b32_e32 v1, 0
	s_cbranch_vccnz .LBB153_5
; %bb.4:
	s_mov_b64 s[10:11], 0
	v_mov_b64_e32 v[2:3], s[10:11]
	s_cbranch_execz .LBB153_6
	s_branch .LBB153_7
.LBB153_5:
                                        ; implicit-def: $sgpr10_sgpr11
	v_mov_b64_e32 v[2:3], s[10:11]
.LBB153_6:
	s_load_dword s2, s[0:1], 0x20
	v_mov_b32_e32 v1, 0
	s_waitcnt lgkmcnt(0)
	v_mad_u64_u32 v[2:3], s[4:5], v4, s2, v[0:1]
	s_ashr_i32 s10, s2, 31
	v_mov_b32_e32 v6, v3
	v_mad_u64_u32 v[6:7], s[4:5], v4, s10, v[6:7]
	v_mov_b32_e32 v3, v6
	v_lshl_add_u64 v[2:3], v[2:3], 3, s[14:15]
	flat_load_dwordx2 v[2:3], v[2:3]
	s_waitcnt vmcnt(0) lgkmcnt(0)
	v_mul_f64 v[2:3], v[2:3], s[8:9]
.LBB153_7:
	s_load_dwordx2 s[4:5], s[0:1], 0x48
	s_load_dword s2, s[0:1], 0x40
	s_waitcnt lgkmcnt(0)
	s_mul_i32 s1, s3, s5
	s_mul_hi_u32 s5, s3, s4
	s_mul_i32 s0, s3, s4
	s_add_i32 s1, s5, s1
	s_lshl_b64 s[0:1], s[0:1], 3
	s_add_u32 s3, s6, s0
	s_addc_u32 s4, s7, s1
	s_lshl_b64 s[0:1], s[12:13], 3
	s_add_u32 s0, s3, s0
	s_addc_u32 s1, s4, s1
	s_ashr_i32 s4, s2, 31
	v_mad_u64_u32 v[6:7], s[2:3], v4, s2, 0
	v_mov_b32_e32 v8, v7
	v_mad_u64_u32 v[4:5], s[2:3], v4, s4, v[8:9]
	v_mov_b32_e32 v7, v4
	v_lshl_add_u64 v[4:5], v[6:7], 3, s[0:1]
	v_lshl_add_u64 v[0:1], v[0:1], 3, v[4:5]
	global_store_dwordx2 v[0:1], v[2:3], off
.LBB153_8:
	s_endpgm
	.section	.rodata,"a",@progbits
	.p2align	6, 0x0
	.amdhsa_kernel _ZN12_GLOBAL__N_120geam_ex_scale_kernelILi32ELi32EddPKdPdEEviiT2_T3_lilT4_lil
		.amdhsa_group_segment_fixed_size 0
		.amdhsa_private_segment_fixed_size 0
		.amdhsa_kernarg_size 80
		.amdhsa_user_sgpr_count 2
		.amdhsa_user_sgpr_dispatch_ptr 0
		.amdhsa_user_sgpr_queue_ptr 0
		.amdhsa_user_sgpr_kernarg_segment_ptr 1
		.amdhsa_user_sgpr_dispatch_id 0
		.amdhsa_user_sgpr_kernarg_preload_length 0
		.amdhsa_user_sgpr_kernarg_preload_offset 0
		.amdhsa_user_sgpr_private_segment_size 0
		.amdhsa_uses_dynamic_stack 0
		.amdhsa_enable_private_segment 0
		.amdhsa_system_sgpr_workgroup_id_x 1
		.amdhsa_system_sgpr_workgroup_id_y 0
		.amdhsa_system_sgpr_workgroup_id_z 1
		.amdhsa_system_sgpr_workgroup_info 0
		.amdhsa_system_vgpr_workitem_id 1
		.amdhsa_next_free_vgpr 10
		.amdhsa_next_free_sgpr 21
		.amdhsa_accum_offset 12
		.amdhsa_reserve_vcc 1
		.amdhsa_float_round_mode_32 0
		.amdhsa_float_round_mode_16_64 0
		.amdhsa_float_denorm_mode_32 3
		.amdhsa_float_denorm_mode_16_64 3
		.amdhsa_dx10_clamp 1
		.amdhsa_ieee_mode 1
		.amdhsa_fp16_overflow 0
		.amdhsa_tg_split 0
		.amdhsa_exception_fp_ieee_invalid_op 0
		.amdhsa_exception_fp_denorm_src 0
		.amdhsa_exception_fp_ieee_div_zero 0
		.amdhsa_exception_fp_ieee_overflow 0
		.amdhsa_exception_fp_ieee_underflow 0
		.amdhsa_exception_fp_ieee_inexact 0
		.amdhsa_exception_int_div_zero 0
	.end_amdhsa_kernel
	.section	.text._ZN12_GLOBAL__N_120geam_ex_scale_kernelILi32ELi32EddPKdPdEEviiT2_T3_lilT4_lil,"axG",@progbits,_ZN12_GLOBAL__N_120geam_ex_scale_kernelILi32ELi32EddPKdPdEEviiT2_T3_lilT4_lil,comdat
.Lfunc_end153:
	.size	_ZN12_GLOBAL__N_120geam_ex_scale_kernelILi32ELi32EddPKdPdEEviiT2_T3_lilT4_lil, .Lfunc_end153-_ZN12_GLOBAL__N_120geam_ex_scale_kernelILi32ELi32EddPKdPdEEviiT2_T3_lilT4_lil
                                        ; -- End function
	.section	.AMDGPU.csdata,"",@progbits
; Kernel info:
; codeLenInByte = 512
; NumSgprs: 27
; NumVgprs: 10
; NumAgprs: 0
; TotalNumVgprs: 10
; ScratchSize: 0
; MemoryBound: 0
; FloatMode: 240
; IeeeMode: 1
; LDSByteSize: 0 bytes/workgroup (compile time only)
; SGPRBlocks: 3
; VGPRBlocks: 1
; NumSGPRsForWavesPerEU: 27
; NumVGPRsForWavesPerEU: 10
; AccumOffset: 12
; Occupancy: 8
; WaveLimiterHint : 0
; COMPUTE_PGM_RSRC2:SCRATCH_EN: 0
; COMPUTE_PGM_RSRC2:USER_SGPR: 2
; COMPUTE_PGM_RSRC2:TRAP_HANDLER: 0
; COMPUTE_PGM_RSRC2:TGID_X_EN: 1
; COMPUTE_PGM_RSRC2:TGID_Y_EN: 0
; COMPUTE_PGM_RSRC2:TGID_Z_EN: 1
; COMPUTE_PGM_RSRC2:TIDIG_COMP_CNT: 1
; COMPUTE_PGM_RSRC3_GFX90A:ACCUM_OFFSET: 2
; COMPUTE_PGM_RSRC3_GFX90A:TG_SPLIT: 0
	.section	.text._ZN12_GLOBAL__N_120geam_ex_scale_kernelILi32ELi32EdPKdS2_PdEEviiT2_T3_lilT4_lil,"axG",@progbits,_ZN12_GLOBAL__N_120geam_ex_scale_kernelILi32ELi32EdPKdS2_PdEEviiT2_T3_lilT4_lil,comdat
	.globl	_ZN12_GLOBAL__N_120geam_ex_scale_kernelILi32ELi32EdPKdS2_PdEEviiT2_T3_lilT4_lil ; -- Begin function _ZN12_GLOBAL__N_120geam_ex_scale_kernelILi32ELi32EdPKdS2_PdEEviiT2_T3_lilT4_lil
	.p2align	8
	.type	_ZN12_GLOBAL__N_120geam_ex_scale_kernelILi32ELi32EdPKdS2_PdEEviiT2_T3_lilT4_lil,@function
_ZN12_GLOBAL__N_120geam_ex_scale_kernelILi32ELi32EdPKdS2_PdEEviiT2_T3_lilT4_lil: ; @_ZN12_GLOBAL__N_120geam_ex_scale_kernelILi32ELi32EdPKdS2_PdEEviiT2_T3_lilT4_lil
; %bb.0:
	s_load_dwordx4 s[8:11], s[0:1], 0x8
	s_load_dwordx4 s[4:7], s[0:1], 0x28
	s_waitcnt lgkmcnt(0)
	s_load_dwordx2 s[14:15], s[8:9], 0x0
	s_load_dwordx2 s[12:13], s[0:1], 0x38
	s_mov_b64 s[8:9], 0
	s_waitcnt lgkmcnt(0)
	v_cmp_eq_f64_e64 s[16:17], s[14:15], 0
	s_and_b64 vcc, exec, s[16:17]
	s_cbranch_vccnz .LBB154_2
; %bb.1:
	s_load_dwordx2 s[8:9], s[0:1], 0x18
	s_mul_i32 s5, s3, s5
	s_mul_hi_u32 s18, s3, s4
	s_add_i32 s5, s18, s5
	s_mul_i32 s4, s3, s4
	s_lshl_b64 s[4:5], s[4:5], 3
	s_add_u32 s10, s10, s4
	s_addc_u32 s11, s11, s5
	s_waitcnt lgkmcnt(0)
	s_lshl_b64 s[4:5], s[8:9], 3
	s_add_u32 s8, s10, s4
	s_addc_u32 s9, s11, s5
.LBB154_2:
	s_load_dwordx2 s[4:5], s[0:1], 0x0
	v_and_b32_e32 v2, 0x3ff, v0
	v_bfe_u32 v0, v0, 10, 10
	s_waitcnt lgkmcnt(0)
	s_add_i32 s10, s4, -1
	s_ashr_i32 s11, s10, 31
	s_lshr_b32 s11, s11, 27
	s_add_i32 s10, s10, s11
	s_ashr_i32 s10, s10, 5
	s_add_i32 s11, s10, 1
	v_cvt_f32_u32_e32 v1, s11
	s_not_b32 s10, s10
	v_rcp_iflag_f32_e32 v1, v1
	s_nop 0
	v_mul_f32_e32 v1, 0x4f7ffffe, v1
	v_cvt_u32_f32_e32 v1, v1
	s_nop 0
	v_readfirstlane_b32 s18, v1
	s_mul_i32 s10, s10, s18
	s_mul_hi_u32 s10, s18, s10
	s_add_i32 s18, s18, s10
	s_mul_hi_u32 s10, s2, s18
	s_mul_i32 s18, s10, s11
	s_sub_i32 s18, s2, s18
	s_add_i32 s19, s10, 1
	s_sub_i32 s20, s18, s11
	s_cmp_ge_u32 s18, s11
	s_cselect_b32 s10, s19, s10
	s_cselect_b32 s18, s20, s18
	s_add_i32 s19, s10, 1
	s_cmp_ge_u32 s18, s11
	s_cselect_b32 s10, s19, s10
	s_mul_i32 s11, s10, s11
	s_sub_i32 s2, s2, s11
	v_lshl_add_u32 v4, s10, 5, v0
	v_lshl_add_u32 v0, s2, 5, v2
	v_cmp_gt_u32_e32 vcc, s4, v0
	v_cmp_gt_u32_e64 s[4:5], s5, v4
	s_and_b64 s[4:5], vcc, s[4:5]
	s_and_saveexec_b64 s[10:11], s[4:5]
	s_cbranch_execz .LBB154_8
; %bb.3:
	s_andn2_b64 vcc, exec, s[16:17]
	v_mov_b32_e32 v1, 0
	s_cbranch_vccnz .LBB154_5
; %bb.4:
	s_mov_b64 s[10:11], 0
	v_mov_b64_e32 v[2:3], s[10:11]
	s_cbranch_execz .LBB154_6
	s_branch .LBB154_7
.LBB154_5:
                                        ; implicit-def: $sgpr10_sgpr11
	v_mov_b64_e32 v[2:3], s[10:11]
.LBB154_6:
	s_load_dword s2, s[0:1], 0x20
	v_mov_b32_e32 v1, 0
	s_waitcnt lgkmcnt(0)
	v_mad_u64_u32 v[2:3], s[4:5], v4, s2, v[0:1]
	s_ashr_i32 s10, s2, 31
	v_mov_b32_e32 v6, v3
	v_mad_u64_u32 v[6:7], s[4:5], v4, s10, v[6:7]
	v_mov_b32_e32 v3, v6
	v_lshl_add_u64 v[2:3], v[2:3], 3, s[8:9]
	flat_load_dwordx2 v[2:3], v[2:3]
	s_waitcnt vmcnt(0) lgkmcnt(0)
	v_mul_f64 v[2:3], s[14:15], v[2:3]
.LBB154_7:
	s_load_dwordx2 s[4:5], s[0:1], 0x48
	s_load_dword s2, s[0:1], 0x40
	s_waitcnt lgkmcnt(0)
	s_mul_i32 s1, s3, s5
	s_mul_hi_u32 s5, s3, s4
	s_mul_i32 s0, s3, s4
	s_add_i32 s1, s5, s1
	s_lshl_b64 s[0:1], s[0:1], 3
	s_add_u32 s3, s6, s0
	s_addc_u32 s4, s7, s1
	s_lshl_b64 s[0:1], s[12:13], 3
	s_add_u32 s0, s3, s0
	s_addc_u32 s1, s4, s1
	s_ashr_i32 s4, s2, 31
	v_mad_u64_u32 v[6:7], s[2:3], v4, s2, 0
	v_mov_b32_e32 v8, v7
	v_mad_u64_u32 v[4:5], s[2:3], v4, s4, v[8:9]
	v_mov_b32_e32 v7, v4
	v_lshl_add_u64 v[4:5], v[6:7], 3, s[0:1]
	v_lshl_add_u64 v[0:1], v[0:1], 3, v[4:5]
	global_store_dwordx2 v[0:1], v[2:3], off
.LBB154_8:
	s_endpgm
	.section	.rodata,"a",@progbits
	.p2align	6, 0x0
	.amdhsa_kernel _ZN12_GLOBAL__N_120geam_ex_scale_kernelILi32ELi32EdPKdS2_PdEEviiT2_T3_lilT4_lil
		.amdhsa_group_segment_fixed_size 0
		.amdhsa_private_segment_fixed_size 0
		.amdhsa_kernarg_size 80
		.amdhsa_user_sgpr_count 2
		.amdhsa_user_sgpr_dispatch_ptr 0
		.amdhsa_user_sgpr_queue_ptr 0
		.amdhsa_user_sgpr_kernarg_segment_ptr 1
		.amdhsa_user_sgpr_dispatch_id 0
		.amdhsa_user_sgpr_kernarg_preload_length 0
		.amdhsa_user_sgpr_kernarg_preload_offset 0
		.amdhsa_user_sgpr_private_segment_size 0
		.amdhsa_uses_dynamic_stack 0
		.amdhsa_enable_private_segment 0
		.amdhsa_system_sgpr_workgroup_id_x 1
		.amdhsa_system_sgpr_workgroup_id_y 0
		.amdhsa_system_sgpr_workgroup_id_z 1
		.amdhsa_system_sgpr_workgroup_info 0
		.amdhsa_system_vgpr_workitem_id 1
		.amdhsa_next_free_vgpr 10
		.amdhsa_next_free_sgpr 21
		.amdhsa_accum_offset 12
		.amdhsa_reserve_vcc 1
		.amdhsa_float_round_mode_32 0
		.amdhsa_float_round_mode_16_64 0
		.amdhsa_float_denorm_mode_32 3
		.amdhsa_float_denorm_mode_16_64 3
		.amdhsa_dx10_clamp 1
		.amdhsa_ieee_mode 1
		.amdhsa_fp16_overflow 0
		.amdhsa_tg_split 0
		.amdhsa_exception_fp_ieee_invalid_op 0
		.amdhsa_exception_fp_denorm_src 0
		.amdhsa_exception_fp_ieee_div_zero 0
		.amdhsa_exception_fp_ieee_overflow 0
		.amdhsa_exception_fp_ieee_underflow 0
		.amdhsa_exception_fp_ieee_inexact 0
		.amdhsa_exception_int_div_zero 0
	.end_amdhsa_kernel
	.section	.text._ZN12_GLOBAL__N_120geam_ex_scale_kernelILi32ELi32EdPKdS2_PdEEviiT2_T3_lilT4_lil,"axG",@progbits,_ZN12_GLOBAL__N_120geam_ex_scale_kernelILi32ELi32EdPKdS2_PdEEviiT2_T3_lilT4_lil,comdat
.Lfunc_end154:
	.size	_ZN12_GLOBAL__N_120geam_ex_scale_kernelILi32ELi32EdPKdS2_PdEEviiT2_T3_lilT4_lil, .Lfunc_end154-_ZN12_GLOBAL__N_120geam_ex_scale_kernelILi32ELi32EdPKdS2_PdEEviiT2_T3_lilT4_lil
                                        ; -- End function
	.section	.AMDGPU.csdata,"",@progbits
; Kernel info:
; codeLenInByte = 524
; NumSgprs: 27
; NumVgprs: 10
; NumAgprs: 0
; TotalNumVgprs: 10
; ScratchSize: 0
; MemoryBound: 0
; FloatMode: 240
; IeeeMode: 1
; LDSByteSize: 0 bytes/workgroup (compile time only)
; SGPRBlocks: 3
; VGPRBlocks: 1
; NumSGPRsForWavesPerEU: 27
; NumVGPRsForWavesPerEU: 10
; AccumOffset: 12
; Occupancy: 8
; WaveLimiterHint : 0
; COMPUTE_PGM_RSRC2:SCRATCH_EN: 0
; COMPUTE_PGM_RSRC2:USER_SGPR: 2
; COMPUTE_PGM_RSRC2:TRAP_HANDLER: 0
; COMPUTE_PGM_RSRC2:TGID_X_EN: 1
; COMPUTE_PGM_RSRC2:TGID_Y_EN: 0
; COMPUTE_PGM_RSRC2:TGID_Z_EN: 1
; COMPUTE_PGM_RSRC2:TIDIG_COMP_CNT: 1
; COMPUTE_PGM_RSRC3_GFX90A:ACCUM_OFFSET: 2
; COMPUTE_PGM_RSRC3_GFX90A:TG_SPLIT: 0
	.section	.text._ZN12_GLOBAL__N_120geam_ex_round_kernelILi32ELi32EddPKdPdEEviiT2_T3_lilT4_lil,"axG",@progbits,_ZN12_GLOBAL__N_120geam_ex_round_kernelILi32ELi32EddPKdPdEEviiT2_T3_lilT4_lil,comdat
	.globl	_ZN12_GLOBAL__N_120geam_ex_round_kernelILi32ELi32EddPKdPdEEviiT2_T3_lilT4_lil ; -- Begin function _ZN12_GLOBAL__N_120geam_ex_round_kernelILi32ELi32EddPKdPdEEviiT2_T3_lilT4_lil
	.p2align	8
	.type	_ZN12_GLOBAL__N_120geam_ex_round_kernelILi32ELi32EddPKdPdEEviiT2_T3_lilT4_lil,@function
_ZN12_GLOBAL__N_120geam_ex_round_kernelILi32ELi32EddPKdPdEEviiT2_T3_lilT4_lil: ; @_ZN12_GLOBAL__N_120geam_ex_round_kernelILi32ELi32EddPKdPdEEviiT2_T3_lilT4_lil
; %bb.0:
	s_load_dwordx4 s[8:11], s[0:1], 0x8
	s_load_dwordx4 s[4:7], s[0:1], 0x28
	s_load_dwordx2 s[12:13], s[0:1], 0x38
	s_mov_b64 s[14:15], 0
	s_waitcnt lgkmcnt(0)
	v_cmp_eq_f64_e64 s[16:17], s[8:9], 0
	s_and_b64 vcc, exec, s[16:17]
	s_cbranch_vccnz .LBB155_2
; %bb.1:
	s_load_dwordx2 s[14:15], s[0:1], 0x18
	s_mul_i32 s5, s3, s5
	s_mul_hi_u32 s18, s3, s4
	s_add_i32 s5, s18, s5
	s_mul_i32 s4, s3, s4
	s_lshl_b64 s[4:5], s[4:5], 3
	s_add_u32 s10, s10, s4
	s_addc_u32 s11, s11, s5
	s_waitcnt lgkmcnt(0)
	s_lshl_b64 s[4:5], s[14:15], 3
	s_add_u32 s14, s10, s4
	s_addc_u32 s15, s11, s5
.LBB155_2:
	s_load_dwordx2 s[4:5], s[0:1], 0x0
	v_and_b32_e32 v3, 0x3ff, v0
	v_bfe_u32 v0, v0, 10, 10
	s_waitcnt lgkmcnt(0)
	s_add_i32 s10, s4, -1
	s_ashr_i32 s11, s10, 31
	s_lshr_b32 s11, s11, 27
	s_add_i32 s10, s10, s11
	s_ashr_i32 s10, s10, 5
	s_add_i32 s11, s10, 1
	v_cvt_f32_u32_e32 v1, s11
	s_not_b32 s10, s10
	v_rcp_iflag_f32_e32 v1, v1
	s_nop 0
	v_mul_f32_e32 v1, 0x4f7ffffe, v1
	v_cvt_u32_f32_e32 v1, v1
	s_nop 0
	v_readfirstlane_b32 s18, v1
	s_mul_i32 s10, s10, s18
	s_mul_hi_u32 s10, s18, s10
	s_add_i32 s18, s18, s10
	s_mul_hi_u32 s10, s2, s18
	s_mul_i32 s18, s10, s11
	s_sub_i32 s18, s2, s18
	s_add_i32 s19, s10, 1
	s_sub_i32 s20, s18, s11
	s_cmp_ge_u32 s18, s11
	s_cselect_b32 s10, s19, s10
	s_cselect_b32 s18, s20, s18
	s_add_i32 s19, s10, 1
	s_cmp_ge_u32 s18, s11
	s_cselect_b32 s10, s19, s10
	s_mul_i32 s11, s10, s11
	s_sub_i32 s2, s2, s11
	v_lshl_add_u32 v2, s10, 5, v0
	v_lshl_add_u32 v0, s2, 5, v3
	v_cmp_gt_u32_e32 vcc, s4, v0
	v_cmp_gt_u32_e64 s[4:5], s5, v2
	s_and_b64 s[4:5], vcc, s[4:5]
	s_and_saveexec_b64 s[10:11], s[4:5]
	s_cbranch_execz .LBB155_8
; %bb.3:
	s_andn2_b64 vcc, exec, s[16:17]
	s_cbranch_vccnz .LBB155_5
; %bb.4:
	v_mov_b32_e32 v5, 0
	v_mov_b32_e32 v1, v5
	s_mov_b64 s[10:11], 0
	v_mov_b64_e32 v[6:7], s[10:11]
	s_cbranch_execz .LBB155_6
	s_branch .LBB155_7
.LBB155_5:
                                        ; implicit-def: $sgpr10_sgpr11
                                        ; implicit-def: $vgpr4_vgpr5
	v_mov_b64_e32 v[6:7], s[10:11]
.LBB155_6:
	s_load_dword s2, s[0:1], 0x20
	v_mov_b32_e32 v5, 0
	v_mov_b32_e32 v1, v5
	s_waitcnt lgkmcnt(0)
	v_mad_u64_u32 v[6:7], s[4:5], v2, s2, v[0:1]
	s_ashr_i32 s10, s2, 31
	v_mov_b32_e32 v4, v7
	v_mad_u64_u32 v[8:9], s[4:5], v2, s10, v[4:5]
	v_mov_b32_e32 v7, v8
	v_lshl_add_u64 v[6:7], v[6:7], 3, s[14:15]
	flat_load_dwordx2 v[6:7], v[6:7]
	s_waitcnt vmcnt(0) lgkmcnt(0)
	v_mul_f64 v[6:7], v[6:7], s[8:9]
.LBB155_7:
	s_load_dwordx2 s[4:5], s[0:1], 0x48
	s_load_dword s2, s[0:1], 0x40
	v_cmp_nlt_f64_e32 vcc, 0, v[6:7]
	s_waitcnt lgkmcnt(0)
	s_mul_i32 s1, s3, s5
	s_mul_hi_u32 s5, s3, s4
	s_mul_i32 s0, s3, s4
	s_add_i32 s1, s5, s1
	s_lshl_b64 s[0:1], s[0:1], 3
	s_add_u32 s3, s6, s0
	s_addc_u32 s4, s7, s1
	s_lshl_b64 s[0:1], s[12:13], 3
	s_add_u32 s0, s3, s0
	s_addc_u32 s1, s4, s1
	s_ashr_i32 s3, s2, 31
	v_mul_lo_u32 v4, v5, s2
	v_mul_lo_u32 v5, v2, s3
	v_mad_u64_u32 v[2:3], s[2:3], v2, s2, 0
	v_add3_u32 v3, v3, v5, v4
	v_lshl_add_u64 v[2:3], v[2:3], 3, s[0:1]
	v_lshl_add_u64 v[0:1], v[0:1], 3, v[2:3]
	v_cndmask_b32_e32 v3, 0, v7, vcc
	v_cndmask_b32_e32 v2, 0, v6, vcc
	global_store_dwordx2 v[0:1], v[2:3], off
.LBB155_8:
	s_endpgm
	.section	.rodata,"a",@progbits
	.p2align	6, 0x0
	.amdhsa_kernel _ZN12_GLOBAL__N_120geam_ex_round_kernelILi32ELi32EddPKdPdEEviiT2_T3_lilT4_lil
		.amdhsa_group_segment_fixed_size 0
		.amdhsa_private_segment_fixed_size 0
		.amdhsa_kernarg_size 80
		.amdhsa_user_sgpr_count 2
		.amdhsa_user_sgpr_dispatch_ptr 0
		.amdhsa_user_sgpr_queue_ptr 0
		.amdhsa_user_sgpr_kernarg_segment_ptr 1
		.amdhsa_user_sgpr_dispatch_id 0
		.amdhsa_user_sgpr_kernarg_preload_length 0
		.amdhsa_user_sgpr_kernarg_preload_offset 0
		.amdhsa_user_sgpr_private_segment_size 0
		.amdhsa_uses_dynamic_stack 0
		.amdhsa_enable_private_segment 0
		.amdhsa_system_sgpr_workgroup_id_x 1
		.amdhsa_system_sgpr_workgroup_id_y 0
		.amdhsa_system_sgpr_workgroup_id_z 1
		.amdhsa_system_sgpr_workgroup_info 0
		.amdhsa_system_vgpr_workitem_id 1
		.amdhsa_next_free_vgpr 10
		.amdhsa_next_free_sgpr 21
		.amdhsa_accum_offset 12
		.amdhsa_reserve_vcc 1
		.amdhsa_float_round_mode_32 0
		.amdhsa_float_round_mode_16_64 0
		.amdhsa_float_denorm_mode_32 3
		.amdhsa_float_denorm_mode_16_64 3
		.amdhsa_dx10_clamp 1
		.amdhsa_ieee_mode 1
		.amdhsa_fp16_overflow 0
		.amdhsa_tg_split 0
		.amdhsa_exception_fp_ieee_invalid_op 0
		.amdhsa_exception_fp_denorm_src 0
		.amdhsa_exception_fp_ieee_div_zero 0
		.amdhsa_exception_fp_ieee_overflow 0
		.amdhsa_exception_fp_ieee_underflow 0
		.amdhsa_exception_fp_ieee_inexact 0
		.amdhsa_exception_int_div_zero 0
	.end_amdhsa_kernel
	.section	.text._ZN12_GLOBAL__N_120geam_ex_round_kernelILi32ELi32EddPKdPdEEviiT2_T3_lilT4_lil,"axG",@progbits,_ZN12_GLOBAL__N_120geam_ex_round_kernelILi32ELi32EddPKdPdEEviiT2_T3_lilT4_lil,comdat
.Lfunc_end155:
	.size	_ZN12_GLOBAL__N_120geam_ex_round_kernelILi32ELi32EddPKdPdEEviiT2_T3_lilT4_lil, .Lfunc_end155-_ZN12_GLOBAL__N_120geam_ex_round_kernelILi32ELi32EddPKdPdEEviiT2_T3_lilT4_lil
                                        ; -- End function
	.section	.AMDGPU.csdata,"",@progbits
; Kernel info:
; codeLenInByte = 540
; NumSgprs: 27
; NumVgprs: 10
; NumAgprs: 0
; TotalNumVgprs: 10
; ScratchSize: 0
; MemoryBound: 0
; FloatMode: 240
; IeeeMode: 1
; LDSByteSize: 0 bytes/workgroup (compile time only)
; SGPRBlocks: 3
; VGPRBlocks: 1
; NumSGPRsForWavesPerEU: 27
; NumVGPRsForWavesPerEU: 10
; AccumOffset: 12
; Occupancy: 8
; WaveLimiterHint : 0
; COMPUTE_PGM_RSRC2:SCRATCH_EN: 0
; COMPUTE_PGM_RSRC2:USER_SGPR: 2
; COMPUTE_PGM_RSRC2:TRAP_HANDLER: 0
; COMPUTE_PGM_RSRC2:TGID_X_EN: 1
; COMPUTE_PGM_RSRC2:TGID_Y_EN: 0
; COMPUTE_PGM_RSRC2:TGID_Z_EN: 1
; COMPUTE_PGM_RSRC2:TIDIG_COMP_CNT: 1
; COMPUTE_PGM_RSRC3_GFX90A:ACCUM_OFFSET: 2
; COMPUTE_PGM_RSRC3_GFX90A:TG_SPLIT: 0
	.section	.text._ZN12_GLOBAL__N_120geam_min_plus_kernelId15HIP_vector_typeIdLj2EEdLi32ELi8ELi256ELi64ELi4ELi64ELi4ELi4ELi64ELc78ELc78ELb0ELb0ELb1EPKdS3_dEEviiiT16_PT17_ilS7_ilS5_S7_ilPT18_ili26rocblas_geam_ex_operation_,"axG",@progbits,_ZN12_GLOBAL__N_120geam_min_plus_kernelId15HIP_vector_typeIdLj2EEdLi32ELi8ELi256ELi64ELi4ELi64ELi4ELi4ELi64ELc78ELc78ELb0ELb0ELb1EPKdS3_dEEviiiT16_PT17_ilS7_ilS5_S7_ilPT18_ili26rocblas_geam_ex_operation_,comdat
	.globl	_ZN12_GLOBAL__N_120geam_min_plus_kernelId15HIP_vector_typeIdLj2EEdLi32ELi8ELi256ELi64ELi4ELi64ELi4ELi4ELi64ELc78ELc78ELb0ELb0ELb1EPKdS3_dEEviiiT16_PT17_ilS7_ilS5_S7_ilPT18_ili26rocblas_geam_ex_operation_ ; -- Begin function _ZN12_GLOBAL__N_120geam_min_plus_kernelId15HIP_vector_typeIdLj2EEdLi32ELi8ELi256ELi64ELi4ELi64ELi4ELi4ELi64ELc78ELc78ELb0ELb0ELb1EPKdS3_dEEviiiT16_PT17_ilS7_ilS5_S7_ilPT18_ili26rocblas_geam_ex_operation_
	.p2align	8
	.type	_ZN12_GLOBAL__N_120geam_min_plus_kernelId15HIP_vector_typeIdLj2EEdLi32ELi8ELi256ELi64ELi4ELi64ELi4ELi4ELi64ELc78ELc78ELb0ELb0ELb1EPKdS3_dEEviiiT16_PT17_ilS7_ilS5_S7_ilPT18_ili26rocblas_geam_ex_operation_,@function
_ZN12_GLOBAL__N_120geam_min_plus_kernelId15HIP_vector_typeIdLj2EEdLi32ELi8ELi256ELi64ELi4ELi64ELi4ELi4ELi64ELc78ELc78ELb0ELb0ELb1EPKdS3_dEEviiiT16_PT17_ilS7_ilS5_S7_ilPT18_ili26rocblas_geam_ex_operation_: ; @_ZN12_GLOBAL__N_120geam_min_plus_kernelId15HIP_vector_typeIdLj2EEdLi32ELi8ELi256ELi64ELi4ELi64ELi4ELi4ELi64ELc78ELc78ELb0ELb0ELb1EPKdS3_dEEviiiT16_PT17_ilS7_ilS5_S7_ilPT18_ili26rocblas_geam_ex_operation_
; %bb.0:
	s_load_dwordx4 s[12:15], s[0:1], 0x10
	s_load_dwordx4 s[4:7], s[0:1], 0x28
	s_mov_b32 s16, s3
	s_mov_b32 s17, 0
	s_lshl_b64 s[20:21], s[16:17], 3
	s_waitcnt lgkmcnt(0)
	s_add_u32 s12, s12, s20
	s_load_dwordx4 s[8:11], s[0:1], 0x40
	s_addc_u32 s13, s13, s21
	s_load_dwordx2 s[18:19], s[12:13], 0x0
	s_load_dwordx2 s[24:25], s[0:1], 0x50
	s_mov_b64 s[22:23], 0
	s_waitcnt lgkmcnt(0)
	s_add_u32 s10, s10, s20
	v_cmp_eq_f64_e64 s[12:13], s[18:19], 0
	s_addc_u32 s11, s11, s21
	v_cmp_neq_f64_e64 s[26:27], s[18:19], 0
	s_and_b64 vcc, exec, s[12:13]
	s_mov_b64 s[20:21], 0
	s_cbranch_vccnz .LBB156_2
; %bb.1:
	s_mul_i32 s3, s16, s5
	s_mul_hi_u32 s5, s16, s4
	s_add_i32 s5, s5, s3
	s_mul_i32 s4, s16, s4
	s_lshl_b64 s[4:5], s[4:5], 3
	s_add_u32 s20, s14, s4
	s_addc_u32 s21, s15, s5
.LBB156_2:
	s_load_dwordx2 s[12:13], s[10:11], 0x0
	v_cndmask_b32_e64 v1, 0, 1, s[26:27]
	v_cmp_ne_u32_e64 s[4:5], 1, v1
	s_andn2_b64 vcc, exec, s[26:27]
	s_cbranch_vccnz .LBB156_4
; %bb.3:
	s_mul_i32 s3, s16, s9
	s_mul_hi_u32 s9, s16, s8
	s_add_i32 s9, s9, s3
	s_mul_i32 s8, s16, s8
	s_lshl_b64 s[8:9], s[8:9], 3
	s_add_u32 s22, s6, s8
	s_addc_u32 s23, s7, s9
.LBB156_4:
	s_load_dwordx4 s[8:11], s[0:1], 0x60
	s_waitcnt lgkmcnt(0)
	v_cmp_eq_f64_e64 s[6:7], s[12:13], 0
	s_and_b64 s[6:7], exec, s[6:7]
	s_mov_b64 s[14:15], 0
	s_mov_b64 vcc, s[6:7]
	s_cbranch_vccnz .LBB156_6
; %bb.5:
	s_mul_i32 s3, s16, s9
	s_mul_hi_u32 s9, s16, s8
	s_add_i32 s9, s9, s3
	s_mul_i32 s8, s16, s8
	s_lshl_b64 s[8:9], s[8:9], 3
	s_add_u32 s14, s24, s8
	s_addc_u32 s15, s25, s9
.LBB156_6:
	s_load_dword s3, s[0:1], 0x0
	s_load_dword s17, s[0:1], 0x20
	v_and_b32_e32 v135, 0x3ff, v0
	v_bfe_u32 v136, v0, 10, 10
	v_lshl_add_u32 v8, v136, 5, v135
	s_waitcnt lgkmcnt(0)
	s_add_i32 s3, s3, -1
	s_ashr_i32 s8, s3, 31
	s_lshr_b32 s8, s8, 24
	s_add_i32 s3, s3, s8
	s_ashr_i32 s3, s3, 8
	s_add_i32 s25, s3, 1
	v_cvt_f32_u32_e32 v1, s25
	v_lshrrev_b32_e32 v144, 6, v8
	s_not_b32 s3, s3
	s_ashr_i32 s24, s17, 31
	v_rcp_iflag_f32_e32 v0, v1
	v_and_b32_e32 v72, 63, v8
	v_mul_f32_e32 v0, 0x4f7ffffe, v0
	v_cvt_u32_f32_e32 v2, v0
	v_mad_i64_i32 v[0:1], s[8:9], s17, v144, 0
	v_lshl_add_u64 v[4:5], v[0:1], 3, s[20:21]
	v_readfirstlane_b32 s8, v2
	s_mul_i32 s3, s3, s8
	s_mul_hi_u32 s3, s8, s3
	s_add_i32 s8, s8, s3
	s_mul_hi_u32 s3, s2, s8
	s_mul_i32 s8, s3, s25
	s_sub_i32 s8, s2, s8
	s_add_i32 s9, s3, 1
	s_sub_i32 s26, s8, s25
	s_cmp_ge_u32 s8, s25
	s_cselect_b32 s3, s9, s3
	s_cselect_b32 s8, s26, s8
	s_add_i32 s9, s3, 1
	s_cmp_ge_u32 s8, s25
	s_cselect_b32 s3, s9, s3
	s_mul_i32 s8, s3, s25
	s_sub_i32 s2, s2, s8
	s_lshl_b32 s8, s2, 8
	v_or_b32_e32 v60, s8, v72
	s_and_b64 vcc, exec, s[4:5]
	v_ashrrev_i32_e32 v61, 31, v60
	s_cbranch_vccnz .LBB156_9
; %bb.7:
	v_lshl_add_u64 v[0:1], v[60:61], 3, v[4:5]
	flat_load_dwordx2 v[2:3], v[0:1]
	flat_load_dwordx2 v[6:7], v[0:1] offset:512
	s_waitcnt vmcnt(0) lgkmcnt(0)
	v_mul_f64 v[0:1], s[18:19], v[2:3]
	v_mul_f64 v[2:3], s[18:19], v[6:7]
	s_and_b64 vcc, exec, s[4:5]
	s_cbranch_vccnz .LBB156_10
.LBB156_8:
	v_lshl_add_u64 v[4:5], v[60:61], 3, v[4:5]
	flat_load_dwordx2 v[6:7], v[4:5] offset:1024
	flat_load_dwordx2 v[10:11], v[4:5] offset:1536
	s_waitcnt vmcnt(0) lgkmcnt(0)
	v_mul_f64 v[4:5], s[18:19], v[6:7]
	v_mul_f64 v[6:7], s[18:19], v[10:11]
	s_branch .LBB156_11
.LBB156_9:
	v_mov_b64_e32 v[0:1], 0
	v_mov_b64_e32 v[2:3], 0
	s_and_b64 vcc, exec, s[4:5]
	s_cbranch_vccz .LBB156_8
.LBB156_10:
	v_mov_b64_e32 v[4:5], 0
	v_mov_b64_e32 v[6:7], 0
.LBB156_11:
	s_load_dword s27, s[0:1], 0x38
	v_and_b32_e32 v145, 3, v135
	v_lshrrev_b32_e32 v14, 2, v8
	s_lshl_b32 s9, s3, 6
	s_and_b64 vcc, exec, s[4:5]
	v_add_u32_e32 v73, s9, v14
	v_lshlrev_b32_e32 v8, 3, v145
	s_cbranch_vccnz .LBB156_13
; %bb.12:
	s_waitcnt lgkmcnt(0)
	v_mad_i64_i32 v[10:11], s[2:3], v73, s27, 0
	v_lshl_add_u64 v[10:11], v[10:11], 3, s[22:23]
	v_mov_b32_e32 v9, 0
	v_lshl_add_u64 v[10:11], v[10:11], 0, v[8:9]
	flat_load_dwordx2 v[10:11], v[10:11]
	s_waitcnt vmcnt(0) lgkmcnt(0)
	v_mul_f64 v[10:11], s[18:19], v[10:11]
	s_branch .LBB156_14
.LBB156_13:
	v_mov_b64_e32 v[10:11], 0
.LBB156_14:
	v_add_u32_e32 v146, 4, v144
	v_mad_i64_i32 v[12:13], s[2:3], s17, v146, 0
	s_and_b64 vcc, exec, s[4:5]
	v_lshl_add_u64 v[12:13], v[12:13], 3, s[20:21]
	s_cbranch_vccnz .LBB156_18
; %bb.15:
	v_lshl_add_u64 v[16:17], v[60:61], 3, v[12:13]
	flat_load_dwordx2 v[18:19], v[16:17]
	flat_load_dwordx2 v[20:21], v[16:17] offset:512
	s_waitcnt vmcnt(0) lgkmcnt(0)
	v_mul_f64 v[62:63], s[18:19], v[18:19]
	v_mul_f64 v[64:65], s[18:19], v[20:21]
	s_and_b64 vcc, exec, s[4:5]
	s_cbranch_vccnz .LBB156_19
.LBB156_16:
	v_lshl_add_u64 v[12:13], v[60:61], 3, v[12:13]
	flat_load_dwordx2 v[16:17], v[12:13] offset:1024
	flat_load_dwordx2 v[18:19], v[12:13] offset:1536
	s_waitcnt vmcnt(0) lgkmcnt(0)
	v_mul_f64 v[66:67], s[18:19], v[16:17]
	v_mul_f64 v[68:69], s[18:19], v[18:19]
	s_and_b64 vcc, exec, s[4:5]
	s_cbranch_vccnz .LBB156_20
.LBB156_17:
	s_waitcnt lgkmcnt(0)
	v_mad_i64_i32 v[12:13], s[2:3], v73, s27, 0
	v_lshl_add_u64 v[12:13], v[12:13], 3, s[22:23]
	v_mov_b32_e32 v9, 0
	v_lshl_add_u64 v[12:13], v[12:13], 0, v[8:9]
	flat_load_dwordx2 v[12:13], v[12:13] offset:32
	s_waitcnt vmcnt(0) lgkmcnt(0)
	v_mul_f64 v[70:71], s[18:19], v[12:13]
	s_branch .LBB156_21
.LBB156_18:
	v_mov_b64_e32 v[62:63], 0
	v_mov_b64_e32 v[64:65], 0
	s_and_b64 vcc, exec, s[4:5]
	s_cbranch_vccz .LBB156_16
.LBB156_19:
	v_mov_b64_e32 v[66:67], 0
	v_mov_b64_e32 v[68:69], 0
	s_and_b64 vcc, exec, s[4:5]
	s_cbranch_vccz .LBB156_17
.LBB156_20:
	v_mov_b64_e32 v[70:71], 0
.LBB156_21:
	v_lshlrev_b32_e32 v9, 3, v144
	v_lshl_or_b32 v74, v14, 5, v8
	v_lshl_add_u32 v147, v72, 5, v9
	v_add_u32_e32 v148, 0x4000, v74
	s_mov_b32 s25, 0
	s_mov_b64 s[2:3], -1
	v_mov_b32_e32 v78, 0x7f800000
	v_mov_b32_e32 v79, 0x7f800000
	v_mov_b32_e32 v80, 0x7f800000
	v_mov_b32_e32 v81, 0x7f800000
	v_mov_b32_e32 v82, 0x7f800000
	v_mov_b32_e32 v83, 0x7f800000
	v_mov_b32_e32 v84, 0x7f800000
	v_mov_b32_e32 v85, 0x7f800000
	v_mov_b32_e32 v86, 0x7f800000
	v_mov_b32_e32 v87, 0x7f800000
	v_mov_b32_e32 v88, 0x7f800000
	v_mov_b32_e32 v89, 0x7f800000
	v_mov_b32_e32 v90, 0x7f800000
	v_mov_b32_e32 v91, 0x7f800000
	v_mov_b32_e32 v92, 0x7f800000
	v_mov_b32_e32 v93, 0x7f800000
	v_mov_b32_e32 v94, 0x7f800000
	v_mov_b32_e32 v95, 0x7f800000
	v_mov_b32_e32 v96, 0x7f800000
	v_mov_b32_e32 v97, 0x7f800000
	v_mov_b32_e32 v98, 0x7f800000
	v_mov_b32_e32 v99, 0x7f800000
	v_mov_b32_e32 v100, 0x7f800000
	v_mov_b32_e32 v101, 0x7f800000
	v_mov_b32_e32 v102, 0x7f800000
	v_mov_b32_e32 v103, 0x7f800000
	v_mov_b32_e32 v104, 0x7f800000
	v_mov_b32_e32 v105, 0x7f800000
	v_mov_b32_e32 v106, 0x7f800000
	v_mov_b32_e32 v107, 0x7f800000
	v_mov_b32_e32 v108, 0x7f800000
	v_mov_b32_e32 v109, 0x7f800000
	v_mov_b32_e32 v110, 0x7f800000
	v_mov_b32_e32 v111, 0x7f800000
	v_mov_b32_e32 v112, 0x7f800000
	v_mov_b32_e32 v113, 0x7f800000
	v_mov_b32_e32 v114, 0x7f800000
	v_mov_b32_e32 v115, 0x7f800000
	v_mov_b32_e32 v116, 0x7f800000
	v_mov_b32_e32 v117, 0x7f800000
	v_mov_b32_e32 v118, 0x7f800000
	v_mov_b32_e32 v119, 0x7f800000
	v_mov_b32_e32 v120, 0x7f800000
	v_mov_b32_e32 v121, 0x7f800000
	v_mov_b32_e32 v122, 0x7f800000
	v_mov_b32_e32 v123, 0x7f800000
	v_mov_b32_e32 v124, 0x7f800000
	v_mov_b32_e32 v125, 0x7f800000
	v_mov_b32_e32 v126, 0x7f800000
	v_mov_b32_e32 v127, 0x7f800000
	v_mov_b32_e32 v128, 0x7f800000
	v_mov_b32_e32 v129, 0x7f800000
	v_mov_b32_e32 v130, 0x7f800000
	v_mov_b32_e32 v131, 0x7f800000
	v_mov_b32_e32 v132, 0x7f800000
	v_mov_b32_e32 v133, 0x7f800000
	v_mov_b32_e32 v134, 0x7f800000
	v_mov_b32_e32 v137, 0x7f800000
	v_mov_b32_e32 v138, 0x7f800000
	v_mov_b32_e32 v139, 0x7f800000
	v_mov_b32_e32 v140, 0x7f800000
	v_mov_b32_e32 v141, 0x7f800000
	v_mov_b32_e32 v142, 0x7f800000
	v_mov_b32_e32 v143, 0x7f800000
	ds_write2st64_b64 v147, v[0:1], v[2:3] offset1:4
	ds_write2st64_b64 v147, v[4:5], v[6:7] offset0:8 offset1:12
	ds_write_b64 v74, v[10:11] offset:16384
	s_waitcnt lgkmcnt(0)
	s_barrier
.LBB156_22:                             ; =>This Inner Loop Header: Depth=1
	v_cndmask_b32_e64 v0, 0, 1, s[2:3]
	s_lshl_b32 s2, s25, 3
	v_cmp_ne_u32_e32 vcc, 1, v0
	v_lshl_add_u32 v0, v135, 5, s2
	v_lshl_add_u32 v20, v136, 5, s2
	ds_read_b128 v[32:35], v0
	ds_read_b128 v[28:31], v0 offset:1024
	ds_read_b128 v[24:27], v0 offset:2048
	;; [unrolled: 1-line block ×15, first 2 shown]
	s_waitcnt lgkmcnt(7)
	v_add_f64 v[76:77], v[34:35], v[152:153]
	v_add_f64 v[154:155], v[32:33], v[150:151]
	v_cvt_f32_f64_e32 v75, v[154:155]
	v_cvt_f32_f64_e32 v76, v[76:77]
	v_min3_f32 v143, v75, v76, v143
	v_add_f64 v[76:77], v[30:31], v[152:153]
	v_add_f64 v[154:155], v[28:29], v[150:151]
	v_cvt_f32_f64_e32 v75, v[154:155]
	v_cvt_f32_f64_e32 v76, v[76:77]
	v_min3_f32 v142, v75, v76, v142
	;; [unrolled: 5-line block ×8, first 2 shown]
	s_waitcnt lgkmcnt(6)
	v_add_f64 v[76:77], v[34:35], v[58:59]
	v_add_f64 v[150:151], v[32:33], v[56:57]
	v_cvt_f32_f64_e32 v75, v[150:151]
	v_cvt_f32_f64_e32 v76, v[76:77]
	v_min3_f32 v133, v75, v76, v133
	v_add_f64 v[76:77], v[30:31], v[58:59]
	v_add_f64 v[150:151], v[28:29], v[56:57]
	v_cvt_f32_f64_e32 v75, v[150:151]
	v_cvt_f32_f64_e32 v76, v[76:77]
	v_min3_f32 v132, v75, v76, v132
	v_add_f64 v[76:77], v[26:27], v[58:59]
	v_add_f64 v[150:151], v[24:25], v[56:57]
	v_cvt_f32_f64_e32 v75, v[150:151]
	v_cvt_f32_f64_e32 v76, v[76:77]
	v_min3_f32 v131, v75, v76, v131
	v_add_f64 v[76:77], v[18:19], v[58:59]
	v_add_f64 v[150:151], v[16:17], v[56:57]
	v_cvt_f32_f64_e32 v75, v[150:151]
	v_cvt_f32_f64_e32 v76, v[76:77]
	v_min3_f32 v130, v75, v76, v130
	v_add_f64 v[76:77], v[14:15], v[58:59]
	v_add_f64 v[150:151], v[12:13], v[56:57]
	v_cvt_f32_f64_e32 v75, v[150:151]
	v_cvt_f32_f64_e32 v76, v[76:77]
	v_min3_f32 v129, v75, v76, v129
	v_add_f64 v[76:77], v[10:11], v[58:59]
	v_add_f64 v[150:151], v[8:9], v[56:57]
	v_cvt_f32_f64_e32 v75, v[150:151]
	v_cvt_f32_f64_e32 v76, v[76:77]
	v_min3_f32 v128, v75, v76, v128
	v_add_f64 v[76:77], v[6:7], v[58:59]
	v_add_f64 v[150:151], v[4:5], v[56:57]
	v_add_f64 v[58:59], v[2:3], v[58:59]
	v_add_f64 v[56:57], v[0:1], v[56:57]
	v_cvt_f32_f64_e32 v56, v[56:57]
	v_cvt_f32_f64_e32 v57, v[58:59]
	v_min3_f32 v126, v56, v57, v126
	s_waitcnt lgkmcnt(5)
	v_add_f64 v[56:57], v[34:35], v[54:55]
	v_add_f64 v[58:59], v[32:33], v[52:53]
	v_cvt_f32_f64_e32 v58, v[58:59]
	v_cvt_f32_f64_e32 v56, v[56:57]
	v_min3_f32 v125, v58, v56, v125
	v_add_f64 v[56:57], v[30:31], v[54:55]
	v_add_f64 v[58:59], v[28:29], v[52:53]
	v_cvt_f32_f64_e32 v58, v[58:59]
	v_cvt_f32_f64_e32 v56, v[56:57]
	v_min3_f32 v124, v58, v56, v124
	v_add_f64 v[56:57], v[26:27], v[54:55]
	v_add_f64 v[58:59], v[24:25], v[52:53]
	v_cvt_f32_f64_e32 v58, v[58:59]
	v_cvt_f32_f64_e32 v56, v[56:57]
	v_min3_f32 v123, v58, v56, v123
	v_add_f64 v[56:57], v[18:19], v[54:55]
	v_add_f64 v[58:59], v[16:17], v[52:53]
	v_cvt_f32_f64_e32 v58, v[58:59]
	v_cvt_f32_f64_e32 v56, v[56:57]
	v_min3_f32 v122, v58, v56, v122
	v_add_f64 v[56:57], v[14:15], v[54:55]
	v_add_f64 v[58:59], v[12:13], v[52:53]
	v_cvt_f32_f64_e32 v58, v[58:59]
	v_cvt_f32_f64_e32 v56, v[56:57]
	v_min3_f32 v121, v58, v56, v121
	v_add_f64 v[56:57], v[10:11], v[54:55]
	v_add_f64 v[58:59], v[8:9], v[52:53]
	v_cvt_f32_f64_e32 v58, v[58:59]
	v_cvt_f32_f64_e32 v56, v[56:57]
	v_min3_f32 v120, v58, v56, v120
	v_add_f64 v[56:57], v[6:7], v[54:55]
	v_add_f64 v[58:59], v[4:5], v[52:53]
	v_add_f64 v[54:55], v[2:3], v[54:55]
	v_add_f64 v[52:53], v[0:1], v[52:53]
	v_cvt_f32_f64_e32 v52, v[52:53]
	v_cvt_f32_f64_e32 v53, v[54:55]
	v_min3_f32 v118, v52, v53, v118
	;; [unrolled: 38-line block ×5, first 2 shown]
	s_waitcnt lgkmcnt(1)
	v_add_f64 v[40:41], v[34:35], v[38:39]
	v_add_f64 v[42:43], v[32:33], v[36:37]
	v_cvt_f32_f64_e32 v42, v[42:43]
	v_cvt_f32_f64_e32 v40, v[40:41]
	v_min3_f32 v93, v42, v40, v93
	v_add_f64 v[40:41], v[30:31], v[38:39]
	v_add_f64 v[42:43], v[28:29], v[36:37]
	v_cvt_f32_f64_e32 v42, v[42:43]
	v_cvt_f32_f64_e32 v40, v[40:41]
	v_min3_f32 v92, v42, v40, v92
	;; [unrolled: 5-line block ×6, first 2 shown]
	v_add_f64 v[40:41], v[6:7], v[38:39]
	v_add_f64 v[42:43], v[4:5], v[36:37]
	;; [unrolled: 1-line block ×4, first 2 shown]
	s_waitcnt lgkmcnt(0)
	v_add_f64 v[34:35], v[34:35], v[22:23]
	v_add_f64 v[32:33], v[32:33], v[20:21]
	;; [unrolled: 1-line block ×16, first 2 shown]
	v_cvt_f32_f64_e32 v75, v[150:151]
	v_cvt_f32_f64_e32 v76, v[76:77]
	;; [unrolled: 1-line block ×30, first 2 shown]
	v_min3_f32 v127, v75, v76, v127
	v_min3_f32 v119, v58, v56, v119
	;; [unrolled: 1-line block ×15, first 2 shown]
	s_mov_b32 s25, 2
	s_mov_b64 s[2:3], 0
	s_cbranch_vccz .LBB156_22
; %bb.23:
	s_load_dword s26, s[0:1], 0x8
	v_lshlrev_b32_e32 v0, 5, v72
	v_lshl_add_u32 v0, v144, 3, v0
	s_mov_b32 s25, 8
	ds_write2st64_b64 v0, v[62:63], v[64:65] offset0:16 offset1:20
	ds_write2st64_b64 v0, v[66:67], v[68:69] offset0:24 offset1:28
	ds_write_b64 v74, v[70:71] offset:18432
	s_waitcnt lgkmcnt(0)
	s_cmp_gt_i32 s26, 8
	s_barrier
	s_cbranch_scc0 .LBB156_44
; %bb.24:
	v_add_u32_e32 v149, 0x2000, v0
	v_mad_i64_i32 v[0:1], s[2:3], v73, s27, 0
	v_lshl_add_u64 v[62:63], v[0:1], 3, s[22:23]
	v_add_u32_e32 v150, 0x4800, v74
	s_add_i32 s26, s26, -8
	v_lshl_add_u64 v[64:65], v[62:63], 0, 32
	s_mov_b32 s22, 0
	v_mov_b32_e32 v67, 0
.LBB156_25:                             ; =>This Loop Header: Depth=1
                                        ;     Child Loop BB156_33 Depth 2
                                        ;     Child Loop BB156_42 Depth 2
	v_add_u32_e32 v3, s25, v144
	v_mad_u64_u32 v[0:1], s[2:3], v3, s17, 0
	v_mov_b32_e32 v2, v1
	v_mad_u64_u32 v[2:3], s[2:3], v3, s24, v[2:3]
	v_mov_b32_e32 v1, v2
	v_lshl_add_u64 v[0:1], v[0:1], 3, s[20:21]
	s_and_b64 vcc, exec, s[4:5]
	v_lshl_add_u64 v[0:1], v[60:61], 3, v[0:1]
	s_cbranch_vccnz .LBB156_29
; %bb.26:                               ;   in Loop: Header=BB156_25 Depth=1
	flat_load_dwordx2 v[2:3], v[0:1]
	flat_load_dwordx2 v[4:5], v[0:1] offset:512
	s_waitcnt vmcnt(0) lgkmcnt(0)
	v_mul_f64 v[68:69], s[18:19], v[2:3]
	v_mul_f64 v[70:71], s[18:19], v[4:5]
	s_and_b64 vcc, exec, s[4:5]
	s_cbranch_vccnz .LBB156_30
.LBB156_27:                             ;   in Loop: Header=BB156_25 Depth=1
	flat_load_dwordx2 v[2:3], v[0:1] offset:1024
	flat_load_dwordx2 v[4:5], v[0:1] offset:1536
	s_waitcnt vmcnt(0) lgkmcnt(0)
	v_mul_f64 v[72:73], s[18:19], v[2:3]
	v_mul_f64 v[74:75], s[18:19], v[4:5]
	s_and_b64 vcc, exec, s[4:5]
	s_cbranch_vccnz .LBB156_31
.LBB156_28:                             ;   in Loop: Header=BB156_25 Depth=1
	v_or_b32_e32 v66, s25, v145
	v_lshl_add_u64 v[0:1], v[66:67], 3, v[62:63]
	flat_load_dwordx2 v[0:1], v[0:1]
	s_waitcnt vmcnt(0) lgkmcnt(0)
	v_mul_f64 v[76:77], s[18:19], v[0:1]
	s_branch .LBB156_32
.LBB156_29:                             ;   in Loop: Header=BB156_25 Depth=1
	v_mov_b64_e32 v[68:69], 0
	v_mov_b64_e32 v[70:71], 0
	s_and_b64 vcc, exec, s[4:5]
	s_cbranch_vccz .LBB156_27
.LBB156_30:                             ;   in Loop: Header=BB156_25 Depth=1
	v_mov_b64_e32 v[72:73], 0
	v_mov_b64_e32 v[74:75], 0
	s_and_b64 vcc, exec, s[4:5]
	s_cbranch_vccz .LBB156_28
.LBB156_31:                             ;   in Loop: Header=BB156_25 Depth=1
	v_mov_b64_e32 v[76:77], 0
.LBB156_32:                             ;   in Loop: Header=BB156_25 Depth=1
	s_mov_b32 s23, 0
	s_mov_b64 s[2:3], -1
.LBB156_33:                             ;   Parent Loop BB156_25 Depth=1
                                        ; =>  This Inner Loop Header: Depth=2
	v_cndmask_b32_e64 v0, 0, 1, s[2:3]
	s_lshl_b32 s2, s23, 3
	v_cmp_ne_u32_e32 vcc, 1, v0
	v_lshl_add_u32 v0, v135, 5, s2
	v_lshl_add_u32 v20, v136, 5, s2
	ds_read_b128 v[32:35], v0 offset:8192
	ds_read_b128 v[28:31], v0 offset:9216
	;; [unrolled: 1-line block ×16, first 2 shown]
	s_waitcnt lgkmcnt(7)
	v_add_f64 v[156:157], v[34:35], v[154:155]
	v_add_f64 v[158:159], v[32:33], v[152:153]
	v_cvt_f32_f64_e32 v66, v[158:159]
	v_cvt_f32_f64_e32 v151, v[156:157]
	v_add_f64 v[156:157], v[30:31], v[154:155]
	v_add_f64 v[158:159], v[28:29], v[152:153]
	v_min3_f32 v143, v66, v151, v143
	v_cvt_f32_f64_e32 v66, v[158:159]
	v_cvt_f32_f64_e32 v151, v[156:157]
	v_add_f64 v[156:157], v[26:27], v[154:155]
	v_add_f64 v[158:159], v[24:25], v[152:153]
	v_min3_f32 v142, v66, v151, v142
	v_cvt_f32_f64_e32 v66, v[158:159]
	v_cvt_f32_f64_e32 v151, v[156:157]
	v_add_f64 v[156:157], v[18:19], v[154:155]
	v_add_f64 v[158:159], v[16:17], v[152:153]
	v_min3_f32 v141, v66, v151, v141
	v_cvt_f32_f64_e32 v66, v[158:159]
	v_cvt_f32_f64_e32 v151, v[156:157]
	v_add_f64 v[156:157], v[14:15], v[154:155]
	v_add_f64 v[158:159], v[12:13], v[152:153]
	v_min3_f32 v140, v66, v151, v140
	v_cvt_f32_f64_e32 v66, v[158:159]
	v_cvt_f32_f64_e32 v151, v[156:157]
	v_add_f64 v[156:157], v[10:11], v[154:155]
	v_add_f64 v[158:159], v[8:9], v[152:153]
	v_min3_f32 v139, v66, v151, v139
	v_cvt_f32_f64_e32 v66, v[158:159]
	v_cvt_f32_f64_e32 v151, v[156:157]
	v_add_f64 v[156:157], v[6:7], v[154:155]
	v_add_f64 v[158:159], v[4:5], v[152:153]
	v_min3_f32 v138, v66, v151, v138
	v_cvt_f32_f64_e32 v66, v[158:159]
	v_cvt_f32_f64_e32 v151, v[156:157]
	v_add_f64 v[154:155], v[2:3], v[154:155]
	v_add_f64 v[152:153], v[0:1], v[152:153]
	v_min3_f32 v137, v66, v151, v137
	v_cvt_f32_f64_e32 v66, v[152:153]
	v_cvt_f32_f64_e32 v151, v[154:155]
	s_waitcnt lgkmcnt(6)
	v_add_f64 v[152:153], v[34:35], v[58:59]
	v_add_f64 v[154:155], v[32:33], v[56:57]
	v_min3_f32 v134, v66, v151, v134
	v_cvt_f32_f64_e32 v66, v[154:155]
	v_cvt_f32_f64_e32 v151, v[152:153]
	v_add_f64 v[152:153], v[30:31], v[58:59]
	v_add_f64 v[154:155], v[28:29], v[56:57]
	v_min3_f32 v133, v66, v151, v133
	v_cvt_f32_f64_e32 v66, v[154:155]
	v_cvt_f32_f64_e32 v151, v[152:153]
	;; [unrolled: 5-line block ×6, first 2 shown]
	v_add_f64 v[152:153], v[6:7], v[58:59]
	v_add_f64 v[154:155], v[4:5], v[56:57]
	v_add_f64 v[58:59], v[2:3], v[58:59]
	v_add_f64 v[56:57], v[0:1], v[56:57]
	v_cvt_f32_f64_e32 v56, v[56:57]
	v_cvt_f32_f64_e32 v57, v[58:59]
	v_min3_f32 v126, v56, v57, v126
	s_waitcnt lgkmcnt(5)
	v_add_f64 v[56:57], v[34:35], v[54:55]
	v_add_f64 v[58:59], v[32:33], v[52:53]
	v_cvt_f32_f64_e32 v58, v[58:59]
	v_cvt_f32_f64_e32 v56, v[56:57]
	v_min3_f32 v125, v58, v56, v125
	v_add_f64 v[56:57], v[30:31], v[54:55]
	v_add_f64 v[58:59], v[28:29], v[52:53]
	v_cvt_f32_f64_e32 v58, v[58:59]
	v_cvt_f32_f64_e32 v56, v[56:57]
	v_min3_f32 v124, v58, v56, v124
	v_add_f64 v[56:57], v[26:27], v[54:55]
	v_add_f64 v[58:59], v[24:25], v[52:53]
	v_cvt_f32_f64_e32 v58, v[58:59]
	v_cvt_f32_f64_e32 v56, v[56:57]
	v_min3_f32 v123, v58, v56, v123
	v_add_f64 v[56:57], v[18:19], v[54:55]
	v_add_f64 v[58:59], v[16:17], v[52:53]
	v_cvt_f32_f64_e32 v58, v[58:59]
	v_cvt_f32_f64_e32 v56, v[56:57]
	v_min3_f32 v122, v58, v56, v122
	v_add_f64 v[56:57], v[14:15], v[54:55]
	v_add_f64 v[58:59], v[12:13], v[52:53]
	v_cvt_f32_f64_e32 v58, v[58:59]
	v_cvt_f32_f64_e32 v56, v[56:57]
	v_min3_f32 v121, v58, v56, v121
	v_add_f64 v[56:57], v[10:11], v[54:55]
	v_add_f64 v[58:59], v[8:9], v[52:53]
	v_cvt_f32_f64_e32 v58, v[58:59]
	v_cvt_f32_f64_e32 v56, v[56:57]
	v_min3_f32 v120, v58, v56, v120
	v_add_f64 v[56:57], v[6:7], v[54:55]
	v_add_f64 v[58:59], v[4:5], v[52:53]
	v_add_f64 v[54:55], v[2:3], v[54:55]
	v_add_f64 v[52:53], v[0:1], v[52:53]
	v_cvt_f32_f64_e32 v52, v[52:53]
	v_cvt_f32_f64_e32 v53, v[54:55]
	v_min3_f32 v118, v52, v53, v118
	s_waitcnt lgkmcnt(4)
	v_add_f64 v[52:53], v[34:35], v[50:51]
	v_add_f64 v[54:55], v[32:33], v[48:49]
	v_cvt_f32_f64_e32 v54, v[54:55]
	v_cvt_f32_f64_e32 v52, v[52:53]
	v_min3_f32 v117, v54, v52, v117
	v_add_f64 v[52:53], v[30:31], v[50:51]
	v_add_f64 v[54:55], v[28:29], v[48:49]
	v_cvt_f32_f64_e32 v54, v[54:55]
	v_cvt_f32_f64_e32 v52, v[52:53]
	v_min3_f32 v116, v54, v52, v116
	v_add_f64 v[52:53], v[26:27], v[50:51]
	v_add_f64 v[54:55], v[24:25], v[48:49]
	v_cvt_f32_f64_e32 v54, v[54:55]
	v_cvt_f32_f64_e32 v52, v[52:53]
	v_min3_f32 v115, v54, v52, v115
	v_add_f64 v[52:53], v[18:19], v[50:51]
	v_add_f64 v[54:55], v[16:17], v[48:49]
	v_cvt_f32_f64_e32 v54, v[54:55]
	v_cvt_f32_f64_e32 v52, v[52:53]
	v_min3_f32 v114, v54, v52, v114
	v_add_f64 v[52:53], v[14:15], v[50:51]
	v_add_f64 v[54:55], v[12:13], v[48:49]
	v_cvt_f32_f64_e32 v54, v[54:55]
	v_cvt_f32_f64_e32 v52, v[52:53]
	v_min3_f32 v113, v54, v52, v113
	v_add_f64 v[52:53], v[10:11], v[50:51]
	v_add_f64 v[54:55], v[8:9], v[48:49]
	v_cvt_f32_f64_e32 v54, v[54:55]
	v_cvt_f32_f64_e32 v52, v[52:53]
	v_min3_f32 v112, v54, v52, v112
	;; [unrolled: 38-line block ×5, first 2 shown]
	v_add_f64 v[40:41], v[6:7], v[38:39]
	v_add_f64 v[42:43], v[4:5], v[36:37]
	;; [unrolled: 1-line block ×4, first 2 shown]
	s_waitcnt lgkmcnt(0)
	v_add_f64 v[34:35], v[34:35], v[22:23]
	v_add_f64 v[32:33], v[32:33], v[20:21]
	;; [unrolled: 1-line block ×16, first 2 shown]
	v_min3_f32 v128, v66, v151, v128
	v_cvt_f32_f64_e32 v66, v[154:155]
	v_cvt_f32_f64_e32 v151, v[152:153]
	;; [unrolled: 1-line block ×30, first 2 shown]
	v_min3_f32 v127, v66, v151, v127
	v_min3_f32 v119, v58, v56, v119
	;; [unrolled: 1-line block ×15, first 2 shown]
	s_mov_b32 s23, 2
	s_mov_b64 s[2:3], 0
	s_cbranch_vccz .LBB156_33
; %bb.34:                               ;   in Loop: Header=BB156_25 Depth=1
	v_add_u32_e32 v3, s25, v146
	v_mad_u64_u32 v[0:1], s[2:3], v3, s17, 0
	v_mov_b32_e32 v2, v1
	v_mad_u64_u32 v[2:3], s[2:3], v3, s24, v[2:3]
	v_mov_b32_e32 v1, v2
	v_lshl_add_u64 v[0:1], v[0:1], 3, s[20:21]
	s_and_b64 vcc, exec, s[4:5]
	v_lshl_add_u64 v[0:1], v[60:61], 3, v[0:1]
	ds_write2st64_b64 v147, v[68:69], v[70:71] offset1:4
	ds_write2st64_b64 v147, v[72:73], v[74:75] offset0:8 offset1:12
	ds_write_b64 v148, v[76:77]
	s_waitcnt lgkmcnt(0)
	s_barrier
	s_cbranch_vccnz .LBB156_38
; %bb.35:                               ;   in Loop: Header=BB156_25 Depth=1
	flat_load_dwordx2 v[2:3], v[0:1]
	flat_load_dwordx2 v[4:5], v[0:1] offset:512
	s_waitcnt vmcnt(0) lgkmcnt(0)
	v_mul_f64 v[68:69], s[18:19], v[2:3]
	v_mul_f64 v[70:71], s[18:19], v[4:5]
	s_and_b64 vcc, exec, s[4:5]
	s_cbranch_vccnz .LBB156_39
.LBB156_36:                             ;   in Loop: Header=BB156_25 Depth=1
	flat_load_dwordx2 v[2:3], v[0:1] offset:1024
	flat_load_dwordx2 v[4:5], v[0:1] offset:1536
	s_waitcnt vmcnt(0) lgkmcnt(0)
	v_mul_f64 v[72:73], s[18:19], v[2:3]
	v_mul_f64 v[74:75], s[18:19], v[4:5]
	s_and_b64 vcc, exec, s[4:5]
	s_cbranch_vccnz .LBB156_40
.LBB156_37:                             ;   in Loop: Header=BB156_25 Depth=1
	v_or_b32_e32 v66, s25, v145
	v_lshl_add_u64 v[0:1], v[66:67], 3, v[64:65]
	flat_load_dwordx2 v[0:1], v[0:1]
	s_waitcnt vmcnt(0) lgkmcnt(0)
	v_mul_f64 v[76:77], s[18:19], v[0:1]
	s_branch .LBB156_41
.LBB156_38:                             ;   in Loop: Header=BB156_25 Depth=1
	v_mov_b64_e32 v[68:69], 0
	v_mov_b64_e32 v[70:71], 0
	s_and_b64 vcc, exec, s[4:5]
	s_cbranch_vccz .LBB156_36
.LBB156_39:                             ;   in Loop: Header=BB156_25 Depth=1
	v_mov_b64_e32 v[72:73], 0
	v_mov_b64_e32 v[74:75], 0
	s_and_b64 vcc, exec, s[4:5]
	s_cbranch_vccz .LBB156_37
.LBB156_40:                             ;   in Loop: Header=BB156_25 Depth=1
	v_mov_b64_e32 v[76:77], 0
.LBB156_41:                             ;   in Loop: Header=BB156_25 Depth=1
	s_mov_b32 s23, 0
	s_mov_b64 s[2:3], -1
.LBB156_42:                             ;   Parent Loop BB156_25 Depth=1
                                        ; =>  This Inner Loop Header: Depth=2
	v_cndmask_b32_e64 v0, 0, 1, s[2:3]
	s_lshl_b32 s2, s23, 3
	v_cmp_ne_u32_e32 vcc, 1, v0
	v_lshl_add_u32 v0, v135, 5, s2
	v_lshl_add_u32 v20, v136, 5, s2
	ds_read_b128 v[32:35], v0
	ds_read_b128 v[28:31], v0 offset:1024
	ds_read_b128 v[24:27], v0 offset:2048
	ds_read_b128 v[16:19], v0 offset:3072
	ds_read_b128 v[12:15], v0 offset:4096
	ds_read_b128 v[8:11], v0 offset:5120
	ds_read_b128 v[4:7], v0 offset:6144
	ds_read_b128 v[0:3], v0 offset:7168
	ds_read_b128 v[152:155], v20 offset:16384
	ds_read_b128 v[56:59], v20 offset:16640
	ds_read_b128 v[52:55], v20 offset:16896
	ds_read_b128 v[48:51], v20 offset:17152
	ds_read_b128 v[44:47], v20 offset:17408
	ds_read_b128 v[40:43], v20 offset:17664
	ds_read_b128 v[36:39], v20 offset:17920
	ds_read_b128 v[20:23], v20 offset:18176
	s_waitcnt lgkmcnt(7)
	v_add_f64 v[156:157], v[34:35], v[154:155]
	v_add_f64 v[158:159], v[32:33], v[152:153]
	v_cvt_f32_f64_e32 v66, v[158:159]
	v_cvt_f32_f64_e32 v151, v[156:157]
	v_add_f64 v[156:157], v[30:31], v[154:155]
	v_add_f64 v[158:159], v[28:29], v[152:153]
	v_min3_f32 v143, v66, v151, v143
	v_cvt_f32_f64_e32 v66, v[158:159]
	v_cvt_f32_f64_e32 v151, v[156:157]
	v_add_f64 v[156:157], v[26:27], v[154:155]
	v_add_f64 v[158:159], v[24:25], v[152:153]
	v_min3_f32 v142, v66, v151, v142
	;; [unrolled: 5-line block ×7, first 2 shown]
	v_cvt_f32_f64_e32 v66, v[152:153]
	v_cvt_f32_f64_e32 v151, v[154:155]
	s_waitcnt lgkmcnt(6)
	v_add_f64 v[152:153], v[34:35], v[58:59]
	v_add_f64 v[154:155], v[32:33], v[56:57]
	v_min3_f32 v134, v66, v151, v134
	v_cvt_f32_f64_e32 v66, v[154:155]
	v_cvt_f32_f64_e32 v151, v[152:153]
	v_add_f64 v[152:153], v[30:31], v[58:59]
	v_add_f64 v[154:155], v[28:29], v[56:57]
	v_min3_f32 v133, v66, v151, v133
	v_cvt_f32_f64_e32 v66, v[154:155]
	v_cvt_f32_f64_e32 v151, v[152:153]
	;; [unrolled: 5-line block ×6, first 2 shown]
	v_add_f64 v[152:153], v[6:7], v[58:59]
	v_add_f64 v[154:155], v[4:5], v[56:57]
	v_add_f64 v[58:59], v[2:3], v[58:59]
	v_add_f64 v[56:57], v[0:1], v[56:57]
	v_cvt_f32_f64_e32 v56, v[56:57]
	v_cvt_f32_f64_e32 v57, v[58:59]
	v_min3_f32 v126, v56, v57, v126
	s_waitcnt lgkmcnt(5)
	v_add_f64 v[56:57], v[34:35], v[54:55]
	v_add_f64 v[58:59], v[32:33], v[52:53]
	v_cvt_f32_f64_e32 v58, v[58:59]
	v_cvt_f32_f64_e32 v56, v[56:57]
	v_min3_f32 v125, v58, v56, v125
	v_add_f64 v[56:57], v[30:31], v[54:55]
	v_add_f64 v[58:59], v[28:29], v[52:53]
	v_cvt_f32_f64_e32 v58, v[58:59]
	v_cvt_f32_f64_e32 v56, v[56:57]
	v_min3_f32 v124, v58, v56, v124
	v_add_f64 v[56:57], v[26:27], v[54:55]
	v_add_f64 v[58:59], v[24:25], v[52:53]
	v_cvt_f32_f64_e32 v58, v[58:59]
	v_cvt_f32_f64_e32 v56, v[56:57]
	v_min3_f32 v123, v58, v56, v123
	v_add_f64 v[56:57], v[18:19], v[54:55]
	v_add_f64 v[58:59], v[16:17], v[52:53]
	v_cvt_f32_f64_e32 v58, v[58:59]
	v_cvt_f32_f64_e32 v56, v[56:57]
	v_min3_f32 v122, v58, v56, v122
	v_add_f64 v[56:57], v[14:15], v[54:55]
	v_add_f64 v[58:59], v[12:13], v[52:53]
	v_cvt_f32_f64_e32 v58, v[58:59]
	v_cvt_f32_f64_e32 v56, v[56:57]
	v_min3_f32 v121, v58, v56, v121
	v_add_f64 v[56:57], v[10:11], v[54:55]
	v_add_f64 v[58:59], v[8:9], v[52:53]
	v_cvt_f32_f64_e32 v58, v[58:59]
	v_cvt_f32_f64_e32 v56, v[56:57]
	v_min3_f32 v120, v58, v56, v120
	v_add_f64 v[56:57], v[6:7], v[54:55]
	v_add_f64 v[58:59], v[4:5], v[52:53]
	v_add_f64 v[54:55], v[2:3], v[54:55]
	v_add_f64 v[52:53], v[0:1], v[52:53]
	v_cvt_f32_f64_e32 v52, v[52:53]
	v_cvt_f32_f64_e32 v53, v[54:55]
	v_min3_f32 v118, v52, v53, v118
	s_waitcnt lgkmcnt(4)
	v_add_f64 v[52:53], v[34:35], v[50:51]
	v_add_f64 v[54:55], v[32:33], v[48:49]
	v_cvt_f32_f64_e32 v54, v[54:55]
	v_cvt_f32_f64_e32 v52, v[52:53]
	v_min3_f32 v117, v54, v52, v117
	v_add_f64 v[52:53], v[30:31], v[50:51]
	v_add_f64 v[54:55], v[28:29], v[48:49]
	v_cvt_f32_f64_e32 v54, v[54:55]
	v_cvt_f32_f64_e32 v52, v[52:53]
	v_min3_f32 v116, v54, v52, v116
	v_add_f64 v[52:53], v[26:27], v[50:51]
	v_add_f64 v[54:55], v[24:25], v[48:49]
	v_cvt_f32_f64_e32 v54, v[54:55]
	v_cvt_f32_f64_e32 v52, v[52:53]
	v_min3_f32 v115, v54, v52, v115
	v_add_f64 v[52:53], v[18:19], v[50:51]
	v_add_f64 v[54:55], v[16:17], v[48:49]
	v_cvt_f32_f64_e32 v54, v[54:55]
	v_cvt_f32_f64_e32 v52, v[52:53]
	v_min3_f32 v114, v54, v52, v114
	v_add_f64 v[52:53], v[14:15], v[50:51]
	v_add_f64 v[54:55], v[12:13], v[48:49]
	v_cvt_f32_f64_e32 v54, v[54:55]
	v_cvt_f32_f64_e32 v52, v[52:53]
	v_min3_f32 v113, v54, v52, v113
	v_add_f64 v[52:53], v[10:11], v[50:51]
	v_add_f64 v[54:55], v[8:9], v[48:49]
	v_cvt_f32_f64_e32 v54, v[54:55]
	v_cvt_f32_f64_e32 v52, v[52:53]
	v_min3_f32 v112, v54, v52, v112
	;; [unrolled: 38-line block ×5, first 2 shown]
	v_add_f64 v[40:41], v[6:7], v[38:39]
	v_add_f64 v[42:43], v[4:5], v[36:37]
	;; [unrolled: 1-line block ×4, first 2 shown]
	s_waitcnt lgkmcnt(0)
	v_add_f64 v[34:35], v[34:35], v[22:23]
	v_add_f64 v[32:33], v[32:33], v[20:21]
	;; [unrolled: 1-line block ×16, first 2 shown]
	v_min3_f32 v128, v66, v151, v128
	v_cvt_f32_f64_e32 v66, v[154:155]
	v_cvt_f32_f64_e32 v151, v[152:153]
	;; [unrolled: 1-line block ×30, first 2 shown]
	v_min3_f32 v127, v66, v151, v127
	v_min3_f32 v119, v58, v56, v119
	;; [unrolled: 1-line block ×15, first 2 shown]
	s_mov_b32 s23, 2
	s_mov_b64 s[2:3], 0
	s_cbranch_vccz .LBB156_42
; %bb.43:                               ;   in Loop: Header=BB156_25 Depth=1
	s_add_i32 s25, s25, 8
	s_add_i32 s22, s22, 8
	s_cmp_ge_i32 s22, s26
	ds_write2st64_b64 v149, v[68:69], v[70:71] offset1:4
	ds_write2st64_b64 v149, v[72:73], v[74:75] offset0:8 offset1:12
	ds_write_b64 v150, v[76:77]
	s_waitcnt lgkmcnt(0)
	s_barrier
	s_cbranch_scc0 .LBB156_25
.LBB156_44:
	s_mov_b32 s4, 0
	s_mov_b64 s[2:3], -1
.LBB156_45:                             ; =>This Inner Loop Header: Depth=1
	v_cndmask_b32_e64 v0, 0, 1, s[2:3]
	s_lshl_b32 s2, s4, 3
	v_cmp_ne_u32_e32 vcc, 1, v0
	v_lshl_add_u32 v0, v135, 5, s2
	v_lshl_add_u32 v20, v136, 5, s2
	ds_read_b128 v[32:35], v0 offset:8192
	ds_read_b128 v[28:31], v0 offset:9216
	;; [unrolled: 1-line block ×16, first 2 shown]
	s_waitcnt lgkmcnt(7)
	v_add_f64 v[64:65], v[34:35], v[62:63]
	v_add_f64 v[66:67], v[32:33], v[60:61]
	v_cvt_f32_f64_e32 v66, v[66:67]
	v_cvt_f32_f64_e32 v64, v[64:65]
	v_min3_f32 v143, v66, v64, v143
	v_add_f64 v[64:65], v[30:31], v[62:63]
	v_add_f64 v[66:67], v[28:29], v[60:61]
	v_cvt_f32_f64_e32 v66, v[66:67]
	v_cvt_f32_f64_e32 v64, v[64:65]
	v_min3_f32 v142, v66, v64, v142
	v_add_f64 v[64:65], v[26:27], v[62:63]
	v_add_f64 v[66:67], v[24:25], v[60:61]
	v_cvt_f32_f64_e32 v66, v[66:67]
	v_cvt_f32_f64_e32 v64, v[64:65]
	v_min3_f32 v141, v66, v64, v141
	v_add_f64 v[64:65], v[18:19], v[62:63]
	v_add_f64 v[66:67], v[16:17], v[60:61]
	v_cvt_f32_f64_e32 v66, v[66:67]
	v_cvt_f32_f64_e32 v64, v[64:65]
	v_min3_f32 v140, v66, v64, v140
	v_add_f64 v[64:65], v[14:15], v[62:63]
	v_add_f64 v[66:67], v[12:13], v[60:61]
	v_cvt_f32_f64_e32 v66, v[66:67]
	v_cvt_f32_f64_e32 v64, v[64:65]
	v_min3_f32 v139, v66, v64, v139
	v_add_f64 v[64:65], v[10:11], v[62:63]
	v_add_f64 v[66:67], v[8:9], v[60:61]
	v_cvt_f32_f64_e32 v66, v[66:67]
	v_cvt_f32_f64_e32 v64, v[64:65]
	v_min3_f32 v138, v66, v64, v138
	v_add_f64 v[64:65], v[6:7], v[62:63]
	v_add_f64 v[66:67], v[4:5], v[60:61]
	v_add_f64 v[62:63], v[2:3], v[62:63]
	v_add_f64 v[60:61], v[0:1], v[60:61]
	v_cvt_f32_f64_e32 v60, v[60:61]
	v_cvt_f32_f64_e32 v61, v[62:63]
	v_min3_f32 v134, v60, v61, v134
	s_waitcnt lgkmcnt(6)
	v_add_f64 v[60:61], v[34:35], v[58:59]
	v_add_f64 v[62:63], v[32:33], v[56:57]
	v_cvt_f32_f64_e32 v62, v[62:63]
	v_cvt_f32_f64_e32 v60, v[60:61]
	v_min3_f32 v133, v62, v60, v133
	v_add_f64 v[60:61], v[30:31], v[58:59]
	v_add_f64 v[62:63], v[28:29], v[56:57]
	v_cvt_f32_f64_e32 v62, v[62:63]
	v_cvt_f32_f64_e32 v60, v[60:61]
	v_min3_f32 v132, v62, v60, v132
	v_add_f64 v[60:61], v[26:27], v[58:59]
	v_add_f64 v[62:63], v[24:25], v[56:57]
	v_cvt_f32_f64_e32 v62, v[62:63]
	v_cvt_f32_f64_e32 v60, v[60:61]
	v_min3_f32 v131, v62, v60, v131
	v_add_f64 v[60:61], v[18:19], v[58:59]
	v_add_f64 v[62:63], v[16:17], v[56:57]
	v_cvt_f32_f64_e32 v62, v[62:63]
	v_cvt_f32_f64_e32 v60, v[60:61]
	v_min3_f32 v130, v62, v60, v130
	v_add_f64 v[60:61], v[14:15], v[58:59]
	v_add_f64 v[62:63], v[12:13], v[56:57]
	v_cvt_f32_f64_e32 v62, v[62:63]
	v_cvt_f32_f64_e32 v60, v[60:61]
	v_min3_f32 v129, v62, v60, v129
	v_add_f64 v[60:61], v[10:11], v[58:59]
	v_add_f64 v[62:63], v[8:9], v[56:57]
	v_cvt_f32_f64_e32 v62, v[62:63]
	v_cvt_f32_f64_e32 v60, v[60:61]
	v_min3_f32 v128, v62, v60, v128
	v_add_f64 v[60:61], v[6:7], v[58:59]
	v_add_f64 v[62:63], v[4:5], v[56:57]
	v_add_f64 v[58:59], v[2:3], v[58:59]
	v_add_f64 v[56:57], v[0:1], v[56:57]
	v_cvt_f32_f64_e32 v56, v[56:57]
	v_cvt_f32_f64_e32 v57, v[58:59]
	v_min3_f32 v126, v56, v57, v126
	s_waitcnt lgkmcnt(5)
	v_add_f64 v[56:57], v[34:35], v[54:55]
	v_add_f64 v[58:59], v[32:33], v[52:53]
	v_cvt_f32_f64_e32 v58, v[58:59]
	v_cvt_f32_f64_e32 v56, v[56:57]
	v_min3_f32 v125, v58, v56, v125
	v_add_f64 v[56:57], v[30:31], v[54:55]
	v_add_f64 v[58:59], v[28:29], v[52:53]
	v_cvt_f32_f64_e32 v58, v[58:59]
	v_cvt_f32_f64_e32 v56, v[56:57]
	v_min3_f32 v124, v58, v56, v124
	v_add_f64 v[56:57], v[26:27], v[54:55]
	v_add_f64 v[58:59], v[24:25], v[52:53]
	v_cvt_f32_f64_e32 v58, v[58:59]
	v_cvt_f32_f64_e32 v56, v[56:57]
	v_min3_f32 v123, v58, v56, v123
	v_add_f64 v[56:57], v[18:19], v[54:55]
	v_add_f64 v[58:59], v[16:17], v[52:53]
	v_cvt_f32_f64_e32 v58, v[58:59]
	v_cvt_f32_f64_e32 v56, v[56:57]
	v_min3_f32 v122, v58, v56, v122
	v_add_f64 v[56:57], v[14:15], v[54:55]
	v_add_f64 v[58:59], v[12:13], v[52:53]
	v_cvt_f32_f64_e32 v58, v[58:59]
	v_cvt_f32_f64_e32 v56, v[56:57]
	v_min3_f32 v121, v58, v56, v121
	v_add_f64 v[56:57], v[10:11], v[54:55]
	v_add_f64 v[58:59], v[8:9], v[52:53]
	v_cvt_f32_f64_e32 v58, v[58:59]
	v_cvt_f32_f64_e32 v56, v[56:57]
	v_min3_f32 v120, v58, v56, v120
	v_add_f64 v[56:57], v[6:7], v[54:55]
	v_add_f64 v[58:59], v[4:5], v[52:53]
	v_add_f64 v[54:55], v[2:3], v[54:55]
	v_add_f64 v[52:53], v[0:1], v[52:53]
	v_cvt_f32_f64_e32 v52, v[52:53]
	v_cvt_f32_f64_e32 v53, v[54:55]
	v_min3_f32 v118, v52, v53, v118
	s_waitcnt lgkmcnt(4)
	v_add_f64 v[52:53], v[34:35], v[50:51]
	v_add_f64 v[54:55], v[32:33], v[48:49]
	v_cvt_f32_f64_e32 v54, v[54:55]
	v_cvt_f32_f64_e32 v52, v[52:53]
	v_min3_f32 v117, v54, v52, v117
	v_add_f64 v[52:53], v[30:31], v[50:51]
	v_add_f64 v[54:55], v[28:29], v[48:49]
	v_cvt_f32_f64_e32 v54, v[54:55]
	v_cvt_f32_f64_e32 v52, v[52:53]
	v_min3_f32 v116, v54, v52, v116
	v_add_f64 v[52:53], v[26:27], v[50:51]
	v_add_f64 v[54:55], v[24:25], v[48:49]
	v_cvt_f32_f64_e32 v54, v[54:55]
	v_cvt_f32_f64_e32 v52, v[52:53]
	v_min3_f32 v115, v54, v52, v115
	v_add_f64 v[52:53], v[18:19], v[50:51]
	v_add_f64 v[54:55], v[16:17], v[48:49]
	v_cvt_f32_f64_e32 v54, v[54:55]
	v_cvt_f32_f64_e32 v52, v[52:53]
	v_min3_f32 v114, v54, v52, v114
	v_add_f64 v[52:53], v[14:15], v[50:51]
	v_add_f64 v[54:55], v[12:13], v[48:49]
	v_cvt_f32_f64_e32 v54, v[54:55]
	v_cvt_f32_f64_e32 v52, v[52:53]
	v_min3_f32 v113, v54, v52, v113
	v_add_f64 v[52:53], v[10:11], v[50:51]
	v_add_f64 v[54:55], v[8:9], v[48:49]
	v_cvt_f32_f64_e32 v54, v[54:55]
	v_cvt_f32_f64_e32 v52, v[52:53]
	v_min3_f32 v112, v54, v52, v112
	v_add_f64 v[52:53], v[6:7], v[50:51]
	v_add_f64 v[54:55], v[4:5], v[48:49]
	v_add_f64 v[50:51], v[2:3], v[50:51]
	v_add_f64 v[48:49], v[0:1], v[48:49]
	v_cvt_f32_f64_e32 v48, v[48:49]
	v_cvt_f32_f64_e32 v49, v[50:51]
	v_min3_f32 v110, v48, v49, v110
	s_waitcnt lgkmcnt(3)
	v_add_f64 v[48:49], v[34:35], v[46:47]
	v_add_f64 v[50:51], v[32:33], v[44:45]
	v_cvt_f32_f64_e32 v50, v[50:51]
	v_cvt_f32_f64_e32 v48, v[48:49]
	v_min3_f32 v109, v50, v48, v109
	v_add_f64 v[48:49], v[30:31], v[46:47]
	v_add_f64 v[50:51], v[28:29], v[44:45]
	v_cvt_f32_f64_e32 v50, v[50:51]
	v_cvt_f32_f64_e32 v48, v[48:49]
	v_min3_f32 v108, v50, v48, v108
	v_add_f64 v[48:49], v[26:27], v[46:47]
	v_add_f64 v[50:51], v[24:25], v[44:45]
	v_cvt_f32_f64_e32 v50, v[50:51]
	v_cvt_f32_f64_e32 v48, v[48:49]
	v_min3_f32 v107, v50, v48, v107
	v_add_f64 v[48:49], v[18:19], v[46:47]
	v_add_f64 v[50:51], v[16:17], v[44:45]
	v_cvt_f32_f64_e32 v50, v[50:51]
	v_cvt_f32_f64_e32 v48, v[48:49]
	v_min3_f32 v106, v50, v48, v106
	v_add_f64 v[48:49], v[14:15], v[46:47]
	v_add_f64 v[50:51], v[12:13], v[44:45]
	v_cvt_f32_f64_e32 v50, v[50:51]
	v_cvt_f32_f64_e32 v48, v[48:49]
	v_min3_f32 v105, v50, v48, v105
	v_add_f64 v[48:49], v[10:11], v[46:47]
	v_add_f64 v[50:51], v[8:9], v[44:45]
	v_cvt_f32_f64_e32 v50, v[50:51]
	v_cvt_f32_f64_e32 v48, v[48:49]
	v_min3_f32 v104, v50, v48, v104
	v_add_f64 v[48:49], v[6:7], v[46:47]
	v_add_f64 v[50:51], v[4:5], v[44:45]
	v_add_f64 v[46:47], v[2:3], v[46:47]
	v_add_f64 v[44:45], v[0:1], v[44:45]
	v_cvt_f32_f64_e32 v44, v[44:45]
	v_cvt_f32_f64_e32 v45, v[46:47]
	v_min3_f32 v102, v44, v45, v102
	s_waitcnt lgkmcnt(2)
	v_add_f64 v[44:45], v[34:35], v[42:43]
	v_add_f64 v[46:47], v[32:33], v[40:41]
	v_cvt_f32_f64_e32 v46, v[46:47]
	v_cvt_f32_f64_e32 v44, v[44:45]
	v_min3_f32 v101, v46, v44, v101
	v_add_f64 v[44:45], v[30:31], v[42:43]
	v_add_f64 v[46:47], v[28:29], v[40:41]
	v_cvt_f32_f64_e32 v46, v[46:47]
	v_cvt_f32_f64_e32 v44, v[44:45]
	v_min3_f32 v100, v46, v44, v100
	v_add_f64 v[44:45], v[26:27], v[42:43]
	v_add_f64 v[46:47], v[24:25], v[40:41]
	v_cvt_f32_f64_e32 v46, v[46:47]
	v_cvt_f32_f64_e32 v44, v[44:45]
	v_min3_f32 v99, v46, v44, v99
	v_add_f64 v[44:45], v[18:19], v[42:43]
	v_add_f64 v[46:47], v[16:17], v[40:41]
	v_cvt_f32_f64_e32 v46, v[46:47]
	v_cvt_f32_f64_e32 v44, v[44:45]
	v_min3_f32 v98, v46, v44, v98
	v_add_f64 v[44:45], v[14:15], v[42:43]
	v_add_f64 v[46:47], v[12:13], v[40:41]
	v_cvt_f32_f64_e32 v46, v[46:47]
	v_cvt_f32_f64_e32 v44, v[44:45]
	v_min3_f32 v97, v46, v44, v97
	v_add_f64 v[44:45], v[10:11], v[42:43]
	v_add_f64 v[46:47], v[8:9], v[40:41]
	v_cvt_f32_f64_e32 v46, v[46:47]
	v_cvt_f32_f64_e32 v44, v[44:45]
	v_min3_f32 v96, v46, v44, v96
	v_add_f64 v[44:45], v[6:7], v[42:43]
	v_add_f64 v[46:47], v[4:5], v[40:41]
	v_add_f64 v[42:43], v[2:3], v[42:43]
	v_add_f64 v[40:41], v[0:1], v[40:41]
	v_cvt_f32_f64_e32 v40, v[40:41]
	v_cvt_f32_f64_e32 v41, v[42:43]
	v_min3_f32 v94, v40, v41, v94
	s_waitcnt lgkmcnt(1)
	v_add_f64 v[40:41], v[34:35], v[38:39]
	v_add_f64 v[42:43], v[32:33], v[36:37]
	v_cvt_f32_f64_e32 v42, v[42:43]
	v_cvt_f32_f64_e32 v40, v[40:41]
	v_min3_f32 v93, v42, v40, v93
	v_add_f64 v[40:41], v[30:31], v[38:39]
	v_add_f64 v[42:43], v[28:29], v[36:37]
	v_cvt_f32_f64_e32 v42, v[42:43]
	v_cvt_f32_f64_e32 v40, v[40:41]
	v_min3_f32 v92, v42, v40, v92
	;; [unrolled: 5-line block ×6, first 2 shown]
	v_add_f64 v[40:41], v[6:7], v[38:39]
	v_add_f64 v[42:43], v[4:5], v[36:37]
	;; [unrolled: 1-line block ×4, first 2 shown]
	s_waitcnt lgkmcnt(0)
	v_add_f64 v[34:35], v[34:35], v[22:23]
	v_add_f64 v[32:33], v[32:33], v[20:21]
	;; [unrolled: 1-line block ×16, first 2 shown]
	v_cvt_f32_f64_e32 v66, v[66:67]
	v_cvt_f32_f64_e32 v64, v[64:65]
	;; [unrolled: 1-line block ×32, first 2 shown]
	v_min3_f32 v137, v66, v64, v137
	v_min3_f32 v127, v62, v60, v127
	;; [unrolled: 1-line block ×16, first 2 shown]
	s_mov_b32 s4, 2
	s_mov_b64 s[2:3], 0
	s_cbranch_vccz .LBB156_45
; %bb.46:
	s_load_dwordx2 s[2:3], s[0:1], 0x78
	s_load_dword s17, s[0:1], 0x58
	s_load_dword s18, s[0:1], 0x70
	v_add_u32_e32 v8, s8, v135
	v_add_u32_e32 v30, s9, v136
	s_waitcnt lgkmcnt(0)
	s_mul_i32 s1, s16, s3
	s_mul_hi_u32 s3, s16, s2
	s_mul_i32 s0, s16, s2
	s_add_i32 s1, s3, s1
	s_lshl_b64 s[0:1], s[0:1], 3
	s_add_u32 s0, s10, s0
	s_addc_u32 s1, s11, s1
	v_add_u32_e32 v0, 32, v8
	v_mad_i64_i32 v[2:3], s[2:3], v30, s18, 0
	v_ashrrev_i32_e32 v9, 31, v8
	v_ashrrev_i32_e32 v1, 31, v0
	v_lshl_add_u64 v[24:25], v[2:3], 3, s[0:1]
	v_mad_i64_i32 v[2:3], s[2:3], v30, s17, 0
	v_max_f32_e32 v4, v143, v143
	s_mov_b64 vcc, s[6:7]
	s_cbranch_vccz .LBB156_49
; %bb.47:
	v_min_f32_e32 v5, 0, v4
	v_cvt_f64_f32_e32 v[6:7], v5
	v_lshl_add_u64 v[10:11], v[8:9], 3, v[24:25]
	global_store_dwordx2 v[10:11], v[6:7], off
	s_mov_b64 s[2:3], 0
	v_lshl_add_u64 v[26:27], v[2:3], 3, s[14:15]
	v_lshlrev_b64 v[12:13], 3, v[8:9]
	s_cbranch_execz .LBB156_50
; %bb.48:
	v_mov_b64_e32 v[4:5], s[2:3]
	s_branch .LBB156_51
.LBB156_49:
                                        ; implicit-def: $sgpr2_sgpr3
	v_lshl_add_u64 v[26:27], v[2:3], 3, s[14:15]
	v_lshlrev_b64 v[12:13], 3, v[8:9]
.LBB156_50:
	v_lshl_add_u64 v[2:3], v[26:27], 0, v[12:13]
	flat_load_dwordx2 v[2:3], v[2:3]
	v_lshl_add_u64 v[6:7], v[24:25], 0, v[12:13]
	s_waitcnt vmcnt(0) lgkmcnt(0)
	v_mul_f64 v[2:3], s[12:13], v[2:3]
	v_cvt_f32_f64_e32 v2, v[2:3]
	v_min_f32_e32 v2, v2, v4
	v_cvt_f64_f32_e32 v[2:3], v2
	global_store_dwordx2 v[6:7], v[2:3], off
	v_lshl_add_u64 v[2:3], v[0:1], 3, v[26:27]
	flat_load_dwordx2 v[2:3], v[2:3]
	s_waitcnt vmcnt(0) lgkmcnt(0)
	v_mul_f64 v[4:5], s[12:13], v[2:3]
.LBB156_51:
	v_cvt_f32_f64_e32 v4, v[4:5]
	v_max_f32_e32 v5, v142, v142
	v_min_f32_e32 v4, v4, v5
	v_add_u32_e32 v10, 64, v8
	v_add_u32_e32 v2, 0x60, v8
	v_cvt_f64_f32_e32 v[4:5], v4
	v_lshl_add_u64 v[6:7], v[0:1], 3, v[24:25]
	v_ashrrev_i32_e32 v11, 31, v10
	v_ashrrev_i32_e32 v3, 31, v2
	global_store_dwordx2 v[6:7], v[4:5], off
	v_max_f32_e32 v4, v141, v141
	s_mov_b64 vcc, s[6:7]
	s_cbranch_vccz .LBB156_54
; %bb.52:
	v_min_f32_e32 v5, 0, v4
	v_cvt_f64_f32_e32 v[6:7], v5
	v_lshl_add_u64 v[14:15], v[10:11], 3, v[24:25]
	global_store_dwordx2 v[14:15], v[6:7], off
	s_mov_b64 s[2:3], 0
	v_lshlrev_b64 v[16:17], 3, v[10:11]
	s_cbranch_execz .LBB156_55
; %bb.53:
	v_mov_b64_e32 v[6:7], s[2:3]
	s_branch .LBB156_56
.LBB156_54:
                                        ; implicit-def: $sgpr2_sgpr3
	v_lshlrev_b64 v[16:17], 3, v[10:11]
.LBB156_55:
	v_lshl_add_u64 v[6:7], v[26:27], 0, v[16:17]
	flat_load_dwordx2 v[6:7], v[6:7]
	v_lshl_add_u64 v[14:15], v[24:25], 0, v[16:17]
	s_waitcnt vmcnt(0) lgkmcnt(0)
	v_mul_f64 v[6:7], s[12:13], v[6:7]
	v_cvt_f32_f64_e32 v5, v[6:7]
	v_min_f32_e32 v4, v5, v4
	v_cvt_f64_f32_e32 v[4:5], v4
	global_store_dwordx2 v[14:15], v[4:5], off
	v_lshl_add_u64 v[4:5], v[2:3], 3, v[26:27]
	flat_load_dwordx2 v[4:5], v[4:5]
	s_waitcnt vmcnt(0) lgkmcnt(0)
	v_mul_f64 v[6:7], s[12:13], v[4:5]
.LBB156_56:
	v_cvt_f32_f64_e32 v6, v[6:7]
	v_max_f32_e32 v7, v140, v140
	v_min_f32_e32 v6, v6, v7
	v_add_u32_e32 v14, 0x80, v8
	v_add_u32_e32 v4, 0xa0, v8
	v_cvt_f64_f32_e32 v[6:7], v6
	v_lshl_add_u64 v[18:19], v[2:3], 3, v[24:25]
	v_ashrrev_i32_e32 v15, 31, v14
	v_ashrrev_i32_e32 v5, 31, v4
	global_store_dwordx2 v[18:19], v[6:7], off
	v_max_f32_e32 v6, v139, v139
	s_mov_b64 vcc, s[6:7]
	s_cbranch_vccz .LBB156_59
; %bb.57:
	v_min_f32_e32 v7, 0, v6
	v_cvt_f64_f32_e32 v[18:19], v7
	v_lshl_add_u64 v[20:21], v[14:15], 3, v[24:25]
	global_store_dwordx2 v[20:21], v[18:19], off
	s_mov_b64 s[2:3], 0
	v_lshlrev_b64 v[20:21], 3, v[14:15]
	s_cbranch_execz .LBB156_60
; %bb.58:
	v_mov_b64_e32 v[22:23], s[2:3]
	s_branch .LBB156_61
.LBB156_59:
                                        ; implicit-def: $sgpr2_sgpr3
	v_lshlrev_b64 v[20:21], 3, v[14:15]
.LBB156_60:
	v_lshl_add_u64 v[18:19], v[26:27], 0, v[20:21]
	flat_load_dwordx2 v[18:19], v[18:19]
	v_lshl_add_u64 v[22:23], v[24:25], 0, v[20:21]
	s_waitcnt vmcnt(0) lgkmcnt(0)
	v_mul_f64 v[18:19], s[12:13], v[18:19]
	v_cvt_f32_f64_e32 v7, v[18:19]
	v_min_f32_e32 v6, v7, v6
	v_cvt_f64_f32_e32 v[6:7], v6
	global_store_dwordx2 v[22:23], v[6:7], off
	v_lshl_add_u64 v[6:7], v[4:5], 3, v[26:27]
	flat_load_dwordx2 v[6:7], v[6:7]
	s_waitcnt vmcnt(0) lgkmcnt(0)
	v_mul_f64 v[22:23], s[12:13], v[6:7]
.LBB156_61:
	v_cvt_f32_f64_e32 v22, v[22:23]
	v_max_f32_e32 v23, v138, v138
	v_min_f32_e32 v22, v22, v23
	v_add_u32_e32 v18, 0xc0, v8
	v_add_u32_e32 v6, 0xe0, v8
	v_cvt_f64_f32_e32 v[22:23], v22
	v_lshl_add_u64 v[28:29], v[4:5], 3, v[24:25]
	v_ashrrev_i32_e32 v19, 31, v18
	v_ashrrev_i32_e32 v7, 31, v6
	global_store_dwordx2 v[28:29], v[22:23], off
	v_max_f32_e32 v28, v137, v137
	s_mov_b64 vcc, s[6:7]
	s_cbranch_vccz .LBB156_64
; %bb.62:
	v_min_f32_e32 v22, 0, v28
	v_cvt_f64_f32_e32 v[22:23], v22
	v_lshl_add_u64 v[32:33], v[18:19], 3, v[24:25]
	global_store_dwordx2 v[32:33], v[22:23], off
	s_mov_b64 s[2:3], 0
	v_lshlrev_b64 v[22:23], 3, v[18:19]
	s_cbranch_execz .LBB156_65
; %bb.63:
	v_mov_b64_e32 v[26:27], s[2:3]
	s_branch .LBB156_66
.LBB156_64:
                                        ; implicit-def: $sgpr2_sgpr3
	v_lshlrev_b64 v[22:23], 3, v[18:19]
.LBB156_65:
	v_lshl_add_u64 v[32:33], v[26:27], 0, v[22:23]
	flat_load_dwordx2 v[32:33], v[32:33]
	v_lshl_add_u64 v[34:35], v[24:25], 0, v[22:23]
	v_lshl_add_u64 v[26:27], v[6:7], 3, v[26:27]
	s_waitcnt vmcnt(0) lgkmcnt(0)
	v_mul_f64 v[32:33], s[12:13], v[32:33]
	v_cvt_f32_f64_e32 v29, v[32:33]
	v_min_f32_e32 v28, v29, v28
	v_cvt_f64_f32_e32 v[28:29], v28
	global_store_dwordx2 v[34:35], v[28:29], off
	flat_load_dwordx2 v[26:27], v[26:27]
	s_waitcnt vmcnt(0) lgkmcnt(0)
	v_mul_f64 v[26:27], s[12:13], v[26:27]
.LBB156_66:
	v_cvt_f32_f64_e32 v26, v[26:27]
	v_max_f32_e32 v27, v134, v134
	v_min_f32_e32 v26, v26, v27
	v_cvt_f64_f32_e32 v[26:27], v26
	v_lshl_add_u64 v[24:25], v[6:7], 3, v[24:25]
	global_store_dwordx2 v[24:25], v[26:27], off
	v_add_u32_e32 v26, 8, v30
	v_mad_i64_i32 v[24:25], s[2:3], v26, s18, 0
	v_lshl_add_u64 v[24:25], v[24:25], 3, s[0:1]
	v_mad_i64_i32 v[26:27], s[2:3], v26, s17, 0
	v_max_f32_e32 v28, v133, v133
	s_mov_b64 vcc, s[6:7]
	s_cbranch_vccz .LBB156_69
; %bb.67:
	v_min_f32_e32 v29, 0, v28
	v_cvt_f64_f32_e32 v[32:33], v29
	v_lshl_add_u64 v[34:35], v[8:9], 3, v[24:25]
	global_store_dwordx2 v[34:35], v[32:33], off
	s_mov_b64 s[2:3], 0
	v_lshl_add_u64 v[26:27], v[26:27], 3, s[14:15]
	s_cbranch_execz .LBB156_70
; %bb.68:
	v_mov_b64_e32 v[28:29], s[2:3]
	s_branch .LBB156_71
.LBB156_69:
                                        ; implicit-def: $sgpr2_sgpr3
	v_lshl_add_u64 v[26:27], v[26:27], 3, s[14:15]
.LBB156_70:
	v_lshl_add_u64 v[32:33], v[26:27], 0, v[12:13]
	flat_load_dwordx2 v[32:33], v[32:33]
	v_lshl_add_u64 v[34:35], v[24:25], 0, v[12:13]
	s_waitcnt vmcnt(0) lgkmcnt(0)
	v_mul_f64 v[32:33], s[12:13], v[32:33]
	v_cvt_f32_f64_e32 v29, v[32:33]
	v_min_f32_e32 v28, v29, v28
	v_cvt_f64_f32_e32 v[28:29], v28
	global_store_dwordx2 v[34:35], v[28:29], off
	v_lshl_add_u64 v[28:29], v[0:1], 3, v[26:27]
	flat_load_dwordx2 v[28:29], v[28:29]
	s_waitcnt vmcnt(0) lgkmcnt(0)
	v_mul_f64 v[28:29], s[12:13], v[28:29]
.LBB156_71:
	v_cvt_f32_f64_e32 v28, v[28:29]
	v_max_f32_e32 v29, v132, v132
	v_min_f32_e32 v28, v28, v29
	v_cvt_f64_f32_e32 v[28:29], v28
	v_lshl_add_u64 v[32:33], v[0:1], 3, v[24:25]
	global_store_dwordx2 v[32:33], v[28:29], off
	v_max_f32_e32 v28, v131, v131
	s_mov_b64 vcc, s[6:7]
	s_cbranch_vccz .LBB156_74
; %bb.72:
	v_min_f32_e32 v29, 0, v28
	v_cvt_f64_f32_e32 v[32:33], v29
	v_lshl_add_u64 v[34:35], v[10:11], 3, v[24:25]
	global_store_dwordx2 v[34:35], v[32:33], off
	s_mov_b64 s[2:3], 0
	s_cbranch_execz .LBB156_75
; %bb.73:
	v_mov_b64_e32 v[28:29], s[2:3]
	s_branch .LBB156_76
.LBB156_74:
                                        ; implicit-def: $sgpr2_sgpr3
.LBB156_75:
	v_lshl_add_u64 v[32:33], v[26:27], 0, v[16:17]
	flat_load_dwordx2 v[32:33], v[32:33]
	v_lshl_add_u64 v[34:35], v[24:25], 0, v[16:17]
	s_waitcnt vmcnt(0) lgkmcnt(0)
	v_mul_f64 v[32:33], s[12:13], v[32:33]
	v_cvt_f32_f64_e32 v29, v[32:33]
	v_min_f32_e32 v28, v29, v28
	v_cvt_f64_f32_e32 v[28:29], v28
	global_store_dwordx2 v[34:35], v[28:29], off
	v_lshl_add_u64 v[28:29], v[2:3], 3, v[26:27]
	flat_load_dwordx2 v[28:29], v[28:29]
	s_waitcnt vmcnt(0) lgkmcnt(0)
	v_mul_f64 v[28:29], s[12:13], v[28:29]
.LBB156_76:
	v_cvt_f32_f64_e32 v28, v[28:29]
	v_max_f32_e32 v29, v130, v130
	v_min_f32_e32 v28, v28, v29
	v_cvt_f64_f32_e32 v[28:29], v28
	v_lshl_add_u64 v[32:33], v[2:3], 3, v[24:25]
	global_store_dwordx2 v[32:33], v[28:29], off
	v_max_f32_e32 v28, v129, v129
	s_mov_b64 vcc, s[6:7]
	s_cbranch_vccz .LBB156_79
; %bb.77:
	v_min_f32_e32 v29, 0, v28
	v_cvt_f64_f32_e32 v[32:33], v29
	v_lshl_add_u64 v[34:35], v[14:15], 3, v[24:25]
	global_store_dwordx2 v[34:35], v[32:33], off
	s_mov_b64 s[2:3], 0
	s_cbranch_execz .LBB156_80
; %bb.78:
	v_mov_b64_e32 v[28:29], s[2:3]
	s_branch .LBB156_81
.LBB156_79:
                                        ; implicit-def: $sgpr2_sgpr3
.LBB156_80:
	v_lshl_add_u64 v[32:33], v[26:27], 0, v[20:21]
	flat_load_dwordx2 v[32:33], v[32:33]
	v_lshl_add_u64 v[34:35], v[24:25], 0, v[20:21]
	s_waitcnt vmcnt(0) lgkmcnt(0)
	v_mul_f64 v[32:33], s[12:13], v[32:33]
	v_cvt_f32_f64_e32 v29, v[32:33]
	v_min_f32_e32 v28, v29, v28
	v_cvt_f64_f32_e32 v[28:29], v28
	global_store_dwordx2 v[34:35], v[28:29], off
	v_lshl_add_u64 v[28:29], v[4:5], 3, v[26:27]
	flat_load_dwordx2 v[28:29], v[28:29]
	s_waitcnt vmcnt(0) lgkmcnt(0)
	v_mul_f64 v[28:29], s[12:13], v[28:29]
.LBB156_81:
	v_cvt_f32_f64_e32 v28, v[28:29]
	v_max_f32_e32 v29, v128, v128
	v_min_f32_e32 v28, v28, v29
	v_cvt_f64_f32_e32 v[28:29], v28
	v_lshl_add_u64 v[32:33], v[4:5], 3, v[24:25]
	global_store_dwordx2 v[32:33], v[28:29], off
	v_max_f32_e32 v28, v127, v127
	s_mov_b64 vcc, s[6:7]
	s_cbranch_vccz .LBB156_84
; %bb.82:
	v_min_f32_e32 v29, 0, v28
	v_cvt_f64_f32_e32 v[32:33], v29
	v_lshl_add_u64 v[34:35], v[18:19], 3, v[24:25]
	global_store_dwordx2 v[34:35], v[32:33], off
	s_mov_b64 s[2:3], 0
	s_cbranch_execz .LBB156_85
; %bb.83:
	v_mov_b64_e32 v[26:27], s[2:3]
	s_branch .LBB156_86
.LBB156_84:
                                        ; implicit-def: $sgpr2_sgpr3
.LBB156_85:
	v_lshl_add_u64 v[32:33], v[26:27], 0, v[22:23]
	flat_load_dwordx2 v[32:33], v[32:33]
	v_lshl_add_u64 v[34:35], v[24:25], 0, v[22:23]
	v_lshl_add_u64 v[26:27], v[6:7], 3, v[26:27]
	s_waitcnt vmcnt(0) lgkmcnt(0)
	v_mul_f64 v[32:33], s[12:13], v[32:33]
	v_cvt_f32_f64_e32 v29, v[32:33]
	v_min_f32_e32 v28, v29, v28
	v_cvt_f64_f32_e32 v[28:29], v28
	global_store_dwordx2 v[34:35], v[28:29], off
	flat_load_dwordx2 v[26:27], v[26:27]
	s_waitcnt vmcnt(0) lgkmcnt(0)
	v_mul_f64 v[26:27], s[12:13], v[26:27]
.LBB156_86:
	v_cvt_f32_f64_e32 v26, v[26:27]
	v_max_f32_e32 v27, v126, v126
	v_min_f32_e32 v26, v26, v27
	v_cvt_f64_f32_e32 v[26:27], v26
	v_lshl_add_u64 v[24:25], v[6:7], 3, v[24:25]
	global_store_dwordx2 v[24:25], v[26:27], off
	v_add_u32_e32 v26, 16, v30
	v_mad_i64_i32 v[24:25], s[2:3], v26, s18, 0
	v_lshl_add_u64 v[24:25], v[24:25], 3, s[0:1]
	v_mad_i64_i32 v[26:27], s[2:3], v26, s17, 0
	v_max_f32_e32 v28, v125, v125
	s_mov_b64 vcc, s[6:7]
	s_cbranch_vccz .LBB156_89
; %bb.87:
	v_min_f32_e32 v29, 0, v28
	v_cvt_f64_f32_e32 v[32:33], v29
	v_lshl_add_u64 v[34:35], v[8:9], 3, v[24:25]
	global_store_dwordx2 v[34:35], v[32:33], off
	s_mov_b64 s[2:3], 0
	v_lshl_add_u64 v[26:27], v[26:27], 3, s[14:15]
	s_cbranch_execz .LBB156_90
; %bb.88:
	v_mov_b64_e32 v[28:29], s[2:3]
	s_branch .LBB156_91
.LBB156_89:
                                        ; implicit-def: $sgpr2_sgpr3
	v_lshl_add_u64 v[26:27], v[26:27], 3, s[14:15]
.LBB156_90:
	v_lshl_add_u64 v[32:33], v[26:27], 0, v[12:13]
	flat_load_dwordx2 v[32:33], v[32:33]
	v_lshl_add_u64 v[34:35], v[24:25], 0, v[12:13]
	s_waitcnt vmcnt(0) lgkmcnt(0)
	v_mul_f64 v[32:33], s[12:13], v[32:33]
	v_cvt_f32_f64_e32 v29, v[32:33]
	v_min_f32_e32 v28, v29, v28
	v_cvt_f64_f32_e32 v[28:29], v28
	global_store_dwordx2 v[34:35], v[28:29], off
	v_lshl_add_u64 v[28:29], v[0:1], 3, v[26:27]
	flat_load_dwordx2 v[28:29], v[28:29]
	s_waitcnt vmcnt(0) lgkmcnt(0)
	v_mul_f64 v[28:29], s[12:13], v[28:29]
.LBB156_91:
	v_cvt_f32_f64_e32 v28, v[28:29]
	v_max_f32_e32 v29, v124, v124
	v_min_f32_e32 v28, v28, v29
	v_cvt_f64_f32_e32 v[28:29], v28
	v_lshl_add_u64 v[32:33], v[0:1], 3, v[24:25]
	global_store_dwordx2 v[32:33], v[28:29], off
	v_max_f32_e32 v28, v123, v123
	s_mov_b64 vcc, s[6:7]
	s_cbranch_vccz .LBB156_94
; %bb.92:
	v_min_f32_e32 v29, 0, v28
	v_cvt_f64_f32_e32 v[32:33], v29
	v_lshl_add_u64 v[34:35], v[10:11], 3, v[24:25]
	global_store_dwordx2 v[34:35], v[32:33], off
	s_mov_b64 s[2:3], 0
	s_cbranch_execz .LBB156_95
; %bb.93:
	v_mov_b64_e32 v[28:29], s[2:3]
	s_branch .LBB156_96
.LBB156_94:
                                        ; implicit-def: $sgpr2_sgpr3
.LBB156_95:
	v_lshl_add_u64 v[32:33], v[26:27], 0, v[16:17]
	flat_load_dwordx2 v[32:33], v[32:33]
	v_lshl_add_u64 v[34:35], v[24:25], 0, v[16:17]
	s_waitcnt vmcnt(0) lgkmcnt(0)
	v_mul_f64 v[32:33], s[12:13], v[32:33]
	v_cvt_f32_f64_e32 v29, v[32:33]
	v_min_f32_e32 v28, v29, v28
	v_cvt_f64_f32_e32 v[28:29], v28
	global_store_dwordx2 v[34:35], v[28:29], off
	v_lshl_add_u64 v[28:29], v[2:3], 3, v[26:27]
	flat_load_dwordx2 v[28:29], v[28:29]
	s_waitcnt vmcnt(0) lgkmcnt(0)
	v_mul_f64 v[28:29], s[12:13], v[28:29]
.LBB156_96:
	v_cvt_f32_f64_e32 v28, v[28:29]
	v_max_f32_e32 v29, v122, v122
	v_min_f32_e32 v28, v28, v29
	v_cvt_f64_f32_e32 v[28:29], v28
	v_lshl_add_u64 v[32:33], v[2:3], 3, v[24:25]
	global_store_dwordx2 v[32:33], v[28:29], off
	v_max_f32_e32 v28, v121, v121
	s_mov_b64 vcc, s[6:7]
	s_cbranch_vccz .LBB156_99
; %bb.97:
	v_min_f32_e32 v29, 0, v28
	v_cvt_f64_f32_e32 v[32:33], v29
	v_lshl_add_u64 v[34:35], v[14:15], 3, v[24:25]
	global_store_dwordx2 v[34:35], v[32:33], off
	s_mov_b64 s[2:3], 0
	s_cbranch_execz .LBB156_100
; %bb.98:
	v_mov_b64_e32 v[28:29], s[2:3]
	s_branch .LBB156_101
.LBB156_99:
                                        ; implicit-def: $sgpr2_sgpr3
.LBB156_100:
	v_lshl_add_u64 v[32:33], v[26:27], 0, v[20:21]
	flat_load_dwordx2 v[32:33], v[32:33]
	v_lshl_add_u64 v[34:35], v[24:25], 0, v[20:21]
	s_waitcnt vmcnt(0) lgkmcnt(0)
	v_mul_f64 v[32:33], s[12:13], v[32:33]
	v_cvt_f32_f64_e32 v29, v[32:33]
	v_min_f32_e32 v28, v29, v28
	v_cvt_f64_f32_e32 v[28:29], v28
	global_store_dwordx2 v[34:35], v[28:29], off
	v_lshl_add_u64 v[28:29], v[4:5], 3, v[26:27]
	flat_load_dwordx2 v[28:29], v[28:29]
	s_waitcnt vmcnt(0) lgkmcnt(0)
	v_mul_f64 v[28:29], s[12:13], v[28:29]
.LBB156_101:
	v_cvt_f32_f64_e32 v28, v[28:29]
	v_max_f32_e32 v29, v120, v120
	v_min_f32_e32 v28, v28, v29
	v_cvt_f64_f32_e32 v[28:29], v28
	v_lshl_add_u64 v[32:33], v[4:5], 3, v[24:25]
	global_store_dwordx2 v[32:33], v[28:29], off
	v_max_f32_e32 v28, v119, v119
	s_mov_b64 vcc, s[6:7]
	s_cbranch_vccz .LBB156_104
; %bb.102:
	v_min_f32_e32 v29, 0, v28
	v_cvt_f64_f32_e32 v[32:33], v29
	v_lshl_add_u64 v[34:35], v[18:19], 3, v[24:25]
	global_store_dwordx2 v[34:35], v[32:33], off
	s_mov_b64 s[2:3], 0
	s_cbranch_execz .LBB156_105
; %bb.103:
	v_mov_b64_e32 v[26:27], s[2:3]
	s_branch .LBB156_106
.LBB156_104:
                                        ; implicit-def: $sgpr2_sgpr3
.LBB156_105:
	v_lshl_add_u64 v[32:33], v[26:27], 0, v[22:23]
	flat_load_dwordx2 v[32:33], v[32:33]
	v_lshl_add_u64 v[34:35], v[24:25], 0, v[22:23]
	v_lshl_add_u64 v[26:27], v[6:7], 3, v[26:27]
	s_waitcnt vmcnt(0) lgkmcnt(0)
	v_mul_f64 v[32:33], s[12:13], v[32:33]
	v_cvt_f32_f64_e32 v29, v[32:33]
	v_min_f32_e32 v28, v29, v28
	v_cvt_f64_f32_e32 v[28:29], v28
	global_store_dwordx2 v[34:35], v[28:29], off
	flat_load_dwordx2 v[26:27], v[26:27]
	s_waitcnt vmcnt(0) lgkmcnt(0)
	v_mul_f64 v[26:27], s[12:13], v[26:27]
.LBB156_106:
	v_cvt_f32_f64_e32 v26, v[26:27]
	v_max_f32_e32 v27, v118, v118
	v_min_f32_e32 v26, v26, v27
	v_cvt_f64_f32_e32 v[26:27], v26
	v_lshl_add_u64 v[24:25], v[6:7], 3, v[24:25]
	global_store_dwordx2 v[24:25], v[26:27], off
	v_add_u32_e32 v26, 24, v30
	v_mad_i64_i32 v[24:25], s[2:3], v26, s18, 0
	v_lshl_add_u64 v[24:25], v[24:25], 3, s[0:1]
	v_mad_i64_i32 v[26:27], s[2:3], v26, s17, 0
	v_max_f32_e32 v28, v117, v117
	s_mov_b64 vcc, s[6:7]
	s_cbranch_vccz .LBB156_109
; %bb.107:
	v_min_f32_e32 v29, 0, v28
	v_cvt_f64_f32_e32 v[32:33], v29
	v_lshl_add_u64 v[34:35], v[8:9], 3, v[24:25]
	global_store_dwordx2 v[34:35], v[32:33], off
	s_mov_b64 s[2:3], 0
	v_lshl_add_u64 v[26:27], v[26:27], 3, s[14:15]
	s_cbranch_execz .LBB156_110
; %bb.108:
	v_mov_b64_e32 v[28:29], s[2:3]
	s_branch .LBB156_111
.LBB156_109:
                                        ; implicit-def: $sgpr2_sgpr3
	v_lshl_add_u64 v[26:27], v[26:27], 3, s[14:15]
.LBB156_110:
	v_lshl_add_u64 v[32:33], v[26:27], 0, v[12:13]
	flat_load_dwordx2 v[32:33], v[32:33]
	v_lshl_add_u64 v[34:35], v[24:25], 0, v[12:13]
	s_waitcnt vmcnt(0) lgkmcnt(0)
	v_mul_f64 v[32:33], s[12:13], v[32:33]
	v_cvt_f32_f64_e32 v29, v[32:33]
	v_min_f32_e32 v28, v29, v28
	v_cvt_f64_f32_e32 v[28:29], v28
	global_store_dwordx2 v[34:35], v[28:29], off
	v_lshl_add_u64 v[28:29], v[0:1], 3, v[26:27]
	flat_load_dwordx2 v[28:29], v[28:29]
	s_waitcnt vmcnt(0) lgkmcnt(0)
	v_mul_f64 v[28:29], s[12:13], v[28:29]
.LBB156_111:
	v_cvt_f32_f64_e32 v28, v[28:29]
	v_max_f32_e32 v29, v116, v116
	v_min_f32_e32 v28, v28, v29
	v_cvt_f64_f32_e32 v[28:29], v28
	v_lshl_add_u64 v[32:33], v[0:1], 3, v[24:25]
	global_store_dwordx2 v[32:33], v[28:29], off
	v_max_f32_e32 v28, v115, v115
	s_mov_b64 vcc, s[6:7]
	s_cbranch_vccz .LBB156_114
; %bb.112:
	v_min_f32_e32 v29, 0, v28
	v_cvt_f64_f32_e32 v[32:33], v29
	v_lshl_add_u64 v[34:35], v[10:11], 3, v[24:25]
	global_store_dwordx2 v[34:35], v[32:33], off
	s_mov_b64 s[2:3], 0
	s_cbranch_execz .LBB156_115
; %bb.113:
	v_mov_b64_e32 v[28:29], s[2:3]
	s_branch .LBB156_116
.LBB156_114:
                                        ; implicit-def: $sgpr2_sgpr3
.LBB156_115:
	v_lshl_add_u64 v[32:33], v[26:27], 0, v[16:17]
	flat_load_dwordx2 v[32:33], v[32:33]
	v_lshl_add_u64 v[34:35], v[24:25], 0, v[16:17]
	s_waitcnt vmcnt(0) lgkmcnt(0)
	v_mul_f64 v[32:33], s[12:13], v[32:33]
	v_cvt_f32_f64_e32 v29, v[32:33]
	v_min_f32_e32 v28, v29, v28
	v_cvt_f64_f32_e32 v[28:29], v28
	global_store_dwordx2 v[34:35], v[28:29], off
	v_lshl_add_u64 v[28:29], v[2:3], 3, v[26:27]
	flat_load_dwordx2 v[28:29], v[28:29]
	s_waitcnt vmcnt(0) lgkmcnt(0)
	v_mul_f64 v[28:29], s[12:13], v[28:29]
.LBB156_116:
	v_cvt_f32_f64_e32 v28, v[28:29]
	v_max_f32_e32 v29, v114, v114
	v_min_f32_e32 v28, v28, v29
	v_cvt_f64_f32_e32 v[28:29], v28
	v_lshl_add_u64 v[32:33], v[2:3], 3, v[24:25]
	global_store_dwordx2 v[32:33], v[28:29], off
	v_max_f32_e32 v28, v113, v113
	s_mov_b64 vcc, s[6:7]
	s_cbranch_vccz .LBB156_119
; %bb.117:
	v_min_f32_e32 v29, 0, v28
	v_cvt_f64_f32_e32 v[32:33], v29
	v_lshl_add_u64 v[34:35], v[14:15], 3, v[24:25]
	global_store_dwordx2 v[34:35], v[32:33], off
	s_mov_b64 s[2:3], 0
	s_cbranch_execz .LBB156_120
; %bb.118:
	v_mov_b64_e32 v[28:29], s[2:3]
	s_branch .LBB156_121
.LBB156_119:
                                        ; implicit-def: $sgpr2_sgpr3
.LBB156_120:
	v_lshl_add_u64 v[32:33], v[26:27], 0, v[20:21]
	flat_load_dwordx2 v[32:33], v[32:33]
	v_lshl_add_u64 v[34:35], v[24:25], 0, v[20:21]
	s_waitcnt vmcnt(0) lgkmcnt(0)
	v_mul_f64 v[32:33], s[12:13], v[32:33]
	v_cvt_f32_f64_e32 v29, v[32:33]
	v_min_f32_e32 v28, v29, v28
	v_cvt_f64_f32_e32 v[28:29], v28
	global_store_dwordx2 v[34:35], v[28:29], off
	v_lshl_add_u64 v[28:29], v[4:5], 3, v[26:27]
	flat_load_dwordx2 v[28:29], v[28:29]
	s_waitcnt vmcnt(0) lgkmcnt(0)
	v_mul_f64 v[28:29], s[12:13], v[28:29]
.LBB156_121:
	v_cvt_f32_f64_e32 v28, v[28:29]
	v_max_f32_e32 v29, v112, v112
	v_min_f32_e32 v28, v28, v29
	v_cvt_f64_f32_e32 v[28:29], v28
	v_lshl_add_u64 v[32:33], v[4:5], 3, v[24:25]
	global_store_dwordx2 v[32:33], v[28:29], off
	v_max_f32_e32 v28, v111, v111
	s_mov_b64 vcc, s[6:7]
	s_cbranch_vccz .LBB156_124
; %bb.122:
	v_min_f32_e32 v29, 0, v28
	v_cvt_f64_f32_e32 v[32:33], v29
	v_lshl_add_u64 v[34:35], v[18:19], 3, v[24:25]
	global_store_dwordx2 v[34:35], v[32:33], off
	s_mov_b64 s[2:3], 0
	s_cbranch_execz .LBB156_125
; %bb.123:
	v_mov_b64_e32 v[26:27], s[2:3]
	s_branch .LBB156_126
.LBB156_124:
                                        ; implicit-def: $sgpr2_sgpr3
.LBB156_125:
	v_lshl_add_u64 v[32:33], v[26:27], 0, v[22:23]
	flat_load_dwordx2 v[32:33], v[32:33]
	v_lshl_add_u64 v[34:35], v[24:25], 0, v[22:23]
	v_lshl_add_u64 v[26:27], v[6:7], 3, v[26:27]
	s_waitcnt vmcnt(0) lgkmcnt(0)
	v_mul_f64 v[32:33], s[12:13], v[32:33]
	v_cvt_f32_f64_e32 v29, v[32:33]
	v_min_f32_e32 v28, v29, v28
	v_cvt_f64_f32_e32 v[28:29], v28
	global_store_dwordx2 v[34:35], v[28:29], off
	flat_load_dwordx2 v[26:27], v[26:27]
	s_waitcnt vmcnt(0) lgkmcnt(0)
	v_mul_f64 v[26:27], s[12:13], v[26:27]
.LBB156_126:
	v_cvt_f32_f64_e32 v26, v[26:27]
	v_max_f32_e32 v27, v110, v110
	v_min_f32_e32 v26, v26, v27
	v_cvt_f64_f32_e32 v[26:27], v26
	v_lshl_add_u64 v[24:25], v[6:7], 3, v[24:25]
	global_store_dwordx2 v[24:25], v[26:27], off
	v_add_u32_e32 v26, 32, v30
	v_mad_i64_i32 v[24:25], s[2:3], v26, s18, 0
	v_lshl_add_u64 v[24:25], v[24:25], 3, s[0:1]
	v_mad_i64_i32 v[26:27], s[2:3], v26, s17, 0
	v_max_f32_e32 v28, v109, v109
	s_mov_b64 vcc, s[6:7]
	s_cbranch_vccz .LBB156_129
; %bb.127:
	v_min_f32_e32 v29, 0, v28
	v_cvt_f64_f32_e32 v[32:33], v29
	v_lshl_add_u64 v[34:35], v[8:9], 3, v[24:25]
	global_store_dwordx2 v[34:35], v[32:33], off
	s_mov_b64 s[2:3], 0
	v_lshl_add_u64 v[26:27], v[26:27], 3, s[14:15]
	s_cbranch_execz .LBB156_130
; %bb.128:
	v_mov_b64_e32 v[28:29], s[2:3]
	s_branch .LBB156_131
.LBB156_129:
                                        ; implicit-def: $sgpr2_sgpr3
	v_lshl_add_u64 v[26:27], v[26:27], 3, s[14:15]
.LBB156_130:
	v_lshl_add_u64 v[32:33], v[26:27], 0, v[12:13]
	flat_load_dwordx2 v[32:33], v[32:33]
	v_lshl_add_u64 v[34:35], v[24:25], 0, v[12:13]
	s_waitcnt vmcnt(0) lgkmcnt(0)
	v_mul_f64 v[32:33], s[12:13], v[32:33]
	v_cvt_f32_f64_e32 v29, v[32:33]
	v_min_f32_e32 v28, v29, v28
	v_cvt_f64_f32_e32 v[28:29], v28
	global_store_dwordx2 v[34:35], v[28:29], off
	v_lshl_add_u64 v[28:29], v[0:1], 3, v[26:27]
	flat_load_dwordx2 v[28:29], v[28:29]
	s_waitcnt vmcnt(0) lgkmcnt(0)
	v_mul_f64 v[28:29], s[12:13], v[28:29]
.LBB156_131:
	v_cvt_f32_f64_e32 v28, v[28:29]
	v_max_f32_e32 v29, v108, v108
	v_min_f32_e32 v28, v28, v29
	v_cvt_f64_f32_e32 v[28:29], v28
	v_lshl_add_u64 v[32:33], v[0:1], 3, v[24:25]
	global_store_dwordx2 v[32:33], v[28:29], off
	v_max_f32_e32 v28, v107, v107
	s_mov_b64 vcc, s[6:7]
	s_cbranch_vccz .LBB156_134
; %bb.132:
	v_min_f32_e32 v29, 0, v28
	v_cvt_f64_f32_e32 v[32:33], v29
	v_lshl_add_u64 v[34:35], v[10:11], 3, v[24:25]
	global_store_dwordx2 v[34:35], v[32:33], off
	s_mov_b64 s[2:3], 0
	s_cbranch_execz .LBB156_135
; %bb.133:
	v_mov_b64_e32 v[28:29], s[2:3]
	s_branch .LBB156_136
.LBB156_134:
                                        ; implicit-def: $sgpr2_sgpr3
.LBB156_135:
	v_lshl_add_u64 v[32:33], v[26:27], 0, v[16:17]
	flat_load_dwordx2 v[32:33], v[32:33]
	v_lshl_add_u64 v[34:35], v[24:25], 0, v[16:17]
	s_waitcnt vmcnt(0) lgkmcnt(0)
	v_mul_f64 v[32:33], s[12:13], v[32:33]
	v_cvt_f32_f64_e32 v29, v[32:33]
	v_min_f32_e32 v28, v29, v28
	v_cvt_f64_f32_e32 v[28:29], v28
	global_store_dwordx2 v[34:35], v[28:29], off
	v_lshl_add_u64 v[28:29], v[2:3], 3, v[26:27]
	flat_load_dwordx2 v[28:29], v[28:29]
	s_waitcnt vmcnt(0) lgkmcnt(0)
	v_mul_f64 v[28:29], s[12:13], v[28:29]
.LBB156_136:
	v_cvt_f32_f64_e32 v28, v[28:29]
	v_max_f32_e32 v29, v106, v106
	v_min_f32_e32 v28, v28, v29
	v_cvt_f64_f32_e32 v[28:29], v28
	v_lshl_add_u64 v[32:33], v[2:3], 3, v[24:25]
	global_store_dwordx2 v[32:33], v[28:29], off
	v_max_f32_e32 v28, v105, v105
	s_mov_b64 vcc, s[6:7]
	s_cbranch_vccz .LBB156_139
; %bb.137:
	v_min_f32_e32 v29, 0, v28
	v_cvt_f64_f32_e32 v[32:33], v29
	v_lshl_add_u64 v[34:35], v[14:15], 3, v[24:25]
	global_store_dwordx2 v[34:35], v[32:33], off
	s_mov_b64 s[2:3], 0
	s_cbranch_execz .LBB156_140
; %bb.138:
	v_mov_b64_e32 v[28:29], s[2:3]
	s_branch .LBB156_141
.LBB156_139:
                                        ; implicit-def: $sgpr2_sgpr3
.LBB156_140:
	v_lshl_add_u64 v[32:33], v[26:27], 0, v[20:21]
	flat_load_dwordx2 v[32:33], v[32:33]
	v_lshl_add_u64 v[34:35], v[24:25], 0, v[20:21]
	s_waitcnt vmcnt(0) lgkmcnt(0)
	v_mul_f64 v[32:33], s[12:13], v[32:33]
	v_cvt_f32_f64_e32 v29, v[32:33]
	v_min_f32_e32 v28, v29, v28
	v_cvt_f64_f32_e32 v[28:29], v28
	global_store_dwordx2 v[34:35], v[28:29], off
	v_lshl_add_u64 v[28:29], v[4:5], 3, v[26:27]
	flat_load_dwordx2 v[28:29], v[28:29]
	s_waitcnt vmcnt(0) lgkmcnt(0)
	v_mul_f64 v[28:29], s[12:13], v[28:29]
.LBB156_141:
	v_cvt_f32_f64_e32 v28, v[28:29]
	v_max_f32_e32 v29, v104, v104
	v_min_f32_e32 v28, v28, v29
	v_cvt_f64_f32_e32 v[28:29], v28
	v_lshl_add_u64 v[32:33], v[4:5], 3, v[24:25]
	global_store_dwordx2 v[32:33], v[28:29], off
	v_max_f32_e32 v28, v103, v103
	s_mov_b64 vcc, s[6:7]
	s_cbranch_vccz .LBB156_144
; %bb.142:
	v_min_f32_e32 v29, 0, v28
	v_cvt_f64_f32_e32 v[32:33], v29
	v_lshl_add_u64 v[34:35], v[18:19], 3, v[24:25]
	global_store_dwordx2 v[34:35], v[32:33], off
	s_mov_b64 s[2:3], 0
	s_cbranch_execz .LBB156_145
; %bb.143:
	v_mov_b64_e32 v[26:27], s[2:3]
	s_branch .LBB156_146
.LBB156_144:
                                        ; implicit-def: $sgpr2_sgpr3
.LBB156_145:
	v_lshl_add_u64 v[32:33], v[26:27], 0, v[22:23]
	flat_load_dwordx2 v[32:33], v[32:33]
	v_lshl_add_u64 v[34:35], v[24:25], 0, v[22:23]
	v_lshl_add_u64 v[26:27], v[6:7], 3, v[26:27]
	s_waitcnt vmcnt(0) lgkmcnt(0)
	v_mul_f64 v[32:33], s[12:13], v[32:33]
	v_cvt_f32_f64_e32 v29, v[32:33]
	v_min_f32_e32 v28, v29, v28
	v_cvt_f64_f32_e32 v[28:29], v28
	global_store_dwordx2 v[34:35], v[28:29], off
	flat_load_dwordx2 v[26:27], v[26:27]
	s_waitcnt vmcnt(0) lgkmcnt(0)
	v_mul_f64 v[26:27], s[12:13], v[26:27]
.LBB156_146:
	v_cvt_f32_f64_e32 v26, v[26:27]
	v_max_f32_e32 v27, v102, v102
	v_min_f32_e32 v26, v26, v27
	v_cvt_f64_f32_e32 v[26:27], v26
	v_lshl_add_u64 v[24:25], v[6:7], 3, v[24:25]
	global_store_dwordx2 v[24:25], v[26:27], off
	v_add_u32_e32 v26, 40, v30
	v_mad_i64_i32 v[24:25], s[2:3], v26, s18, 0
	v_lshl_add_u64 v[24:25], v[24:25], 3, s[0:1]
	v_mad_i64_i32 v[26:27], s[2:3], v26, s17, 0
	v_max_f32_e32 v28, v101, v101
	s_mov_b64 vcc, s[6:7]
	s_cbranch_vccz .LBB156_149
; %bb.147:
	v_min_f32_e32 v29, 0, v28
	v_cvt_f64_f32_e32 v[32:33], v29
	v_lshl_add_u64 v[34:35], v[8:9], 3, v[24:25]
	global_store_dwordx2 v[34:35], v[32:33], off
	s_mov_b64 s[2:3], 0
	v_lshl_add_u64 v[26:27], v[26:27], 3, s[14:15]
	s_cbranch_execz .LBB156_150
; %bb.148:
	v_mov_b64_e32 v[28:29], s[2:3]
	s_branch .LBB156_151
.LBB156_149:
                                        ; implicit-def: $sgpr2_sgpr3
	v_lshl_add_u64 v[26:27], v[26:27], 3, s[14:15]
.LBB156_150:
	v_lshl_add_u64 v[32:33], v[26:27], 0, v[12:13]
	flat_load_dwordx2 v[32:33], v[32:33]
	v_lshl_add_u64 v[34:35], v[24:25], 0, v[12:13]
	s_waitcnt vmcnt(0) lgkmcnt(0)
	v_mul_f64 v[32:33], s[12:13], v[32:33]
	v_cvt_f32_f64_e32 v29, v[32:33]
	v_min_f32_e32 v28, v29, v28
	v_cvt_f64_f32_e32 v[28:29], v28
	global_store_dwordx2 v[34:35], v[28:29], off
	v_lshl_add_u64 v[28:29], v[0:1], 3, v[26:27]
	flat_load_dwordx2 v[28:29], v[28:29]
	s_waitcnt vmcnt(0) lgkmcnt(0)
	v_mul_f64 v[28:29], s[12:13], v[28:29]
.LBB156_151:
	v_cvt_f32_f64_e32 v28, v[28:29]
	v_max_f32_e32 v29, v100, v100
	v_min_f32_e32 v28, v28, v29
	v_cvt_f64_f32_e32 v[28:29], v28
	v_lshl_add_u64 v[32:33], v[0:1], 3, v[24:25]
	global_store_dwordx2 v[32:33], v[28:29], off
	v_max_f32_e32 v28, v99, v99
	s_mov_b64 vcc, s[6:7]
	s_cbranch_vccz .LBB156_154
; %bb.152:
	v_min_f32_e32 v29, 0, v28
	v_cvt_f64_f32_e32 v[32:33], v29
	v_lshl_add_u64 v[34:35], v[10:11], 3, v[24:25]
	s_mov_b32 s4, 0
	global_store_dwordx2 v[34:35], v[32:33], off
	s_cbranch_execz .LBB156_155
; %bb.153:
	v_mov_b32_e32 v28, s4
	s_branch .LBB156_156
.LBB156_154:
                                        ; implicit-def: $sgpr4
.LBB156_155:
	v_lshl_add_u64 v[32:33], v[26:27], 0, v[16:17]
	flat_load_dwordx2 v[32:33], v[32:33]
	v_lshl_add_u64 v[34:35], v[24:25], 0, v[16:17]
	s_waitcnt vmcnt(0) lgkmcnt(0)
	v_mul_f64 v[32:33], s[12:13], v[32:33]
	v_cvt_f32_f64_e32 v29, v[32:33]
	v_min_f32_e32 v28, v29, v28
	v_cvt_f64_f32_e32 v[28:29], v28
	global_store_dwordx2 v[34:35], v[28:29], off
	v_lshl_add_u64 v[28:29], v[2:3], 3, v[26:27]
	flat_load_dwordx2 v[28:29], v[28:29]
	s_waitcnt vmcnt(0) lgkmcnt(0)
	v_mul_f64 v[28:29], s[12:13], v[28:29]
	v_cvt_f32_f64_e32 v28, v[28:29]
.LBB156_156:
	v_max_f32_e32 v29, v98, v98
	v_max_f32_e32 v28, v28, v28
	v_min_f32_e32 v28, v28, v29
	v_cvt_f64_f32_e32 v[28:29], v28
	v_lshl_add_u64 v[32:33], v[2:3], 3, v[24:25]
	global_store_dwordx2 v[32:33], v[28:29], off
	v_max_f32_e32 v28, v97, v97
	s_mov_b64 vcc, s[6:7]
	s_cbranch_vccz .LBB156_159
; %bb.157:
	v_min_f32_e32 v29, 0, v28
	v_cvt_f64_f32_e32 v[32:33], v29
	v_lshl_add_u64 v[34:35], v[14:15], 3, v[24:25]
	s_mov_b32 s4, 0
	global_store_dwordx2 v[34:35], v[32:33], off
	s_cbranch_execz .LBB156_160
; %bb.158:
	v_mov_b32_e32 v28, s4
	s_branch .LBB156_161
.LBB156_159:
                                        ; implicit-def: $sgpr4
.LBB156_160:
	v_lshl_add_u64 v[32:33], v[26:27], 0, v[20:21]
	flat_load_dwordx2 v[32:33], v[32:33]
	v_lshl_add_u64 v[34:35], v[24:25], 0, v[20:21]
	s_waitcnt vmcnt(0) lgkmcnt(0)
	v_mul_f64 v[32:33], s[12:13], v[32:33]
	v_cvt_f32_f64_e32 v29, v[32:33]
	v_min_f32_e32 v28, v29, v28
	v_cvt_f64_f32_e32 v[28:29], v28
	global_store_dwordx2 v[34:35], v[28:29], off
	v_lshl_add_u64 v[28:29], v[4:5], 3, v[26:27]
	flat_load_dwordx2 v[28:29], v[28:29]
	s_waitcnt vmcnt(0) lgkmcnt(0)
	v_mul_f64 v[28:29], s[12:13], v[28:29]
	v_cvt_f32_f64_e32 v28, v[28:29]
.LBB156_161:
	v_max_f32_e32 v29, v96, v96
	v_max_f32_e32 v28, v28, v28
	v_min_f32_e32 v28, v28, v29
	v_cvt_f64_f32_e32 v[28:29], v28
	v_lshl_add_u64 v[32:33], v[4:5], 3, v[24:25]
	global_store_dwordx2 v[32:33], v[28:29], off
	v_max_f32_e32 v28, v95, v95
	s_mov_b64 vcc, s[6:7]
	s_cbranch_vccz .LBB156_164
; %bb.162:
	v_min_f32_e32 v29, 0, v28
	v_cvt_f64_f32_e32 v[32:33], v29
	v_lshl_add_u64 v[34:35], v[18:19], 3, v[24:25]
	s_mov_b32 s4, 0
	global_store_dwordx2 v[34:35], v[32:33], off
	s_cbranch_execz .LBB156_165
; %bb.163:
	v_mov_b32_e32 v26, s4
	s_branch .LBB156_166
.LBB156_164:
                                        ; implicit-def: $sgpr4
.LBB156_165:
	v_lshl_add_u64 v[32:33], v[26:27], 0, v[22:23]
	flat_load_dwordx2 v[32:33], v[32:33]
	v_lshl_add_u64 v[34:35], v[24:25], 0, v[22:23]
	v_lshl_add_u64 v[26:27], v[6:7], 3, v[26:27]
	s_waitcnt vmcnt(0) lgkmcnt(0)
	v_mul_f64 v[32:33], s[12:13], v[32:33]
	v_cvt_f32_f64_e32 v29, v[32:33]
	v_min_f32_e32 v28, v29, v28
	v_cvt_f64_f32_e32 v[28:29], v28
	global_store_dwordx2 v[34:35], v[28:29], off
	flat_load_dwordx2 v[26:27], v[26:27]
	s_waitcnt vmcnt(0) lgkmcnt(0)
	v_mul_f64 v[26:27], s[12:13], v[26:27]
	v_cvt_f32_f64_e32 v26, v[26:27]
.LBB156_166:
	v_max_f32_e32 v27, v94, v94
	v_max_f32_e32 v26, v26, v26
	v_min_f32_e32 v26, v26, v27
	v_cvt_f64_f32_e32 v[26:27], v26
	v_lshl_add_u64 v[24:25], v[6:7], 3, v[24:25]
	global_store_dwordx2 v[24:25], v[26:27], off
	v_add_u32_e32 v26, 48, v30
	v_mad_i64_i32 v[24:25], s[2:3], v26, s18, 0
	v_lshl_add_u64 v[24:25], v[24:25], 3, s[0:1]
	v_mad_i64_i32 v[26:27], s[2:3], v26, s17, 0
	v_max_f32_e32 v28, v93, v93
	s_mov_b64 vcc, s[6:7]
	s_cbranch_vccz .LBB156_169
; %bb.167:
	v_min_f32_e32 v29, 0, v28
	v_cvt_f64_f32_e32 v[32:33], v29
	v_lshl_add_u64 v[34:35], v[8:9], 3, v[24:25]
	s_mov_b32 s4, 0
	global_store_dwordx2 v[34:35], v[32:33], off
	v_lshl_add_u64 v[26:27], v[26:27], 3, s[14:15]
	s_cbranch_execz .LBB156_170
; %bb.168:
	v_mov_b32_e32 v28, s4
	s_branch .LBB156_171
.LBB156_169:
                                        ; implicit-def: $sgpr4
	v_lshl_add_u64 v[26:27], v[26:27], 3, s[14:15]
.LBB156_170:
	v_lshl_add_u64 v[32:33], v[26:27], 0, v[12:13]
	flat_load_dwordx2 v[32:33], v[32:33]
	v_lshl_add_u64 v[34:35], v[24:25], 0, v[12:13]
	s_waitcnt vmcnt(0) lgkmcnt(0)
	v_mul_f64 v[32:33], s[12:13], v[32:33]
	v_cvt_f32_f64_e32 v29, v[32:33]
	v_min_f32_e32 v28, v29, v28
	v_cvt_f64_f32_e32 v[28:29], v28
	global_store_dwordx2 v[34:35], v[28:29], off
	v_lshl_add_u64 v[28:29], v[0:1], 3, v[26:27]
	flat_load_dwordx2 v[28:29], v[28:29]
	s_waitcnt vmcnt(0) lgkmcnt(0)
	v_mul_f64 v[28:29], s[12:13], v[28:29]
	v_cvt_f32_f64_e32 v28, v[28:29]
.LBB156_171:
	v_max_f32_e32 v29, v92, v92
	v_max_f32_e32 v28, v28, v28
	v_min_f32_e32 v28, v28, v29
	v_cvt_f64_f32_e32 v[28:29], v28
	v_lshl_add_u64 v[32:33], v[0:1], 3, v[24:25]
	global_store_dwordx2 v[32:33], v[28:29], off
	v_max_f32_e32 v28, v91, v91
	s_mov_b64 vcc, s[6:7]
	s_cbranch_vccz .LBB156_174
; %bb.172:
	v_min_f32_e32 v29, 0, v28
	v_cvt_f64_f32_e32 v[32:33], v29
	v_lshl_add_u64 v[34:35], v[10:11], 3, v[24:25]
	s_mov_b32 s4, 0
	global_store_dwordx2 v[34:35], v[32:33], off
	s_cbranch_execz .LBB156_175
; %bb.173:
	v_mov_b32_e32 v28, s4
	s_branch .LBB156_176
.LBB156_174:
                                        ; implicit-def: $sgpr4
.LBB156_175:
	v_lshl_add_u64 v[32:33], v[26:27], 0, v[16:17]
	flat_load_dwordx2 v[32:33], v[32:33]
	v_lshl_add_u64 v[34:35], v[24:25], 0, v[16:17]
	s_waitcnt vmcnt(0) lgkmcnt(0)
	v_mul_f64 v[32:33], s[12:13], v[32:33]
	v_cvt_f32_f64_e32 v29, v[32:33]
	v_min_f32_e32 v28, v29, v28
	v_cvt_f64_f32_e32 v[28:29], v28
	global_store_dwordx2 v[34:35], v[28:29], off
	v_lshl_add_u64 v[28:29], v[2:3], 3, v[26:27]
	flat_load_dwordx2 v[28:29], v[28:29]
	s_waitcnt vmcnt(0) lgkmcnt(0)
	v_mul_f64 v[28:29], s[12:13], v[28:29]
	v_cvt_f32_f64_e32 v28, v[28:29]
.LBB156_176:
	v_max_f32_e32 v29, v90, v90
	v_max_f32_e32 v28, v28, v28
	v_min_f32_e32 v28, v28, v29
	v_cvt_f64_f32_e32 v[28:29], v28
	v_lshl_add_u64 v[32:33], v[2:3], 3, v[24:25]
	global_store_dwordx2 v[32:33], v[28:29], off
	v_max_f32_e32 v28, v89, v89
	s_mov_b64 vcc, s[6:7]
	s_cbranch_vccz .LBB156_179
; %bb.177:
	v_min_f32_e32 v29, 0, v28
	v_cvt_f64_f32_e32 v[32:33], v29
	v_lshl_add_u64 v[34:35], v[14:15], 3, v[24:25]
	s_mov_b32 s4, 0
	global_store_dwordx2 v[34:35], v[32:33], off
	s_cbranch_execz .LBB156_180
; %bb.178:
	v_mov_b32_e32 v28, s4
	s_branch .LBB156_181
.LBB156_179:
                                        ; implicit-def: $sgpr4
.LBB156_180:
	v_lshl_add_u64 v[32:33], v[26:27], 0, v[20:21]
	flat_load_dwordx2 v[32:33], v[32:33]
	v_lshl_add_u64 v[34:35], v[24:25], 0, v[20:21]
	s_waitcnt vmcnt(0) lgkmcnt(0)
	v_mul_f64 v[32:33], s[12:13], v[32:33]
	v_cvt_f32_f64_e32 v29, v[32:33]
	v_min_f32_e32 v28, v29, v28
	v_cvt_f64_f32_e32 v[28:29], v28
	global_store_dwordx2 v[34:35], v[28:29], off
	v_lshl_add_u64 v[28:29], v[4:5], 3, v[26:27]
	flat_load_dwordx2 v[28:29], v[28:29]
	s_waitcnt vmcnt(0) lgkmcnt(0)
	v_mul_f64 v[28:29], s[12:13], v[28:29]
	v_cvt_f32_f64_e32 v28, v[28:29]
.LBB156_181:
	v_max_f32_e32 v29, v88, v88
	v_max_f32_e32 v28, v28, v28
	v_min_f32_e32 v28, v28, v29
	v_cvt_f64_f32_e32 v[28:29], v28
	v_lshl_add_u64 v[32:33], v[4:5], 3, v[24:25]
	global_store_dwordx2 v[32:33], v[28:29], off
	v_max_f32_e32 v28, v87, v87
	s_mov_b64 vcc, s[6:7]
	s_cbranch_vccz .LBB156_184
; %bb.182:
	v_min_f32_e32 v29, 0, v28
	v_cvt_f64_f32_e32 v[32:33], v29
	v_lshl_add_u64 v[34:35], v[18:19], 3, v[24:25]
	s_mov_b32 s4, 0
	global_store_dwordx2 v[34:35], v[32:33], off
	s_cbranch_execz .LBB156_185
; %bb.183:
	v_mov_b32_e32 v26, s4
	s_branch .LBB156_186
.LBB156_184:
                                        ; implicit-def: $sgpr4
.LBB156_185:
	v_lshl_add_u64 v[32:33], v[26:27], 0, v[22:23]
	flat_load_dwordx2 v[32:33], v[32:33]
	v_lshl_add_u64 v[34:35], v[24:25], 0, v[22:23]
	v_lshl_add_u64 v[26:27], v[6:7], 3, v[26:27]
	s_waitcnt vmcnt(0) lgkmcnt(0)
	v_mul_f64 v[32:33], s[12:13], v[32:33]
	v_cvt_f32_f64_e32 v29, v[32:33]
	v_min_f32_e32 v28, v29, v28
	v_cvt_f64_f32_e32 v[28:29], v28
	global_store_dwordx2 v[34:35], v[28:29], off
	flat_load_dwordx2 v[26:27], v[26:27]
	s_waitcnt vmcnt(0) lgkmcnt(0)
	v_mul_f64 v[26:27], s[12:13], v[26:27]
	v_cvt_f32_f64_e32 v26, v[26:27]
.LBB156_186:
	v_max_f32_e32 v27, v86, v86
	v_max_f32_e32 v26, v26, v26
	v_min_f32_e32 v26, v26, v27
	v_cvt_f64_f32_e32 v[26:27], v26
	v_lshl_add_u64 v[24:25], v[6:7], 3, v[24:25]
	global_store_dwordx2 v[24:25], v[26:27], off
	v_add_u32_e32 v26, 56, v30
	v_mad_i64_i32 v[24:25], s[2:3], v26, s18, 0
	v_lshl_add_u64 v[24:25], v[24:25], 3, s[0:1]
	v_mad_i64_i32 v[26:27], s[0:1], v26, s17, 0
	v_max_f32_e32 v28, v85, v85
	s_mov_b64 vcc, s[6:7]
	s_cbranch_vccz .LBB156_189
; %bb.187:
	v_min_f32_e32 v29, 0, v28
	v_cvt_f64_f32_e32 v[30:31], v29
	v_lshl_add_u64 v[8:9], v[8:9], 3, v[24:25]
	s_mov_b32 s2, 0
	global_store_dwordx2 v[8:9], v[30:31], off
	v_lshl_add_u64 v[8:9], v[26:27], 3, s[14:15]
	s_cbranch_execz .LBB156_190
; %bb.188:
	v_mov_b32_e32 v12, s2
	s_branch .LBB156_191
.LBB156_189:
                                        ; implicit-def: $sgpr2
	v_lshl_add_u64 v[8:9], v[26:27], 3, s[14:15]
.LBB156_190:
	v_lshl_add_u64 v[26:27], v[8:9], 0, v[12:13]
	flat_load_dwordx2 v[26:27], v[26:27]
	v_lshl_add_u64 v[12:13], v[24:25], 0, v[12:13]
	s_waitcnt vmcnt(0) lgkmcnt(0)
	v_mul_f64 v[26:27], s[12:13], v[26:27]
	v_cvt_f32_f64_e32 v26, v[26:27]
	v_min_f32_e32 v26, v26, v28
	v_cvt_f64_f32_e32 v[26:27], v26
	global_store_dwordx2 v[12:13], v[26:27], off
	v_lshl_add_u64 v[12:13], v[0:1], 3, v[8:9]
	flat_load_dwordx2 v[12:13], v[12:13]
	s_waitcnt vmcnt(0) lgkmcnt(0)
	v_mul_f64 v[12:13], s[12:13], v[12:13]
	v_cvt_f32_f64_e32 v12, v[12:13]
.LBB156_191:
	v_max_f32_e32 v13, v84, v84
	v_max_f32_e32 v12, v12, v12
	v_min_f32_e32 v12, v12, v13
	v_cvt_f64_f32_e32 v[12:13], v12
	v_lshl_add_u64 v[0:1], v[0:1], 3, v[24:25]
	global_store_dwordx2 v[0:1], v[12:13], off
	v_max_f32_e32 v0, v83, v83
	s_mov_b64 vcc, s[6:7]
	s_cbranch_vccz .LBB156_194
; %bb.192:
	v_min_f32_e32 v1, 0, v0
	v_cvt_f64_f32_e32 v[12:13], v1
	v_lshl_add_u64 v[10:11], v[10:11], 3, v[24:25]
	s_mov_b32 s2, 0
	global_store_dwordx2 v[10:11], v[12:13], off
	s_cbranch_execz .LBB156_195
; %bb.193:
	v_mov_b32_e32 v0, s2
	s_branch .LBB156_196
.LBB156_194:
                                        ; implicit-def: $sgpr2
.LBB156_195:
	v_lshl_add_u64 v[10:11], v[8:9], 0, v[16:17]
	flat_load_dwordx2 v[10:11], v[10:11]
	v_lshl_add_u64 v[12:13], v[24:25], 0, v[16:17]
	s_waitcnt vmcnt(0) lgkmcnt(0)
	v_mul_f64 v[10:11], s[12:13], v[10:11]
	v_cvt_f32_f64_e32 v1, v[10:11]
	v_min_f32_e32 v0, v1, v0
	v_cvt_f64_f32_e32 v[0:1], v0
	global_store_dwordx2 v[12:13], v[0:1], off
	v_lshl_add_u64 v[0:1], v[2:3], 3, v[8:9]
	flat_load_dwordx2 v[0:1], v[0:1]
	s_waitcnt vmcnt(0) lgkmcnt(0)
	v_mul_f64 v[0:1], s[12:13], v[0:1]
	v_cvt_f32_f64_e32 v0, v[0:1]
.LBB156_196:
	v_max_f32_e32 v1, v82, v82
	v_max_f32_e32 v0, v0, v0
	v_min_f32_e32 v0, v0, v1
	v_cvt_f64_f32_e32 v[0:1], v0
	v_lshl_add_u64 v[2:3], v[2:3], 3, v[24:25]
	global_store_dwordx2 v[2:3], v[0:1], off
	v_max_f32_e32 v0, v81, v81
	s_mov_b64 vcc, s[6:7]
	s_cbranch_vccz .LBB156_199
; %bb.197:
	v_min_f32_e32 v1, 0, v0
	v_cvt_f64_f32_e32 v[2:3], v1
	v_lshl_add_u64 v[10:11], v[14:15], 3, v[24:25]
	s_mov_b32 s2, 0
	global_store_dwordx2 v[10:11], v[2:3], off
	s_cbranch_execz .LBB156_200
; %bb.198:
	v_mov_b32_e32 v0, s2
	s_branch .LBB156_201
.LBB156_199:
                                        ; implicit-def: $sgpr2
.LBB156_200:
	v_lshl_add_u64 v[2:3], v[8:9], 0, v[20:21]
	flat_load_dwordx2 v[2:3], v[2:3]
	v_lshl_add_u64 v[10:11], v[24:25], 0, v[20:21]
	s_waitcnt vmcnt(0) lgkmcnt(0)
	v_mul_f64 v[2:3], s[12:13], v[2:3]
	v_cvt_f32_f64_e32 v1, v[2:3]
	v_min_f32_e32 v0, v1, v0
	v_cvt_f64_f32_e32 v[0:1], v0
	global_store_dwordx2 v[10:11], v[0:1], off
	v_lshl_add_u64 v[0:1], v[4:5], 3, v[8:9]
	flat_load_dwordx2 v[0:1], v[0:1]
	s_waitcnt vmcnt(0) lgkmcnt(0)
	v_mul_f64 v[0:1], s[12:13], v[0:1]
	v_cvt_f32_f64_e32 v0, v[0:1]
.LBB156_201:
	v_max_f32_e32 v1, v80, v80
	v_max_f32_e32 v0, v0, v0
	v_min_f32_e32 v0, v0, v1
	v_cvt_f64_f32_e32 v[0:1], v0
	v_lshl_add_u64 v[2:3], v[4:5], 3, v[24:25]
	global_store_dwordx2 v[2:3], v[0:1], off
	v_max_f32_e32 v0, v79, v79
	s_mov_b64 vcc, s[6:7]
	s_cbranch_vccz .LBB156_204
; %bb.202:
	v_min_f32_e32 v1, 0, v0
	v_cvt_f64_f32_e32 v[2:3], v1
	v_lshl_add_u64 v[4:5], v[18:19], 3, v[24:25]
	s_mov_b32 s2, 0
	global_store_dwordx2 v[4:5], v[2:3], off
	s_cbranch_execz .LBB156_205
; %bb.203:
	v_mov_b32_e32 v0, s2
	s_branch .LBB156_206
.LBB156_204:
                                        ; implicit-def: $sgpr2
.LBB156_205:
	v_lshl_add_u64 v[2:3], v[8:9], 0, v[22:23]
	flat_load_dwordx2 v[2:3], v[2:3]
	v_lshl_add_u64 v[4:5], v[24:25], 0, v[22:23]
	s_waitcnt vmcnt(0) lgkmcnt(0)
	v_mul_f64 v[2:3], s[12:13], v[2:3]
	v_cvt_f32_f64_e32 v1, v[2:3]
	v_min_f32_e32 v0, v1, v0
	v_cvt_f64_f32_e32 v[0:1], v0
	global_store_dwordx2 v[4:5], v[0:1], off
	v_lshl_add_u64 v[0:1], v[6:7], 3, v[8:9]
	flat_load_dwordx2 v[0:1], v[0:1]
	s_waitcnt vmcnt(0) lgkmcnt(0)
	v_mul_f64 v[0:1], s[12:13], v[0:1]
	v_cvt_f32_f64_e32 v0, v[0:1]
.LBB156_206:
	v_max_f32_e32 v1, v78, v78
	v_max_f32_e32 v0, v0, v0
	v_min_f32_e32 v0, v0, v1
	v_cvt_f64_f32_e32 v[0:1], v0
	v_lshl_add_u64 v[2:3], v[6:7], 3, v[24:25]
	global_store_dwordx2 v[2:3], v[0:1], off
	s_endpgm
	.section	.rodata,"a",@progbits
	.p2align	6, 0x0
	.amdhsa_kernel _ZN12_GLOBAL__N_120geam_min_plus_kernelId15HIP_vector_typeIdLj2EEdLi32ELi8ELi256ELi64ELi4ELi64ELi4ELi4ELi64ELc78ELc78ELb0ELb0ELb1EPKdS3_dEEviiiT16_PT17_ilS7_ilS5_S7_ilPT18_ili26rocblas_geam_ex_operation_
		.amdhsa_group_segment_fixed_size 20480
		.amdhsa_private_segment_fixed_size 0
		.amdhsa_kernarg_size 136
		.amdhsa_user_sgpr_count 2
		.amdhsa_user_sgpr_dispatch_ptr 0
		.amdhsa_user_sgpr_queue_ptr 0
		.amdhsa_user_sgpr_kernarg_segment_ptr 1
		.amdhsa_user_sgpr_dispatch_id 0
		.amdhsa_user_sgpr_kernarg_preload_length 0
		.amdhsa_user_sgpr_kernarg_preload_offset 0
		.amdhsa_user_sgpr_private_segment_size 0
		.amdhsa_uses_dynamic_stack 0
		.amdhsa_enable_private_segment 0
		.amdhsa_system_sgpr_workgroup_id_x 1
		.amdhsa_system_sgpr_workgroup_id_y 0
		.amdhsa_system_sgpr_workgroup_id_z 1
		.amdhsa_system_sgpr_workgroup_info 0
		.amdhsa_system_vgpr_workitem_id 1
		.amdhsa_next_free_vgpr 160
		.amdhsa_next_free_sgpr 28
		.amdhsa_accum_offset 160
		.amdhsa_reserve_vcc 1
		.amdhsa_float_round_mode_32 0
		.amdhsa_float_round_mode_16_64 0
		.amdhsa_float_denorm_mode_32 3
		.amdhsa_float_denorm_mode_16_64 3
		.amdhsa_dx10_clamp 1
		.amdhsa_ieee_mode 1
		.amdhsa_fp16_overflow 0
		.amdhsa_tg_split 0
		.amdhsa_exception_fp_ieee_invalid_op 0
		.amdhsa_exception_fp_denorm_src 0
		.amdhsa_exception_fp_ieee_div_zero 0
		.amdhsa_exception_fp_ieee_overflow 0
		.amdhsa_exception_fp_ieee_underflow 0
		.amdhsa_exception_fp_ieee_inexact 0
		.amdhsa_exception_int_div_zero 0
	.end_amdhsa_kernel
	.section	.text._ZN12_GLOBAL__N_120geam_min_plus_kernelId15HIP_vector_typeIdLj2EEdLi32ELi8ELi256ELi64ELi4ELi64ELi4ELi4ELi64ELc78ELc78ELb0ELb0ELb1EPKdS3_dEEviiiT16_PT17_ilS7_ilS5_S7_ilPT18_ili26rocblas_geam_ex_operation_,"axG",@progbits,_ZN12_GLOBAL__N_120geam_min_plus_kernelId15HIP_vector_typeIdLj2EEdLi32ELi8ELi256ELi64ELi4ELi64ELi4ELi4ELi64ELc78ELc78ELb0ELb0ELb1EPKdS3_dEEviiiT16_PT17_ilS7_ilS5_S7_ilPT18_ili26rocblas_geam_ex_operation_,comdat
.Lfunc_end156:
	.size	_ZN12_GLOBAL__N_120geam_min_plus_kernelId15HIP_vector_typeIdLj2EEdLi32ELi8ELi256ELi64ELi4ELi64ELi4ELi4ELi64ELc78ELc78ELb0ELb0ELb1EPKdS3_dEEviiiT16_PT17_ilS7_ilS5_S7_ilPT18_ili26rocblas_geam_ex_operation_, .Lfunc_end156-_ZN12_GLOBAL__N_120geam_min_plus_kernelId15HIP_vector_typeIdLj2EEdLi32ELi8ELi256ELi64ELi4ELi64ELi4ELi4ELi64ELc78ELc78ELb0ELb0ELb1EPKdS3_dEEviiiT16_PT17_ilS7_ilS5_S7_ilPT18_ili26rocblas_geam_ex_operation_
                                        ; -- End function
	.section	.AMDGPU.csdata,"",@progbits
; Kernel info:
; codeLenInByte = 17124
; NumSgprs: 34
; NumVgprs: 160
; NumAgprs: 0
; TotalNumVgprs: 160
; ScratchSize: 0
; MemoryBound: 1
; FloatMode: 240
; IeeeMode: 1
; LDSByteSize: 20480 bytes/workgroup (compile time only)
; SGPRBlocks: 4
; VGPRBlocks: 19
; NumSGPRsForWavesPerEU: 34
; NumVGPRsForWavesPerEU: 160
; AccumOffset: 160
; Occupancy: 3
; WaveLimiterHint : 1
; COMPUTE_PGM_RSRC2:SCRATCH_EN: 0
; COMPUTE_PGM_RSRC2:USER_SGPR: 2
; COMPUTE_PGM_RSRC2:TRAP_HANDLER: 0
; COMPUTE_PGM_RSRC2:TGID_X_EN: 1
; COMPUTE_PGM_RSRC2:TGID_Y_EN: 0
; COMPUTE_PGM_RSRC2:TGID_Z_EN: 1
; COMPUTE_PGM_RSRC2:TIDIG_COMP_CNT: 1
; COMPUTE_PGM_RSRC3_GFX90A:ACCUM_OFFSET: 39
; COMPUTE_PGM_RSRC3_GFX90A:TG_SPLIT: 0
	.section	.text._ZN12_GLOBAL__N_120geam_min_plus_kernelId15HIP_vector_typeIdLj2EEdLi32ELi8ELi256ELi64ELi4ELi64ELi4ELi4ELi64ELc78ELc78ELb1ELb0ELb1EdKddEEviiiT16_PT17_ilS6_ilS4_S6_ilPT18_ili26rocblas_geam_ex_operation_,"axG",@progbits,_ZN12_GLOBAL__N_120geam_min_plus_kernelId15HIP_vector_typeIdLj2EEdLi32ELi8ELi256ELi64ELi4ELi64ELi4ELi4ELi64ELc78ELc78ELb1ELb0ELb1EdKddEEviiiT16_PT17_ilS6_ilS4_S6_ilPT18_ili26rocblas_geam_ex_operation_,comdat
	.globl	_ZN12_GLOBAL__N_120geam_min_plus_kernelId15HIP_vector_typeIdLj2EEdLi32ELi8ELi256ELi64ELi4ELi64ELi4ELi4ELi64ELc78ELc78ELb1ELb0ELb1EdKddEEviiiT16_PT17_ilS6_ilS4_S6_ilPT18_ili26rocblas_geam_ex_operation_ ; -- Begin function _ZN12_GLOBAL__N_120geam_min_plus_kernelId15HIP_vector_typeIdLj2EEdLi32ELi8ELi256ELi64ELi4ELi64ELi4ELi4ELi64ELc78ELc78ELb1ELb0ELb1EdKddEEviiiT16_PT17_ilS6_ilS4_S6_ilPT18_ili26rocblas_geam_ex_operation_
	.p2align	8
	.type	_ZN12_GLOBAL__N_120geam_min_plus_kernelId15HIP_vector_typeIdLj2EEdLi32ELi8ELi256ELi64ELi4ELi64ELi4ELi4ELi64ELc78ELc78ELb1ELb0ELb1EdKddEEviiiT16_PT17_ilS6_ilS4_S6_ilPT18_ili26rocblas_geam_ex_operation_,@function
_ZN12_GLOBAL__N_120geam_min_plus_kernelId15HIP_vector_typeIdLj2EEdLi32ELi8ELi256ELi64ELi4ELi64ELi4ELi4ELi64ELc78ELc78ELb1ELb0ELb1EdKddEEviiiT16_PT17_ilS6_ilS4_S6_ilPT18_ili26rocblas_geam_ex_operation_: ; @_ZN12_GLOBAL__N_120geam_min_plus_kernelId15HIP_vector_typeIdLj2EEdLi32ELi8ELi256ELi64ELi4ELi64ELi4ELi4ELi64ELc78ELc78ELb1ELb0ELb1EdKddEEviiiT16_PT17_ilS6_ilS4_S6_ilPT18_ili26rocblas_geam_ex_operation_
; %bb.0:
	s_load_dwordx4 s[4:7], s[0:1], 0x10
	s_load_dwordx4 s[8:11], s[0:1], 0x28
	s_mov_b64 s[16:17], 0
	s_waitcnt lgkmcnt(0)
	v_cmp_eq_f64_e64 s[12:13], s[4:5], 0
	s_and_b64 vcc, exec, s[12:13]
	s_cbranch_vccnz .LBB157_2
; %bb.1:
	s_mul_i32 s4, s3, s9
	s_mul_hi_u32 s5, s3, s8
	s_add_i32 s5, s5, s4
	s_mul_i32 s4, s3, s8
	s_lshl_b64 s[4:5], s[4:5], 3
	s_add_u32 s16, s6, s4
	s_addc_u32 s17, s7, s5
.LBB157_2:
	s_load_dwordx4 s[4:7], s[0:1], 0x40
	s_load_dwordx2 s[20:21], s[0:1], 0x50
	s_andn2_b64 vcc, exec, s[12:13]
	s_cbranch_vccnz .LBB157_4
; %bb.3:
	s_mov_b32 s15, 0
	s_mov_b64 s[18:19], 0
	s_cbranch_execz .LBB157_5
	s_branch .LBB157_6
.LBB157_4:
                                        ; implicit-def: $sgpr18_sgpr19
                                        ; implicit-def: $sgpr14_sgpr15
.LBB157_5:
	s_waitcnt lgkmcnt(0)
	s_mul_i32 s5, s3, s5
	s_mul_hi_u32 s8, s3, s4
	s_add_i32 s5, s8, s5
	s_mul_i32 s4, s3, s4
	s_lshl_b64 s[4:5], s[4:5], 3
	s_add_u32 s18, s10, s4
	s_mov_b32 s15, 0
	s_addc_u32 s19, s11, s5
.LBB157_6:
	s_load_dwordx4 s[8:11], s[0:1], 0x60
	s_waitcnt lgkmcnt(0)
	v_cmp_eq_f64_e64 s[4:5], s[6:7], 0
	s_and_b64 s[4:5], exec, s[4:5]
	s_mov_b64 s[12:13], 0
	s_mov_b64 vcc, s[4:5]
	s_cbranch_vccnz .LBB157_8
; %bb.7:
	s_mul_i32 s9, s3, s9
	s_mul_hi_u32 s12, s3, s8
	s_add_i32 s9, s12, s9
	s_mul_i32 s12, s15, s8
	s_add_i32 s9, s9, s12
	s_mul_i32 s8, s3, s8
	s_lshl_b64 s[8:9], s[8:9], 3
	s_add_u32 s12, s20, s8
	s_addc_u32 s13, s21, s9
.LBB157_8:
	s_load_dword s8, s[0:1], 0x0
	s_load_dword s20, s[0:1], 0x20
	;; [unrolled: 1-line block ×3, first 2 shown]
	v_and_b32_e32 v137, 0x3ff, v0
	v_bfe_u32 v138, v0, 10, 10
	s_waitcnt lgkmcnt(0)
	s_add_i32 s8, s8, -1
	s_ashr_i32 s9, s8, 31
	s_lshr_b32 s9, s9, 24
	s_add_i32 s8, s8, s9
	s_ashr_i32 s8, s8, 8
	s_add_i32 s9, s8, 1
	v_cvt_f32_u32_e32 v1, s9
	s_not_b32 s8, s8
	s_ashr_i32 s21, s20, 31
	v_lshl_add_u32 v0, v138, 5, v137
	v_rcp_iflag_f32_e32 v1, v1
	v_and_b32_e32 v74, 63, v0
	v_lshrrev_b32_e32 v18, 2, v0
	v_lshrrev_b32_e32 v145, 6, v0
	v_mul_f32_e32 v1, 0x4f7ffffe, v1
	v_cvt_u32_f32_e32 v1, v1
	v_and_b32_e32 v144, 3, v137
	v_add_u32_e32 v146, 4, v145
	v_mov_b32_e32 v78, 0x7f800000
	v_readfirstlane_b32 s14, v1
	s_mul_i32 s8, s8, s14
	s_mul_hi_u32 s8, s14, s8
	s_add_i32 s14, s14, s8
	s_mul_hi_u32 s8, s2, s14
	s_mul_i32 s14, s8, s9
	s_sub_i32 s14, s2, s14
	s_add_i32 s23, s8, 1
	s_sub_i32 s24, s14, s9
	s_cmp_ge_u32 s14, s9
	s_cselect_b32 s8, s23, s8
	s_cselect_b32 s14, s24, s14
	s_add_i32 s23, s8, 1
	s_cmp_ge_u32 s14, s9
	s_cselect_b32 s8, s23, s8
	s_mul_i32 s9, s8, s9
	s_sub_i32 s2, s2, s9
	s_lshl_b32 s2, s2, 8
	s_lshl_b32 s14, s8, 6
	v_or_b32_e32 v62, s2, v74
	v_add_u32_e32 v4, s14, v18
	v_mad_i64_i32 v[0:1], s[8:9], s20, v145, 0
	v_ashrrev_i32_e32 v63, 31, v62
	v_mad_i64_i32 v[4:5], s[8:9], v4, s22, 0
	v_lshl_add_u64 v[0:1], v[0:1], 3, s[16:17]
	v_lshlrev_b64 v[2:3], 3, v[62:63]
	v_lshl_add_u64 v[60:61], v[4:5], 3, s[18:19]
	v_lshlrev_b32_e32 v4, 3, v144
	v_mov_b32_e32 v5, 0
	v_lshl_add_u64 v[0:1], v[0:1], 0, v[2:3]
	v_lshl_add_u64 v[6:7], v[60:61], 0, v[4:5]
	flat_load_dwordx2 v[8:9], v[6:7]
	flat_load_dwordx2 v[10:11], v[0:1]
	flat_load_dwordx2 v[12:13], v[0:1] offset:512
	flat_load_dwordx2 v[14:15], v[0:1] offset:1024
	;; [unrolled: 1-line block ×3, first 2 shown]
	v_mad_i64_i32 v[0:1], s[8:9], s20, v146, 0
	v_lshl_add_u64 v[0:1], v[0:1], 3, s[16:17]
	v_lshl_add_u64 v[0:1], v[0:1], 0, v[2:3]
	flat_load_dwordx2 v[64:65], v[6:7] offset:32
	flat_load_dwordx2 v[66:67], v[0:1]
	flat_load_dwordx2 v[68:69], v[0:1] offset:512
	flat_load_dwordx2 v[70:71], v[0:1] offset:1024
	;; [unrolled: 1-line block ×3, first 2 shown]
	v_lshlrev_b32_e32 v0, 3, v145
	v_lshl_or_b32 v75, v18, 5, v4
	s_mov_b32 s18, 0
	s_mov_b64 s[8:9], -1
	v_mov_b32_e32 v79, 0x7f800000
	v_mov_b32_e32 v80, 0x7f800000
	;; [unrolled: 1-line block ×42, first 2 shown]
	v_lshl_add_u32 v147, v74, 5, v0
	v_add_u32_e32 v148, 0x4000, v75
	v_mov_b32_e32 v121, 0x7f800000
	v_mov_b32_e32 v122, 0x7f800000
	;; [unrolled: 1-line block ×21, first 2 shown]
	s_waitcnt vmcnt(0) lgkmcnt(0)
	ds_write_b64 v75, v[8:9] offset:16384
	ds_write2st64_b64 v147, v[10:11], v[12:13] offset1:4
	ds_write2st64_b64 v147, v[14:15], v[16:17] offset0:8 offset1:12
	s_waitcnt lgkmcnt(0)
	s_barrier
.LBB157_9:                              ; =>This Inner Loop Header: Depth=1
	v_cndmask_b32_e64 v0, 0, 1, s[8:9]
	s_lshl_b32 s8, s18, 3
	v_cmp_ne_u32_e32 vcc, 1, v0
	v_lshl_add_u32 v0, v137, 5, s8
	v_lshl_add_u32 v20, v138, 5, s8
	ds_read_b128 v[32:35], v0
	ds_read_b128 v[28:31], v0 offset:1024
	ds_read_b128 v[24:27], v0 offset:2048
	;; [unrolled: 1-line block ×15, first 2 shown]
	s_waitcnt lgkmcnt(7)
	v_add_f64 v[76:77], v[34:35], v[152:153]
	v_add_f64 v[154:155], v[32:33], v[150:151]
	v_cvt_f32_f64_e32 v149, v[154:155]
	v_cvt_f32_f64_e32 v76, v[76:77]
	v_min3_f32 v143, v149, v76, v143
	v_add_f64 v[76:77], v[30:31], v[152:153]
	v_add_f64 v[154:155], v[28:29], v[150:151]
	v_cvt_f32_f64_e32 v149, v[154:155]
	v_cvt_f32_f64_e32 v76, v[76:77]
	v_min3_f32 v142, v149, v76, v142
	;; [unrolled: 5-line block ×8, first 2 shown]
	s_waitcnt lgkmcnt(6)
	v_add_f64 v[76:77], v[34:35], v[58:59]
	v_add_f64 v[150:151], v[32:33], v[56:57]
	v_cvt_f32_f64_e32 v149, v[150:151]
	v_cvt_f32_f64_e32 v76, v[76:77]
	v_min3_f32 v133, v149, v76, v133
	v_add_f64 v[76:77], v[30:31], v[58:59]
	v_add_f64 v[150:151], v[28:29], v[56:57]
	v_cvt_f32_f64_e32 v149, v[150:151]
	v_cvt_f32_f64_e32 v76, v[76:77]
	v_min3_f32 v132, v149, v76, v132
	v_add_f64 v[76:77], v[26:27], v[58:59]
	v_add_f64 v[150:151], v[24:25], v[56:57]
	v_cvt_f32_f64_e32 v149, v[150:151]
	v_cvt_f32_f64_e32 v76, v[76:77]
	v_min3_f32 v131, v149, v76, v131
	v_add_f64 v[76:77], v[18:19], v[58:59]
	v_add_f64 v[150:151], v[16:17], v[56:57]
	v_cvt_f32_f64_e32 v149, v[150:151]
	v_cvt_f32_f64_e32 v76, v[76:77]
	v_min3_f32 v130, v149, v76, v130
	v_add_f64 v[76:77], v[14:15], v[58:59]
	v_add_f64 v[150:151], v[12:13], v[56:57]
	v_cvt_f32_f64_e32 v149, v[150:151]
	v_cvt_f32_f64_e32 v76, v[76:77]
	v_min3_f32 v129, v149, v76, v129
	v_add_f64 v[76:77], v[10:11], v[58:59]
	v_add_f64 v[150:151], v[8:9], v[56:57]
	v_cvt_f32_f64_e32 v149, v[150:151]
	v_cvt_f32_f64_e32 v76, v[76:77]
	v_min3_f32 v128, v149, v76, v128
	v_add_f64 v[76:77], v[6:7], v[58:59]
	v_add_f64 v[150:151], v[4:5], v[56:57]
	v_add_f64 v[58:59], v[2:3], v[58:59]
	v_add_f64 v[56:57], v[0:1], v[56:57]
	v_cvt_f32_f64_e32 v56, v[56:57]
	v_cvt_f32_f64_e32 v57, v[58:59]
	v_min3_f32 v126, v56, v57, v126
	s_waitcnt lgkmcnt(5)
	v_add_f64 v[56:57], v[34:35], v[54:55]
	v_add_f64 v[58:59], v[32:33], v[52:53]
	v_cvt_f32_f64_e32 v58, v[58:59]
	v_cvt_f32_f64_e32 v56, v[56:57]
	v_min3_f32 v125, v58, v56, v125
	v_add_f64 v[56:57], v[30:31], v[54:55]
	v_add_f64 v[58:59], v[28:29], v[52:53]
	v_cvt_f32_f64_e32 v58, v[58:59]
	v_cvt_f32_f64_e32 v56, v[56:57]
	v_min3_f32 v124, v58, v56, v124
	v_add_f64 v[56:57], v[26:27], v[54:55]
	v_add_f64 v[58:59], v[24:25], v[52:53]
	v_cvt_f32_f64_e32 v58, v[58:59]
	v_cvt_f32_f64_e32 v56, v[56:57]
	v_min3_f32 v123, v58, v56, v123
	v_add_f64 v[56:57], v[18:19], v[54:55]
	v_add_f64 v[58:59], v[16:17], v[52:53]
	v_cvt_f32_f64_e32 v58, v[58:59]
	v_cvt_f32_f64_e32 v56, v[56:57]
	v_min3_f32 v122, v58, v56, v122
	v_add_f64 v[56:57], v[14:15], v[54:55]
	v_add_f64 v[58:59], v[12:13], v[52:53]
	v_cvt_f32_f64_e32 v58, v[58:59]
	v_cvt_f32_f64_e32 v56, v[56:57]
	v_min3_f32 v121, v58, v56, v121
	v_add_f64 v[56:57], v[10:11], v[54:55]
	v_add_f64 v[58:59], v[8:9], v[52:53]
	v_cvt_f32_f64_e32 v58, v[58:59]
	v_cvt_f32_f64_e32 v56, v[56:57]
	v_min3_f32 v120, v58, v56, v120
	v_add_f64 v[56:57], v[6:7], v[54:55]
	v_add_f64 v[58:59], v[4:5], v[52:53]
	v_add_f64 v[54:55], v[2:3], v[54:55]
	v_add_f64 v[52:53], v[0:1], v[52:53]
	v_cvt_f32_f64_e32 v52, v[52:53]
	v_cvt_f32_f64_e32 v53, v[54:55]
	v_min3_f32 v118, v52, v53, v118
	;; [unrolled: 38-line block ×5, first 2 shown]
	s_waitcnt lgkmcnt(1)
	v_add_f64 v[40:41], v[34:35], v[38:39]
	v_add_f64 v[42:43], v[32:33], v[36:37]
	v_cvt_f32_f64_e32 v42, v[42:43]
	v_cvt_f32_f64_e32 v40, v[40:41]
	v_min3_f32 v93, v42, v40, v93
	v_add_f64 v[40:41], v[30:31], v[38:39]
	v_add_f64 v[42:43], v[28:29], v[36:37]
	v_cvt_f32_f64_e32 v42, v[42:43]
	v_cvt_f32_f64_e32 v40, v[40:41]
	v_min3_f32 v92, v42, v40, v92
	;; [unrolled: 5-line block ×6, first 2 shown]
	v_add_f64 v[40:41], v[6:7], v[38:39]
	v_add_f64 v[42:43], v[4:5], v[36:37]
	;; [unrolled: 1-line block ×4, first 2 shown]
	s_waitcnt lgkmcnt(0)
	v_add_f64 v[34:35], v[34:35], v[22:23]
	v_add_f64 v[32:33], v[32:33], v[20:21]
	;; [unrolled: 1-line block ×16, first 2 shown]
	v_cvt_f32_f64_e32 v149, v[150:151]
	v_cvt_f32_f64_e32 v76, v[76:77]
	v_cvt_f32_f64_e32 v58, v[58:59]
	v_cvt_f32_f64_e32 v56, v[56:57]
	v_cvt_f32_f64_e32 v54, v[54:55]
	v_cvt_f32_f64_e32 v52, v[52:53]
	v_cvt_f32_f64_e32 v50, v[50:51]
	v_cvt_f32_f64_e32 v48, v[48:49]
	v_cvt_f32_f64_e32 v46, v[46:47]
	v_cvt_f32_f64_e32 v44, v[44:45]
	v_cvt_f32_f64_e32 v42, v[42:43]
	v_cvt_f32_f64_e32 v40, v[40:41]
	v_cvt_f32_f64_e32 v36, v[36:37]
	v_cvt_f32_f64_e32 v37, v[38:39]
	v_cvt_f32_f64_e32 v32, v[32:33]
	v_cvt_f32_f64_e32 v33, v[34:35]
	v_cvt_f32_f64_e32 v28, v[28:29]
	v_cvt_f32_f64_e32 v29, v[30:31]
	v_cvt_f32_f64_e32 v24, v[24:25]
	v_cvt_f32_f64_e32 v25, v[26:27]
	v_cvt_f32_f64_e32 v16, v[16:17]
	v_cvt_f32_f64_e32 v17, v[18:19]
	v_cvt_f32_f64_e32 v12, v[12:13]
	v_cvt_f32_f64_e32 v13, v[14:15]
	v_cvt_f32_f64_e32 v8, v[8:9]
	v_cvt_f32_f64_e32 v9, v[10:11]
	v_cvt_f32_f64_e32 v4, v[4:5]
	v_cvt_f32_f64_e32 v5, v[6:7]
	v_cvt_f32_f64_e32 v0, v[0:1]
	v_cvt_f32_f64_e32 v1, v[2:3]
	v_min3_f32 v127, v149, v76, v127
	v_min3_f32 v119, v58, v56, v119
	;; [unrolled: 1-line block ×15, first 2 shown]
	s_mov_b64 s[8:9], 0
	s_mov_b32 s18, 2
	s_cbranch_vccz .LBB157_9
; %bb.10:
	s_load_dword s18, s[0:1], 0x8
	v_lshlrev_b32_e32 v0, 5, v74
	v_lshl_add_u32 v0, v145, 3, v0
	ds_write2st64_b64 v0, v[66:67], v[68:69] offset0:16 offset1:20
	ds_write2st64_b64 v0, v[70:71], v[72:73] offset0:24 offset1:28
	ds_write_b64 v75, v[64:65] offset:18432
	s_waitcnt lgkmcnt(0)
	s_cmp_lt_i32 s18, 9
	s_barrier
	s_cbranch_scc1 .LBB157_17
; %bb.11:
	v_add_u32_e32 v149, 0x2000, v0
	v_add_u32_e32 v150, 0x4800, v75
	s_add_i32 s18, s18, -8
	v_lshl_add_u64 v[62:63], v[62:63], 3, s[16:17]
	s_mov_b32 s16, 8
	s_mov_b32 s17, 0
	v_mov_b32_e32 v65, 0
.LBB157_12:                             ; =>This Loop Header: Depth=1
                                        ;     Child Loop BB157_13 Depth 2
                                        ;     Child Loop BB157_15 Depth 2
	v_add_u32_e32 v3, s16, v145
	v_mad_u64_u32 v[0:1], s[8:9], v3, s20, 0
	v_mov_b32_e32 v2, v1
	v_mad_u64_u32 v[2:3], s[8:9], v3, s21, v[2:3]
	v_mov_b32_e32 v1, v2
	v_lshl_add_u64 v[0:1], v[0:1], 3, v[62:63]
	flat_load_dwordx2 v[68:69], v[0:1]
	flat_load_dwordx2 v[70:71], v[0:1] offset:512
	flat_load_dwordx2 v[72:73], v[0:1] offset:1024
	;; [unrolled: 1-line block ×3, first 2 shown]
	v_or_b32_e32 v64, s16, v144
	v_lshl_add_u64 v[66:67], v[64:65], 3, v[60:61]
	flat_load_dwordx2 v[76:77], v[66:67]
	s_mov_b64 s[8:9], -1
	s_mov_b32 s19, 0
.LBB157_13:                             ;   Parent Loop BB157_12 Depth=1
                                        ; =>  This Inner Loop Header: Depth=2
	v_cndmask_b32_e64 v0, 0, 1, s[8:9]
	s_lshl_b32 s8, s19, 3
	v_cmp_ne_u32_e32 vcc, 1, v0
	v_lshl_add_u32 v0, v137, 5, s8
	v_lshl_add_u32 v20, v138, 5, s8
	ds_read_b128 v[32:35], v0 offset:8192
	ds_read_b128 v[28:31], v0 offset:9216
	;; [unrolled: 1-line block ×16, first 2 shown]
	s_waitcnt lgkmcnt(0)
	v_add_f64 v[156:157], v[34:35], v[154:155]
	v_add_f64 v[158:159], v[32:33], v[152:153]
	v_cvt_f32_f64_e32 v64, v[158:159]
	v_cvt_f32_f64_e32 v151, v[156:157]
	v_add_f64 v[156:157], v[30:31], v[154:155]
	v_add_f64 v[158:159], v[28:29], v[152:153]
	v_min3_f32 v143, v64, v151, v143
	v_cvt_f32_f64_e32 v64, v[158:159]
	v_cvt_f32_f64_e32 v151, v[156:157]
	v_add_f64 v[156:157], v[26:27], v[154:155]
	v_add_f64 v[158:159], v[24:25], v[152:153]
	v_min3_f32 v142, v64, v151, v142
	;; [unrolled: 5-line block ×13, first 2 shown]
	v_cvt_f32_f64_e32 v64, v[154:155]
	v_cvt_f32_f64_e32 v151, v[152:153]
	v_add_f64 v[152:153], v[6:7], v[58:59]
	v_add_f64 v[154:155], v[4:5], v[56:57]
	v_add_f64 v[58:59], v[2:3], v[58:59]
	v_add_f64 v[56:57], v[0:1], v[56:57]
	v_cvt_f32_f64_e32 v56, v[56:57]
	v_cvt_f32_f64_e32 v57, v[58:59]
	v_min3_f32 v126, v56, v57, v126
	v_add_f64 v[56:57], v[34:35], v[54:55]
	v_add_f64 v[58:59], v[32:33], v[52:53]
	v_cvt_f32_f64_e32 v58, v[58:59]
	v_cvt_f32_f64_e32 v56, v[56:57]
	v_min3_f32 v125, v58, v56, v125
	v_add_f64 v[56:57], v[30:31], v[54:55]
	v_add_f64 v[58:59], v[28:29], v[52:53]
	v_cvt_f32_f64_e32 v58, v[58:59]
	v_cvt_f32_f64_e32 v56, v[56:57]
	v_min3_f32 v124, v58, v56, v124
	v_add_f64 v[56:57], v[26:27], v[54:55]
	v_add_f64 v[58:59], v[24:25], v[52:53]
	v_cvt_f32_f64_e32 v58, v[58:59]
	v_cvt_f32_f64_e32 v56, v[56:57]
	v_min3_f32 v123, v58, v56, v123
	v_add_f64 v[56:57], v[18:19], v[54:55]
	v_add_f64 v[58:59], v[16:17], v[52:53]
	v_cvt_f32_f64_e32 v58, v[58:59]
	v_cvt_f32_f64_e32 v56, v[56:57]
	v_min3_f32 v122, v58, v56, v122
	v_add_f64 v[56:57], v[14:15], v[54:55]
	v_add_f64 v[58:59], v[12:13], v[52:53]
	v_cvt_f32_f64_e32 v58, v[58:59]
	v_cvt_f32_f64_e32 v56, v[56:57]
	v_min3_f32 v121, v58, v56, v121
	v_add_f64 v[56:57], v[10:11], v[54:55]
	v_add_f64 v[58:59], v[8:9], v[52:53]
	v_cvt_f32_f64_e32 v58, v[58:59]
	v_cvt_f32_f64_e32 v56, v[56:57]
	v_min3_f32 v120, v58, v56, v120
	v_add_f64 v[56:57], v[6:7], v[54:55]
	v_add_f64 v[58:59], v[4:5], v[52:53]
	v_add_f64 v[54:55], v[2:3], v[54:55]
	v_add_f64 v[52:53], v[0:1], v[52:53]
	v_cvt_f32_f64_e32 v52, v[52:53]
	v_cvt_f32_f64_e32 v53, v[54:55]
	v_min3_f32 v118, v52, v53, v118
	v_add_f64 v[52:53], v[34:35], v[50:51]
	v_add_f64 v[54:55], v[32:33], v[48:49]
	v_cvt_f32_f64_e32 v54, v[54:55]
	v_cvt_f32_f64_e32 v52, v[52:53]
	v_min3_f32 v117, v54, v52, v117
	v_add_f64 v[52:53], v[30:31], v[50:51]
	v_add_f64 v[54:55], v[28:29], v[48:49]
	v_cvt_f32_f64_e32 v54, v[54:55]
	v_cvt_f32_f64_e32 v52, v[52:53]
	v_min3_f32 v116, v54, v52, v116
	v_add_f64 v[52:53], v[26:27], v[50:51]
	v_add_f64 v[54:55], v[24:25], v[48:49]
	v_cvt_f32_f64_e32 v54, v[54:55]
	v_cvt_f32_f64_e32 v52, v[52:53]
	v_min3_f32 v115, v54, v52, v115
	v_add_f64 v[52:53], v[18:19], v[50:51]
	v_add_f64 v[54:55], v[16:17], v[48:49]
	v_cvt_f32_f64_e32 v54, v[54:55]
	v_cvt_f32_f64_e32 v52, v[52:53]
	v_min3_f32 v114, v54, v52, v114
	v_add_f64 v[52:53], v[14:15], v[50:51]
	v_add_f64 v[54:55], v[12:13], v[48:49]
	v_cvt_f32_f64_e32 v54, v[54:55]
	v_cvt_f32_f64_e32 v52, v[52:53]
	v_min3_f32 v113, v54, v52, v113
	v_add_f64 v[52:53], v[10:11], v[50:51]
	v_add_f64 v[54:55], v[8:9], v[48:49]
	v_cvt_f32_f64_e32 v54, v[54:55]
	v_cvt_f32_f64_e32 v52, v[52:53]
	v_min3_f32 v112, v54, v52, v112
	;; [unrolled: 37-line block ×5, first 2 shown]
	v_add_f64 v[40:41], v[6:7], v[38:39]
	v_add_f64 v[42:43], v[4:5], v[36:37]
	;; [unrolled: 1-line block ×20, first 2 shown]
	v_min3_f32 v128, v64, v151, v128
	v_cvt_f32_f64_e32 v64, v[154:155]
	v_cvt_f32_f64_e32 v151, v[152:153]
	;; [unrolled: 1-line block ×30, first 2 shown]
	v_min3_f32 v127, v64, v151, v127
	v_min3_f32 v119, v58, v56, v119
	;; [unrolled: 1-line block ×15, first 2 shown]
	s_mov_b32 s19, 2
	s_mov_b64 s[8:9], 0
	s_cbranch_vccz .LBB157_13
; %bb.14:                               ;   in Loop: Header=BB157_12 Depth=1
	v_add_u32_e32 v3, s16, v146
	v_mad_u64_u32 v[0:1], s[8:9], v3, s20, 0
	v_mov_b32_e32 v2, v1
	v_mad_u64_u32 v[2:3], s[8:9], v3, s21, v[2:3]
	v_mov_b32_e32 v1, v2
	v_lshl_add_u64 v[0:1], v[0:1], 3, v[62:63]
	s_waitcnt vmcnt(0)
	ds_write2st64_b64 v147, v[68:69], v[70:71] offset1:4
	ds_write2st64_b64 v147, v[72:73], v[74:75] offset0:8 offset1:12
	ds_write_b64 v148, v[76:77]
	s_waitcnt lgkmcnt(0)
	s_barrier
	flat_load_dwordx2 v[68:69], v[0:1]
	flat_load_dwordx2 v[70:71], v[0:1] offset:512
	flat_load_dwordx2 v[72:73], v[0:1] offset:1024
	;; [unrolled: 1-line block ×4, first 2 shown]
	s_mov_b32 s19, 0
	s_mov_b64 s[8:9], -1
.LBB157_15:                             ;   Parent Loop BB157_12 Depth=1
                                        ; =>  This Inner Loop Header: Depth=2
	v_cndmask_b32_e64 v0, 0, 1, s[8:9]
	s_lshl_b32 s8, s19, 3
	v_cmp_ne_u32_e32 vcc, 1, v0
	v_lshl_add_u32 v0, v137, 5, s8
	v_lshl_add_u32 v20, v138, 5, s8
	ds_read_b128 v[32:35], v0
	ds_read_b128 v[28:31], v0 offset:1024
	ds_read_b128 v[24:27], v0 offset:2048
	;; [unrolled: 1-line block ×15, first 2 shown]
	s_waitcnt lgkmcnt(0)
	v_add_f64 v[66:67], v[34:35], v[154:155]
	v_add_f64 v[156:157], v[32:33], v[152:153]
	v_cvt_f32_f64_e32 v64, v[156:157]
	v_cvt_f32_f64_e32 v66, v[66:67]
	v_min3_f32 v143, v64, v66, v143
	v_add_f64 v[66:67], v[30:31], v[154:155]
	v_add_f64 v[156:157], v[28:29], v[152:153]
	v_cvt_f32_f64_e32 v64, v[156:157]
	v_cvt_f32_f64_e32 v66, v[66:67]
	v_min3_f32 v142, v64, v66, v142
	;; [unrolled: 5-line block ×14, first 2 shown]
	v_add_f64 v[66:67], v[6:7], v[58:59]
	v_add_f64 v[152:153], v[4:5], v[56:57]
	v_add_f64 v[58:59], v[2:3], v[58:59]
	v_add_f64 v[56:57], v[0:1], v[56:57]
	v_cvt_f32_f64_e32 v56, v[56:57]
	v_cvt_f32_f64_e32 v57, v[58:59]
	v_min3_f32 v126, v56, v57, v126
	v_add_f64 v[56:57], v[34:35], v[54:55]
	v_add_f64 v[58:59], v[32:33], v[52:53]
	v_cvt_f32_f64_e32 v58, v[58:59]
	v_cvt_f32_f64_e32 v56, v[56:57]
	v_min3_f32 v125, v58, v56, v125
	v_add_f64 v[56:57], v[30:31], v[54:55]
	v_add_f64 v[58:59], v[28:29], v[52:53]
	v_cvt_f32_f64_e32 v58, v[58:59]
	v_cvt_f32_f64_e32 v56, v[56:57]
	v_min3_f32 v124, v58, v56, v124
	v_add_f64 v[56:57], v[26:27], v[54:55]
	v_add_f64 v[58:59], v[24:25], v[52:53]
	v_cvt_f32_f64_e32 v58, v[58:59]
	v_cvt_f32_f64_e32 v56, v[56:57]
	v_min3_f32 v123, v58, v56, v123
	v_add_f64 v[56:57], v[18:19], v[54:55]
	v_add_f64 v[58:59], v[16:17], v[52:53]
	v_cvt_f32_f64_e32 v58, v[58:59]
	v_cvt_f32_f64_e32 v56, v[56:57]
	v_min3_f32 v122, v58, v56, v122
	v_add_f64 v[56:57], v[14:15], v[54:55]
	v_add_f64 v[58:59], v[12:13], v[52:53]
	v_cvt_f32_f64_e32 v58, v[58:59]
	v_cvt_f32_f64_e32 v56, v[56:57]
	v_min3_f32 v121, v58, v56, v121
	v_add_f64 v[56:57], v[10:11], v[54:55]
	v_add_f64 v[58:59], v[8:9], v[52:53]
	v_cvt_f32_f64_e32 v58, v[58:59]
	v_cvt_f32_f64_e32 v56, v[56:57]
	v_min3_f32 v120, v58, v56, v120
	v_add_f64 v[56:57], v[6:7], v[54:55]
	v_add_f64 v[58:59], v[4:5], v[52:53]
	v_add_f64 v[54:55], v[2:3], v[54:55]
	v_add_f64 v[52:53], v[0:1], v[52:53]
	v_cvt_f32_f64_e32 v52, v[52:53]
	v_cvt_f32_f64_e32 v53, v[54:55]
	v_min3_f32 v118, v52, v53, v118
	v_add_f64 v[52:53], v[34:35], v[50:51]
	v_add_f64 v[54:55], v[32:33], v[48:49]
	v_cvt_f32_f64_e32 v54, v[54:55]
	v_cvt_f32_f64_e32 v52, v[52:53]
	v_min3_f32 v117, v54, v52, v117
	v_add_f64 v[52:53], v[30:31], v[50:51]
	v_add_f64 v[54:55], v[28:29], v[48:49]
	v_cvt_f32_f64_e32 v54, v[54:55]
	v_cvt_f32_f64_e32 v52, v[52:53]
	v_min3_f32 v116, v54, v52, v116
	v_add_f64 v[52:53], v[26:27], v[50:51]
	v_add_f64 v[54:55], v[24:25], v[48:49]
	v_cvt_f32_f64_e32 v54, v[54:55]
	v_cvt_f32_f64_e32 v52, v[52:53]
	v_min3_f32 v115, v54, v52, v115
	v_add_f64 v[52:53], v[18:19], v[50:51]
	v_add_f64 v[54:55], v[16:17], v[48:49]
	v_cvt_f32_f64_e32 v54, v[54:55]
	v_cvt_f32_f64_e32 v52, v[52:53]
	v_min3_f32 v114, v54, v52, v114
	v_add_f64 v[52:53], v[14:15], v[50:51]
	v_add_f64 v[54:55], v[12:13], v[48:49]
	v_cvt_f32_f64_e32 v54, v[54:55]
	v_cvt_f32_f64_e32 v52, v[52:53]
	v_min3_f32 v113, v54, v52, v113
	v_add_f64 v[52:53], v[10:11], v[50:51]
	v_add_f64 v[54:55], v[8:9], v[48:49]
	v_cvt_f32_f64_e32 v54, v[54:55]
	v_cvt_f32_f64_e32 v52, v[52:53]
	v_min3_f32 v112, v54, v52, v112
	;; [unrolled: 37-line block ×5, first 2 shown]
	v_add_f64 v[40:41], v[6:7], v[38:39]
	v_add_f64 v[42:43], v[4:5], v[36:37]
	;; [unrolled: 1-line block ×20, first 2 shown]
	v_cvt_f32_f64_e32 v64, v[152:153]
	v_cvt_f32_f64_e32 v66, v[66:67]
	;; [unrolled: 1-line block ×30, first 2 shown]
	v_min3_f32 v127, v64, v66, v127
	v_min3_f32 v119, v58, v56, v119
	;; [unrolled: 1-line block ×15, first 2 shown]
	s_mov_b32 s19, 2
	s_mov_b64 s[8:9], 0
	s_cbranch_vccz .LBB157_15
; %bb.16:                               ;   in Loop: Header=BB157_12 Depth=1
	s_add_i32 s16, s16, 8
	s_add_i32 s17, s17, 8
	s_cmp_ge_i32 s17, s18
	s_waitcnt vmcnt(0)
	ds_write2st64_b64 v149, v[68:69], v[70:71] offset1:4
	ds_write2st64_b64 v149, v[72:73], v[74:75] offset0:8 offset1:12
	ds_write_b64 v150, v[76:77]
	s_waitcnt lgkmcnt(0)
	s_barrier
	s_cbranch_scc0 .LBB157_12
.LBB157_17:
	s_mov_b32 s16, 0
	s_mov_b64 s[8:9], -1
.LBB157_18:                             ; =>This Inner Loop Header: Depth=1
	v_cndmask_b32_e64 v0, 0, 1, s[8:9]
	s_lshl_b32 s8, s16, 3
	v_cmp_ne_u32_e32 vcc, 1, v0
	v_lshl_add_u32 v0, v137, 5, s8
	v_lshl_add_u32 v20, v138, 5, s8
	ds_read_b128 v[32:35], v0 offset:8192
	ds_read_b128 v[28:31], v0 offset:9216
	;; [unrolled: 1-line block ×16, first 2 shown]
	s_waitcnt lgkmcnt(7)
	v_add_f64 v[64:65], v[34:35], v[62:63]
	v_add_f64 v[66:67], v[32:33], v[60:61]
	v_cvt_f32_f64_e32 v66, v[66:67]
	v_cvt_f32_f64_e32 v64, v[64:65]
	v_min3_f32 v143, v66, v64, v143
	v_add_f64 v[64:65], v[30:31], v[62:63]
	v_add_f64 v[66:67], v[28:29], v[60:61]
	v_cvt_f32_f64_e32 v66, v[66:67]
	v_cvt_f32_f64_e32 v64, v[64:65]
	v_min3_f32 v142, v66, v64, v142
	v_add_f64 v[64:65], v[26:27], v[62:63]
	v_add_f64 v[66:67], v[24:25], v[60:61]
	v_cvt_f32_f64_e32 v66, v[66:67]
	v_cvt_f32_f64_e32 v64, v[64:65]
	v_min3_f32 v141, v66, v64, v141
	v_add_f64 v[64:65], v[18:19], v[62:63]
	v_add_f64 v[66:67], v[16:17], v[60:61]
	v_cvt_f32_f64_e32 v66, v[66:67]
	v_cvt_f32_f64_e32 v64, v[64:65]
	v_min3_f32 v140, v66, v64, v140
	v_add_f64 v[64:65], v[14:15], v[62:63]
	v_add_f64 v[66:67], v[12:13], v[60:61]
	v_cvt_f32_f64_e32 v66, v[66:67]
	v_cvt_f32_f64_e32 v64, v[64:65]
	v_min3_f32 v139, v66, v64, v139
	v_add_f64 v[64:65], v[10:11], v[62:63]
	v_add_f64 v[66:67], v[8:9], v[60:61]
	v_cvt_f32_f64_e32 v66, v[66:67]
	v_cvt_f32_f64_e32 v64, v[64:65]
	v_min3_f32 v136, v66, v64, v136
	v_add_f64 v[64:65], v[6:7], v[62:63]
	v_add_f64 v[66:67], v[4:5], v[60:61]
	v_add_f64 v[62:63], v[2:3], v[62:63]
	v_add_f64 v[60:61], v[0:1], v[60:61]
	v_cvt_f32_f64_e32 v60, v[60:61]
	v_cvt_f32_f64_e32 v61, v[62:63]
	v_min3_f32 v134, v60, v61, v134
	s_waitcnt lgkmcnt(6)
	v_add_f64 v[60:61], v[34:35], v[58:59]
	v_add_f64 v[62:63], v[32:33], v[56:57]
	v_cvt_f32_f64_e32 v62, v[62:63]
	v_cvt_f32_f64_e32 v60, v[60:61]
	v_min3_f32 v133, v62, v60, v133
	v_add_f64 v[60:61], v[30:31], v[58:59]
	v_add_f64 v[62:63], v[28:29], v[56:57]
	v_cvt_f32_f64_e32 v62, v[62:63]
	v_cvt_f32_f64_e32 v60, v[60:61]
	v_min3_f32 v132, v62, v60, v132
	v_add_f64 v[60:61], v[26:27], v[58:59]
	v_add_f64 v[62:63], v[24:25], v[56:57]
	v_cvt_f32_f64_e32 v62, v[62:63]
	v_cvt_f32_f64_e32 v60, v[60:61]
	v_min3_f32 v131, v62, v60, v131
	v_add_f64 v[60:61], v[18:19], v[58:59]
	v_add_f64 v[62:63], v[16:17], v[56:57]
	v_cvt_f32_f64_e32 v62, v[62:63]
	v_cvt_f32_f64_e32 v60, v[60:61]
	v_min3_f32 v130, v62, v60, v130
	v_add_f64 v[60:61], v[14:15], v[58:59]
	v_add_f64 v[62:63], v[12:13], v[56:57]
	v_cvt_f32_f64_e32 v62, v[62:63]
	v_cvt_f32_f64_e32 v60, v[60:61]
	v_min3_f32 v129, v62, v60, v129
	v_add_f64 v[60:61], v[10:11], v[58:59]
	v_add_f64 v[62:63], v[8:9], v[56:57]
	v_cvt_f32_f64_e32 v62, v[62:63]
	v_cvt_f32_f64_e32 v60, v[60:61]
	v_min3_f32 v128, v62, v60, v128
	v_add_f64 v[60:61], v[6:7], v[58:59]
	v_add_f64 v[62:63], v[4:5], v[56:57]
	v_add_f64 v[58:59], v[2:3], v[58:59]
	v_add_f64 v[56:57], v[0:1], v[56:57]
	v_cvt_f32_f64_e32 v56, v[56:57]
	v_cvt_f32_f64_e32 v57, v[58:59]
	v_min3_f32 v126, v56, v57, v126
	;; [unrolled: 38-line block ×6, first 2 shown]
	s_waitcnt lgkmcnt(1)
	v_add_f64 v[40:41], v[34:35], v[38:39]
	v_add_f64 v[42:43], v[32:33], v[36:37]
	v_cvt_f32_f64_e32 v42, v[42:43]
	v_cvt_f32_f64_e32 v40, v[40:41]
	v_min3_f32 v93, v42, v40, v93
	v_add_f64 v[40:41], v[30:31], v[38:39]
	v_add_f64 v[42:43], v[28:29], v[36:37]
	v_cvt_f32_f64_e32 v42, v[42:43]
	v_cvt_f32_f64_e32 v40, v[40:41]
	v_min3_f32 v92, v42, v40, v92
	;; [unrolled: 5-line block ×6, first 2 shown]
	v_add_f64 v[40:41], v[6:7], v[38:39]
	v_add_f64 v[42:43], v[4:5], v[36:37]
	;; [unrolled: 1-line block ×4, first 2 shown]
	s_waitcnt lgkmcnt(0)
	v_add_f64 v[34:35], v[34:35], v[22:23]
	v_add_f64 v[32:33], v[32:33], v[20:21]
	;; [unrolled: 1-line block ×16, first 2 shown]
	v_cvt_f32_f64_e32 v66, v[66:67]
	v_cvt_f32_f64_e32 v64, v[64:65]
	;; [unrolled: 1-line block ×32, first 2 shown]
	v_min3_f32 v135, v66, v64, v135
	v_min3_f32 v127, v62, v60, v127
	v_min3_f32 v119, v58, v56, v119
	v_min3_f32 v111, v54, v52, v111
	v_min3_f32 v103, v50, v48, v103
	v_min3_f32 v95, v46, v44, v95
	v_min3_f32 v87, v42, v40, v87
	v_min3_f32 v86, v36, v37, v86
	v_min3_f32 v85, v32, v33, v85
	v_min3_f32 v84, v28, v29, v84
	v_min3_f32 v83, v24, v25, v83
	v_min3_f32 v82, v16, v17, v82
	v_min3_f32 v81, v12, v13, v81
	v_min3_f32 v80, v8, v9, v80
	v_min3_f32 v79, v4, v5, v79
	v_min3_f32 v78, v0, v1, v78
	s_mov_b32 s16, 2
	s_mov_b64 s[8:9], 0
	s_cbranch_vccz .LBB157_18
; %bb.19:
	s_load_dwordx2 s[8:9], s[0:1], 0x78
	s_load_dword s16, s[0:1], 0x58
	s_load_dword s17, s[0:1], 0x70
	v_add_u32_e32 v8, s2, v137
	v_add_u32_e32 v30, s14, v138
	s_waitcnt lgkmcnt(0)
	s_mul_i32 s0, s3, s9
	s_mul_hi_u32 s1, s3, s8
	s_mul_i32 s9, s15, s8
	s_add_i32 s0, s1, s0
	s_add_i32 s1, s0, s9
	s_mul_i32 s0, s3, s8
	s_lshl_b64 s[0:1], s[0:1], 3
	s_add_u32 s0, s10, s0
	s_addc_u32 s1, s11, s1
	v_add_u32_e32 v0, 32, v8
	v_mad_i64_i32 v[2:3], s[2:3], v30, s17, 0
	v_ashrrev_i32_e32 v9, 31, v8
	v_ashrrev_i32_e32 v1, 31, v0
	v_lshl_add_u64 v[24:25], v[2:3], 3, s[0:1]
	v_mad_i64_i32 v[2:3], s[2:3], v30, s16, 0
	v_max_f32_e32 v4, v143, v143
	s_mov_b64 vcc, s[4:5]
	s_cbranch_vccz .LBB157_22
; %bb.20:
	v_min_f32_e32 v5, 0, v4
	v_cvt_f64_f32_e32 v[6:7], v5
	v_lshl_add_u64 v[10:11], v[8:9], 3, v[24:25]
	global_store_dwordx2 v[10:11], v[6:7], off
	s_mov_b64 s[2:3], 0
	v_lshl_add_u64 v[26:27], v[2:3], 3, s[12:13]
	v_lshlrev_b64 v[12:13], 3, v[8:9]
	s_cbranch_execz .LBB157_23
; %bb.21:
	v_mov_b64_e32 v[4:5], s[2:3]
	s_branch .LBB157_24
.LBB157_22:
                                        ; implicit-def: $sgpr2_sgpr3
	v_lshl_add_u64 v[26:27], v[2:3], 3, s[12:13]
	v_lshlrev_b64 v[12:13], 3, v[8:9]
.LBB157_23:
	v_lshl_add_u64 v[2:3], v[26:27], 0, v[12:13]
	flat_load_dwordx2 v[2:3], v[2:3]
	v_lshl_add_u64 v[6:7], v[24:25], 0, v[12:13]
	s_waitcnt vmcnt(0) lgkmcnt(0)
	v_mul_f64 v[2:3], v[2:3], s[6:7]
	v_cvt_f32_f64_e32 v2, v[2:3]
	v_min_f32_e32 v2, v2, v4
	v_cvt_f64_f32_e32 v[2:3], v2
	global_store_dwordx2 v[6:7], v[2:3], off
	v_lshl_add_u64 v[2:3], v[0:1], 3, v[26:27]
	flat_load_dwordx2 v[2:3], v[2:3]
	s_waitcnt vmcnt(0) lgkmcnt(0)
	v_mul_f64 v[4:5], v[2:3], s[6:7]
.LBB157_24:
	v_cvt_f32_f64_e32 v4, v[4:5]
	v_max_f32_e32 v5, v142, v142
	v_min_f32_e32 v4, v4, v5
	v_add_u32_e32 v10, 64, v8
	v_add_u32_e32 v2, 0x60, v8
	v_cvt_f64_f32_e32 v[4:5], v4
	v_lshl_add_u64 v[6:7], v[0:1], 3, v[24:25]
	v_ashrrev_i32_e32 v11, 31, v10
	v_ashrrev_i32_e32 v3, 31, v2
	global_store_dwordx2 v[6:7], v[4:5], off
	v_max_f32_e32 v4, v141, v141
	s_mov_b64 vcc, s[4:5]
	s_cbranch_vccz .LBB157_27
; %bb.25:
	v_min_f32_e32 v5, 0, v4
	v_cvt_f64_f32_e32 v[6:7], v5
	v_lshl_add_u64 v[14:15], v[10:11], 3, v[24:25]
	global_store_dwordx2 v[14:15], v[6:7], off
	s_mov_b64 s[2:3], 0
	v_lshlrev_b64 v[16:17], 3, v[10:11]
	s_cbranch_execz .LBB157_28
; %bb.26:
	v_mov_b64_e32 v[6:7], s[2:3]
	s_branch .LBB157_29
.LBB157_27:
                                        ; implicit-def: $sgpr2_sgpr3
	v_lshlrev_b64 v[16:17], 3, v[10:11]
.LBB157_28:
	v_lshl_add_u64 v[6:7], v[26:27], 0, v[16:17]
	flat_load_dwordx2 v[6:7], v[6:7]
	v_lshl_add_u64 v[14:15], v[24:25], 0, v[16:17]
	s_waitcnt vmcnt(0) lgkmcnt(0)
	v_mul_f64 v[6:7], v[6:7], s[6:7]
	v_cvt_f32_f64_e32 v5, v[6:7]
	v_min_f32_e32 v4, v5, v4
	v_cvt_f64_f32_e32 v[4:5], v4
	global_store_dwordx2 v[14:15], v[4:5], off
	v_lshl_add_u64 v[4:5], v[2:3], 3, v[26:27]
	flat_load_dwordx2 v[4:5], v[4:5]
	s_waitcnt vmcnt(0) lgkmcnt(0)
	v_mul_f64 v[6:7], v[4:5], s[6:7]
.LBB157_29:
	v_cvt_f32_f64_e32 v6, v[6:7]
	v_max_f32_e32 v7, v140, v140
	v_min_f32_e32 v6, v6, v7
	v_add_u32_e32 v14, 0x80, v8
	v_add_u32_e32 v4, 0xa0, v8
	v_cvt_f64_f32_e32 v[6:7], v6
	v_lshl_add_u64 v[18:19], v[2:3], 3, v[24:25]
	v_ashrrev_i32_e32 v15, 31, v14
	v_ashrrev_i32_e32 v5, 31, v4
	global_store_dwordx2 v[18:19], v[6:7], off
	v_max_f32_e32 v6, v139, v139
	s_mov_b64 vcc, s[4:5]
	s_cbranch_vccz .LBB157_32
; %bb.30:
	v_min_f32_e32 v7, 0, v6
	v_cvt_f64_f32_e32 v[18:19], v7
	v_lshl_add_u64 v[20:21], v[14:15], 3, v[24:25]
	global_store_dwordx2 v[20:21], v[18:19], off
	s_mov_b64 s[2:3], 0
	v_lshlrev_b64 v[20:21], 3, v[14:15]
	s_cbranch_execz .LBB157_33
; %bb.31:
	v_mov_b64_e32 v[22:23], s[2:3]
	s_branch .LBB157_34
.LBB157_32:
                                        ; implicit-def: $sgpr2_sgpr3
	v_lshlrev_b64 v[20:21], 3, v[14:15]
.LBB157_33:
	v_lshl_add_u64 v[18:19], v[26:27], 0, v[20:21]
	flat_load_dwordx2 v[18:19], v[18:19]
	v_lshl_add_u64 v[22:23], v[24:25], 0, v[20:21]
	s_waitcnt vmcnt(0) lgkmcnt(0)
	v_mul_f64 v[18:19], v[18:19], s[6:7]
	v_cvt_f32_f64_e32 v7, v[18:19]
	v_min_f32_e32 v6, v7, v6
	v_cvt_f64_f32_e32 v[6:7], v6
	global_store_dwordx2 v[22:23], v[6:7], off
	v_lshl_add_u64 v[6:7], v[4:5], 3, v[26:27]
	flat_load_dwordx2 v[6:7], v[6:7]
	s_waitcnt vmcnt(0) lgkmcnt(0)
	v_mul_f64 v[22:23], v[6:7], s[6:7]
.LBB157_34:
	v_cvt_f32_f64_e32 v22, v[22:23]
	v_max_f32_e32 v23, v136, v136
	v_min_f32_e32 v22, v22, v23
	v_add_u32_e32 v18, 0xc0, v8
	v_add_u32_e32 v6, 0xe0, v8
	v_cvt_f64_f32_e32 v[22:23], v22
	v_lshl_add_u64 v[28:29], v[4:5], 3, v[24:25]
	v_ashrrev_i32_e32 v19, 31, v18
	v_ashrrev_i32_e32 v7, 31, v6
	global_store_dwordx2 v[28:29], v[22:23], off
	v_max_f32_e32 v28, v135, v135
	s_mov_b64 vcc, s[4:5]
	s_cbranch_vccz .LBB157_37
; %bb.35:
	v_min_f32_e32 v22, 0, v28
	v_cvt_f64_f32_e32 v[22:23], v22
	v_lshl_add_u64 v[32:33], v[18:19], 3, v[24:25]
	global_store_dwordx2 v[32:33], v[22:23], off
	s_mov_b64 s[2:3], 0
	v_lshlrev_b64 v[22:23], 3, v[18:19]
	s_cbranch_execz .LBB157_38
; %bb.36:
	v_mov_b64_e32 v[26:27], s[2:3]
	s_branch .LBB157_39
.LBB157_37:
                                        ; implicit-def: $sgpr2_sgpr3
	v_lshlrev_b64 v[22:23], 3, v[18:19]
.LBB157_38:
	v_lshl_add_u64 v[32:33], v[26:27], 0, v[22:23]
	flat_load_dwordx2 v[32:33], v[32:33]
	v_lshl_add_u64 v[34:35], v[24:25], 0, v[22:23]
	v_lshl_add_u64 v[26:27], v[6:7], 3, v[26:27]
	s_waitcnt vmcnt(0) lgkmcnt(0)
	v_mul_f64 v[32:33], v[32:33], s[6:7]
	v_cvt_f32_f64_e32 v29, v[32:33]
	v_min_f32_e32 v28, v29, v28
	v_cvt_f64_f32_e32 v[28:29], v28
	global_store_dwordx2 v[34:35], v[28:29], off
	flat_load_dwordx2 v[26:27], v[26:27]
	s_waitcnt vmcnt(0) lgkmcnt(0)
	v_mul_f64 v[26:27], v[26:27], s[6:7]
.LBB157_39:
	v_cvt_f32_f64_e32 v26, v[26:27]
	v_max_f32_e32 v27, v134, v134
	v_min_f32_e32 v26, v26, v27
	v_cvt_f64_f32_e32 v[26:27], v26
	v_lshl_add_u64 v[24:25], v[6:7], 3, v[24:25]
	global_store_dwordx2 v[24:25], v[26:27], off
	v_add_u32_e32 v26, 8, v30
	v_mad_i64_i32 v[24:25], s[2:3], v26, s17, 0
	v_lshl_add_u64 v[24:25], v[24:25], 3, s[0:1]
	v_mad_i64_i32 v[26:27], s[2:3], v26, s16, 0
	v_max_f32_e32 v28, v133, v133
	s_mov_b64 vcc, s[4:5]
	s_cbranch_vccz .LBB157_42
; %bb.40:
	v_min_f32_e32 v29, 0, v28
	v_cvt_f64_f32_e32 v[32:33], v29
	v_lshl_add_u64 v[34:35], v[8:9], 3, v[24:25]
	global_store_dwordx2 v[34:35], v[32:33], off
	s_mov_b64 s[2:3], 0
	v_lshl_add_u64 v[26:27], v[26:27], 3, s[12:13]
	s_cbranch_execz .LBB157_43
; %bb.41:
	v_mov_b64_e32 v[28:29], s[2:3]
	s_branch .LBB157_44
.LBB157_42:
                                        ; implicit-def: $sgpr2_sgpr3
	v_lshl_add_u64 v[26:27], v[26:27], 3, s[12:13]
.LBB157_43:
	v_lshl_add_u64 v[32:33], v[26:27], 0, v[12:13]
	flat_load_dwordx2 v[32:33], v[32:33]
	v_lshl_add_u64 v[34:35], v[24:25], 0, v[12:13]
	s_waitcnt vmcnt(0) lgkmcnt(0)
	v_mul_f64 v[32:33], v[32:33], s[6:7]
	v_cvt_f32_f64_e32 v29, v[32:33]
	v_min_f32_e32 v28, v29, v28
	v_cvt_f64_f32_e32 v[28:29], v28
	global_store_dwordx2 v[34:35], v[28:29], off
	v_lshl_add_u64 v[28:29], v[0:1], 3, v[26:27]
	flat_load_dwordx2 v[28:29], v[28:29]
	s_waitcnt vmcnt(0) lgkmcnt(0)
	v_mul_f64 v[28:29], v[28:29], s[6:7]
.LBB157_44:
	v_cvt_f32_f64_e32 v28, v[28:29]
	v_max_f32_e32 v29, v132, v132
	v_min_f32_e32 v28, v28, v29
	v_cvt_f64_f32_e32 v[28:29], v28
	v_lshl_add_u64 v[32:33], v[0:1], 3, v[24:25]
	global_store_dwordx2 v[32:33], v[28:29], off
	v_max_f32_e32 v28, v131, v131
	s_mov_b64 vcc, s[4:5]
	s_cbranch_vccz .LBB157_47
; %bb.45:
	v_min_f32_e32 v29, 0, v28
	v_cvt_f64_f32_e32 v[32:33], v29
	v_lshl_add_u64 v[34:35], v[10:11], 3, v[24:25]
	global_store_dwordx2 v[34:35], v[32:33], off
	s_mov_b64 s[2:3], 0
	s_cbranch_execz .LBB157_48
; %bb.46:
	v_mov_b64_e32 v[28:29], s[2:3]
	s_branch .LBB157_49
.LBB157_47:
                                        ; implicit-def: $sgpr2_sgpr3
.LBB157_48:
	v_lshl_add_u64 v[32:33], v[26:27], 0, v[16:17]
	flat_load_dwordx2 v[32:33], v[32:33]
	v_lshl_add_u64 v[34:35], v[24:25], 0, v[16:17]
	s_waitcnt vmcnt(0) lgkmcnt(0)
	v_mul_f64 v[32:33], v[32:33], s[6:7]
	v_cvt_f32_f64_e32 v29, v[32:33]
	v_min_f32_e32 v28, v29, v28
	v_cvt_f64_f32_e32 v[28:29], v28
	global_store_dwordx2 v[34:35], v[28:29], off
	v_lshl_add_u64 v[28:29], v[2:3], 3, v[26:27]
	flat_load_dwordx2 v[28:29], v[28:29]
	s_waitcnt vmcnt(0) lgkmcnt(0)
	v_mul_f64 v[28:29], v[28:29], s[6:7]
.LBB157_49:
	v_cvt_f32_f64_e32 v28, v[28:29]
	v_max_f32_e32 v29, v130, v130
	v_min_f32_e32 v28, v28, v29
	v_cvt_f64_f32_e32 v[28:29], v28
	v_lshl_add_u64 v[32:33], v[2:3], 3, v[24:25]
	global_store_dwordx2 v[32:33], v[28:29], off
	v_max_f32_e32 v28, v129, v129
	s_mov_b64 vcc, s[4:5]
	s_cbranch_vccz .LBB157_52
; %bb.50:
	v_min_f32_e32 v29, 0, v28
	v_cvt_f64_f32_e32 v[32:33], v29
	v_lshl_add_u64 v[34:35], v[14:15], 3, v[24:25]
	global_store_dwordx2 v[34:35], v[32:33], off
	s_mov_b64 s[2:3], 0
	s_cbranch_execz .LBB157_53
; %bb.51:
	v_mov_b64_e32 v[28:29], s[2:3]
	s_branch .LBB157_54
.LBB157_52:
                                        ; implicit-def: $sgpr2_sgpr3
.LBB157_53:
	v_lshl_add_u64 v[32:33], v[26:27], 0, v[20:21]
	flat_load_dwordx2 v[32:33], v[32:33]
	v_lshl_add_u64 v[34:35], v[24:25], 0, v[20:21]
	s_waitcnt vmcnt(0) lgkmcnt(0)
	v_mul_f64 v[32:33], v[32:33], s[6:7]
	v_cvt_f32_f64_e32 v29, v[32:33]
	v_min_f32_e32 v28, v29, v28
	v_cvt_f64_f32_e32 v[28:29], v28
	global_store_dwordx2 v[34:35], v[28:29], off
	v_lshl_add_u64 v[28:29], v[4:5], 3, v[26:27]
	flat_load_dwordx2 v[28:29], v[28:29]
	s_waitcnt vmcnt(0) lgkmcnt(0)
	v_mul_f64 v[28:29], v[28:29], s[6:7]
.LBB157_54:
	v_cvt_f32_f64_e32 v28, v[28:29]
	v_max_f32_e32 v29, v128, v128
	v_min_f32_e32 v28, v28, v29
	v_cvt_f64_f32_e32 v[28:29], v28
	v_lshl_add_u64 v[32:33], v[4:5], 3, v[24:25]
	global_store_dwordx2 v[32:33], v[28:29], off
	v_max_f32_e32 v28, v127, v127
	s_mov_b64 vcc, s[4:5]
	s_cbranch_vccz .LBB157_57
; %bb.55:
	v_min_f32_e32 v29, 0, v28
	v_cvt_f64_f32_e32 v[32:33], v29
	v_lshl_add_u64 v[34:35], v[18:19], 3, v[24:25]
	global_store_dwordx2 v[34:35], v[32:33], off
	s_mov_b64 s[2:3], 0
	s_cbranch_execz .LBB157_58
; %bb.56:
	v_mov_b64_e32 v[26:27], s[2:3]
	s_branch .LBB157_59
.LBB157_57:
                                        ; implicit-def: $sgpr2_sgpr3
.LBB157_58:
	v_lshl_add_u64 v[32:33], v[26:27], 0, v[22:23]
	flat_load_dwordx2 v[32:33], v[32:33]
	v_lshl_add_u64 v[34:35], v[24:25], 0, v[22:23]
	v_lshl_add_u64 v[26:27], v[6:7], 3, v[26:27]
	s_waitcnt vmcnt(0) lgkmcnt(0)
	v_mul_f64 v[32:33], v[32:33], s[6:7]
	v_cvt_f32_f64_e32 v29, v[32:33]
	v_min_f32_e32 v28, v29, v28
	v_cvt_f64_f32_e32 v[28:29], v28
	global_store_dwordx2 v[34:35], v[28:29], off
	flat_load_dwordx2 v[26:27], v[26:27]
	s_waitcnt vmcnt(0) lgkmcnt(0)
	v_mul_f64 v[26:27], v[26:27], s[6:7]
.LBB157_59:
	v_cvt_f32_f64_e32 v26, v[26:27]
	v_max_f32_e32 v27, v126, v126
	v_min_f32_e32 v26, v26, v27
	v_cvt_f64_f32_e32 v[26:27], v26
	v_lshl_add_u64 v[24:25], v[6:7], 3, v[24:25]
	global_store_dwordx2 v[24:25], v[26:27], off
	v_add_u32_e32 v26, 16, v30
	v_mad_i64_i32 v[24:25], s[2:3], v26, s17, 0
	v_lshl_add_u64 v[24:25], v[24:25], 3, s[0:1]
	v_mad_i64_i32 v[26:27], s[2:3], v26, s16, 0
	v_max_f32_e32 v28, v125, v125
	s_mov_b64 vcc, s[4:5]
	s_cbranch_vccz .LBB157_62
; %bb.60:
	v_min_f32_e32 v29, 0, v28
	v_cvt_f64_f32_e32 v[32:33], v29
	v_lshl_add_u64 v[34:35], v[8:9], 3, v[24:25]
	global_store_dwordx2 v[34:35], v[32:33], off
	s_mov_b64 s[2:3], 0
	v_lshl_add_u64 v[26:27], v[26:27], 3, s[12:13]
	s_cbranch_execz .LBB157_63
; %bb.61:
	v_mov_b64_e32 v[28:29], s[2:3]
	s_branch .LBB157_64
.LBB157_62:
                                        ; implicit-def: $sgpr2_sgpr3
	v_lshl_add_u64 v[26:27], v[26:27], 3, s[12:13]
.LBB157_63:
	v_lshl_add_u64 v[32:33], v[26:27], 0, v[12:13]
	flat_load_dwordx2 v[32:33], v[32:33]
	v_lshl_add_u64 v[34:35], v[24:25], 0, v[12:13]
	s_waitcnt vmcnt(0) lgkmcnt(0)
	v_mul_f64 v[32:33], v[32:33], s[6:7]
	v_cvt_f32_f64_e32 v29, v[32:33]
	v_min_f32_e32 v28, v29, v28
	v_cvt_f64_f32_e32 v[28:29], v28
	global_store_dwordx2 v[34:35], v[28:29], off
	v_lshl_add_u64 v[28:29], v[0:1], 3, v[26:27]
	flat_load_dwordx2 v[28:29], v[28:29]
	s_waitcnt vmcnt(0) lgkmcnt(0)
	v_mul_f64 v[28:29], v[28:29], s[6:7]
.LBB157_64:
	v_cvt_f32_f64_e32 v28, v[28:29]
	v_max_f32_e32 v29, v124, v124
	v_min_f32_e32 v28, v28, v29
	v_cvt_f64_f32_e32 v[28:29], v28
	v_lshl_add_u64 v[32:33], v[0:1], 3, v[24:25]
	global_store_dwordx2 v[32:33], v[28:29], off
	v_max_f32_e32 v28, v123, v123
	s_mov_b64 vcc, s[4:5]
	s_cbranch_vccz .LBB157_67
; %bb.65:
	v_min_f32_e32 v29, 0, v28
	v_cvt_f64_f32_e32 v[32:33], v29
	v_lshl_add_u64 v[34:35], v[10:11], 3, v[24:25]
	global_store_dwordx2 v[34:35], v[32:33], off
	s_mov_b64 s[2:3], 0
	s_cbranch_execz .LBB157_68
; %bb.66:
	v_mov_b64_e32 v[28:29], s[2:3]
	s_branch .LBB157_69
.LBB157_67:
                                        ; implicit-def: $sgpr2_sgpr3
.LBB157_68:
	v_lshl_add_u64 v[32:33], v[26:27], 0, v[16:17]
	flat_load_dwordx2 v[32:33], v[32:33]
	v_lshl_add_u64 v[34:35], v[24:25], 0, v[16:17]
	s_waitcnt vmcnt(0) lgkmcnt(0)
	v_mul_f64 v[32:33], v[32:33], s[6:7]
	v_cvt_f32_f64_e32 v29, v[32:33]
	v_min_f32_e32 v28, v29, v28
	v_cvt_f64_f32_e32 v[28:29], v28
	global_store_dwordx2 v[34:35], v[28:29], off
	v_lshl_add_u64 v[28:29], v[2:3], 3, v[26:27]
	flat_load_dwordx2 v[28:29], v[28:29]
	s_waitcnt vmcnt(0) lgkmcnt(0)
	v_mul_f64 v[28:29], v[28:29], s[6:7]
.LBB157_69:
	v_cvt_f32_f64_e32 v28, v[28:29]
	v_max_f32_e32 v29, v122, v122
	v_min_f32_e32 v28, v28, v29
	v_cvt_f64_f32_e32 v[28:29], v28
	v_lshl_add_u64 v[32:33], v[2:3], 3, v[24:25]
	global_store_dwordx2 v[32:33], v[28:29], off
	v_max_f32_e32 v28, v121, v121
	s_mov_b64 vcc, s[4:5]
	s_cbranch_vccz .LBB157_72
; %bb.70:
	v_min_f32_e32 v29, 0, v28
	v_cvt_f64_f32_e32 v[32:33], v29
	v_lshl_add_u64 v[34:35], v[14:15], 3, v[24:25]
	global_store_dwordx2 v[34:35], v[32:33], off
	s_mov_b64 s[2:3], 0
	s_cbranch_execz .LBB157_73
; %bb.71:
	v_mov_b64_e32 v[28:29], s[2:3]
	s_branch .LBB157_74
.LBB157_72:
                                        ; implicit-def: $sgpr2_sgpr3
.LBB157_73:
	v_lshl_add_u64 v[32:33], v[26:27], 0, v[20:21]
	flat_load_dwordx2 v[32:33], v[32:33]
	v_lshl_add_u64 v[34:35], v[24:25], 0, v[20:21]
	s_waitcnt vmcnt(0) lgkmcnt(0)
	v_mul_f64 v[32:33], v[32:33], s[6:7]
	v_cvt_f32_f64_e32 v29, v[32:33]
	v_min_f32_e32 v28, v29, v28
	v_cvt_f64_f32_e32 v[28:29], v28
	global_store_dwordx2 v[34:35], v[28:29], off
	v_lshl_add_u64 v[28:29], v[4:5], 3, v[26:27]
	flat_load_dwordx2 v[28:29], v[28:29]
	s_waitcnt vmcnt(0) lgkmcnt(0)
	v_mul_f64 v[28:29], v[28:29], s[6:7]
.LBB157_74:
	v_cvt_f32_f64_e32 v28, v[28:29]
	v_max_f32_e32 v29, v120, v120
	v_min_f32_e32 v28, v28, v29
	v_cvt_f64_f32_e32 v[28:29], v28
	v_lshl_add_u64 v[32:33], v[4:5], 3, v[24:25]
	global_store_dwordx2 v[32:33], v[28:29], off
	v_max_f32_e32 v28, v119, v119
	s_mov_b64 vcc, s[4:5]
	s_cbranch_vccz .LBB157_77
; %bb.75:
	v_min_f32_e32 v29, 0, v28
	v_cvt_f64_f32_e32 v[32:33], v29
	v_lshl_add_u64 v[34:35], v[18:19], 3, v[24:25]
	global_store_dwordx2 v[34:35], v[32:33], off
	s_mov_b64 s[2:3], 0
	s_cbranch_execz .LBB157_78
; %bb.76:
	v_mov_b64_e32 v[26:27], s[2:3]
	s_branch .LBB157_79
.LBB157_77:
                                        ; implicit-def: $sgpr2_sgpr3
.LBB157_78:
	v_lshl_add_u64 v[32:33], v[26:27], 0, v[22:23]
	flat_load_dwordx2 v[32:33], v[32:33]
	v_lshl_add_u64 v[34:35], v[24:25], 0, v[22:23]
	v_lshl_add_u64 v[26:27], v[6:7], 3, v[26:27]
	s_waitcnt vmcnt(0) lgkmcnt(0)
	v_mul_f64 v[32:33], v[32:33], s[6:7]
	v_cvt_f32_f64_e32 v29, v[32:33]
	v_min_f32_e32 v28, v29, v28
	v_cvt_f64_f32_e32 v[28:29], v28
	global_store_dwordx2 v[34:35], v[28:29], off
	flat_load_dwordx2 v[26:27], v[26:27]
	s_waitcnt vmcnt(0) lgkmcnt(0)
	v_mul_f64 v[26:27], v[26:27], s[6:7]
.LBB157_79:
	v_cvt_f32_f64_e32 v26, v[26:27]
	v_max_f32_e32 v27, v118, v118
	v_min_f32_e32 v26, v26, v27
	v_cvt_f64_f32_e32 v[26:27], v26
	v_lshl_add_u64 v[24:25], v[6:7], 3, v[24:25]
	global_store_dwordx2 v[24:25], v[26:27], off
	v_add_u32_e32 v26, 24, v30
	v_mad_i64_i32 v[24:25], s[2:3], v26, s17, 0
	v_lshl_add_u64 v[24:25], v[24:25], 3, s[0:1]
	v_mad_i64_i32 v[26:27], s[2:3], v26, s16, 0
	v_max_f32_e32 v28, v117, v117
	s_mov_b64 vcc, s[4:5]
	s_cbranch_vccz .LBB157_82
; %bb.80:
	v_min_f32_e32 v29, 0, v28
	v_cvt_f64_f32_e32 v[32:33], v29
	v_lshl_add_u64 v[34:35], v[8:9], 3, v[24:25]
	global_store_dwordx2 v[34:35], v[32:33], off
	s_mov_b64 s[2:3], 0
	v_lshl_add_u64 v[26:27], v[26:27], 3, s[12:13]
	s_cbranch_execz .LBB157_83
; %bb.81:
	v_mov_b64_e32 v[28:29], s[2:3]
	s_branch .LBB157_84
.LBB157_82:
                                        ; implicit-def: $sgpr2_sgpr3
	v_lshl_add_u64 v[26:27], v[26:27], 3, s[12:13]
.LBB157_83:
	v_lshl_add_u64 v[32:33], v[26:27], 0, v[12:13]
	flat_load_dwordx2 v[32:33], v[32:33]
	v_lshl_add_u64 v[34:35], v[24:25], 0, v[12:13]
	s_waitcnt vmcnt(0) lgkmcnt(0)
	v_mul_f64 v[32:33], v[32:33], s[6:7]
	v_cvt_f32_f64_e32 v29, v[32:33]
	v_min_f32_e32 v28, v29, v28
	v_cvt_f64_f32_e32 v[28:29], v28
	global_store_dwordx2 v[34:35], v[28:29], off
	v_lshl_add_u64 v[28:29], v[0:1], 3, v[26:27]
	flat_load_dwordx2 v[28:29], v[28:29]
	s_waitcnt vmcnt(0) lgkmcnt(0)
	v_mul_f64 v[28:29], v[28:29], s[6:7]
.LBB157_84:
	v_cvt_f32_f64_e32 v28, v[28:29]
	v_max_f32_e32 v29, v116, v116
	v_min_f32_e32 v28, v28, v29
	v_cvt_f64_f32_e32 v[28:29], v28
	v_lshl_add_u64 v[32:33], v[0:1], 3, v[24:25]
	global_store_dwordx2 v[32:33], v[28:29], off
	v_max_f32_e32 v28, v115, v115
	s_mov_b64 vcc, s[4:5]
	s_cbranch_vccz .LBB157_87
; %bb.85:
	v_min_f32_e32 v29, 0, v28
	v_cvt_f64_f32_e32 v[32:33], v29
	v_lshl_add_u64 v[34:35], v[10:11], 3, v[24:25]
	global_store_dwordx2 v[34:35], v[32:33], off
	s_mov_b64 s[2:3], 0
	s_cbranch_execz .LBB157_88
; %bb.86:
	v_mov_b64_e32 v[28:29], s[2:3]
	s_branch .LBB157_89
.LBB157_87:
                                        ; implicit-def: $sgpr2_sgpr3
.LBB157_88:
	v_lshl_add_u64 v[32:33], v[26:27], 0, v[16:17]
	flat_load_dwordx2 v[32:33], v[32:33]
	v_lshl_add_u64 v[34:35], v[24:25], 0, v[16:17]
	s_waitcnt vmcnt(0) lgkmcnt(0)
	v_mul_f64 v[32:33], v[32:33], s[6:7]
	v_cvt_f32_f64_e32 v29, v[32:33]
	v_min_f32_e32 v28, v29, v28
	v_cvt_f64_f32_e32 v[28:29], v28
	global_store_dwordx2 v[34:35], v[28:29], off
	v_lshl_add_u64 v[28:29], v[2:3], 3, v[26:27]
	flat_load_dwordx2 v[28:29], v[28:29]
	s_waitcnt vmcnt(0) lgkmcnt(0)
	v_mul_f64 v[28:29], v[28:29], s[6:7]
.LBB157_89:
	v_cvt_f32_f64_e32 v28, v[28:29]
	v_max_f32_e32 v29, v114, v114
	v_min_f32_e32 v28, v28, v29
	v_cvt_f64_f32_e32 v[28:29], v28
	v_lshl_add_u64 v[32:33], v[2:3], 3, v[24:25]
	global_store_dwordx2 v[32:33], v[28:29], off
	v_max_f32_e32 v28, v113, v113
	s_mov_b64 vcc, s[4:5]
	s_cbranch_vccz .LBB157_92
; %bb.90:
	v_min_f32_e32 v29, 0, v28
	v_cvt_f64_f32_e32 v[32:33], v29
	v_lshl_add_u64 v[34:35], v[14:15], 3, v[24:25]
	global_store_dwordx2 v[34:35], v[32:33], off
	s_mov_b64 s[2:3], 0
	s_cbranch_execz .LBB157_93
; %bb.91:
	v_mov_b64_e32 v[28:29], s[2:3]
	s_branch .LBB157_94
.LBB157_92:
                                        ; implicit-def: $sgpr2_sgpr3
.LBB157_93:
	v_lshl_add_u64 v[32:33], v[26:27], 0, v[20:21]
	flat_load_dwordx2 v[32:33], v[32:33]
	v_lshl_add_u64 v[34:35], v[24:25], 0, v[20:21]
	s_waitcnt vmcnt(0) lgkmcnt(0)
	v_mul_f64 v[32:33], v[32:33], s[6:7]
	v_cvt_f32_f64_e32 v29, v[32:33]
	v_min_f32_e32 v28, v29, v28
	v_cvt_f64_f32_e32 v[28:29], v28
	global_store_dwordx2 v[34:35], v[28:29], off
	v_lshl_add_u64 v[28:29], v[4:5], 3, v[26:27]
	flat_load_dwordx2 v[28:29], v[28:29]
	s_waitcnt vmcnt(0) lgkmcnt(0)
	v_mul_f64 v[28:29], v[28:29], s[6:7]
.LBB157_94:
	v_cvt_f32_f64_e32 v28, v[28:29]
	v_max_f32_e32 v29, v112, v112
	v_min_f32_e32 v28, v28, v29
	v_cvt_f64_f32_e32 v[28:29], v28
	v_lshl_add_u64 v[32:33], v[4:5], 3, v[24:25]
	global_store_dwordx2 v[32:33], v[28:29], off
	v_max_f32_e32 v28, v111, v111
	s_mov_b64 vcc, s[4:5]
	s_cbranch_vccz .LBB157_97
; %bb.95:
	v_min_f32_e32 v29, 0, v28
	v_cvt_f64_f32_e32 v[32:33], v29
	v_lshl_add_u64 v[34:35], v[18:19], 3, v[24:25]
	global_store_dwordx2 v[34:35], v[32:33], off
	s_mov_b64 s[2:3], 0
	s_cbranch_execz .LBB157_98
; %bb.96:
	v_mov_b64_e32 v[26:27], s[2:3]
	s_branch .LBB157_99
.LBB157_97:
                                        ; implicit-def: $sgpr2_sgpr3
.LBB157_98:
	v_lshl_add_u64 v[32:33], v[26:27], 0, v[22:23]
	flat_load_dwordx2 v[32:33], v[32:33]
	v_lshl_add_u64 v[34:35], v[24:25], 0, v[22:23]
	v_lshl_add_u64 v[26:27], v[6:7], 3, v[26:27]
	s_waitcnt vmcnt(0) lgkmcnt(0)
	v_mul_f64 v[32:33], v[32:33], s[6:7]
	v_cvt_f32_f64_e32 v29, v[32:33]
	v_min_f32_e32 v28, v29, v28
	v_cvt_f64_f32_e32 v[28:29], v28
	global_store_dwordx2 v[34:35], v[28:29], off
	flat_load_dwordx2 v[26:27], v[26:27]
	s_waitcnt vmcnt(0) lgkmcnt(0)
	v_mul_f64 v[26:27], v[26:27], s[6:7]
.LBB157_99:
	v_cvt_f32_f64_e32 v26, v[26:27]
	v_max_f32_e32 v27, v110, v110
	v_min_f32_e32 v26, v26, v27
	v_cvt_f64_f32_e32 v[26:27], v26
	v_lshl_add_u64 v[24:25], v[6:7], 3, v[24:25]
	global_store_dwordx2 v[24:25], v[26:27], off
	v_add_u32_e32 v26, 32, v30
	v_mad_i64_i32 v[24:25], s[2:3], v26, s17, 0
	v_lshl_add_u64 v[24:25], v[24:25], 3, s[0:1]
	v_mad_i64_i32 v[26:27], s[2:3], v26, s16, 0
	v_max_f32_e32 v28, v109, v109
	s_mov_b64 vcc, s[4:5]
	s_cbranch_vccz .LBB157_102
; %bb.100:
	v_min_f32_e32 v29, 0, v28
	v_cvt_f64_f32_e32 v[32:33], v29
	v_lshl_add_u64 v[34:35], v[8:9], 3, v[24:25]
	global_store_dwordx2 v[34:35], v[32:33], off
	s_mov_b64 s[2:3], 0
	v_lshl_add_u64 v[26:27], v[26:27], 3, s[12:13]
	s_cbranch_execz .LBB157_103
; %bb.101:
	v_mov_b64_e32 v[28:29], s[2:3]
	s_branch .LBB157_104
.LBB157_102:
                                        ; implicit-def: $sgpr2_sgpr3
	v_lshl_add_u64 v[26:27], v[26:27], 3, s[12:13]
.LBB157_103:
	v_lshl_add_u64 v[32:33], v[26:27], 0, v[12:13]
	flat_load_dwordx2 v[32:33], v[32:33]
	v_lshl_add_u64 v[34:35], v[24:25], 0, v[12:13]
	s_waitcnt vmcnt(0) lgkmcnt(0)
	v_mul_f64 v[32:33], v[32:33], s[6:7]
	v_cvt_f32_f64_e32 v29, v[32:33]
	v_min_f32_e32 v28, v29, v28
	v_cvt_f64_f32_e32 v[28:29], v28
	global_store_dwordx2 v[34:35], v[28:29], off
	v_lshl_add_u64 v[28:29], v[0:1], 3, v[26:27]
	flat_load_dwordx2 v[28:29], v[28:29]
	s_waitcnt vmcnt(0) lgkmcnt(0)
	v_mul_f64 v[28:29], v[28:29], s[6:7]
.LBB157_104:
	v_cvt_f32_f64_e32 v28, v[28:29]
	v_max_f32_e32 v29, v108, v108
	v_min_f32_e32 v28, v28, v29
	v_cvt_f64_f32_e32 v[28:29], v28
	v_lshl_add_u64 v[32:33], v[0:1], 3, v[24:25]
	global_store_dwordx2 v[32:33], v[28:29], off
	v_max_f32_e32 v28, v107, v107
	s_mov_b64 vcc, s[4:5]
	s_cbranch_vccz .LBB157_107
; %bb.105:
	v_min_f32_e32 v29, 0, v28
	v_cvt_f64_f32_e32 v[32:33], v29
	v_lshl_add_u64 v[34:35], v[10:11], 3, v[24:25]
	global_store_dwordx2 v[34:35], v[32:33], off
	s_mov_b64 s[2:3], 0
	s_cbranch_execz .LBB157_108
; %bb.106:
	v_mov_b64_e32 v[28:29], s[2:3]
	s_branch .LBB157_109
.LBB157_107:
                                        ; implicit-def: $sgpr2_sgpr3
.LBB157_108:
	v_lshl_add_u64 v[32:33], v[26:27], 0, v[16:17]
	flat_load_dwordx2 v[32:33], v[32:33]
	v_lshl_add_u64 v[34:35], v[24:25], 0, v[16:17]
	s_waitcnt vmcnt(0) lgkmcnt(0)
	v_mul_f64 v[32:33], v[32:33], s[6:7]
	v_cvt_f32_f64_e32 v29, v[32:33]
	v_min_f32_e32 v28, v29, v28
	v_cvt_f64_f32_e32 v[28:29], v28
	global_store_dwordx2 v[34:35], v[28:29], off
	v_lshl_add_u64 v[28:29], v[2:3], 3, v[26:27]
	flat_load_dwordx2 v[28:29], v[28:29]
	s_waitcnt vmcnt(0) lgkmcnt(0)
	v_mul_f64 v[28:29], v[28:29], s[6:7]
.LBB157_109:
	v_cvt_f32_f64_e32 v28, v[28:29]
	v_max_f32_e32 v29, v106, v106
	v_min_f32_e32 v28, v28, v29
	v_cvt_f64_f32_e32 v[28:29], v28
	v_lshl_add_u64 v[32:33], v[2:3], 3, v[24:25]
	global_store_dwordx2 v[32:33], v[28:29], off
	v_max_f32_e32 v28, v105, v105
	s_mov_b64 vcc, s[4:5]
	s_cbranch_vccz .LBB157_112
; %bb.110:
	v_min_f32_e32 v29, 0, v28
	v_cvt_f64_f32_e32 v[32:33], v29
	v_lshl_add_u64 v[34:35], v[14:15], 3, v[24:25]
	global_store_dwordx2 v[34:35], v[32:33], off
	s_mov_b64 s[2:3], 0
	s_cbranch_execz .LBB157_113
; %bb.111:
	v_mov_b64_e32 v[28:29], s[2:3]
	s_branch .LBB157_114
.LBB157_112:
                                        ; implicit-def: $sgpr2_sgpr3
.LBB157_113:
	v_lshl_add_u64 v[32:33], v[26:27], 0, v[20:21]
	flat_load_dwordx2 v[32:33], v[32:33]
	v_lshl_add_u64 v[34:35], v[24:25], 0, v[20:21]
	s_waitcnt vmcnt(0) lgkmcnt(0)
	v_mul_f64 v[32:33], v[32:33], s[6:7]
	v_cvt_f32_f64_e32 v29, v[32:33]
	v_min_f32_e32 v28, v29, v28
	v_cvt_f64_f32_e32 v[28:29], v28
	global_store_dwordx2 v[34:35], v[28:29], off
	v_lshl_add_u64 v[28:29], v[4:5], 3, v[26:27]
	flat_load_dwordx2 v[28:29], v[28:29]
	s_waitcnt vmcnt(0) lgkmcnt(0)
	v_mul_f64 v[28:29], v[28:29], s[6:7]
.LBB157_114:
	v_cvt_f32_f64_e32 v28, v[28:29]
	v_max_f32_e32 v29, v104, v104
	v_min_f32_e32 v28, v28, v29
	v_cvt_f64_f32_e32 v[28:29], v28
	v_lshl_add_u64 v[32:33], v[4:5], 3, v[24:25]
	global_store_dwordx2 v[32:33], v[28:29], off
	v_max_f32_e32 v28, v103, v103
	s_mov_b64 vcc, s[4:5]
	s_cbranch_vccz .LBB157_117
; %bb.115:
	v_min_f32_e32 v29, 0, v28
	v_cvt_f64_f32_e32 v[32:33], v29
	v_lshl_add_u64 v[34:35], v[18:19], 3, v[24:25]
	global_store_dwordx2 v[34:35], v[32:33], off
	s_mov_b64 s[2:3], 0
	s_cbranch_execz .LBB157_118
; %bb.116:
	v_mov_b64_e32 v[26:27], s[2:3]
	s_branch .LBB157_119
.LBB157_117:
                                        ; implicit-def: $sgpr2_sgpr3
.LBB157_118:
	v_lshl_add_u64 v[32:33], v[26:27], 0, v[22:23]
	flat_load_dwordx2 v[32:33], v[32:33]
	v_lshl_add_u64 v[34:35], v[24:25], 0, v[22:23]
	v_lshl_add_u64 v[26:27], v[6:7], 3, v[26:27]
	s_waitcnt vmcnt(0) lgkmcnt(0)
	v_mul_f64 v[32:33], v[32:33], s[6:7]
	v_cvt_f32_f64_e32 v29, v[32:33]
	v_min_f32_e32 v28, v29, v28
	v_cvt_f64_f32_e32 v[28:29], v28
	global_store_dwordx2 v[34:35], v[28:29], off
	flat_load_dwordx2 v[26:27], v[26:27]
	s_waitcnt vmcnt(0) lgkmcnt(0)
	v_mul_f64 v[26:27], v[26:27], s[6:7]
.LBB157_119:
	v_cvt_f32_f64_e32 v26, v[26:27]
	v_max_f32_e32 v27, v102, v102
	v_min_f32_e32 v26, v26, v27
	v_cvt_f64_f32_e32 v[26:27], v26
	v_lshl_add_u64 v[24:25], v[6:7], 3, v[24:25]
	global_store_dwordx2 v[24:25], v[26:27], off
	v_add_u32_e32 v26, 40, v30
	v_mad_i64_i32 v[24:25], s[2:3], v26, s17, 0
	v_lshl_add_u64 v[24:25], v[24:25], 3, s[0:1]
	v_mad_i64_i32 v[26:27], s[2:3], v26, s16, 0
	v_max_f32_e32 v28, v101, v101
	s_mov_b64 vcc, s[4:5]
	s_cbranch_vccz .LBB157_122
; %bb.120:
	v_min_f32_e32 v29, 0, v28
	v_cvt_f64_f32_e32 v[32:33], v29
	v_lshl_add_u64 v[34:35], v[8:9], 3, v[24:25]
	global_store_dwordx2 v[34:35], v[32:33], off
	s_mov_b64 s[2:3], 0
	v_lshl_add_u64 v[26:27], v[26:27], 3, s[12:13]
	s_cbranch_execz .LBB157_123
; %bb.121:
	v_mov_b64_e32 v[28:29], s[2:3]
	s_branch .LBB157_124
.LBB157_122:
                                        ; implicit-def: $sgpr2_sgpr3
	v_lshl_add_u64 v[26:27], v[26:27], 3, s[12:13]
.LBB157_123:
	v_lshl_add_u64 v[32:33], v[26:27], 0, v[12:13]
	flat_load_dwordx2 v[32:33], v[32:33]
	v_lshl_add_u64 v[34:35], v[24:25], 0, v[12:13]
	s_waitcnt vmcnt(0) lgkmcnt(0)
	v_mul_f64 v[32:33], v[32:33], s[6:7]
	v_cvt_f32_f64_e32 v29, v[32:33]
	v_min_f32_e32 v28, v29, v28
	v_cvt_f64_f32_e32 v[28:29], v28
	global_store_dwordx2 v[34:35], v[28:29], off
	v_lshl_add_u64 v[28:29], v[0:1], 3, v[26:27]
	flat_load_dwordx2 v[28:29], v[28:29]
	s_waitcnt vmcnt(0) lgkmcnt(0)
	v_mul_f64 v[28:29], v[28:29], s[6:7]
.LBB157_124:
	v_cvt_f32_f64_e32 v28, v[28:29]
	v_max_f32_e32 v29, v100, v100
	v_min_f32_e32 v28, v28, v29
	v_cvt_f64_f32_e32 v[28:29], v28
	v_lshl_add_u64 v[32:33], v[0:1], 3, v[24:25]
	global_store_dwordx2 v[32:33], v[28:29], off
	v_max_f32_e32 v28, v99, v99
	s_mov_b64 vcc, s[4:5]
	s_cbranch_vccz .LBB157_127
; %bb.125:
	v_min_f32_e32 v29, 0, v28
	v_cvt_f64_f32_e32 v[32:33], v29
	v_lshl_add_u64 v[34:35], v[10:11], 3, v[24:25]
	s_mov_b32 s8, 0
	global_store_dwordx2 v[34:35], v[32:33], off
	s_cbranch_execz .LBB157_128
; %bb.126:
	v_mov_b32_e32 v28, s8
	s_branch .LBB157_129
.LBB157_127:
                                        ; implicit-def: $sgpr8
.LBB157_128:
	v_lshl_add_u64 v[32:33], v[26:27], 0, v[16:17]
	flat_load_dwordx2 v[32:33], v[32:33]
	v_lshl_add_u64 v[34:35], v[24:25], 0, v[16:17]
	s_waitcnt vmcnt(0) lgkmcnt(0)
	v_mul_f64 v[32:33], v[32:33], s[6:7]
	v_cvt_f32_f64_e32 v29, v[32:33]
	v_min_f32_e32 v28, v29, v28
	v_cvt_f64_f32_e32 v[28:29], v28
	global_store_dwordx2 v[34:35], v[28:29], off
	v_lshl_add_u64 v[28:29], v[2:3], 3, v[26:27]
	flat_load_dwordx2 v[28:29], v[28:29]
	s_waitcnt vmcnt(0) lgkmcnt(0)
	v_mul_f64 v[28:29], v[28:29], s[6:7]
	v_cvt_f32_f64_e32 v28, v[28:29]
.LBB157_129:
	v_max_f32_e32 v29, v98, v98
	v_max_f32_e32 v28, v28, v28
	v_min_f32_e32 v28, v28, v29
	v_cvt_f64_f32_e32 v[28:29], v28
	v_lshl_add_u64 v[32:33], v[2:3], 3, v[24:25]
	global_store_dwordx2 v[32:33], v[28:29], off
	v_max_f32_e32 v28, v97, v97
	s_mov_b64 vcc, s[4:5]
	s_cbranch_vccz .LBB157_132
; %bb.130:
	v_min_f32_e32 v29, 0, v28
	v_cvt_f64_f32_e32 v[32:33], v29
	v_lshl_add_u64 v[34:35], v[14:15], 3, v[24:25]
	s_mov_b32 s8, 0
	global_store_dwordx2 v[34:35], v[32:33], off
	s_cbranch_execz .LBB157_133
; %bb.131:
	v_mov_b32_e32 v28, s8
	s_branch .LBB157_134
.LBB157_132:
                                        ; implicit-def: $sgpr8
.LBB157_133:
	v_lshl_add_u64 v[32:33], v[26:27], 0, v[20:21]
	flat_load_dwordx2 v[32:33], v[32:33]
	v_lshl_add_u64 v[34:35], v[24:25], 0, v[20:21]
	s_waitcnt vmcnt(0) lgkmcnt(0)
	v_mul_f64 v[32:33], v[32:33], s[6:7]
	v_cvt_f32_f64_e32 v29, v[32:33]
	v_min_f32_e32 v28, v29, v28
	v_cvt_f64_f32_e32 v[28:29], v28
	global_store_dwordx2 v[34:35], v[28:29], off
	v_lshl_add_u64 v[28:29], v[4:5], 3, v[26:27]
	flat_load_dwordx2 v[28:29], v[28:29]
	s_waitcnt vmcnt(0) lgkmcnt(0)
	v_mul_f64 v[28:29], v[28:29], s[6:7]
	v_cvt_f32_f64_e32 v28, v[28:29]
.LBB157_134:
	v_max_f32_e32 v29, v96, v96
	v_max_f32_e32 v28, v28, v28
	v_min_f32_e32 v28, v28, v29
	v_cvt_f64_f32_e32 v[28:29], v28
	v_lshl_add_u64 v[32:33], v[4:5], 3, v[24:25]
	global_store_dwordx2 v[32:33], v[28:29], off
	v_max_f32_e32 v28, v95, v95
	s_mov_b64 vcc, s[4:5]
	s_cbranch_vccz .LBB157_137
; %bb.135:
	v_min_f32_e32 v29, 0, v28
	v_cvt_f64_f32_e32 v[32:33], v29
	v_lshl_add_u64 v[34:35], v[18:19], 3, v[24:25]
	s_mov_b32 s8, 0
	global_store_dwordx2 v[34:35], v[32:33], off
	s_cbranch_execz .LBB157_138
; %bb.136:
	v_mov_b32_e32 v26, s8
	s_branch .LBB157_139
.LBB157_137:
                                        ; implicit-def: $sgpr8
.LBB157_138:
	v_lshl_add_u64 v[32:33], v[26:27], 0, v[22:23]
	flat_load_dwordx2 v[32:33], v[32:33]
	v_lshl_add_u64 v[34:35], v[24:25], 0, v[22:23]
	v_lshl_add_u64 v[26:27], v[6:7], 3, v[26:27]
	s_waitcnt vmcnt(0) lgkmcnt(0)
	v_mul_f64 v[32:33], v[32:33], s[6:7]
	v_cvt_f32_f64_e32 v29, v[32:33]
	v_min_f32_e32 v28, v29, v28
	v_cvt_f64_f32_e32 v[28:29], v28
	global_store_dwordx2 v[34:35], v[28:29], off
	flat_load_dwordx2 v[26:27], v[26:27]
	s_waitcnt vmcnt(0) lgkmcnt(0)
	v_mul_f64 v[26:27], v[26:27], s[6:7]
	v_cvt_f32_f64_e32 v26, v[26:27]
.LBB157_139:
	v_max_f32_e32 v27, v94, v94
	v_max_f32_e32 v26, v26, v26
	v_min_f32_e32 v26, v26, v27
	v_cvt_f64_f32_e32 v[26:27], v26
	v_lshl_add_u64 v[24:25], v[6:7], 3, v[24:25]
	global_store_dwordx2 v[24:25], v[26:27], off
	v_add_u32_e32 v26, 48, v30
	v_mad_i64_i32 v[24:25], s[2:3], v26, s17, 0
	v_lshl_add_u64 v[24:25], v[24:25], 3, s[0:1]
	v_mad_i64_i32 v[26:27], s[2:3], v26, s16, 0
	v_max_f32_e32 v28, v93, v93
	s_mov_b64 vcc, s[4:5]
	s_cbranch_vccz .LBB157_142
; %bb.140:
	v_min_f32_e32 v29, 0, v28
	v_cvt_f64_f32_e32 v[32:33], v29
	v_lshl_add_u64 v[34:35], v[8:9], 3, v[24:25]
	s_mov_b32 s8, 0
	global_store_dwordx2 v[34:35], v[32:33], off
	v_lshl_add_u64 v[26:27], v[26:27], 3, s[12:13]
	s_cbranch_execz .LBB157_143
; %bb.141:
	v_mov_b32_e32 v28, s8
	s_branch .LBB157_144
.LBB157_142:
                                        ; implicit-def: $sgpr8
	v_lshl_add_u64 v[26:27], v[26:27], 3, s[12:13]
.LBB157_143:
	v_lshl_add_u64 v[32:33], v[26:27], 0, v[12:13]
	flat_load_dwordx2 v[32:33], v[32:33]
	v_lshl_add_u64 v[34:35], v[24:25], 0, v[12:13]
	s_waitcnt vmcnt(0) lgkmcnt(0)
	v_mul_f64 v[32:33], v[32:33], s[6:7]
	v_cvt_f32_f64_e32 v29, v[32:33]
	v_min_f32_e32 v28, v29, v28
	v_cvt_f64_f32_e32 v[28:29], v28
	global_store_dwordx2 v[34:35], v[28:29], off
	v_lshl_add_u64 v[28:29], v[0:1], 3, v[26:27]
	flat_load_dwordx2 v[28:29], v[28:29]
	s_waitcnt vmcnt(0) lgkmcnt(0)
	v_mul_f64 v[28:29], v[28:29], s[6:7]
	v_cvt_f32_f64_e32 v28, v[28:29]
.LBB157_144:
	v_max_f32_e32 v29, v92, v92
	v_max_f32_e32 v28, v28, v28
	v_min_f32_e32 v28, v28, v29
	v_cvt_f64_f32_e32 v[28:29], v28
	v_lshl_add_u64 v[32:33], v[0:1], 3, v[24:25]
	global_store_dwordx2 v[32:33], v[28:29], off
	v_max_f32_e32 v28, v91, v91
	s_mov_b64 vcc, s[4:5]
	s_cbranch_vccz .LBB157_147
; %bb.145:
	v_min_f32_e32 v29, 0, v28
	v_cvt_f64_f32_e32 v[32:33], v29
	v_lshl_add_u64 v[34:35], v[10:11], 3, v[24:25]
	s_mov_b32 s8, 0
	global_store_dwordx2 v[34:35], v[32:33], off
	s_cbranch_execz .LBB157_148
; %bb.146:
	v_mov_b32_e32 v28, s8
	s_branch .LBB157_149
.LBB157_147:
                                        ; implicit-def: $sgpr8
.LBB157_148:
	v_lshl_add_u64 v[32:33], v[26:27], 0, v[16:17]
	flat_load_dwordx2 v[32:33], v[32:33]
	v_lshl_add_u64 v[34:35], v[24:25], 0, v[16:17]
	s_waitcnt vmcnt(0) lgkmcnt(0)
	v_mul_f64 v[32:33], v[32:33], s[6:7]
	v_cvt_f32_f64_e32 v29, v[32:33]
	v_min_f32_e32 v28, v29, v28
	v_cvt_f64_f32_e32 v[28:29], v28
	global_store_dwordx2 v[34:35], v[28:29], off
	v_lshl_add_u64 v[28:29], v[2:3], 3, v[26:27]
	flat_load_dwordx2 v[28:29], v[28:29]
	s_waitcnt vmcnt(0) lgkmcnt(0)
	v_mul_f64 v[28:29], v[28:29], s[6:7]
	v_cvt_f32_f64_e32 v28, v[28:29]
.LBB157_149:
	v_max_f32_e32 v29, v90, v90
	v_max_f32_e32 v28, v28, v28
	v_min_f32_e32 v28, v28, v29
	v_cvt_f64_f32_e32 v[28:29], v28
	v_lshl_add_u64 v[32:33], v[2:3], 3, v[24:25]
	global_store_dwordx2 v[32:33], v[28:29], off
	v_max_f32_e32 v28, v89, v89
	s_mov_b64 vcc, s[4:5]
	s_cbranch_vccz .LBB157_152
; %bb.150:
	v_min_f32_e32 v29, 0, v28
	v_cvt_f64_f32_e32 v[32:33], v29
	v_lshl_add_u64 v[34:35], v[14:15], 3, v[24:25]
	s_mov_b32 s8, 0
	global_store_dwordx2 v[34:35], v[32:33], off
	s_cbranch_execz .LBB157_153
; %bb.151:
	v_mov_b32_e32 v28, s8
	s_branch .LBB157_154
.LBB157_152:
                                        ; implicit-def: $sgpr8
.LBB157_153:
	v_lshl_add_u64 v[32:33], v[26:27], 0, v[20:21]
	flat_load_dwordx2 v[32:33], v[32:33]
	v_lshl_add_u64 v[34:35], v[24:25], 0, v[20:21]
	s_waitcnt vmcnt(0) lgkmcnt(0)
	v_mul_f64 v[32:33], v[32:33], s[6:7]
	v_cvt_f32_f64_e32 v29, v[32:33]
	v_min_f32_e32 v28, v29, v28
	v_cvt_f64_f32_e32 v[28:29], v28
	global_store_dwordx2 v[34:35], v[28:29], off
	v_lshl_add_u64 v[28:29], v[4:5], 3, v[26:27]
	flat_load_dwordx2 v[28:29], v[28:29]
	s_waitcnt vmcnt(0) lgkmcnt(0)
	v_mul_f64 v[28:29], v[28:29], s[6:7]
	v_cvt_f32_f64_e32 v28, v[28:29]
.LBB157_154:
	v_max_f32_e32 v29, v88, v88
	v_max_f32_e32 v28, v28, v28
	v_min_f32_e32 v28, v28, v29
	v_cvt_f64_f32_e32 v[28:29], v28
	v_lshl_add_u64 v[32:33], v[4:5], 3, v[24:25]
	global_store_dwordx2 v[32:33], v[28:29], off
	v_max_f32_e32 v28, v87, v87
	s_mov_b64 vcc, s[4:5]
	s_cbranch_vccz .LBB157_157
; %bb.155:
	v_min_f32_e32 v29, 0, v28
	v_cvt_f64_f32_e32 v[32:33], v29
	v_lshl_add_u64 v[34:35], v[18:19], 3, v[24:25]
	s_mov_b32 s8, 0
	global_store_dwordx2 v[34:35], v[32:33], off
	s_cbranch_execz .LBB157_158
; %bb.156:
	v_mov_b32_e32 v26, s8
	s_branch .LBB157_159
.LBB157_157:
                                        ; implicit-def: $sgpr8
.LBB157_158:
	v_lshl_add_u64 v[32:33], v[26:27], 0, v[22:23]
	flat_load_dwordx2 v[32:33], v[32:33]
	v_lshl_add_u64 v[34:35], v[24:25], 0, v[22:23]
	v_lshl_add_u64 v[26:27], v[6:7], 3, v[26:27]
	s_waitcnt vmcnt(0) lgkmcnt(0)
	v_mul_f64 v[32:33], v[32:33], s[6:7]
	v_cvt_f32_f64_e32 v29, v[32:33]
	v_min_f32_e32 v28, v29, v28
	v_cvt_f64_f32_e32 v[28:29], v28
	global_store_dwordx2 v[34:35], v[28:29], off
	flat_load_dwordx2 v[26:27], v[26:27]
	s_waitcnt vmcnt(0) lgkmcnt(0)
	v_mul_f64 v[26:27], v[26:27], s[6:7]
	v_cvt_f32_f64_e32 v26, v[26:27]
.LBB157_159:
	v_max_f32_e32 v27, v86, v86
	v_max_f32_e32 v26, v26, v26
	v_min_f32_e32 v26, v26, v27
	v_cvt_f64_f32_e32 v[26:27], v26
	v_lshl_add_u64 v[24:25], v[6:7], 3, v[24:25]
	global_store_dwordx2 v[24:25], v[26:27], off
	v_add_u32_e32 v26, 56, v30
	v_mad_i64_i32 v[24:25], s[2:3], v26, s17, 0
	v_lshl_add_u64 v[24:25], v[24:25], 3, s[0:1]
	v_mad_i64_i32 v[26:27], s[0:1], v26, s16, 0
	v_max_f32_e32 v28, v85, v85
	s_mov_b64 vcc, s[4:5]
	s_cbranch_vccz .LBB157_162
; %bb.160:
	v_min_f32_e32 v29, 0, v28
	v_cvt_f64_f32_e32 v[30:31], v29
	v_lshl_add_u64 v[8:9], v[8:9], 3, v[24:25]
	s_mov_b32 s2, 0
	global_store_dwordx2 v[8:9], v[30:31], off
	v_lshl_add_u64 v[8:9], v[26:27], 3, s[12:13]
	s_cbranch_execz .LBB157_163
; %bb.161:
	v_mov_b32_e32 v12, s2
	s_branch .LBB157_164
.LBB157_162:
                                        ; implicit-def: $sgpr2
	v_lshl_add_u64 v[8:9], v[26:27], 3, s[12:13]
.LBB157_163:
	v_lshl_add_u64 v[26:27], v[8:9], 0, v[12:13]
	flat_load_dwordx2 v[26:27], v[26:27]
	v_lshl_add_u64 v[12:13], v[24:25], 0, v[12:13]
	s_waitcnt vmcnt(0) lgkmcnt(0)
	v_mul_f64 v[26:27], v[26:27], s[6:7]
	v_cvt_f32_f64_e32 v26, v[26:27]
	v_min_f32_e32 v26, v26, v28
	v_cvt_f64_f32_e32 v[26:27], v26
	global_store_dwordx2 v[12:13], v[26:27], off
	v_lshl_add_u64 v[12:13], v[0:1], 3, v[8:9]
	flat_load_dwordx2 v[12:13], v[12:13]
	s_waitcnt vmcnt(0) lgkmcnt(0)
	v_mul_f64 v[12:13], v[12:13], s[6:7]
	v_cvt_f32_f64_e32 v12, v[12:13]
.LBB157_164:
	v_max_f32_e32 v13, v84, v84
	v_max_f32_e32 v12, v12, v12
	v_min_f32_e32 v12, v12, v13
	v_cvt_f64_f32_e32 v[12:13], v12
	v_lshl_add_u64 v[0:1], v[0:1], 3, v[24:25]
	global_store_dwordx2 v[0:1], v[12:13], off
	v_max_f32_e32 v0, v83, v83
	s_mov_b64 vcc, s[4:5]
	s_cbranch_vccz .LBB157_167
; %bb.165:
	v_min_f32_e32 v1, 0, v0
	v_cvt_f64_f32_e32 v[12:13], v1
	v_lshl_add_u64 v[10:11], v[10:11], 3, v[24:25]
	s_mov_b32 s2, 0
	global_store_dwordx2 v[10:11], v[12:13], off
	s_cbranch_execz .LBB157_168
; %bb.166:
	v_mov_b32_e32 v0, s2
	s_branch .LBB157_169
.LBB157_167:
                                        ; implicit-def: $sgpr2
.LBB157_168:
	v_lshl_add_u64 v[10:11], v[8:9], 0, v[16:17]
	flat_load_dwordx2 v[10:11], v[10:11]
	v_lshl_add_u64 v[12:13], v[24:25], 0, v[16:17]
	s_waitcnt vmcnt(0) lgkmcnt(0)
	v_mul_f64 v[10:11], v[10:11], s[6:7]
	v_cvt_f32_f64_e32 v1, v[10:11]
	v_min_f32_e32 v0, v1, v0
	v_cvt_f64_f32_e32 v[0:1], v0
	global_store_dwordx2 v[12:13], v[0:1], off
	v_lshl_add_u64 v[0:1], v[2:3], 3, v[8:9]
	flat_load_dwordx2 v[0:1], v[0:1]
	s_waitcnt vmcnt(0) lgkmcnt(0)
	v_mul_f64 v[0:1], v[0:1], s[6:7]
	v_cvt_f32_f64_e32 v0, v[0:1]
.LBB157_169:
	v_max_f32_e32 v1, v82, v82
	v_max_f32_e32 v0, v0, v0
	v_min_f32_e32 v0, v0, v1
	v_cvt_f64_f32_e32 v[0:1], v0
	v_lshl_add_u64 v[2:3], v[2:3], 3, v[24:25]
	global_store_dwordx2 v[2:3], v[0:1], off
	v_max_f32_e32 v0, v81, v81
	s_mov_b64 vcc, s[4:5]
	s_cbranch_vccz .LBB157_172
; %bb.170:
	v_min_f32_e32 v1, 0, v0
	v_cvt_f64_f32_e32 v[2:3], v1
	v_lshl_add_u64 v[10:11], v[14:15], 3, v[24:25]
	s_mov_b32 s2, 0
	global_store_dwordx2 v[10:11], v[2:3], off
	s_cbranch_execz .LBB157_173
; %bb.171:
	v_mov_b32_e32 v0, s2
	s_branch .LBB157_174
.LBB157_172:
                                        ; implicit-def: $sgpr2
.LBB157_173:
	v_lshl_add_u64 v[2:3], v[8:9], 0, v[20:21]
	flat_load_dwordx2 v[2:3], v[2:3]
	v_lshl_add_u64 v[10:11], v[24:25], 0, v[20:21]
	s_waitcnt vmcnt(0) lgkmcnt(0)
	v_mul_f64 v[2:3], v[2:3], s[6:7]
	v_cvt_f32_f64_e32 v1, v[2:3]
	v_min_f32_e32 v0, v1, v0
	v_cvt_f64_f32_e32 v[0:1], v0
	global_store_dwordx2 v[10:11], v[0:1], off
	v_lshl_add_u64 v[0:1], v[4:5], 3, v[8:9]
	flat_load_dwordx2 v[0:1], v[0:1]
	s_waitcnt vmcnt(0) lgkmcnt(0)
	v_mul_f64 v[0:1], v[0:1], s[6:7]
	v_cvt_f32_f64_e32 v0, v[0:1]
.LBB157_174:
	;; [unrolled: 37-line block ×3, first 2 shown]
	v_max_f32_e32 v1, v78, v78
	v_max_f32_e32 v0, v0, v0
	v_min_f32_e32 v0, v0, v1
	v_cvt_f64_f32_e32 v[0:1], v0
	v_lshl_add_u64 v[2:3], v[6:7], 3, v[24:25]
	global_store_dwordx2 v[2:3], v[0:1], off
	s_endpgm
	.section	.rodata,"a",@progbits
	.p2align	6, 0x0
	.amdhsa_kernel _ZN12_GLOBAL__N_120geam_min_plus_kernelId15HIP_vector_typeIdLj2EEdLi32ELi8ELi256ELi64ELi4ELi64ELi4ELi4ELi64ELc78ELc78ELb1ELb0ELb1EdKddEEviiiT16_PT17_ilS6_ilS4_S6_ilPT18_ili26rocblas_geam_ex_operation_
		.amdhsa_group_segment_fixed_size 20480
		.amdhsa_private_segment_fixed_size 0
		.amdhsa_kernarg_size 136
		.amdhsa_user_sgpr_count 2
		.amdhsa_user_sgpr_dispatch_ptr 0
		.amdhsa_user_sgpr_queue_ptr 0
		.amdhsa_user_sgpr_kernarg_segment_ptr 1
		.amdhsa_user_sgpr_dispatch_id 0
		.amdhsa_user_sgpr_kernarg_preload_length 0
		.amdhsa_user_sgpr_kernarg_preload_offset 0
		.amdhsa_user_sgpr_private_segment_size 0
		.amdhsa_uses_dynamic_stack 0
		.amdhsa_enable_private_segment 0
		.amdhsa_system_sgpr_workgroup_id_x 1
		.amdhsa_system_sgpr_workgroup_id_y 0
		.amdhsa_system_sgpr_workgroup_id_z 1
		.amdhsa_system_sgpr_workgroup_info 0
		.amdhsa_system_vgpr_workitem_id 1
		.amdhsa_next_free_vgpr 160
		.amdhsa_next_free_sgpr 25
		.amdhsa_accum_offset 160
		.amdhsa_reserve_vcc 1
		.amdhsa_float_round_mode_32 0
		.amdhsa_float_round_mode_16_64 0
		.amdhsa_float_denorm_mode_32 3
		.amdhsa_float_denorm_mode_16_64 3
		.amdhsa_dx10_clamp 1
		.amdhsa_ieee_mode 1
		.amdhsa_fp16_overflow 0
		.amdhsa_tg_split 0
		.amdhsa_exception_fp_ieee_invalid_op 0
		.amdhsa_exception_fp_denorm_src 0
		.amdhsa_exception_fp_ieee_div_zero 0
		.amdhsa_exception_fp_ieee_overflow 0
		.amdhsa_exception_fp_ieee_underflow 0
		.amdhsa_exception_fp_ieee_inexact 0
		.amdhsa_exception_int_div_zero 0
	.end_amdhsa_kernel
	.section	.text._ZN12_GLOBAL__N_120geam_min_plus_kernelId15HIP_vector_typeIdLj2EEdLi32ELi8ELi256ELi64ELi4ELi64ELi4ELi4ELi64ELc78ELc78ELb1ELb0ELb1EdKddEEviiiT16_PT17_ilS6_ilS4_S6_ilPT18_ili26rocblas_geam_ex_operation_,"axG",@progbits,_ZN12_GLOBAL__N_120geam_min_plus_kernelId15HIP_vector_typeIdLj2EEdLi32ELi8ELi256ELi64ELi4ELi64ELi4ELi4ELi64ELc78ELc78ELb1ELb0ELb1EdKddEEviiiT16_PT17_ilS6_ilS4_S6_ilPT18_ili26rocblas_geam_ex_operation_,comdat
.Lfunc_end157:
	.size	_ZN12_GLOBAL__N_120geam_min_plus_kernelId15HIP_vector_typeIdLj2EEdLi32ELi8ELi256ELi64ELi4ELi64ELi4ELi4ELi64ELc78ELc78ELb1ELb0ELb1EdKddEEviiiT16_PT17_ilS6_ilS4_S6_ilPT18_ili26rocblas_geam_ex_operation_, .Lfunc_end157-_ZN12_GLOBAL__N_120geam_min_plus_kernelId15HIP_vector_typeIdLj2EEdLi32ELi8ELi256ELi64ELi4ELi64ELi4ELi4ELi64ELc78ELc78ELb1ELb0ELb1EdKddEEviiiT16_PT17_ilS6_ilS4_S6_ilPT18_ili26rocblas_geam_ex_operation_
                                        ; -- End function
	.section	.AMDGPU.csdata,"",@progbits
; Kernel info:
; codeLenInByte = 16496
; NumSgprs: 31
; NumVgprs: 160
; NumAgprs: 0
; TotalNumVgprs: 160
; ScratchSize: 0
; MemoryBound: 0
; FloatMode: 240
; IeeeMode: 1
; LDSByteSize: 20480 bytes/workgroup (compile time only)
; SGPRBlocks: 3
; VGPRBlocks: 19
; NumSGPRsForWavesPerEU: 31
; NumVGPRsForWavesPerEU: 160
; AccumOffset: 160
; Occupancy: 3
; WaveLimiterHint : 1
; COMPUTE_PGM_RSRC2:SCRATCH_EN: 0
; COMPUTE_PGM_RSRC2:USER_SGPR: 2
; COMPUTE_PGM_RSRC2:TRAP_HANDLER: 0
; COMPUTE_PGM_RSRC2:TGID_X_EN: 1
; COMPUTE_PGM_RSRC2:TGID_Y_EN: 0
; COMPUTE_PGM_RSRC2:TGID_Z_EN: 1
; COMPUTE_PGM_RSRC2:TIDIG_COMP_CNT: 1
; COMPUTE_PGM_RSRC3_GFX90A:ACCUM_OFFSET: 39
; COMPUTE_PGM_RSRC3_GFX90A:TG_SPLIT: 0
	.section	.text._ZN12_GLOBAL__N_120geam_min_plus_kernelId15HIP_vector_typeIdLj2EEdLi32ELi8ELi256ELi64ELi4ELi64ELi4ELi4ELi64ELc78ELc78ELb0ELb0ELb1EdKddEEviiiT16_PT17_ilS6_ilS4_S6_ilPT18_ili26rocblas_geam_ex_operation_,"axG",@progbits,_ZN12_GLOBAL__N_120geam_min_plus_kernelId15HIP_vector_typeIdLj2EEdLi32ELi8ELi256ELi64ELi4ELi64ELi4ELi4ELi64ELc78ELc78ELb0ELb0ELb1EdKddEEviiiT16_PT17_ilS6_ilS4_S6_ilPT18_ili26rocblas_geam_ex_operation_,comdat
	.globl	_ZN12_GLOBAL__N_120geam_min_plus_kernelId15HIP_vector_typeIdLj2EEdLi32ELi8ELi256ELi64ELi4ELi64ELi4ELi4ELi64ELc78ELc78ELb0ELb0ELb1EdKddEEviiiT16_PT17_ilS6_ilS4_S6_ilPT18_ili26rocblas_geam_ex_operation_ ; -- Begin function _ZN12_GLOBAL__N_120geam_min_plus_kernelId15HIP_vector_typeIdLj2EEdLi32ELi8ELi256ELi64ELi4ELi64ELi4ELi4ELi64ELc78ELc78ELb0ELb0ELb1EdKddEEviiiT16_PT17_ilS6_ilS4_S6_ilPT18_ili26rocblas_geam_ex_operation_
	.p2align	8
	.type	_ZN12_GLOBAL__N_120geam_min_plus_kernelId15HIP_vector_typeIdLj2EEdLi32ELi8ELi256ELi64ELi4ELi64ELi4ELi4ELi64ELc78ELc78ELb0ELb0ELb1EdKddEEviiiT16_PT17_ilS6_ilS4_S6_ilPT18_ili26rocblas_geam_ex_operation_,@function
_ZN12_GLOBAL__N_120geam_min_plus_kernelId15HIP_vector_typeIdLj2EEdLi32ELi8ELi256ELi64ELi4ELi64ELi4ELi4ELi64ELc78ELc78ELb0ELb0ELb1EdKddEEviiiT16_PT17_ilS6_ilS4_S6_ilPT18_ili26rocblas_geam_ex_operation_: ; @_ZN12_GLOBAL__N_120geam_min_plus_kernelId15HIP_vector_typeIdLj2EEdLi32ELi8ELi256ELi64ELi4ELi64ELi4ELi4ELi64ELc78ELc78ELb0ELb0ELb1EdKddEEviiiT16_PT17_ilS6_ilS4_S6_ilPT18_ili26rocblas_geam_ex_operation_
; %bb.0:
	s_load_dwordx4 s[16:19], s[0:1], 0x10
	s_load_dwordx4 s[4:7], s[0:1], 0x28
	s_mov_b64 s[20:21], 0
	s_waitcnt lgkmcnt(0)
	v_cmp_eq_f64_e64 s[12:13], s[16:17], 0
	s_and_b64 vcc, exec, s[12:13]
	s_cbranch_vccnz .LBB158_2
; %bb.1:
	s_mul_i32 s5, s3, s5
	s_mul_hi_u32 s8, s3, s4
	s_add_i32 s5, s8, s5
	s_mul_i32 s4, s3, s4
	s_lshl_b64 s[4:5], s[4:5], 3
	s_add_u32 s20, s18, s4
	s_addc_u32 s21, s19, s5
.LBB158_2:
	s_load_dwordx4 s[8:11], s[0:1], 0x40
	s_load_dwordx2 s[4:5], s[0:1], 0x50
	s_andn2_b64 vcc, exec, s[12:13]
	s_cbranch_vccnz .LBB158_4
; %bb.3:
	s_mov_b32 s19, 0
	s_mov_b64 s[22:23], 0
	s_cbranch_execz .LBB158_5
	s_branch .LBB158_6
.LBB158_4:
                                        ; implicit-def: $sgpr22_sgpr23
                                        ; implicit-def: $sgpr18_sgpr19
.LBB158_5:
	s_waitcnt lgkmcnt(0)
	s_mul_i32 s9, s3, s9
	s_mul_hi_u32 s12, s3, s8
	s_add_i32 s9, s12, s9
	s_mul_i32 s8, s3, s8
	s_lshl_b64 s[8:9], s[8:9], 3
	s_add_u32 s22, s6, s8
	s_mov_b32 s19, 0
	s_addc_u32 s23, s7, s9
.LBB158_6:
	s_load_dwordx4 s[12:15], s[0:1], 0x60
	s_waitcnt lgkmcnt(0)
	v_cmp_eq_f64_e64 s[6:7], s[10:11], 0
	s_and_b64 s[6:7], exec, s[6:7]
	v_cmp_neq_f64_e64 s[24:25], s[16:17], 0
	s_mov_b64 s[8:9], 0
	s_mov_b64 vcc, s[6:7]
	s_cbranch_vccnz .LBB158_8
; %bb.7:
	s_mul_i32 s8, s3, s13
	s_mul_hi_u32 s9, s3, s12
	s_add_i32 s8, s9, s8
	s_mul_i32 s9, s19, s12
	s_add_i32 s9, s8, s9
	s_mul_i32 s8, s3, s12
	s_lshl_b64 s[8:9], s[8:9], 3
	s_add_u32 s8, s4, s8
	s_addc_u32 s9, s5, s9
.LBB158_8:
	s_load_dword s4, s[0:1], 0x0
	s_load_dword s26, s[0:1], 0x20
	v_and_b32_e32 v135, 0x3ff, v0
	v_bfe_u32 v136, v0, 10, 10
	v_lshl_add_u32 v8, v136, 5, v135
	s_waitcnt lgkmcnt(0)
	s_add_i32 s4, s4, -1
	s_ashr_i32 s5, s4, 31
	s_lshr_b32 s5, s5, 24
	s_add_i32 s4, s4, s5
	s_ashr_i32 s12, s4, 8
	s_add_i32 s13, s12, 1
	v_cvt_f32_u32_e32 v1, s13
	v_lshrrev_b32_e32 v144, 6, v8
	s_ashr_i32 s27, s26, 31
	v_and_b32_e32 v72, 63, v8
	v_rcp_iflag_f32_e32 v0, v1
	s_nop 0
	v_mul_f32_e32 v0, 0x4f7ffffe, v0
	v_cvt_u32_f32_e32 v2, v0
	v_mad_i64_i32 v[0:1], s[4:5], s26, v144, 0
	s_not_b32 s4, s12
	v_readfirstlane_b32 s5, v2
	s_mul_i32 s4, s4, s5
	s_mul_hi_u32 s4, s5, s4
	s_add_i32 s5, s5, s4
	s_mul_hi_u32 s4, s2, s5
	s_mul_i32 s5, s4, s13
	s_sub_i32 s5, s2, s5
	s_add_i32 s12, s4, 1
	s_sub_i32 s18, s5, s13
	s_cmp_ge_u32 s5, s13
	s_cselect_b32 s4, s12, s4
	s_cselect_b32 s5, s18, s5
	s_add_i32 s12, s4, 1
	s_cmp_ge_u32 s5, s13
	s_cselect_b32 s12, s12, s4
	s_mul_i32 s4, s12, s13
	s_sub_i32 s2, s2, s4
	s_lshl_b32 s2, s2, 8
	v_lshl_add_u64 v[4:5], v[0:1], 3, s[20:21]
	v_or_b32_e32 v60, s2, v72
	v_cndmask_b32_e64 v0, 0, 1, s[24:25]
	v_cmp_ne_u32_e64 s[4:5], 1, v0
	s_andn2_b64 vcc, exec, s[24:25]
	v_ashrrev_i32_e32 v61, 31, v60
	s_cbranch_vccnz .LBB158_11
; %bb.9:
	v_lshl_add_u64 v[0:1], v[60:61], 3, v[4:5]
	flat_load_dwordx2 v[2:3], v[0:1]
	flat_load_dwordx2 v[6:7], v[0:1] offset:512
	s_waitcnt vmcnt(0) lgkmcnt(0)
	v_mul_f64 v[0:1], v[2:3], s[16:17]
	v_mul_f64 v[2:3], v[6:7], s[16:17]
	s_and_b64 vcc, exec, s[4:5]
	s_cbranch_vccnz .LBB158_12
.LBB158_10:
	v_lshl_add_u64 v[4:5], v[60:61], 3, v[4:5]
	flat_load_dwordx2 v[6:7], v[4:5] offset:1024
	flat_load_dwordx2 v[10:11], v[4:5] offset:1536
	s_waitcnt vmcnt(0) lgkmcnt(0)
	v_mul_f64 v[4:5], v[6:7], s[16:17]
	v_mul_f64 v[6:7], v[10:11], s[16:17]
	s_branch .LBB158_13
.LBB158_11:
	v_mov_b64_e32 v[0:1], 0
	v_mov_b64_e32 v[2:3], 0
	s_and_b64 vcc, exec, s[4:5]
	s_cbranch_vccz .LBB158_10
.LBB158_12:
	v_mov_b64_e32 v[4:5], 0
	v_mov_b64_e32 v[6:7], 0
.LBB158_13:
	s_load_dword s28, s[0:1], 0x38
	v_and_b32_e32 v145, 3, v135
	v_lshrrev_b32_e32 v14, 2, v8
	s_lshl_b32 s18, s12, 6
	s_and_b64 vcc, exec, s[4:5]
	v_add_u32_e32 v73, s18, v14
	v_lshlrev_b32_e32 v8, 3, v145
	s_cbranch_vccnz .LBB158_15
; %bb.14:
	s_waitcnt lgkmcnt(0)
	v_mad_i64_i32 v[10:11], s[12:13], v73, s28, 0
	v_lshl_add_u64 v[10:11], v[10:11], 3, s[22:23]
	v_mov_b32_e32 v9, 0
	v_lshl_add_u64 v[10:11], v[10:11], 0, v[8:9]
	flat_load_dwordx2 v[10:11], v[10:11]
	s_waitcnt vmcnt(0) lgkmcnt(0)
	v_mul_f64 v[10:11], v[10:11], s[16:17]
	s_branch .LBB158_16
.LBB158_15:
	v_mov_b64_e32 v[10:11], 0
.LBB158_16:
	v_add_u32_e32 v146, 4, v144
	v_mad_i64_i32 v[12:13], s[12:13], s26, v146, 0
	s_and_b64 vcc, exec, s[4:5]
	v_lshl_add_u64 v[12:13], v[12:13], 3, s[20:21]
	s_cbranch_vccnz .LBB158_20
; %bb.17:
	v_lshl_add_u64 v[16:17], v[60:61], 3, v[12:13]
	flat_load_dwordx2 v[18:19], v[16:17]
	flat_load_dwordx2 v[20:21], v[16:17] offset:512
	s_waitcnt vmcnt(0) lgkmcnt(0)
	v_mul_f64 v[62:63], v[18:19], s[16:17]
	v_mul_f64 v[64:65], v[20:21], s[16:17]
	s_and_b64 vcc, exec, s[4:5]
	s_cbranch_vccnz .LBB158_21
.LBB158_18:
	v_lshl_add_u64 v[12:13], v[60:61], 3, v[12:13]
	flat_load_dwordx2 v[16:17], v[12:13] offset:1024
	flat_load_dwordx2 v[18:19], v[12:13] offset:1536
	s_waitcnt vmcnt(0) lgkmcnt(0)
	v_mul_f64 v[66:67], v[16:17], s[16:17]
	v_mul_f64 v[68:69], v[18:19], s[16:17]
	s_and_b64 vcc, exec, s[4:5]
	s_cbranch_vccnz .LBB158_22
.LBB158_19:
	s_waitcnt lgkmcnt(0)
	v_mad_i64_i32 v[12:13], s[12:13], v73, s28, 0
	v_lshl_add_u64 v[12:13], v[12:13], 3, s[22:23]
	v_mov_b32_e32 v9, 0
	v_lshl_add_u64 v[12:13], v[12:13], 0, v[8:9]
	flat_load_dwordx2 v[12:13], v[12:13] offset:32
	s_waitcnt vmcnt(0) lgkmcnt(0)
	v_mul_f64 v[70:71], v[12:13], s[16:17]
	s_branch .LBB158_23
.LBB158_20:
	v_mov_b64_e32 v[62:63], 0
	v_mov_b64_e32 v[64:65], 0
	s_and_b64 vcc, exec, s[4:5]
	s_cbranch_vccz .LBB158_18
.LBB158_21:
	v_mov_b64_e32 v[66:67], 0
	v_mov_b64_e32 v[68:69], 0
	s_and_b64 vcc, exec, s[4:5]
	s_cbranch_vccz .LBB158_19
.LBB158_22:
	v_mov_b64_e32 v[70:71], 0
.LBB158_23:
	v_lshlrev_b32_e32 v9, 3, v144
	v_lshl_or_b32 v74, v14, 5, v8
	v_lshl_add_u32 v147, v72, 5, v9
	v_add_u32_e32 v148, 0x4000, v74
	s_mov_b32 s24, 0
	s_mov_b64 s[12:13], -1
	v_mov_b32_e32 v78, 0x7f800000
	v_mov_b32_e32 v79, 0x7f800000
	v_mov_b32_e32 v80, 0x7f800000
	v_mov_b32_e32 v81, 0x7f800000
	v_mov_b32_e32 v82, 0x7f800000
	v_mov_b32_e32 v83, 0x7f800000
	v_mov_b32_e32 v84, 0x7f800000
	v_mov_b32_e32 v85, 0x7f800000
	v_mov_b32_e32 v86, 0x7f800000
	v_mov_b32_e32 v87, 0x7f800000
	v_mov_b32_e32 v88, 0x7f800000
	v_mov_b32_e32 v89, 0x7f800000
	v_mov_b32_e32 v90, 0x7f800000
	v_mov_b32_e32 v91, 0x7f800000
	v_mov_b32_e32 v92, 0x7f800000
	v_mov_b32_e32 v93, 0x7f800000
	v_mov_b32_e32 v94, 0x7f800000
	v_mov_b32_e32 v95, 0x7f800000
	v_mov_b32_e32 v96, 0x7f800000
	v_mov_b32_e32 v97, 0x7f800000
	v_mov_b32_e32 v98, 0x7f800000
	v_mov_b32_e32 v99, 0x7f800000
	v_mov_b32_e32 v100, 0x7f800000
	v_mov_b32_e32 v101, 0x7f800000
	v_mov_b32_e32 v102, 0x7f800000
	v_mov_b32_e32 v103, 0x7f800000
	v_mov_b32_e32 v104, 0x7f800000
	v_mov_b32_e32 v105, 0x7f800000
	v_mov_b32_e32 v106, 0x7f800000
	v_mov_b32_e32 v107, 0x7f800000
	v_mov_b32_e32 v108, 0x7f800000
	v_mov_b32_e32 v109, 0x7f800000
	v_mov_b32_e32 v110, 0x7f800000
	v_mov_b32_e32 v111, 0x7f800000
	v_mov_b32_e32 v112, 0x7f800000
	v_mov_b32_e32 v113, 0x7f800000
	v_mov_b32_e32 v114, 0x7f800000
	v_mov_b32_e32 v115, 0x7f800000
	v_mov_b32_e32 v116, 0x7f800000
	v_mov_b32_e32 v117, 0x7f800000
	v_mov_b32_e32 v118, 0x7f800000
	v_mov_b32_e32 v119, 0x7f800000
	v_mov_b32_e32 v120, 0x7f800000
	v_mov_b32_e32 v121, 0x7f800000
	v_mov_b32_e32 v122, 0x7f800000
	v_mov_b32_e32 v123, 0x7f800000
	v_mov_b32_e32 v124, 0x7f800000
	v_mov_b32_e32 v125, 0x7f800000
	v_mov_b32_e32 v126, 0x7f800000
	v_mov_b32_e32 v127, 0x7f800000
	v_mov_b32_e32 v128, 0x7f800000
	v_mov_b32_e32 v129, 0x7f800000
	v_mov_b32_e32 v130, 0x7f800000
	v_mov_b32_e32 v131, 0x7f800000
	v_mov_b32_e32 v132, 0x7f800000
	v_mov_b32_e32 v133, 0x7f800000
	v_mov_b32_e32 v134, 0x7f800000
	v_mov_b32_e32 v137, 0x7f800000
	v_mov_b32_e32 v138, 0x7f800000
	v_mov_b32_e32 v139, 0x7f800000
	v_mov_b32_e32 v140, 0x7f800000
	v_mov_b32_e32 v141, 0x7f800000
	v_mov_b32_e32 v142, 0x7f800000
	v_mov_b32_e32 v143, 0x7f800000
	ds_write2st64_b64 v147, v[0:1], v[2:3] offset1:4
	ds_write2st64_b64 v147, v[4:5], v[6:7] offset0:8 offset1:12
	ds_write_b64 v74, v[10:11] offset:16384
	s_waitcnt lgkmcnt(0)
	s_barrier
.LBB158_24:                             ; =>This Inner Loop Header: Depth=1
	v_cndmask_b32_e64 v0, 0, 1, s[12:13]
	s_lshl_b32 s12, s24, 3
	v_cmp_ne_u32_e32 vcc, 1, v0
	v_lshl_add_u32 v0, v135, 5, s12
	v_lshl_add_u32 v20, v136, 5, s12
	ds_read_b128 v[32:35], v0
	ds_read_b128 v[28:31], v0 offset:1024
	ds_read_b128 v[24:27], v0 offset:2048
	;; [unrolled: 1-line block ×15, first 2 shown]
	s_waitcnt lgkmcnt(7)
	v_add_f64 v[76:77], v[34:35], v[152:153]
	v_add_f64 v[154:155], v[32:33], v[150:151]
	v_cvt_f32_f64_e32 v75, v[154:155]
	v_cvt_f32_f64_e32 v76, v[76:77]
	v_min3_f32 v143, v75, v76, v143
	v_add_f64 v[76:77], v[30:31], v[152:153]
	v_add_f64 v[154:155], v[28:29], v[150:151]
	v_cvt_f32_f64_e32 v75, v[154:155]
	v_cvt_f32_f64_e32 v76, v[76:77]
	v_min3_f32 v142, v75, v76, v142
	;; [unrolled: 5-line block ×8, first 2 shown]
	s_waitcnt lgkmcnt(6)
	v_add_f64 v[76:77], v[34:35], v[58:59]
	v_add_f64 v[150:151], v[32:33], v[56:57]
	v_cvt_f32_f64_e32 v75, v[150:151]
	v_cvt_f32_f64_e32 v76, v[76:77]
	v_min3_f32 v133, v75, v76, v133
	v_add_f64 v[76:77], v[30:31], v[58:59]
	v_add_f64 v[150:151], v[28:29], v[56:57]
	v_cvt_f32_f64_e32 v75, v[150:151]
	v_cvt_f32_f64_e32 v76, v[76:77]
	v_min3_f32 v132, v75, v76, v132
	v_add_f64 v[76:77], v[26:27], v[58:59]
	v_add_f64 v[150:151], v[24:25], v[56:57]
	v_cvt_f32_f64_e32 v75, v[150:151]
	v_cvt_f32_f64_e32 v76, v[76:77]
	v_min3_f32 v131, v75, v76, v131
	v_add_f64 v[76:77], v[18:19], v[58:59]
	v_add_f64 v[150:151], v[16:17], v[56:57]
	v_cvt_f32_f64_e32 v75, v[150:151]
	v_cvt_f32_f64_e32 v76, v[76:77]
	v_min3_f32 v130, v75, v76, v130
	v_add_f64 v[76:77], v[14:15], v[58:59]
	v_add_f64 v[150:151], v[12:13], v[56:57]
	v_cvt_f32_f64_e32 v75, v[150:151]
	v_cvt_f32_f64_e32 v76, v[76:77]
	v_min3_f32 v129, v75, v76, v129
	v_add_f64 v[76:77], v[10:11], v[58:59]
	v_add_f64 v[150:151], v[8:9], v[56:57]
	v_cvt_f32_f64_e32 v75, v[150:151]
	v_cvt_f32_f64_e32 v76, v[76:77]
	v_min3_f32 v128, v75, v76, v128
	v_add_f64 v[76:77], v[6:7], v[58:59]
	v_add_f64 v[150:151], v[4:5], v[56:57]
	v_add_f64 v[58:59], v[2:3], v[58:59]
	v_add_f64 v[56:57], v[0:1], v[56:57]
	v_cvt_f32_f64_e32 v56, v[56:57]
	v_cvt_f32_f64_e32 v57, v[58:59]
	v_min3_f32 v126, v56, v57, v126
	s_waitcnt lgkmcnt(5)
	v_add_f64 v[56:57], v[34:35], v[54:55]
	v_add_f64 v[58:59], v[32:33], v[52:53]
	v_cvt_f32_f64_e32 v58, v[58:59]
	v_cvt_f32_f64_e32 v56, v[56:57]
	v_min3_f32 v125, v58, v56, v125
	v_add_f64 v[56:57], v[30:31], v[54:55]
	v_add_f64 v[58:59], v[28:29], v[52:53]
	v_cvt_f32_f64_e32 v58, v[58:59]
	v_cvt_f32_f64_e32 v56, v[56:57]
	v_min3_f32 v124, v58, v56, v124
	v_add_f64 v[56:57], v[26:27], v[54:55]
	v_add_f64 v[58:59], v[24:25], v[52:53]
	v_cvt_f32_f64_e32 v58, v[58:59]
	v_cvt_f32_f64_e32 v56, v[56:57]
	v_min3_f32 v123, v58, v56, v123
	v_add_f64 v[56:57], v[18:19], v[54:55]
	v_add_f64 v[58:59], v[16:17], v[52:53]
	v_cvt_f32_f64_e32 v58, v[58:59]
	v_cvt_f32_f64_e32 v56, v[56:57]
	v_min3_f32 v122, v58, v56, v122
	v_add_f64 v[56:57], v[14:15], v[54:55]
	v_add_f64 v[58:59], v[12:13], v[52:53]
	v_cvt_f32_f64_e32 v58, v[58:59]
	v_cvt_f32_f64_e32 v56, v[56:57]
	v_min3_f32 v121, v58, v56, v121
	v_add_f64 v[56:57], v[10:11], v[54:55]
	v_add_f64 v[58:59], v[8:9], v[52:53]
	v_cvt_f32_f64_e32 v58, v[58:59]
	v_cvt_f32_f64_e32 v56, v[56:57]
	v_min3_f32 v120, v58, v56, v120
	v_add_f64 v[56:57], v[6:7], v[54:55]
	v_add_f64 v[58:59], v[4:5], v[52:53]
	v_add_f64 v[54:55], v[2:3], v[54:55]
	v_add_f64 v[52:53], v[0:1], v[52:53]
	v_cvt_f32_f64_e32 v52, v[52:53]
	v_cvt_f32_f64_e32 v53, v[54:55]
	v_min3_f32 v118, v52, v53, v118
	;; [unrolled: 38-line block ×5, first 2 shown]
	s_waitcnt lgkmcnt(1)
	v_add_f64 v[40:41], v[34:35], v[38:39]
	v_add_f64 v[42:43], v[32:33], v[36:37]
	v_cvt_f32_f64_e32 v42, v[42:43]
	v_cvt_f32_f64_e32 v40, v[40:41]
	v_min3_f32 v93, v42, v40, v93
	v_add_f64 v[40:41], v[30:31], v[38:39]
	v_add_f64 v[42:43], v[28:29], v[36:37]
	v_cvt_f32_f64_e32 v42, v[42:43]
	v_cvt_f32_f64_e32 v40, v[40:41]
	v_min3_f32 v92, v42, v40, v92
	;; [unrolled: 5-line block ×6, first 2 shown]
	v_add_f64 v[40:41], v[6:7], v[38:39]
	v_add_f64 v[42:43], v[4:5], v[36:37]
	;; [unrolled: 1-line block ×4, first 2 shown]
	s_waitcnt lgkmcnt(0)
	v_add_f64 v[34:35], v[34:35], v[22:23]
	v_add_f64 v[32:33], v[32:33], v[20:21]
	;; [unrolled: 1-line block ×16, first 2 shown]
	v_cvt_f32_f64_e32 v75, v[150:151]
	v_cvt_f32_f64_e32 v76, v[76:77]
	;; [unrolled: 1-line block ×30, first 2 shown]
	v_min3_f32 v127, v75, v76, v127
	v_min3_f32 v119, v58, v56, v119
	;; [unrolled: 1-line block ×15, first 2 shown]
	s_mov_b32 s24, 2
	s_mov_b64 s[12:13], 0
	s_cbranch_vccz .LBB158_24
; %bb.25:
	s_load_dword s25, s[0:1], 0x8
	v_lshlrev_b32_e32 v0, 5, v72
	v_lshl_add_u32 v0, v144, 3, v0
	s_mov_b32 s24, 8
	ds_write2st64_b64 v0, v[62:63], v[64:65] offset0:16 offset1:20
	ds_write2st64_b64 v0, v[66:67], v[68:69] offset0:24 offset1:28
	ds_write_b64 v74, v[70:71] offset:18432
	s_waitcnt lgkmcnt(0)
	s_cmp_gt_i32 s25, 8
	s_barrier
	s_cbranch_scc0 .LBB158_46
; %bb.26:
	v_add_u32_e32 v149, 0x2000, v0
	v_mad_i64_i32 v[0:1], s[12:13], v73, s28, 0
	v_lshl_add_u64 v[62:63], v[0:1], 3, s[22:23]
	v_add_u32_e32 v150, 0x4800, v74
	s_add_i32 s25, s25, -8
	v_lshl_add_u64 v[64:65], v[62:63], 0, 32
	s_mov_b32 s22, 0
	v_mov_b32_e32 v67, 0
.LBB158_27:                             ; =>This Loop Header: Depth=1
                                        ;     Child Loop BB158_35 Depth 2
                                        ;     Child Loop BB158_44 Depth 2
	v_add_u32_e32 v3, s24, v144
	v_mad_u64_u32 v[0:1], s[12:13], v3, s26, 0
	v_mov_b32_e32 v2, v1
	v_mad_u64_u32 v[2:3], s[12:13], v3, s27, v[2:3]
	v_mov_b32_e32 v1, v2
	v_lshl_add_u64 v[0:1], v[0:1], 3, s[20:21]
	s_and_b64 vcc, exec, s[4:5]
	v_lshl_add_u64 v[0:1], v[60:61], 3, v[0:1]
	s_cbranch_vccnz .LBB158_31
; %bb.28:                               ;   in Loop: Header=BB158_27 Depth=1
	flat_load_dwordx2 v[2:3], v[0:1]
	flat_load_dwordx2 v[4:5], v[0:1] offset:512
	s_waitcnt vmcnt(0) lgkmcnt(0)
	v_mul_f64 v[68:69], v[2:3], s[16:17]
	v_mul_f64 v[70:71], v[4:5], s[16:17]
	s_and_b64 vcc, exec, s[4:5]
	s_cbranch_vccnz .LBB158_32
.LBB158_29:                             ;   in Loop: Header=BB158_27 Depth=1
	flat_load_dwordx2 v[2:3], v[0:1] offset:1024
	flat_load_dwordx2 v[4:5], v[0:1] offset:1536
	s_waitcnt vmcnt(0) lgkmcnt(0)
	v_mul_f64 v[72:73], v[2:3], s[16:17]
	v_mul_f64 v[74:75], v[4:5], s[16:17]
	s_and_b64 vcc, exec, s[4:5]
	s_cbranch_vccnz .LBB158_33
.LBB158_30:                             ;   in Loop: Header=BB158_27 Depth=1
	v_or_b32_e32 v66, s24, v145
	v_lshl_add_u64 v[0:1], v[66:67], 3, v[62:63]
	flat_load_dwordx2 v[0:1], v[0:1]
	s_waitcnt vmcnt(0) lgkmcnt(0)
	v_mul_f64 v[76:77], v[0:1], s[16:17]
	s_branch .LBB158_34
.LBB158_31:                             ;   in Loop: Header=BB158_27 Depth=1
	v_mov_b64_e32 v[68:69], 0
	v_mov_b64_e32 v[70:71], 0
	s_and_b64 vcc, exec, s[4:5]
	s_cbranch_vccz .LBB158_29
.LBB158_32:                             ;   in Loop: Header=BB158_27 Depth=1
	v_mov_b64_e32 v[72:73], 0
	v_mov_b64_e32 v[74:75], 0
	s_and_b64 vcc, exec, s[4:5]
	s_cbranch_vccz .LBB158_30
.LBB158_33:                             ;   in Loop: Header=BB158_27 Depth=1
	v_mov_b64_e32 v[76:77], 0
.LBB158_34:                             ;   in Loop: Header=BB158_27 Depth=1
	s_mov_b32 s23, 0
	s_mov_b64 s[12:13], -1
.LBB158_35:                             ;   Parent Loop BB158_27 Depth=1
                                        ; =>  This Inner Loop Header: Depth=2
	v_cndmask_b32_e64 v0, 0, 1, s[12:13]
	s_lshl_b32 s12, s23, 3
	v_cmp_ne_u32_e32 vcc, 1, v0
	v_lshl_add_u32 v0, v135, 5, s12
	v_lshl_add_u32 v20, v136, 5, s12
	ds_read_b128 v[32:35], v0 offset:8192
	ds_read_b128 v[28:31], v0 offset:9216
	;; [unrolled: 1-line block ×16, first 2 shown]
	s_waitcnt lgkmcnt(7)
	v_add_f64 v[156:157], v[34:35], v[154:155]
	v_add_f64 v[158:159], v[32:33], v[152:153]
	v_cvt_f32_f64_e32 v66, v[158:159]
	v_cvt_f32_f64_e32 v151, v[156:157]
	v_add_f64 v[156:157], v[30:31], v[154:155]
	v_add_f64 v[158:159], v[28:29], v[152:153]
	v_min3_f32 v143, v66, v151, v143
	v_cvt_f32_f64_e32 v66, v[158:159]
	v_cvt_f32_f64_e32 v151, v[156:157]
	v_add_f64 v[156:157], v[26:27], v[154:155]
	v_add_f64 v[158:159], v[24:25], v[152:153]
	v_min3_f32 v142, v66, v151, v142
	v_cvt_f32_f64_e32 v66, v[158:159]
	v_cvt_f32_f64_e32 v151, v[156:157]
	v_add_f64 v[156:157], v[18:19], v[154:155]
	v_add_f64 v[158:159], v[16:17], v[152:153]
	v_min3_f32 v141, v66, v151, v141
	v_cvt_f32_f64_e32 v66, v[158:159]
	v_cvt_f32_f64_e32 v151, v[156:157]
	v_add_f64 v[156:157], v[14:15], v[154:155]
	v_add_f64 v[158:159], v[12:13], v[152:153]
	v_min3_f32 v140, v66, v151, v140
	v_cvt_f32_f64_e32 v66, v[158:159]
	v_cvt_f32_f64_e32 v151, v[156:157]
	v_add_f64 v[156:157], v[10:11], v[154:155]
	v_add_f64 v[158:159], v[8:9], v[152:153]
	v_min3_f32 v139, v66, v151, v139
	v_cvt_f32_f64_e32 v66, v[158:159]
	v_cvt_f32_f64_e32 v151, v[156:157]
	v_add_f64 v[156:157], v[6:7], v[154:155]
	v_add_f64 v[158:159], v[4:5], v[152:153]
	v_min3_f32 v138, v66, v151, v138
	v_cvt_f32_f64_e32 v66, v[158:159]
	v_cvt_f32_f64_e32 v151, v[156:157]
	v_add_f64 v[154:155], v[2:3], v[154:155]
	v_add_f64 v[152:153], v[0:1], v[152:153]
	v_min3_f32 v137, v66, v151, v137
	v_cvt_f32_f64_e32 v66, v[152:153]
	v_cvt_f32_f64_e32 v151, v[154:155]
	s_waitcnt lgkmcnt(6)
	v_add_f64 v[152:153], v[34:35], v[58:59]
	v_add_f64 v[154:155], v[32:33], v[56:57]
	v_min3_f32 v134, v66, v151, v134
	v_cvt_f32_f64_e32 v66, v[154:155]
	v_cvt_f32_f64_e32 v151, v[152:153]
	v_add_f64 v[152:153], v[30:31], v[58:59]
	v_add_f64 v[154:155], v[28:29], v[56:57]
	v_min3_f32 v133, v66, v151, v133
	v_cvt_f32_f64_e32 v66, v[154:155]
	v_cvt_f32_f64_e32 v151, v[152:153]
	;; [unrolled: 5-line block ×6, first 2 shown]
	v_add_f64 v[152:153], v[6:7], v[58:59]
	v_add_f64 v[154:155], v[4:5], v[56:57]
	v_add_f64 v[58:59], v[2:3], v[58:59]
	v_add_f64 v[56:57], v[0:1], v[56:57]
	v_cvt_f32_f64_e32 v56, v[56:57]
	v_cvt_f32_f64_e32 v57, v[58:59]
	v_min3_f32 v126, v56, v57, v126
	s_waitcnt lgkmcnt(5)
	v_add_f64 v[56:57], v[34:35], v[54:55]
	v_add_f64 v[58:59], v[32:33], v[52:53]
	v_cvt_f32_f64_e32 v58, v[58:59]
	v_cvt_f32_f64_e32 v56, v[56:57]
	v_min3_f32 v125, v58, v56, v125
	v_add_f64 v[56:57], v[30:31], v[54:55]
	v_add_f64 v[58:59], v[28:29], v[52:53]
	v_cvt_f32_f64_e32 v58, v[58:59]
	v_cvt_f32_f64_e32 v56, v[56:57]
	v_min3_f32 v124, v58, v56, v124
	v_add_f64 v[56:57], v[26:27], v[54:55]
	v_add_f64 v[58:59], v[24:25], v[52:53]
	v_cvt_f32_f64_e32 v58, v[58:59]
	v_cvt_f32_f64_e32 v56, v[56:57]
	v_min3_f32 v123, v58, v56, v123
	v_add_f64 v[56:57], v[18:19], v[54:55]
	v_add_f64 v[58:59], v[16:17], v[52:53]
	v_cvt_f32_f64_e32 v58, v[58:59]
	v_cvt_f32_f64_e32 v56, v[56:57]
	v_min3_f32 v122, v58, v56, v122
	v_add_f64 v[56:57], v[14:15], v[54:55]
	v_add_f64 v[58:59], v[12:13], v[52:53]
	v_cvt_f32_f64_e32 v58, v[58:59]
	v_cvt_f32_f64_e32 v56, v[56:57]
	v_min3_f32 v121, v58, v56, v121
	v_add_f64 v[56:57], v[10:11], v[54:55]
	v_add_f64 v[58:59], v[8:9], v[52:53]
	v_cvt_f32_f64_e32 v58, v[58:59]
	v_cvt_f32_f64_e32 v56, v[56:57]
	v_min3_f32 v120, v58, v56, v120
	v_add_f64 v[56:57], v[6:7], v[54:55]
	v_add_f64 v[58:59], v[4:5], v[52:53]
	v_add_f64 v[54:55], v[2:3], v[54:55]
	v_add_f64 v[52:53], v[0:1], v[52:53]
	v_cvt_f32_f64_e32 v52, v[52:53]
	v_cvt_f32_f64_e32 v53, v[54:55]
	v_min3_f32 v118, v52, v53, v118
	s_waitcnt lgkmcnt(4)
	v_add_f64 v[52:53], v[34:35], v[50:51]
	v_add_f64 v[54:55], v[32:33], v[48:49]
	v_cvt_f32_f64_e32 v54, v[54:55]
	v_cvt_f32_f64_e32 v52, v[52:53]
	v_min3_f32 v117, v54, v52, v117
	v_add_f64 v[52:53], v[30:31], v[50:51]
	v_add_f64 v[54:55], v[28:29], v[48:49]
	v_cvt_f32_f64_e32 v54, v[54:55]
	v_cvt_f32_f64_e32 v52, v[52:53]
	v_min3_f32 v116, v54, v52, v116
	v_add_f64 v[52:53], v[26:27], v[50:51]
	v_add_f64 v[54:55], v[24:25], v[48:49]
	v_cvt_f32_f64_e32 v54, v[54:55]
	v_cvt_f32_f64_e32 v52, v[52:53]
	v_min3_f32 v115, v54, v52, v115
	v_add_f64 v[52:53], v[18:19], v[50:51]
	v_add_f64 v[54:55], v[16:17], v[48:49]
	v_cvt_f32_f64_e32 v54, v[54:55]
	v_cvt_f32_f64_e32 v52, v[52:53]
	v_min3_f32 v114, v54, v52, v114
	v_add_f64 v[52:53], v[14:15], v[50:51]
	v_add_f64 v[54:55], v[12:13], v[48:49]
	v_cvt_f32_f64_e32 v54, v[54:55]
	v_cvt_f32_f64_e32 v52, v[52:53]
	v_min3_f32 v113, v54, v52, v113
	v_add_f64 v[52:53], v[10:11], v[50:51]
	v_add_f64 v[54:55], v[8:9], v[48:49]
	v_cvt_f32_f64_e32 v54, v[54:55]
	v_cvt_f32_f64_e32 v52, v[52:53]
	v_min3_f32 v112, v54, v52, v112
	v_add_f64 v[52:53], v[6:7], v[50:51]
	v_add_f64 v[54:55], v[4:5], v[48:49]
	v_add_f64 v[50:51], v[2:3], v[50:51]
	v_add_f64 v[48:49], v[0:1], v[48:49]
	v_cvt_f32_f64_e32 v48, v[48:49]
	v_cvt_f32_f64_e32 v49, v[50:51]
	v_min3_f32 v110, v48, v49, v110
	s_waitcnt lgkmcnt(3)
	v_add_f64 v[48:49], v[34:35], v[46:47]
	v_add_f64 v[50:51], v[32:33], v[44:45]
	v_cvt_f32_f64_e32 v50, v[50:51]
	v_cvt_f32_f64_e32 v48, v[48:49]
	v_min3_f32 v109, v50, v48, v109
	v_add_f64 v[48:49], v[30:31], v[46:47]
	v_add_f64 v[50:51], v[28:29], v[44:45]
	v_cvt_f32_f64_e32 v50, v[50:51]
	v_cvt_f32_f64_e32 v48, v[48:49]
	v_min3_f32 v108, v50, v48, v108
	v_add_f64 v[48:49], v[26:27], v[46:47]
	v_add_f64 v[50:51], v[24:25], v[44:45]
	v_cvt_f32_f64_e32 v50, v[50:51]
	v_cvt_f32_f64_e32 v48, v[48:49]
	v_min3_f32 v107, v50, v48, v107
	v_add_f64 v[48:49], v[18:19], v[46:47]
	v_add_f64 v[50:51], v[16:17], v[44:45]
	v_cvt_f32_f64_e32 v50, v[50:51]
	v_cvt_f32_f64_e32 v48, v[48:49]
	v_min3_f32 v106, v50, v48, v106
	v_add_f64 v[48:49], v[14:15], v[46:47]
	v_add_f64 v[50:51], v[12:13], v[44:45]
	v_cvt_f32_f64_e32 v50, v[50:51]
	v_cvt_f32_f64_e32 v48, v[48:49]
	v_min3_f32 v105, v50, v48, v105
	v_add_f64 v[48:49], v[10:11], v[46:47]
	v_add_f64 v[50:51], v[8:9], v[44:45]
	v_cvt_f32_f64_e32 v50, v[50:51]
	v_cvt_f32_f64_e32 v48, v[48:49]
	v_min3_f32 v104, v50, v48, v104
	v_add_f64 v[48:49], v[6:7], v[46:47]
	v_add_f64 v[50:51], v[4:5], v[44:45]
	v_add_f64 v[46:47], v[2:3], v[46:47]
	v_add_f64 v[44:45], v[0:1], v[44:45]
	v_cvt_f32_f64_e32 v44, v[44:45]
	v_cvt_f32_f64_e32 v45, v[46:47]
	v_min3_f32 v102, v44, v45, v102
	s_waitcnt lgkmcnt(2)
	v_add_f64 v[44:45], v[34:35], v[42:43]
	v_add_f64 v[46:47], v[32:33], v[40:41]
	v_cvt_f32_f64_e32 v46, v[46:47]
	v_cvt_f32_f64_e32 v44, v[44:45]
	v_min3_f32 v101, v46, v44, v101
	v_add_f64 v[44:45], v[30:31], v[42:43]
	v_add_f64 v[46:47], v[28:29], v[40:41]
	v_cvt_f32_f64_e32 v46, v[46:47]
	v_cvt_f32_f64_e32 v44, v[44:45]
	v_min3_f32 v100, v46, v44, v100
	v_add_f64 v[44:45], v[26:27], v[42:43]
	v_add_f64 v[46:47], v[24:25], v[40:41]
	v_cvt_f32_f64_e32 v46, v[46:47]
	v_cvt_f32_f64_e32 v44, v[44:45]
	v_min3_f32 v99, v46, v44, v99
	v_add_f64 v[44:45], v[18:19], v[42:43]
	v_add_f64 v[46:47], v[16:17], v[40:41]
	v_cvt_f32_f64_e32 v46, v[46:47]
	v_cvt_f32_f64_e32 v44, v[44:45]
	v_min3_f32 v98, v46, v44, v98
	v_add_f64 v[44:45], v[14:15], v[42:43]
	v_add_f64 v[46:47], v[12:13], v[40:41]
	v_cvt_f32_f64_e32 v46, v[46:47]
	v_cvt_f32_f64_e32 v44, v[44:45]
	v_min3_f32 v97, v46, v44, v97
	v_add_f64 v[44:45], v[10:11], v[42:43]
	v_add_f64 v[46:47], v[8:9], v[40:41]
	v_cvt_f32_f64_e32 v46, v[46:47]
	v_cvt_f32_f64_e32 v44, v[44:45]
	v_min3_f32 v96, v46, v44, v96
	v_add_f64 v[44:45], v[6:7], v[42:43]
	v_add_f64 v[46:47], v[4:5], v[40:41]
	v_add_f64 v[42:43], v[2:3], v[42:43]
	v_add_f64 v[40:41], v[0:1], v[40:41]
	v_cvt_f32_f64_e32 v40, v[40:41]
	v_cvt_f32_f64_e32 v41, v[42:43]
	v_min3_f32 v94, v40, v41, v94
	s_waitcnt lgkmcnt(1)
	v_add_f64 v[40:41], v[34:35], v[38:39]
	v_add_f64 v[42:43], v[32:33], v[36:37]
	v_cvt_f32_f64_e32 v42, v[42:43]
	v_cvt_f32_f64_e32 v40, v[40:41]
	v_min3_f32 v93, v42, v40, v93
	v_add_f64 v[40:41], v[30:31], v[38:39]
	v_add_f64 v[42:43], v[28:29], v[36:37]
	v_cvt_f32_f64_e32 v42, v[42:43]
	v_cvt_f32_f64_e32 v40, v[40:41]
	v_min3_f32 v92, v42, v40, v92
	v_add_f64 v[40:41], v[26:27], v[38:39]
	v_add_f64 v[42:43], v[24:25], v[36:37]
	v_cvt_f32_f64_e32 v42, v[42:43]
	v_cvt_f32_f64_e32 v40, v[40:41]
	v_min3_f32 v91, v42, v40, v91
	v_add_f64 v[40:41], v[18:19], v[38:39]
	v_add_f64 v[42:43], v[16:17], v[36:37]
	v_cvt_f32_f64_e32 v42, v[42:43]
	v_cvt_f32_f64_e32 v40, v[40:41]
	v_min3_f32 v90, v42, v40, v90
	v_add_f64 v[40:41], v[14:15], v[38:39]
	v_add_f64 v[42:43], v[12:13], v[36:37]
	v_cvt_f32_f64_e32 v42, v[42:43]
	v_cvt_f32_f64_e32 v40, v[40:41]
	v_min3_f32 v89, v42, v40, v89
	v_add_f64 v[40:41], v[10:11], v[38:39]
	v_add_f64 v[42:43], v[8:9], v[36:37]
	v_cvt_f32_f64_e32 v42, v[42:43]
	v_cvt_f32_f64_e32 v40, v[40:41]
	v_min3_f32 v88, v42, v40, v88
	v_add_f64 v[40:41], v[6:7], v[38:39]
	v_add_f64 v[42:43], v[4:5], v[36:37]
	;; [unrolled: 1-line block ×4, first 2 shown]
	s_waitcnt lgkmcnt(0)
	v_add_f64 v[34:35], v[34:35], v[22:23]
	v_add_f64 v[32:33], v[32:33], v[20:21]
	;; [unrolled: 1-line block ×16, first 2 shown]
	v_min3_f32 v128, v66, v151, v128
	v_cvt_f32_f64_e32 v66, v[154:155]
	v_cvt_f32_f64_e32 v151, v[152:153]
	;; [unrolled: 1-line block ×30, first 2 shown]
	v_min3_f32 v127, v66, v151, v127
	v_min3_f32 v119, v58, v56, v119
	;; [unrolled: 1-line block ×15, first 2 shown]
	s_mov_b32 s23, 2
	s_mov_b64 s[12:13], 0
	s_cbranch_vccz .LBB158_35
; %bb.36:                               ;   in Loop: Header=BB158_27 Depth=1
	v_add_u32_e32 v3, s24, v146
	v_mad_u64_u32 v[0:1], s[12:13], v3, s26, 0
	v_mov_b32_e32 v2, v1
	v_mad_u64_u32 v[2:3], s[12:13], v3, s27, v[2:3]
	v_mov_b32_e32 v1, v2
	v_lshl_add_u64 v[0:1], v[0:1], 3, s[20:21]
	s_and_b64 vcc, exec, s[4:5]
	v_lshl_add_u64 v[0:1], v[60:61], 3, v[0:1]
	ds_write2st64_b64 v147, v[68:69], v[70:71] offset1:4
	ds_write2st64_b64 v147, v[72:73], v[74:75] offset0:8 offset1:12
	ds_write_b64 v148, v[76:77]
	s_waitcnt lgkmcnt(0)
	s_barrier
	s_cbranch_vccnz .LBB158_40
; %bb.37:                               ;   in Loop: Header=BB158_27 Depth=1
	flat_load_dwordx2 v[2:3], v[0:1]
	flat_load_dwordx2 v[4:5], v[0:1] offset:512
	s_waitcnt vmcnt(0) lgkmcnt(0)
	v_mul_f64 v[68:69], v[2:3], s[16:17]
	v_mul_f64 v[70:71], v[4:5], s[16:17]
	s_and_b64 vcc, exec, s[4:5]
	s_cbranch_vccnz .LBB158_41
.LBB158_38:                             ;   in Loop: Header=BB158_27 Depth=1
	flat_load_dwordx2 v[2:3], v[0:1] offset:1024
	flat_load_dwordx2 v[4:5], v[0:1] offset:1536
	s_waitcnt vmcnt(0) lgkmcnt(0)
	v_mul_f64 v[72:73], v[2:3], s[16:17]
	v_mul_f64 v[74:75], v[4:5], s[16:17]
	s_and_b64 vcc, exec, s[4:5]
	s_cbranch_vccnz .LBB158_42
.LBB158_39:                             ;   in Loop: Header=BB158_27 Depth=1
	v_or_b32_e32 v66, s24, v145
	v_lshl_add_u64 v[0:1], v[66:67], 3, v[64:65]
	flat_load_dwordx2 v[0:1], v[0:1]
	s_waitcnt vmcnt(0) lgkmcnt(0)
	v_mul_f64 v[76:77], v[0:1], s[16:17]
	s_branch .LBB158_43
.LBB158_40:                             ;   in Loop: Header=BB158_27 Depth=1
	v_mov_b64_e32 v[68:69], 0
	v_mov_b64_e32 v[70:71], 0
	s_and_b64 vcc, exec, s[4:5]
	s_cbranch_vccz .LBB158_38
.LBB158_41:                             ;   in Loop: Header=BB158_27 Depth=1
	v_mov_b64_e32 v[72:73], 0
	v_mov_b64_e32 v[74:75], 0
	s_and_b64 vcc, exec, s[4:5]
	s_cbranch_vccz .LBB158_39
.LBB158_42:                             ;   in Loop: Header=BB158_27 Depth=1
	v_mov_b64_e32 v[76:77], 0
.LBB158_43:                             ;   in Loop: Header=BB158_27 Depth=1
	s_mov_b32 s23, 0
	s_mov_b64 s[12:13], -1
.LBB158_44:                             ;   Parent Loop BB158_27 Depth=1
                                        ; =>  This Inner Loop Header: Depth=2
	v_cndmask_b32_e64 v0, 0, 1, s[12:13]
	s_lshl_b32 s12, s23, 3
	v_cmp_ne_u32_e32 vcc, 1, v0
	v_lshl_add_u32 v0, v135, 5, s12
	v_lshl_add_u32 v20, v136, 5, s12
	ds_read_b128 v[32:35], v0
	ds_read_b128 v[28:31], v0 offset:1024
	ds_read_b128 v[24:27], v0 offset:2048
	;; [unrolled: 1-line block ×15, first 2 shown]
	s_waitcnt lgkmcnt(7)
	v_add_f64 v[156:157], v[34:35], v[154:155]
	v_add_f64 v[158:159], v[32:33], v[152:153]
	v_cvt_f32_f64_e32 v66, v[158:159]
	v_cvt_f32_f64_e32 v151, v[156:157]
	v_add_f64 v[156:157], v[30:31], v[154:155]
	v_add_f64 v[158:159], v[28:29], v[152:153]
	v_min3_f32 v143, v66, v151, v143
	v_cvt_f32_f64_e32 v66, v[158:159]
	v_cvt_f32_f64_e32 v151, v[156:157]
	v_add_f64 v[156:157], v[26:27], v[154:155]
	v_add_f64 v[158:159], v[24:25], v[152:153]
	v_min3_f32 v142, v66, v151, v142
	;; [unrolled: 5-line block ×7, first 2 shown]
	v_cvt_f32_f64_e32 v66, v[152:153]
	v_cvt_f32_f64_e32 v151, v[154:155]
	s_waitcnt lgkmcnt(6)
	v_add_f64 v[152:153], v[34:35], v[58:59]
	v_add_f64 v[154:155], v[32:33], v[56:57]
	v_min3_f32 v134, v66, v151, v134
	v_cvt_f32_f64_e32 v66, v[154:155]
	v_cvt_f32_f64_e32 v151, v[152:153]
	v_add_f64 v[152:153], v[30:31], v[58:59]
	v_add_f64 v[154:155], v[28:29], v[56:57]
	v_min3_f32 v133, v66, v151, v133
	v_cvt_f32_f64_e32 v66, v[154:155]
	v_cvt_f32_f64_e32 v151, v[152:153]
	;; [unrolled: 5-line block ×6, first 2 shown]
	v_add_f64 v[152:153], v[6:7], v[58:59]
	v_add_f64 v[154:155], v[4:5], v[56:57]
	v_add_f64 v[58:59], v[2:3], v[58:59]
	v_add_f64 v[56:57], v[0:1], v[56:57]
	v_cvt_f32_f64_e32 v56, v[56:57]
	v_cvt_f32_f64_e32 v57, v[58:59]
	v_min3_f32 v126, v56, v57, v126
	s_waitcnt lgkmcnt(5)
	v_add_f64 v[56:57], v[34:35], v[54:55]
	v_add_f64 v[58:59], v[32:33], v[52:53]
	v_cvt_f32_f64_e32 v58, v[58:59]
	v_cvt_f32_f64_e32 v56, v[56:57]
	v_min3_f32 v125, v58, v56, v125
	v_add_f64 v[56:57], v[30:31], v[54:55]
	v_add_f64 v[58:59], v[28:29], v[52:53]
	v_cvt_f32_f64_e32 v58, v[58:59]
	v_cvt_f32_f64_e32 v56, v[56:57]
	v_min3_f32 v124, v58, v56, v124
	v_add_f64 v[56:57], v[26:27], v[54:55]
	v_add_f64 v[58:59], v[24:25], v[52:53]
	v_cvt_f32_f64_e32 v58, v[58:59]
	v_cvt_f32_f64_e32 v56, v[56:57]
	v_min3_f32 v123, v58, v56, v123
	v_add_f64 v[56:57], v[18:19], v[54:55]
	v_add_f64 v[58:59], v[16:17], v[52:53]
	v_cvt_f32_f64_e32 v58, v[58:59]
	v_cvt_f32_f64_e32 v56, v[56:57]
	v_min3_f32 v122, v58, v56, v122
	v_add_f64 v[56:57], v[14:15], v[54:55]
	v_add_f64 v[58:59], v[12:13], v[52:53]
	v_cvt_f32_f64_e32 v58, v[58:59]
	v_cvt_f32_f64_e32 v56, v[56:57]
	v_min3_f32 v121, v58, v56, v121
	v_add_f64 v[56:57], v[10:11], v[54:55]
	v_add_f64 v[58:59], v[8:9], v[52:53]
	v_cvt_f32_f64_e32 v58, v[58:59]
	v_cvt_f32_f64_e32 v56, v[56:57]
	v_min3_f32 v120, v58, v56, v120
	v_add_f64 v[56:57], v[6:7], v[54:55]
	v_add_f64 v[58:59], v[4:5], v[52:53]
	v_add_f64 v[54:55], v[2:3], v[54:55]
	v_add_f64 v[52:53], v[0:1], v[52:53]
	v_cvt_f32_f64_e32 v52, v[52:53]
	v_cvt_f32_f64_e32 v53, v[54:55]
	v_min3_f32 v118, v52, v53, v118
	s_waitcnt lgkmcnt(4)
	v_add_f64 v[52:53], v[34:35], v[50:51]
	v_add_f64 v[54:55], v[32:33], v[48:49]
	v_cvt_f32_f64_e32 v54, v[54:55]
	v_cvt_f32_f64_e32 v52, v[52:53]
	v_min3_f32 v117, v54, v52, v117
	v_add_f64 v[52:53], v[30:31], v[50:51]
	v_add_f64 v[54:55], v[28:29], v[48:49]
	v_cvt_f32_f64_e32 v54, v[54:55]
	v_cvt_f32_f64_e32 v52, v[52:53]
	v_min3_f32 v116, v54, v52, v116
	v_add_f64 v[52:53], v[26:27], v[50:51]
	v_add_f64 v[54:55], v[24:25], v[48:49]
	v_cvt_f32_f64_e32 v54, v[54:55]
	v_cvt_f32_f64_e32 v52, v[52:53]
	v_min3_f32 v115, v54, v52, v115
	v_add_f64 v[52:53], v[18:19], v[50:51]
	v_add_f64 v[54:55], v[16:17], v[48:49]
	v_cvt_f32_f64_e32 v54, v[54:55]
	v_cvt_f32_f64_e32 v52, v[52:53]
	v_min3_f32 v114, v54, v52, v114
	v_add_f64 v[52:53], v[14:15], v[50:51]
	v_add_f64 v[54:55], v[12:13], v[48:49]
	v_cvt_f32_f64_e32 v54, v[54:55]
	v_cvt_f32_f64_e32 v52, v[52:53]
	v_min3_f32 v113, v54, v52, v113
	v_add_f64 v[52:53], v[10:11], v[50:51]
	v_add_f64 v[54:55], v[8:9], v[48:49]
	v_cvt_f32_f64_e32 v54, v[54:55]
	v_cvt_f32_f64_e32 v52, v[52:53]
	v_min3_f32 v112, v54, v52, v112
	;; [unrolled: 38-line block ×5, first 2 shown]
	v_add_f64 v[40:41], v[6:7], v[38:39]
	v_add_f64 v[42:43], v[4:5], v[36:37]
	;; [unrolled: 1-line block ×4, first 2 shown]
	s_waitcnt lgkmcnt(0)
	v_add_f64 v[34:35], v[34:35], v[22:23]
	v_add_f64 v[32:33], v[32:33], v[20:21]
	;; [unrolled: 1-line block ×16, first 2 shown]
	v_min3_f32 v128, v66, v151, v128
	v_cvt_f32_f64_e32 v66, v[154:155]
	v_cvt_f32_f64_e32 v151, v[152:153]
	;; [unrolled: 1-line block ×30, first 2 shown]
	v_min3_f32 v127, v66, v151, v127
	v_min3_f32 v119, v58, v56, v119
	;; [unrolled: 1-line block ×15, first 2 shown]
	s_mov_b32 s23, 2
	s_mov_b64 s[12:13], 0
	s_cbranch_vccz .LBB158_44
; %bb.45:                               ;   in Loop: Header=BB158_27 Depth=1
	s_add_i32 s24, s24, 8
	s_add_i32 s22, s22, 8
	s_cmp_ge_i32 s22, s25
	ds_write2st64_b64 v149, v[68:69], v[70:71] offset1:4
	ds_write2st64_b64 v149, v[72:73], v[74:75] offset0:8 offset1:12
	ds_write_b64 v150, v[76:77]
	s_waitcnt lgkmcnt(0)
	s_barrier
	s_cbranch_scc0 .LBB158_27
.LBB158_46:
	s_mov_b32 s12, 0
	s_mov_b64 s[4:5], -1
.LBB158_47:                             ; =>This Inner Loop Header: Depth=1
	v_cndmask_b32_e64 v0, 0, 1, s[4:5]
	s_lshl_b32 s4, s12, 3
	v_cmp_ne_u32_e32 vcc, 1, v0
	v_lshl_add_u32 v0, v135, 5, s4
	v_lshl_add_u32 v20, v136, 5, s4
	ds_read_b128 v[32:35], v0 offset:8192
	ds_read_b128 v[28:31], v0 offset:9216
	;; [unrolled: 1-line block ×16, first 2 shown]
	s_waitcnt lgkmcnt(7)
	v_add_f64 v[64:65], v[34:35], v[62:63]
	v_add_f64 v[66:67], v[32:33], v[60:61]
	v_cvt_f32_f64_e32 v66, v[66:67]
	v_cvt_f32_f64_e32 v64, v[64:65]
	v_min3_f32 v143, v66, v64, v143
	v_add_f64 v[64:65], v[30:31], v[62:63]
	v_add_f64 v[66:67], v[28:29], v[60:61]
	v_cvt_f32_f64_e32 v66, v[66:67]
	v_cvt_f32_f64_e32 v64, v[64:65]
	v_min3_f32 v142, v66, v64, v142
	v_add_f64 v[64:65], v[26:27], v[62:63]
	v_add_f64 v[66:67], v[24:25], v[60:61]
	v_cvt_f32_f64_e32 v66, v[66:67]
	v_cvt_f32_f64_e32 v64, v[64:65]
	v_min3_f32 v141, v66, v64, v141
	v_add_f64 v[64:65], v[18:19], v[62:63]
	v_add_f64 v[66:67], v[16:17], v[60:61]
	v_cvt_f32_f64_e32 v66, v[66:67]
	v_cvt_f32_f64_e32 v64, v[64:65]
	v_min3_f32 v140, v66, v64, v140
	v_add_f64 v[64:65], v[14:15], v[62:63]
	v_add_f64 v[66:67], v[12:13], v[60:61]
	v_cvt_f32_f64_e32 v66, v[66:67]
	v_cvt_f32_f64_e32 v64, v[64:65]
	v_min3_f32 v139, v66, v64, v139
	v_add_f64 v[64:65], v[10:11], v[62:63]
	v_add_f64 v[66:67], v[8:9], v[60:61]
	v_cvt_f32_f64_e32 v66, v[66:67]
	v_cvt_f32_f64_e32 v64, v[64:65]
	v_min3_f32 v138, v66, v64, v138
	v_add_f64 v[64:65], v[6:7], v[62:63]
	v_add_f64 v[66:67], v[4:5], v[60:61]
	v_add_f64 v[62:63], v[2:3], v[62:63]
	v_add_f64 v[60:61], v[0:1], v[60:61]
	v_cvt_f32_f64_e32 v60, v[60:61]
	v_cvt_f32_f64_e32 v61, v[62:63]
	v_min3_f32 v134, v60, v61, v134
	s_waitcnt lgkmcnt(6)
	v_add_f64 v[60:61], v[34:35], v[58:59]
	v_add_f64 v[62:63], v[32:33], v[56:57]
	v_cvt_f32_f64_e32 v62, v[62:63]
	v_cvt_f32_f64_e32 v60, v[60:61]
	v_min3_f32 v133, v62, v60, v133
	v_add_f64 v[60:61], v[30:31], v[58:59]
	v_add_f64 v[62:63], v[28:29], v[56:57]
	v_cvt_f32_f64_e32 v62, v[62:63]
	v_cvt_f32_f64_e32 v60, v[60:61]
	v_min3_f32 v132, v62, v60, v132
	v_add_f64 v[60:61], v[26:27], v[58:59]
	v_add_f64 v[62:63], v[24:25], v[56:57]
	v_cvt_f32_f64_e32 v62, v[62:63]
	v_cvt_f32_f64_e32 v60, v[60:61]
	v_min3_f32 v131, v62, v60, v131
	v_add_f64 v[60:61], v[18:19], v[58:59]
	v_add_f64 v[62:63], v[16:17], v[56:57]
	v_cvt_f32_f64_e32 v62, v[62:63]
	v_cvt_f32_f64_e32 v60, v[60:61]
	v_min3_f32 v130, v62, v60, v130
	v_add_f64 v[60:61], v[14:15], v[58:59]
	v_add_f64 v[62:63], v[12:13], v[56:57]
	v_cvt_f32_f64_e32 v62, v[62:63]
	v_cvt_f32_f64_e32 v60, v[60:61]
	v_min3_f32 v129, v62, v60, v129
	v_add_f64 v[60:61], v[10:11], v[58:59]
	v_add_f64 v[62:63], v[8:9], v[56:57]
	v_cvt_f32_f64_e32 v62, v[62:63]
	v_cvt_f32_f64_e32 v60, v[60:61]
	v_min3_f32 v128, v62, v60, v128
	v_add_f64 v[60:61], v[6:7], v[58:59]
	v_add_f64 v[62:63], v[4:5], v[56:57]
	v_add_f64 v[58:59], v[2:3], v[58:59]
	v_add_f64 v[56:57], v[0:1], v[56:57]
	v_cvt_f32_f64_e32 v56, v[56:57]
	v_cvt_f32_f64_e32 v57, v[58:59]
	v_min3_f32 v126, v56, v57, v126
	;; [unrolled: 38-line block ×6, first 2 shown]
	s_waitcnt lgkmcnt(1)
	v_add_f64 v[40:41], v[34:35], v[38:39]
	v_add_f64 v[42:43], v[32:33], v[36:37]
	v_cvt_f32_f64_e32 v42, v[42:43]
	v_cvt_f32_f64_e32 v40, v[40:41]
	v_min3_f32 v93, v42, v40, v93
	v_add_f64 v[40:41], v[30:31], v[38:39]
	v_add_f64 v[42:43], v[28:29], v[36:37]
	v_cvt_f32_f64_e32 v42, v[42:43]
	v_cvt_f32_f64_e32 v40, v[40:41]
	v_min3_f32 v92, v42, v40, v92
	v_add_f64 v[40:41], v[26:27], v[38:39]
	v_add_f64 v[42:43], v[24:25], v[36:37]
	v_cvt_f32_f64_e32 v42, v[42:43]
	v_cvt_f32_f64_e32 v40, v[40:41]
	v_min3_f32 v91, v42, v40, v91
	v_add_f64 v[40:41], v[18:19], v[38:39]
	v_add_f64 v[42:43], v[16:17], v[36:37]
	v_cvt_f32_f64_e32 v42, v[42:43]
	v_cvt_f32_f64_e32 v40, v[40:41]
	v_min3_f32 v90, v42, v40, v90
	v_add_f64 v[40:41], v[14:15], v[38:39]
	v_add_f64 v[42:43], v[12:13], v[36:37]
	v_cvt_f32_f64_e32 v42, v[42:43]
	v_cvt_f32_f64_e32 v40, v[40:41]
	v_min3_f32 v89, v42, v40, v89
	v_add_f64 v[40:41], v[10:11], v[38:39]
	v_add_f64 v[42:43], v[8:9], v[36:37]
	v_cvt_f32_f64_e32 v42, v[42:43]
	v_cvt_f32_f64_e32 v40, v[40:41]
	v_min3_f32 v88, v42, v40, v88
	v_add_f64 v[40:41], v[6:7], v[38:39]
	v_add_f64 v[42:43], v[4:5], v[36:37]
	;; [unrolled: 1-line block ×4, first 2 shown]
	s_waitcnt lgkmcnt(0)
	v_add_f64 v[34:35], v[34:35], v[22:23]
	v_add_f64 v[32:33], v[32:33], v[20:21]
	;; [unrolled: 1-line block ×16, first 2 shown]
	v_cvt_f32_f64_e32 v66, v[66:67]
	v_cvt_f32_f64_e32 v64, v[64:65]
	;; [unrolled: 1-line block ×32, first 2 shown]
	v_min3_f32 v137, v66, v64, v137
	v_min3_f32 v127, v62, v60, v127
	;; [unrolled: 1-line block ×16, first 2 shown]
	s_mov_b32 s12, 2
	s_mov_b64 s[4:5], 0
	s_cbranch_vccz .LBB158_47
; %bb.48:
	s_load_dwordx2 s[4:5], s[0:1], 0x78
	s_load_dword s12, s[0:1], 0x58
	s_load_dword s13, s[0:1], 0x70
	v_add_u32_e32 v8, s2, v135
	v_add_u32_e32 v30, s18, v136
	s_waitcnt lgkmcnt(0)
	s_mul_i32 s0, s3, s5
	s_mul_hi_u32 s1, s3, s4
	s_mul_i32 s5, s19, s4
	s_add_i32 s0, s1, s0
	s_add_i32 s1, s0, s5
	s_mul_i32 s0, s3, s4
	s_lshl_b64 s[0:1], s[0:1], 3
	s_add_u32 s0, s14, s0
	s_addc_u32 s1, s15, s1
	v_add_u32_e32 v0, 32, v8
	v_mad_i64_i32 v[2:3], s[2:3], v30, s13, 0
	v_ashrrev_i32_e32 v9, 31, v8
	v_ashrrev_i32_e32 v1, 31, v0
	v_lshl_add_u64 v[24:25], v[2:3], 3, s[0:1]
	v_mad_i64_i32 v[2:3], s[2:3], v30, s12, 0
	v_max_f32_e32 v4, v143, v143
	s_mov_b64 vcc, s[6:7]
	s_cbranch_vccz .LBB158_51
; %bb.49:
	v_min_f32_e32 v5, 0, v4
	v_cvt_f64_f32_e32 v[6:7], v5
	v_lshl_add_u64 v[10:11], v[8:9], 3, v[24:25]
	global_store_dwordx2 v[10:11], v[6:7], off
	s_mov_b64 s[2:3], 0
	v_lshl_add_u64 v[26:27], v[2:3], 3, s[8:9]
	v_lshlrev_b64 v[12:13], 3, v[8:9]
	s_cbranch_execz .LBB158_52
; %bb.50:
	v_mov_b64_e32 v[4:5], s[2:3]
	s_branch .LBB158_53
.LBB158_51:
                                        ; implicit-def: $sgpr2_sgpr3
	v_lshl_add_u64 v[26:27], v[2:3], 3, s[8:9]
	v_lshlrev_b64 v[12:13], 3, v[8:9]
.LBB158_52:
	v_lshl_add_u64 v[2:3], v[26:27], 0, v[12:13]
	flat_load_dwordx2 v[2:3], v[2:3]
	v_lshl_add_u64 v[6:7], v[24:25], 0, v[12:13]
	s_waitcnt vmcnt(0) lgkmcnt(0)
	v_mul_f64 v[2:3], v[2:3], s[10:11]
	v_cvt_f32_f64_e32 v2, v[2:3]
	v_min_f32_e32 v2, v2, v4
	v_cvt_f64_f32_e32 v[2:3], v2
	global_store_dwordx2 v[6:7], v[2:3], off
	v_lshl_add_u64 v[2:3], v[0:1], 3, v[26:27]
	flat_load_dwordx2 v[2:3], v[2:3]
	s_waitcnt vmcnt(0) lgkmcnt(0)
	v_mul_f64 v[4:5], v[2:3], s[10:11]
.LBB158_53:
	v_cvt_f32_f64_e32 v4, v[4:5]
	v_max_f32_e32 v5, v142, v142
	v_min_f32_e32 v4, v4, v5
	v_add_u32_e32 v10, 64, v8
	v_add_u32_e32 v2, 0x60, v8
	v_cvt_f64_f32_e32 v[4:5], v4
	v_lshl_add_u64 v[6:7], v[0:1], 3, v[24:25]
	v_ashrrev_i32_e32 v11, 31, v10
	v_ashrrev_i32_e32 v3, 31, v2
	global_store_dwordx2 v[6:7], v[4:5], off
	v_max_f32_e32 v4, v141, v141
	s_mov_b64 vcc, s[6:7]
	s_cbranch_vccz .LBB158_56
; %bb.54:
	v_min_f32_e32 v5, 0, v4
	v_cvt_f64_f32_e32 v[6:7], v5
	v_lshl_add_u64 v[14:15], v[10:11], 3, v[24:25]
	global_store_dwordx2 v[14:15], v[6:7], off
	s_mov_b64 s[2:3], 0
	v_lshlrev_b64 v[16:17], 3, v[10:11]
	s_cbranch_execz .LBB158_57
; %bb.55:
	v_mov_b64_e32 v[6:7], s[2:3]
	s_branch .LBB158_58
.LBB158_56:
                                        ; implicit-def: $sgpr2_sgpr3
	v_lshlrev_b64 v[16:17], 3, v[10:11]
.LBB158_57:
	v_lshl_add_u64 v[6:7], v[26:27], 0, v[16:17]
	flat_load_dwordx2 v[6:7], v[6:7]
	v_lshl_add_u64 v[14:15], v[24:25], 0, v[16:17]
	s_waitcnt vmcnt(0) lgkmcnt(0)
	v_mul_f64 v[6:7], v[6:7], s[10:11]
	v_cvt_f32_f64_e32 v5, v[6:7]
	v_min_f32_e32 v4, v5, v4
	v_cvt_f64_f32_e32 v[4:5], v4
	global_store_dwordx2 v[14:15], v[4:5], off
	v_lshl_add_u64 v[4:5], v[2:3], 3, v[26:27]
	flat_load_dwordx2 v[4:5], v[4:5]
	s_waitcnt vmcnt(0) lgkmcnt(0)
	v_mul_f64 v[6:7], v[4:5], s[10:11]
.LBB158_58:
	v_cvt_f32_f64_e32 v6, v[6:7]
	v_max_f32_e32 v7, v140, v140
	v_min_f32_e32 v6, v6, v7
	v_add_u32_e32 v14, 0x80, v8
	v_add_u32_e32 v4, 0xa0, v8
	v_cvt_f64_f32_e32 v[6:7], v6
	v_lshl_add_u64 v[18:19], v[2:3], 3, v[24:25]
	v_ashrrev_i32_e32 v15, 31, v14
	v_ashrrev_i32_e32 v5, 31, v4
	global_store_dwordx2 v[18:19], v[6:7], off
	v_max_f32_e32 v6, v139, v139
	s_mov_b64 vcc, s[6:7]
	s_cbranch_vccz .LBB158_61
; %bb.59:
	v_min_f32_e32 v7, 0, v6
	v_cvt_f64_f32_e32 v[18:19], v7
	v_lshl_add_u64 v[20:21], v[14:15], 3, v[24:25]
	global_store_dwordx2 v[20:21], v[18:19], off
	s_mov_b64 s[2:3], 0
	v_lshlrev_b64 v[20:21], 3, v[14:15]
	s_cbranch_execz .LBB158_62
; %bb.60:
	v_mov_b64_e32 v[22:23], s[2:3]
	s_branch .LBB158_63
.LBB158_61:
                                        ; implicit-def: $sgpr2_sgpr3
	v_lshlrev_b64 v[20:21], 3, v[14:15]
.LBB158_62:
	v_lshl_add_u64 v[18:19], v[26:27], 0, v[20:21]
	flat_load_dwordx2 v[18:19], v[18:19]
	v_lshl_add_u64 v[22:23], v[24:25], 0, v[20:21]
	s_waitcnt vmcnt(0) lgkmcnt(0)
	v_mul_f64 v[18:19], v[18:19], s[10:11]
	v_cvt_f32_f64_e32 v7, v[18:19]
	v_min_f32_e32 v6, v7, v6
	v_cvt_f64_f32_e32 v[6:7], v6
	global_store_dwordx2 v[22:23], v[6:7], off
	v_lshl_add_u64 v[6:7], v[4:5], 3, v[26:27]
	flat_load_dwordx2 v[6:7], v[6:7]
	s_waitcnt vmcnt(0) lgkmcnt(0)
	v_mul_f64 v[22:23], v[6:7], s[10:11]
.LBB158_63:
	v_cvt_f32_f64_e32 v22, v[22:23]
	v_max_f32_e32 v23, v138, v138
	v_min_f32_e32 v22, v22, v23
	v_add_u32_e32 v18, 0xc0, v8
	v_add_u32_e32 v6, 0xe0, v8
	v_cvt_f64_f32_e32 v[22:23], v22
	v_lshl_add_u64 v[28:29], v[4:5], 3, v[24:25]
	v_ashrrev_i32_e32 v19, 31, v18
	v_ashrrev_i32_e32 v7, 31, v6
	global_store_dwordx2 v[28:29], v[22:23], off
	v_max_f32_e32 v28, v137, v137
	s_mov_b64 vcc, s[6:7]
	s_cbranch_vccz .LBB158_66
; %bb.64:
	v_min_f32_e32 v22, 0, v28
	v_cvt_f64_f32_e32 v[22:23], v22
	v_lshl_add_u64 v[32:33], v[18:19], 3, v[24:25]
	global_store_dwordx2 v[32:33], v[22:23], off
	s_mov_b64 s[2:3], 0
	v_lshlrev_b64 v[22:23], 3, v[18:19]
	s_cbranch_execz .LBB158_67
; %bb.65:
	v_mov_b64_e32 v[26:27], s[2:3]
	s_branch .LBB158_68
.LBB158_66:
                                        ; implicit-def: $sgpr2_sgpr3
	v_lshlrev_b64 v[22:23], 3, v[18:19]
.LBB158_67:
	v_lshl_add_u64 v[32:33], v[26:27], 0, v[22:23]
	flat_load_dwordx2 v[32:33], v[32:33]
	v_lshl_add_u64 v[34:35], v[24:25], 0, v[22:23]
	v_lshl_add_u64 v[26:27], v[6:7], 3, v[26:27]
	s_waitcnt vmcnt(0) lgkmcnt(0)
	v_mul_f64 v[32:33], v[32:33], s[10:11]
	v_cvt_f32_f64_e32 v29, v[32:33]
	v_min_f32_e32 v28, v29, v28
	v_cvt_f64_f32_e32 v[28:29], v28
	global_store_dwordx2 v[34:35], v[28:29], off
	flat_load_dwordx2 v[26:27], v[26:27]
	s_waitcnt vmcnt(0) lgkmcnt(0)
	v_mul_f64 v[26:27], v[26:27], s[10:11]
.LBB158_68:
	v_cvt_f32_f64_e32 v26, v[26:27]
	v_max_f32_e32 v27, v134, v134
	v_min_f32_e32 v26, v26, v27
	v_cvt_f64_f32_e32 v[26:27], v26
	v_lshl_add_u64 v[24:25], v[6:7], 3, v[24:25]
	global_store_dwordx2 v[24:25], v[26:27], off
	v_add_u32_e32 v26, 8, v30
	v_mad_i64_i32 v[24:25], s[2:3], v26, s13, 0
	v_lshl_add_u64 v[24:25], v[24:25], 3, s[0:1]
	v_mad_i64_i32 v[26:27], s[2:3], v26, s12, 0
	v_max_f32_e32 v28, v133, v133
	s_mov_b64 vcc, s[6:7]
	s_cbranch_vccz .LBB158_71
; %bb.69:
	v_min_f32_e32 v29, 0, v28
	v_cvt_f64_f32_e32 v[32:33], v29
	v_lshl_add_u64 v[34:35], v[8:9], 3, v[24:25]
	global_store_dwordx2 v[34:35], v[32:33], off
	s_mov_b64 s[2:3], 0
	v_lshl_add_u64 v[26:27], v[26:27], 3, s[8:9]
	s_cbranch_execz .LBB158_72
; %bb.70:
	v_mov_b64_e32 v[28:29], s[2:3]
	s_branch .LBB158_73
.LBB158_71:
                                        ; implicit-def: $sgpr2_sgpr3
	v_lshl_add_u64 v[26:27], v[26:27], 3, s[8:9]
.LBB158_72:
	v_lshl_add_u64 v[32:33], v[26:27], 0, v[12:13]
	flat_load_dwordx2 v[32:33], v[32:33]
	v_lshl_add_u64 v[34:35], v[24:25], 0, v[12:13]
	s_waitcnt vmcnt(0) lgkmcnt(0)
	v_mul_f64 v[32:33], v[32:33], s[10:11]
	v_cvt_f32_f64_e32 v29, v[32:33]
	v_min_f32_e32 v28, v29, v28
	v_cvt_f64_f32_e32 v[28:29], v28
	global_store_dwordx2 v[34:35], v[28:29], off
	v_lshl_add_u64 v[28:29], v[0:1], 3, v[26:27]
	flat_load_dwordx2 v[28:29], v[28:29]
	s_waitcnt vmcnt(0) lgkmcnt(0)
	v_mul_f64 v[28:29], v[28:29], s[10:11]
.LBB158_73:
	v_cvt_f32_f64_e32 v28, v[28:29]
	v_max_f32_e32 v29, v132, v132
	v_min_f32_e32 v28, v28, v29
	v_cvt_f64_f32_e32 v[28:29], v28
	v_lshl_add_u64 v[32:33], v[0:1], 3, v[24:25]
	global_store_dwordx2 v[32:33], v[28:29], off
	v_max_f32_e32 v28, v131, v131
	s_mov_b64 vcc, s[6:7]
	s_cbranch_vccz .LBB158_76
; %bb.74:
	v_min_f32_e32 v29, 0, v28
	v_cvt_f64_f32_e32 v[32:33], v29
	v_lshl_add_u64 v[34:35], v[10:11], 3, v[24:25]
	global_store_dwordx2 v[34:35], v[32:33], off
	s_mov_b64 s[2:3], 0
	s_cbranch_execz .LBB158_77
; %bb.75:
	v_mov_b64_e32 v[28:29], s[2:3]
	s_branch .LBB158_78
.LBB158_76:
                                        ; implicit-def: $sgpr2_sgpr3
.LBB158_77:
	v_lshl_add_u64 v[32:33], v[26:27], 0, v[16:17]
	flat_load_dwordx2 v[32:33], v[32:33]
	v_lshl_add_u64 v[34:35], v[24:25], 0, v[16:17]
	s_waitcnt vmcnt(0) lgkmcnt(0)
	v_mul_f64 v[32:33], v[32:33], s[10:11]
	v_cvt_f32_f64_e32 v29, v[32:33]
	v_min_f32_e32 v28, v29, v28
	v_cvt_f64_f32_e32 v[28:29], v28
	global_store_dwordx2 v[34:35], v[28:29], off
	v_lshl_add_u64 v[28:29], v[2:3], 3, v[26:27]
	flat_load_dwordx2 v[28:29], v[28:29]
	s_waitcnt vmcnt(0) lgkmcnt(0)
	v_mul_f64 v[28:29], v[28:29], s[10:11]
.LBB158_78:
	v_cvt_f32_f64_e32 v28, v[28:29]
	v_max_f32_e32 v29, v130, v130
	v_min_f32_e32 v28, v28, v29
	v_cvt_f64_f32_e32 v[28:29], v28
	v_lshl_add_u64 v[32:33], v[2:3], 3, v[24:25]
	global_store_dwordx2 v[32:33], v[28:29], off
	v_max_f32_e32 v28, v129, v129
	s_mov_b64 vcc, s[6:7]
	s_cbranch_vccz .LBB158_81
; %bb.79:
	v_min_f32_e32 v29, 0, v28
	v_cvt_f64_f32_e32 v[32:33], v29
	v_lshl_add_u64 v[34:35], v[14:15], 3, v[24:25]
	global_store_dwordx2 v[34:35], v[32:33], off
	s_mov_b64 s[2:3], 0
	s_cbranch_execz .LBB158_82
; %bb.80:
	v_mov_b64_e32 v[28:29], s[2:3]
	s_branch .LBB158_83
.LBB158_81:
                                        ; implicit-def: $sgpr2_sgpr3
.LBB158_82:
	v_lshl_add_u64 v[32:33], v[26:27], 0, v[20:21]
	flat_load_dwordx2 v[32:33], v[32:33]
	v_lshl_add_u64 v[34:35], v[24:25], 0, v[20:21]
	s_waitcnt vmcnt(0) lgkmcnt(0)
	v_mul_f64 v[32:33], v[32:33], s[10:11]
	v_cvt_f32_f64_e32 v29, v[32:33]
	v_min_f32_e32 v28, v29, v28
	v_cvt_f64_f32_e32 v[28:29], v28
	global_store_dwordx2 v[34:35], v[28:29], off
	v_lshl_add_u64 v[28:29], v[4:5], 3, v[26:27]
	flat_load_dwordx2 v[28:29], v[28:29]
	s_waitcnt vmcnt(0) lgkmcnt(0)
	v_mul_f64 v[28:29], v[28:29], s[10:11]
.LBB158_83:
	v_cvt_f32_f64_e32 v28, v[28:29]
	v_max_f32_e32 v29, v128, v128
	v_min_f32_e32 v28, v28, v29
	v_cvt_f64_f32_e32 v[28:29], v28
	v_lshl_add_u64 v[32:33], v[4:5], 3, v[24:25]
	global_store_dwordx2 v[32:33], v[28:29], off
	v_max_f32_e32 v28, v127, v127
	s_mov_b64 vcc, s[6:7]
	s_cbranch_vccz .LBB158_86
; %bb.84:
	v_min_f32_e32 v29, 0, v28
	v_cvt_f64_f32_e32 v[32:33], v29
	v_lshl_add_u64 v[34:35], v[18:19], 3, v[24:25]
	global_store_dwordx2 v[34:35], v[32:33], off
	s_mov_b64 s[2:3], 0
	s_cbranch_execz .LBB158_87
; %bb.85:
	v_mov_b64_e32 v[26:27], s[2:3]
	s_branch .LBB158_88
.LBB158_86:
                                        ; implicit-def: $sgpr2_sgpr3
.LBB158_87:
	v_lshl_add_u64 v[32:33], v[26:27], 0, v[22:23]
	flat_load_dwordx2 v[32:33], v[32:33]
	v_lshl_add_u64 v[34:35], v[24:25], 0, v[22:23]
	v_lshl_add_u64 v[26:27], v[6:7], 3, v[26:27]
	s_waitcnt vmcnt(0) lgkmcnt(0)
	v_mul_f64 v[32:33], v[32:33], s[10:11]
	v_cvt_f32_f64_e32 v29, v[32:33]
	v_min_f32_e32 v28, v29, v28
	v_cvt_f64_f32_e32 v[28:29], v28
	global_store_dwordx2 v[34:35], v[28:29], off
	flat_load_dwordx2 v[26:27], v[26:27]
	s_waitcnt vmcnt(0) lgkmcnt(0)
	v_mul_f64 v[26:27], v[26:27], s[10:11]
.LBB158_88:
	v_cvt_f32_f64_e32 v26, v[26:27]
	v_max_f32_e32 v27, v126, v126
	v_min_f32_e32 v26, v26, v27
	v_cvt_f64_f32_e32 v[26:27], v26
	v_lshl_add_u64 v[24:25], v[6:7], 3, v[24:25]
	global_store_dwordx2 v[24:25], v[26:27], off
	v_add_u32_e32 v26, 16, v30
	v_mad_i64_i32 v[24:25], s[2:3], v26, s13, 0
	v_lshl_add_u64 v[24:25], v[24:25], 3, s[0:1]
	v_mad_i64_i32 v[26:27], s[2:3], v26, s12, 0
	v_max_f32_e32 v28, v125, v125
	s_mov_b64 vcc, s[6:7]
	s_cbranch_vccz .LBB158_91
; %bb.89:
	v_min_f32_e32 v29, 0, v28
	v_cvt_f64_f32_e32 v[32:33], v29
	v_lshl_add_u64 v[34:35], v[8:9], 3, v[24:25]
	global_store_dwordx2 v[34:35], v[32:33], off
	s_mov_b64 s[2:3], 0
	v_lshl_add_u64 v[26:27], v[26:27], 3, s[8:9]
	s_cbranch_execz .LBB158_92
; %bb.90:
	v_mov_b64_e32 v[28:29], s[2:3]
	s_branch .LBB158_93
.LBB158_91:
                                        ; implicit-def: $sgpr2_sgpr3
	v_lshl_add_u64 v[26:27], v[26:27], 3, s[8:9]
.LBB158_92:
	v_lshl_add_u64 v[32:33], v[26:27], 0, v[12:13]
	flat_load_dwordx2 v[32:33], v[32:33]
	v_lshl_add_u64 v[34:35], v[24:25], 0, v[12:13]
	s_waitcnt vmcnt(0) lgkmcnt(0)
	v_mul_f64 v[32:33], v[32:33], s[10:11]
	v_cvt_f32_f64_e32 v29, v[32:33]
	v_min_f32_e32 v28, v29, v28
	v_cvt_f64_f32_e32 v[28:29], v28
	global_store_dwordx2 v[34:35], v[28:29], off
	v_lshl_add_u64 v[28:29], v[0:1], 3, v[26:27]
	flat_load_dwordx2 v[28:29], v[28:29]
	s_waitcnt vmcnt(0) lgkmcnt(0)
	v_mul_f64 v[28:29], v[28:29], s[10:11]
.LBB158_93:
	v_cvt_f32_f64_e32 v28, v[28:29]
	v_max_f32_e32 v29, v124, v124
	v_min_f32_e32 v28, v28, v29
	v_cvt_f64_f32_e32 v[28:29], v28
	v_lshl_add_u64 v[32:33], v[0:1], 3, v[24:25]
	global_store_dwordx2 v[32:33], v[28:29], off
	v_max_f32_e32 v28, v123, v123
	s_mov_b64 vcc, s[6:7]
	s_cbranch_vccz .LBB158_96
; %bb.94:
	v_min_f32_e32 v29, 0, v28
	v_cvt_f64_f32_e32 v[32:33], v29
	v_lshl_add_u64 v[34:35], v[10:11], 3, v[24:25]
	global_store_dwordx2 v[34:35], v[32:33], off
	s_mov_b64 s[2:3], 0
	s_cbranch_execz .LBB158_97
; %bb.95:
	v_mov_b64_e32 v[28:29], s[2:3]
	s_branch .LBB158_98
.LBB158_96:
                                        ; implicit-def: $sgpr2_sgpr3
.LBB158_97:
	v_lshl_add_u64 v[32:33], v[26:27], 0, v[16:17]
	flat_load_dwordx2 v[32:33], v[32:33]
	v_lshl_add_u64 v[34:35], v[24:25], 0, v[16:17]
	s_waitcnt vmcnt(0) lgkmcnt(0)
	v_mul_f64 v[32:33], v[32:33], s[10:11]
	v_cvt_f32_f64_e32 v29, v[32:33]
	v_min_f32_e32 v28, v29, v28
	v_cvt_f64_f32_e32 v[28:29], v28
	global_store_dwordx2 v[34:35], v[28:29], off
	v_lshl_add_u64 v[28:29], v[2:3], 3, v[26:27]
	flat_load_dwordx2 v[28:29], v[28:29]
	s_waitcnt vmcnt(0) lgkmcnt(0)
	v_mul_f64 v[28:29], v[28:29], s[10:11]
.LBB158_98:
	v_cvt_f32_f64_e32 v28, v[28:29]
	v_max_f32_e32 v29, v122, v122
	v_min_f32_e32 v28, v28, v29
	v_cvt_f64_f32_e32 v[28:29], v28
	v_lshl_add_u64 v[32:33], v[2:3], 3, v[24:25]
	global_store_dwordx2 v[32:33], v[28:29], off
	v_max_f32_e32 v28, v121, v121
	s_mov_b64 vcc, s[6:7]
	s_cbranch_vccz .LBB158_101
; %bb.99:
	v_min_f32_e32 v29, 0, v28
	v_cvt_f64_f32_e32 v[32:33], v29
	v_lshl_add_u64 v[34:35], v[14:15], 3, v[24:25]
	global_store_dwordx2 v[34:35], v[32:33], off
	s_mov_b64 s[2:3], 0
	s_cbranch_execz .LBB158_102
; %bb.100:
	v_mov_b64_e32 v[28:29], s[2:3]
	s_branch .LBB158_103
.LBB158_101:
                                        ; implicit-def: $sgpr2_sgpr3
.LBB158_102:
	v_lshl_add_u64 v[32:33], v[26:27], 0, v[20:21]
	flat_load_dwordx2 v[32:33], v[32:33]
	v_lshl_add_u64 v[34:35], v[24:25], 0, v[20:21]
	s_waitcnt vmcnt(0) lgkmcnt(0)
	v_mul_f64 v[32:33], v[32:33], s[10:11]
	v_cvt_f32_f64_e32 v29, v[32:33]
	v_min_f32_e32 v28, v29, v28
	v_cvt_f64_f32_e32 v[28:29], v28
	global_store_dwordx2 v[34:35], v[28:29], off
	v_lshl_add_u64 v[28:29], v[4:5], 3, v[26:27]
	flat_load_dwordx2 v[28:29], v[28:29]
	s_waitcnt vmcnt(0) lgkmcnt(0)
	v_mul_f64 v[28:29], v[28:29], s[10:11]
.LBB158_103:
	v_cvt_f32_f64_e32 v28, v[28:29]
	v_max_f32_e32 v29, v120, v120
	v_min_f32_e32 v28, v28, v29
	v_cvt_f64_f32_e32 v[28:29], v28
	v_lshl_add_u64 v[32:33], v[4:5], 3, v[24:25]
	global_store_dwordx2 v[32:33], v[28:29], off
	v_max_f32_e32 v28, v119, v119
	s_mov_b64 vcc, s[6:7]
	s_cbranch_vccz .LBB158_106
; %bb.104:
	v_min_f32_e32 v29, 0, v28
	v_cvt_f64_f32_e32 v[32:33], v29
	v_lshl_add_u64 v[34:35], v[18:19], 3, v[24:25]
	global_store_dwordx2 v[34:35], v[32:33], off
	s_mov_b64 s[2:3], 0
	s_cbranch_execz .LBB158_107
; %bb.105:
	v_mov_b64_e32 v[26:27], s[2:3]
	s_branch .LBB158_108
.LBB158_106:
                                        ; implicit-def: $sgpr2_sgpr3
.LBB158_107:
	v_lshl_add_u64 v[32:33], v[26:27], 0, v[22:23]
	flat_load_dwordx2 v[32:33], v[32:33]
	v_lshl_add_u64 v[34:35], v[24:25], 0, v[22:23]
	v_lshl_add_u64 v[26:27], v[6:7], 3, v[26:27]
	s_waitcnt vmcnt(0) lgkmcnt(0)
	v_mul_f64 v[32:33], v[32:33], s[10:11]
	v_cvt_f32_f64_e32 v29, v[32:33]
	v_min_f32_e32 v28, v29, v28
	v_cvt_f64_f32_e32 v[28:29], v28
	global_store_dwordx2 v[34:35], v[28:29], off
	flat_load_dwordx2 v[26:27], v[26:27]
	s_waitcnt vmcnt(0) lgkmcnt(0)
	v_mul_f64 v[26:27], v[26:27], s[10:11]
.LBB158_108:
	v_cvt_f32_f64_e32 v26, v[26:27]
	v_max_f32_e32 v27, v118, v118
	v_min_f32_e32 v26, v26, v27
	v_cvt_f64_f32_e32 v[26:27], v26
	v_lshl_add_u64 v[24:25], v[6:7], 3, v[24:25]
	global_store_dwordx2 v[24:25], v[26:27], off
	v_add_u32_e32 v26, 24, v30
	v_mad_i64_i32 v[24:25], s[2:3], v26, s13, 0
	v_lshl_add_u64 v[24:25], v[24:25], 3, s[0:1]
	v_mad_i64_i32 v[26:27], s[2:3], v26, s12, 0
	v_max_f32_e32 v28, v117, v117
	s_mov_b64 vcc, s[6:7]
	s_cbranch_vccz .LBB158_111
; %bb.109:
	v_min_f32_e32 v29, 0, v28
	v_cvt_f64_f32_e32 v[32:33], v29
	v_lshl_add_u64 v[34:35], v[8:9], 3, v[24:25]
	global_store_dwordx2 v[34:35], v[32:33], off
	s_mov_b64 s[2:3], 0
	v_lshl_add_u64 v[26:27], v[26:27], 3, s[8:9]
	s_cbranch_execz .LBB158_112
; %bb.110:
	v_mov_b64_e32 v[28:29], s[2:3]
	s_branch .LBB158_113
.LBB158_111:
                                        ; implicit-def: $sgpr2_sgpr3
	v_lshl_add_u64 v[26:27], v[26:27], 3, s[8:9]
.LBB158_112:
	v_lshl_add_u64 v[32:33], v[26:27], 0, v[12:13]
	flat_load_dwordx2 v[32:33], v[32:33]
	v_lshl_add_u64 v[34:35], v[24:25], 0, v[12:13]
	s_waitcnt vmcnt(0) lgkmcnt(0)
	v_mul_f64 v[32:33], v[32:33], s[10:11]
	v_cvt_f32_f64_e32 v29, v[32:33]
	v_min_f32_e32 v28, v29, v28
	v_cvt_f64_f32_e32 v[28:29], v28
	global_store_dwordx2 v[34:35], v[28:29], off
	v_lshl_add_u64 v[28:29], v[0:1], 3, v[26:27]
	flat_load_dwordx2 v[28:29], v[28:29]
	s_waitcnt vmcnt(0) lgkmcnt(0)
	v_mul_f64 v[28:29], v[28:29], s[10:11]
.LBB158_113:
	v_cvt_f32_f64_e32 v28, v[28:29]
	v_max_f32_e32 v29, v116, v116
	v_min_f32_e32 v28, v28, v29
	v_cvt_f64_f32_e32 v[28:29], v28
	v_lshl_add_u64 v[32:33], v[0:1], 3, v[24:25]
	global_store_dwordx2 v[32:33], v[28:29], off
	v_max_f32_e32 v28, v115, v115
	s_mov_b64 vcc, s[6:7]
	s_cbranch_vccz .LBB158_116
; %bb.114:
	v_min_f32_e32 v29, 0, v28
	v_cvt_f64_f32_e32 v[32:33], v29
	v_lshl_add_u64 v[34:35], v[10:11], 3, v[24:25]
	global_store_dwordx2 v[34:35], v[32:33], off
	s_mov_b64 s[2:3], 0
	s_cbranch_execz .LBB158_117
; %bb.115:
	v_mov_b64_e32 v[28:29], s[2:3]
	s_branch .LBB158_118
.LBB158_116:
                                        ; implicit-def: $sgpr2_sgpr3
.LBB158_117:
	v_lshl_add_u64 v[32:33], v[26:27], 0, v[16:17]
	flat_load_dwordx2 v[32:33], v[32:33]
	v_lshl_add_u64 v[34:35], v[24:25], 0, v[16:17]
	s_waitcnt vmcnt(0) lgkmcnt(0)
	v_mul_f64 v[32:33], v[32:33], s[10:11]
	v_cvt_f32_f64_e32 v29, v[32:33]
	v_min_f32_e32 v28, v29, v28
	v_cvt_f64_f32_e32 v[28:29], v28
	global_store_dwordx2 v[34:35], v[28:29], off
	v_lshl_add_u64 v[28:29], v[2:3], 3, v[26:27]
	flat_load_dwordx2 v[28:29], v[28:29]
	s_waitcnt vmcnt(0) lgkmcnt(0)
	v_mul_f64 v[28:29], v[28:29], s[10:11]
.LBB158_118:
	v_cvt_f32_f64_e32 v28, v[28:29]
	v_max_f32_e32 v29, v114, v114
	v_min_f32_e32 v28, v28, v29
	v_cvt_f64_f32_e32 v[28:29], v28
	v_lshl_add_u64 v[32:33], v[2:3], 3, v[24:25]
	global_store_dwordx2 v[32:33], v[28:29], off
	v_max_f32_e32 v28, v113, v113
	s_mov_b64 vcc, s[6:7]
	s_cbranch_vccz .LBB158_121
; %bb.119:
	v_min_f32_e32 v29, 0, v28
	v_cvt_f64_f32_e32 v[32:33], v29
	v_lshl_add_u64 v[34:35], v[14:15], 3, v[24:25]
	global_store_dwordx2 v[34:35], v[32:33], off
	s_mov_b64 s[2:3], 0
	s_cbranch_execz .LBB158_122
; %bb.120:
	v_mov_b64_e32 v[28:29], s[2:3]
	s_branch .LBB158_123
.LBB158_121:
                                        ; implicit-def: $sgpr2_sgpr3
.LBB158_122:
	v_lshl_add_u64 v[32:33], v[26:27], 0, v[20:21]
	flat_load_dwordx2 v[32:33], v[32:33]
	v_lshl_add_u64 v[34:35], v[24:25], 0, v[20:21]
	s_waitcnt vmcnt(0) lgkmcnt(0)
	v_mul_f64 v[32:33], v[32:33], s[10:11]
	v_cvt_f32_f64_e32 v29, v[32:33]
	v_min_f32_e32 v28, v29, v28
	v_cvt_f64_f32_e32 v[28:29], v28
	global_store_dwordx2 v[34:35], v[28:29], off
	v_lshl_add_u64 v[28:29], v[4:5], 3, v[26:27]
	flat_load_dwordx2 v[28:29], v[28:29]
	s_waitcnt vmcnt(0) lgkmcnt(0)
	v_mul_f64 v[28:29], v[28:29], s[10:11]
.LBB158_123:
	v_cvt_f32_f64_e32 v28, v[28:29]
	v_max_f32_e32 v29, v112, v112
	v_min_f32_e32 v28, v28, v29
	v_cvt_f64_f32_e32 v[28:29], v28
	v_lshl_add_u64 v[32:33], v[4:5], 3, v[24:25]
	global_store_dwordx2 v[32:33], v[28:29], off
	v_max_f32_e32 v28, v111, v111
	s_mov_b64 vcc, s[6:7]
	s_cbranch_vccz .LBB158_126
; %bb.124:
	v_min_f32_e32 v29, 0, v28
	v_cvt_f64_f32_e32 v[32:33], v29
	v_lshl_add_u64 v[34:35], v[18:19], 3, v[24:25]
	global_store_dwordx2 v[34:35], v[32:33], off
	s_mov_b64 s[2:3], 0
	s_cbranch_execz .LBB158_127
; %bb.125:
	v_mov_b64_e32 v[26:27], s[2:3]
	s_branch .LBB158_128
.LBB158_126:
                                        ; implicit-def: $sgpr2_sgpr3
.LBB158_127:
	v_lshl_add_u64 v[32:33], v[26:27], 0, v[22:23]
	flat_load_dwordx2 v[32:33], v[32:33]
	v_lshl_add_u64 v[34:35], v[24:25], 0, v[22:23]
	v_lshl_add_u64 v[26:27], v[6:7], 3, v[26:27]
	s_waitcnt vmcnt(0) lgkmcnt(0)
	v_mul_f64 v[32:33], v[32:33], s[10:11]
	v_cvt_f32_f64_e32 v29, v[32:33]
	v_min_f32_e32 v28, v29, v28
	v_cvt_f64_f32_e32 v[28:29], v28
	global_store_dwordx2 v[34:35], v[28:29], off
	flat_load_dwordx2 v[26:27], v[26:27]
	s_waitcnt vmcnt(0) lgkmcnt(0)
	v_mul_f64 v[26:27], v[26:27], s[10:11]
.LBB158_128:
	v_cvt_f32_f64_e32 v26, v[26:27]
	v_max_f32_e32 v27, v110, v110
	v_min_f32_e32 v26, v26, v27
	v_cvt_f64_f32_e32 v[26:27], v26
	v_lshl_add_u64 v[24:25], v[6:7], 3, v[24:25]
	global_store_dwordx2 v[24:25], v[26:27], off
	v_add_u32_e32 v26, 32, v30
	v_mad_i64_i32 v[24:25], s[2:3], v26, s13, 0
	v_lshl_add_u64 v[24:25], v[24:25], 3, s[0:1]
	v_mad_i64_i32 v[26:27], s[2:3], v26, s12, 0
	v_max_f32_e32 v28, v109, v109
	s_mov_b64 vcc, s[6:7]
	s_cbranch_vccz .LBB158_131
; %bb.129:
	v_min_f32_e32 v29, 0, v28
	v_cvt_f64_f32_e32 v[32:33], v29
	v_lshl_add_u64 v[34:35], v[8:9], 3, v[24:25]
	global_store_dwordx2 v[34:35], v[32:33], off
	s_mov_b64 s[2:3], 0
	v_lshl_add_u64 v[26:27], v[26:27], 3, s[8:9]
	s_cbranch_execz .LBB158_132
; %bb.130:
	v_mov_b64_e32 v[28:29], s[2:3]
	s_branch .LBB158_133
.LBB158_131:
                                        ; implicit-def: $sgpr2_sgpr3
	v_lshl_add_u64 v[26:27], v[26:27], 3, s[8:9]
.LBB158_132:
	v_lshl_add_u64 v[32:33], v[26:27], 0, v[12:13]
	flat_load_dwordx2 v[32:33], v[32:33]
	v_lshl_add_u64 v[34:35], v[24:25], 0, v[12:13]
	s_waitcnt vmcnt(0) lgkmcnt(0)
	v_mul_f64 v[32:33], v[32:33], s[10:11]
	v_cvt_f32_f64_e32 v29, v[32:33]
	v_min_f32_e32 v28, v29, v28
	v_cvt_f64_f32_e32 v[28:29], v28
	global_store_dwordx2 v[34:35], v[28:29], off
	v_lshl_add_u64 v[28:29], v[0:1], 3, v[26:27]
	flat_load_dwordx2 v[28:29], v[28:29]
	s_waitcnt vmcnt(0) lgkmcnt(0)
	v_mul_f64 v[28:29], v[28:29], s[10:11]
.LBB158_133:
	v_cvt_f32_f64_e32 v28, v[28:29]
	v_max_f32_e32 v29, v108, v108
	v_min_f32_e32 v28, v28, v29
	v_cvt_f64_f32_e32 v[28:29], v28
	v_lshl_add_u64 v[32:33], v[0:1], 3, v[24:25]
	global_store_dwordx2 v[32:33], v[28:29], off
	v_max_f32_e32 v28, v107, v107
	s_mov_b64 vcc, s[6:7]
	s_cbranch_vccz .LBB158_136
; %bb.134:
	v_min_f32_e32 v29, 0, v28
	v_cvt_f64_f32_e32 v[32:33], v29
	v_lshl_add_u64 v[34:35], v[10:11], 3, v[24:25]
	global_store_dwordx2 v[34:35], v[32:33], off
	s_mov_b64 s[2:3], 0
	s_cbranch_execz .LBB158_137
; %bb.135:
	v_mov_b64_e32 v[28:29], s[2:3]
	s_branch .LBB158_138
.LBB158_136:
                                        ; implicit-def: $sgpr2_sgpr3
.LBB158_137:
	v_lshl_add_u64 v[32:33], v[26:27], 0, v[16:17]
	flat_load_dwordx2 v[32:33], v[32:33]
	v_lshl_add_u64 v[34:35], v[24:25], 0, v[16:17]
	s_waitcnt vmcnt(0) lgkmcnt(0)
	v_mul_f64 v[32:33], v[32:33], s[10:11]
	v_cvt_f32_f64_e32 v29, v[32:33]
	v_min_f32_e32 v28, v29, v28
	v_cvt_f64_f32_e32 v[28:29], v28
	global_store_dwordx2 v[34:35], v[28:29], off
	v_lshl_add_u64 v[28:29], v[2:3], 3, v[26:27]
	flat_load_dwordx2 v[28:29], v[28:29]
	s_waitcnt vmcnt(0) lgkmcnt(0)
	v_mul_f64 v[28:29], v[28:29], s[10:11]
.LBB158_138:
	v_cvt_f32_f64_e32 v28, v[28:29]
	v_max_f32_e32 v29, v106, v106
	v_min_f32_e32 v28, v28, v29
	v_cvt_f64_f32_e32 v[28:29], v28
	v_lshl_add_u64 v[32:33], v[2:3], 3, v[24:25]
	global_store_dwordx2 v[32:33], v[28:29], off
	v_max_f32_e32 v28, v105, v105
	s_mov_b64 vcc, s[6:7]
	s_cbranch_vccz .LBB158_141
; %bb.139:
	v_min_f32_e32 v29, 0, v28
	v_cvt_f64_f32_e32 v[32:33], v29
	v_lshl_add_u64 v[34:35], v[14:15], 3, v[24:25]
	global_store_dwordx2 v[34:35], v[32:33], off
	s_mov_b64 s[2:3], 0
	s_cbranch_execz .LBB158_142
; %bb.140:
	v_mov_b64_e32 v[28:29], s[2:3]
	s_branch .LBB158_143
.LBB158_141:
                                        ; implicit-def: $sgpr2_sgpr3
.LBB158_142:
	v_lshl_add_u64 v[32:33], v[26:27], 0, v[20:21]
	flat_load_dwordx2 v[32:33], v[32:33]
	v_lshl_add_u64 v[34:35], v[24:25], 0, v[20:21]
	s_waitcnt vmcnt(0) lgkmcnt(0)
	v_mul_f64 v[32:33], v[32:33], s[10:11]
	v_cvt_f32_f64_e32 v29, v[32:33]
	v_min_f32_e32 v28, v29, v28
	v_cvt_f64_f32_e32 v[28:29], v28
	global_store_dwordx2 v[34:35], v[28:29], off
	v_lshl_add_u64 v[28:29], v[4:5], 3, v[26:27]
	flat_load_dwordx2 v[28:29], v[28:29]
	s_waitcnt vmcnt(0) lgkmcnt(0)
	v_mul_f64 v[28:29], v[28:29], s[10:11]
.LBB158_143:
	v_cvt_f32_f64_e32 v28, v[28:29]
	v_max_f32_e32 v29, v104, v104
	v_min_f32_e32 v28, v28, v29
	v_cvt_f64_f32_e32 v[28:29], v28
	v_lshl_add_u64 v[32:33], v[4:5], 3, v[24:25]
	global_store_dwordx2 v[32:33], v[28:29], off
	v_max_f32_e32 v28, v103, v103
	s_mov_b64 vcc, s[6:7]
	s_cbranch_vccz .LBB158_146
; %bb.144:
	v_min_f32_e32 v29, 0, v28
	v_cvt_f64_f32_e32 v[32:33], v29
	v_lshl_add_u64 v[34:35], v[18:19], 3, v[24:25]
	global_store_dwordx2 v[34:35], v[32:33], off
	s_mov_b64 s[2:3], 0
	s_cbranch_execz .LBB158_147
; %bb.145:
	v_mov_b64_e32 v[26:27], s[2:3]
	s_branch .LBB158_148
.LBB158_146:
                                        ; implicit-def: $sgpr2_sgpr3
.LBB158_147:
	v_lshl_add_u64 v[32:33], v[26:27], 0, v[22:23]
	flat_load_dwordx2 v[32:33], v[32:33]
	v_lshl_add_u64 v[34:35], v[24:25], 0, v[22:23]
	v_lshl_add_u64 v[26:27], v[6:7], 3, v[26:27]
	s_waitcnt vmcnt(0) lgkmcnt(0)
	v_mul_f64 v[32:33], v[32:33], s[10:11]
	v_cvt_f32_f64_e32 v29, v[32:33]
	v_min_f32_e32 v28, v29, v28
	v_cvt_f64_f32_e32 v[28:29], v28
	global_store_dwordx2 v[34:35], v[28:29], off
	flat_load_dwordx2 v[26:27], v[26:27]
	s_waitcnt vmcnt(0) lgkmcnt(0)
	v_mul_f64 v[26:27], v[26:27], s[10:11]
.LBB158_148:
	v_cvt_f32_f64_e32 v26, v[26:27]
	v_max_f32_e32 v27, v102, v102
	v_min_f32_e32 v26, v26, v27
	v_cvt_f64_f32_e32 v[26:27], v26
	v_lshl_add_u64 v[24:25], v[6:7], 3, v[24:25]
	global_store_dwordx2 v[24:25], v[26:27], off
	v_add_u32_e32 v26, 40, v30
	v_mad_i64_i32 v[24:25], s[2:3], v26, s13, 0
	v_lshl_add_u64 v[24:25], v[24:25], 3, s[0:1]
	v_mad_i64_i32 v[26:27], s[2:3], v26, s12, 0
	v_max_f32_e32 v28, v101, v101
	s_mov_b64 vcc, s[6:7]
	s_cbranch_vccz .LBB158_151
; %bb.149:
	v_min_f32_e32 v29, 0, v28
	v_cvt_f64_f32_e32 v[32:33], v29
	v_lshl_add_u64 v[34:35], v[8:9], 3, v[24:25]
	global_store_dwordx2 v[34:35], v[32:33], off
	s_mov_b64 s[2:3], 0
	v_lshl_add_u64 v[26:27], v[26:27], 3, s[8:9]
	s_cbranch_execz .LBB158_152
; %bb.150:
	v_mov_b64_e32 v[28:29], s[2:3]
	s_branch .LBB158_153
.LBB158_151:
                                        ; implicit-def: $sgpr2_sgpr3
	v_lshl_add_u64 v[26:27], v[26:27], 3, s[8:9]
.LBB158_152:
	v_lshl_add_u64 v[32:33], v[26:27], 0, v[12:13]
	flat_load_dwordx2 v[32:33], v[32:33]
	v_lshl_add_u64 v[34:35], v[24:25], 0, v[12:13]
	s_waitcnt vmcnt(0) lgkmcnt(0)
	v_mul_f64 v[32:33], v[32:33], s[10:11]
	v_cvt_f32_f64_e32 v29, v[32:33]
	v_min_f32_e32 v28, v29, v28
	v_cvt_f64_f32_e32 v[28:29], v28
	global_store_dwordx2 v[34:35], v[28:29], off
	v_lshl_add_u64 v[28:29], v[0:1], 3, v[26:27]
	flat_load_dwordx2 v[28:29], v[28:29]
	s_waitcnt vmcnt(0) lgkmcnt(0)
	v_mul_f64 v[28:29], v[28:29], s[10:11]
.LBB158_153:
	v_cvt_f32_f64_e32 v28, v[28:29]
	v_max_f32_e32 v29, v100, v100
	v_min_f32_e32 v28, v28, v29
	v_cvt_f64_f32_e32 v[28:29], v28
	v_lshl_add_u64 v[32:33], v[0:1], 3, v[24:25]
	global_store_dwordx2 v[32:33], v[28:29], off
	v_max_f32_e32 v28, v99, v99
	s_mov_b64 vcc, s[6:7]
	s_cbranch_vccz .LBB158_156
; %bb.154:
	v_min_f32_e32 v29, 0, v28
	v_cvt_f64_f32_e32 v[32:33], v29
	v_lshl_add_u64 v[34:35], v[10:11], 3, v[24:25]
	s_mov_b32 s4, 0
	global_store_dwordx2 v[34:35], v[32:33], off
	s_cbranch_execz .LBB158_157
; %bb.155:
	v_mov_b32_e32 v28, s4
	s_branch .LBB158_158
.LBB158_156:
                                        ; implicit-def: $sgpr4
.LBB158_157:
	v_lshl_add_u64 v[32:33], v[26:27], 0, v[16:17]
	flat_load_dwordx2 v[32:33], v[32:33]
	v_lshl_add_u64 v[34:35], v[24:25], 0, v[16:17]
	s_waitcnt vmcnt(0) lgkmcnt(0)
	v_mul_f64 v[32:33], v[32:33], s[10:11]
	v_cvt_f32_f64_e32 v29, v[32:33]
	v_min_f32_e32 v28, v29, v28
	v_cvt_f64_f32_e32 v[28:29], v28
	global_store_dwordx2 v[34:35], v[28:29], off
	v_lshl_add_u64 v[28:29], v[2:3], 3, v[26:27]
	flat_load_dwordx2 v[28:29], v[28:29]
	s_waitcnt vmcnt(0) lgkmcnt(0)
	v_mul_f64 v[28:29], v[28:29], s[10:11]
	v_cvt_f32_f64_e32 v28, v[28:29]
.LBB158_158:
	v_max_f32_e32 v29, v98, v98
	v_max_f32_e32 v28, v28, v28
	v_min_f32_e32 v28, v28, v29
	v_cvt_f64_f32_e32 v[28:29], v28
	v_lshl_add_u64 v[32:33], v[2:3], 3, v[24:25]
	global_store_dwordx2 v[32:33], v[28:29], off
	v_max_f32_e32 v28, v97, v97
	s_mov_b64 vcc, s[6:7]
	s_cbranch_vccz .LBB158_161
; %bb.159:
	v_min_f32_e32 v29, 0, v28
	v_cvt_f64_f32_e32 v[32:33], v29
	v_lshl_add_u64 v[34:35], v[14:15], 3, v[24:25]
	s_mov_b32 s4, 0
	global_store_dwordx2 v[34:35], v[32:33], off
	s_cbranch_execz .LBB158_162
; %bb.160:
	v_mov_b32_e32 v28, s4
	s_branch .LBB158_163
.LBB158_161:
                                        ; implicit-def: $sgpr4
.LBB158_162:
	v_lshl_add_u64 v[32:33], v[26:27], 0, v[20:21]
	flat_load_dwordx2 v[32:33], v[32:33]
	v_lshl_add_u64 v[34:35], v[24:25], 0, v[20:21]
	s_waitcnt vmcnt(0) lgkmcnt(0)
	v_mul_f64 v[32:33], v[32:33], s[10:11]
	v_cvt_f32_f64_e32 v29, v[32:33]
	v_min_f32_e32 v28, v29, v28
	v_cvt_f64_f32_e32 v[28:29], v28
	global_store_dwordx2 v[34:35], v[28:29], off
	v_lshl_add_u64 v[28:29], v[4:5], 3, v[26:27]
	flat_load_dwordx2 v[28:29], v[28:29]
	s_waitcnt vmcnt(0) lgkmcnt(0)
	v_mul_f64 v[28:29], v[28:29], s[10:11]
	v_cvt_f32_f64_e32 v28, v[28:29]
.LBB158_163:
	v_max_f32_e32 v29, v96, v96
	v_max_f32_e32 v28, v28, v28
	v_min_f32_e32 v28, v28, v29
	v_cvt_f64_f32_e32 v[28:29], v28
	v_lshl_add_u64 v[32:33], v[4:5], 3, v[24:25]
	global_store_dwordx2 v[32:33], v[28:29], off
	v_max_f32_e32 v28, v95, v95
	s_mov_b64 vcc, s[6:7]
	s_cbranch_vccz .LBB158_166
; %bb.164:
	v_min_f32_e32 v29, 0, v28
	v_cvt_f64_f32_e32 v[32:33], v29
	v_lshl_add_u64 v[34:35], v[18:19], 3, v[24:25]
	s_mov_b32 s4, 0
	global_store_dwordx2 v[34:35], v[32:33], off
	s_cbranch_execz .LBB158_167
; %bb.165:
	v_mov_b32_e32 v26, s4
	s_branch .LBB158_168
.LBB158_166:
                                        ; implicit-def: $sgpr4
.LBB158_167:
	v_lshl_add_u64 v[32:33], v[26:27], 0, v[22:23]
	flat_load_dwordx2 v[32:33], v[32:33]
	v_lshl_add_u64 v[34:35], v[24:25], 0, v[22:23]
	v_lshl_add_u64 v[26:27], v[6:7], 3, v[26:27]
	s_waitcnt vmcnt(0) lgkmcnt(0)
	v_mul_f64 v[32:33], v[32:33], s[10:11]
	v_cvt_f32_f64_e32 v29, v[32:33]
	v_min_f32_e32 v28, v29, v28
	v_cvt_f64_f32_e32 v[28:29], v28
	global_store_dwordx2 v[34:35], v[28:29], off
	flat_load_dwordx2 v[26:27], v[26:27]
	s_waitcnt vmcnt(0) lgkmcnt(0)
	v_mul_f64 v[26:27], v[26:27], s[10:11]
	v_cvt_f32_f64_e32 v26, v[26:27]
.LBB158_168:
	v_max_f32_e32 v27, v94, v94
	v_max_f32_e32 v26, v26, v26
	v_min_f32_e32 v26, v26, v27
	v_cvt_f64_f32_e32 v[26:27], v26
	v_lshl_add_u64 v[24:25], v[6:7], 3, v[24:25]
	global_store_dwordx2 v[24:25], v[26:27], off
	v_add_u32_e32 v26, 48, v30
	v_mad_i64_i32 v[24:25], s[2:3], v26, s13, 0
	v_lshl_add_u64 v[24:25], v[24:25], 3, s[0:1]
	v_mad_i64_i32 v[26:27], s[2:3], v26, s12, 0
	v_max_f32_e32 v28, v93, v93
	s_mov_b64 vcc, s[6:7]
	s_cbranch_vccz .LBB158_171
; %bb.169:
	v_min_f32_e32 v29, 0, v28
	v_cvt_f64_f32_e32 v[32:33], v29
	v_lshl_add_u64 v[34:35], v[8:9], 3, v[24:25]
	s_mov_b32 s4, 0
	global_store_dwordx2 v[34:35], v[32:33], off
	v_lshl_add_u64 v[26:27], v[26:27], 3, s[8:9]
	s_cbranch_execz .LBB158_172
; %bb.170:
	v_mov_b32_e32 v28, s4
	s_branch .LBB158_173
.LBB158_171:
                                        ; implicit-def: $sgpr4
	v_lshl_add_u64 v[26:27], v[26:27], 3, s[8:9]
.LBB158_172:
	v_lshl_add_u64 v[32:33], v[26:27], 0, v[12:13]
	flat_load_dwordx2 v[32:33], v[32:33]
	v_lshl_add_u64 v[34:35], v[24:25], 0, v[12:13]
	s_waitcnt vmcnt(0) lgkmcnt(0)
	v_mul_f64 v[32:33], v[32:33], s[10:11]
	v_cvt_f32_f64_e32 v29, v[32:33]
	v_min_f32_e32 v28, v29, v28
	v_cvt_f64_f32_e32 v[28:29], v28
	global_store_dwordx2 v[34:35], v[28:29], off
	v_lshl_add_u64 v[28:29], v[0:1], 3, v[26:27]
	flat_load_dwordx2 v[28:29], v[28:29]
	s_waitcnt vmcnt(0) lgkmcnt(0)
	v_mul_f64 v[28:29], v[28:29], s[10:11]
	v_cvt_f32_f64_e32 v28, v[28:29]
.LBB158_173:
	v_max_f32_e32 v29, v92, v92
	v_max_f32_e32 v28, v28, v28
	v_min_f32_e32 v28, v28, v29
	v_cvt_f64_f32_e32 v[28:29], v28
	v_lshl_add_u64 v[32:33], v[0:1], 3, v[24:25]
	global_store_dwordx2 v[32:33], v[28:29], off
	v_max_f32_e32 v28, v91, v91
	s_mov_b64 vcc, s[6:7]
	s_cbranch_vccz .LBB158_176
; %bb.174:
	v_min_f32_e32 v29, 0, v28
	v_cvt_f64_f32_e32 v[32:33], v29
	v_lshl_add_u64 v[34:35], v[10:11], 3, v[24:25]
	s_mov_b32 s4, 0
	global_store_dwordx2 v[34:35], v[32:33], off
	s_cbranch_execz .LBB158_177
; %bb.175:
	v_mov_b32_e32 v28, s4
	s_branch .LBB158_178
.LBB158_176:
                                        ; implicit-def: $sgpr4
.LBB158_177:
	v_lshl_add_u64 v[32:33], v[26:27], 0, v[16:17]
	flat_load_dwordx2 v[32:33], v[32:33]
	v_lshl_add_u64 v[34:35], v[24:25], 0, v[16:17]
	s_waitcnt vmcnt(0) lgkmcnt(0)
	v_mul_f64 v[32:33], v[32:33], s[10:11]
	v_cvt_f32_f64_e32 v29, v[32:33]
	v_min_f32_e32 v28, v29, v28
	v_cvt_f64_f32_e32 v[28:29], v28
	global_store_dwordx2 v[34:35], v[28:29], off
	v_lshl_add_u64 v[28:29], v[2:3], 3, v[26:27]
	flat_load_dwordx2 v[28:29], v[28:29]
	s_waitcnt vmcnt(0) lgkmcnt(0)
	v_mul_f64 v[28:29], v[28:29], s[10:11]
	v_cvt_f32_f64_e32 v28, v[28:29]
.LBB158_178:
	v_max_f32_e32 v29, v90, v90
	v_max_f32_e32 v28, v28, v28
	v_min_f32_e32 v28, v28, v29
	v_cvt_f64_f32_e32 v[28:29], v28
	v_lshl_add_u64 v[32:33], v[2:3], 3, v[24:25]
	global_store_dwordx2 v[32:33], v[28:29], off
	v_max_f32_e32 v28, v89, v89
	s_mov_b64 vcc, s[6:7]
	s_cbranch_vccz .LBB158_181
; %bb.179:
	v_min_f32_e32 v29, 0, v28
	v_cvt_f64_f32_e32 v[32:33], v29
	v_lshl_add_u64 v[34:35], v[14:15], 3, v[24:25]
	s_mov_b32 s4, 0
	global_store_dwordx2 v[34:35], v[32:33], off
	s_cbranch_execz .LBB158_182
; %bb.180:
	v_mov_b32_e32 v28, s4
	s_branch .LBB158_183
.LBB158_181:
                                        ; implicit-def: $sgpr4
.LBB158_182:
	v_lshl_add_u64 v[32:33], v[26:27], 0, v[20:21]
	flat_load_dwordx2 v[32:33], v[32:33]
	v_lshl_add_u64 v[34:35], v[24:25], 0, v[20:21]
	s_waitcnt vmcnt(0) lgkmcnt(0)
	v_mul_f64 v[32:33], v[32:33], s[10:11]
	v_cvt_f32_f64_e32 v29, v[32:33]
	v_min_f32_e32 v28, v29, v28
	v_cvt_f64_f32_e32 v[28:29], v28
	global_store_dwordx2 v[34:35], v[28:29], off
	v_lshl_add_u64 v[28:29], v[4:5], 3, v[26:27]
	flat_load_dwordx2 v[28:29], v[28:29]
	s_waitcnt vmcnt(0) lgkmcnt(0)
	v_mul_f64 v[28:29], v[28:29], s[10:11]
	v_cvt_f32_f64_e32 v28, v[28:29]
.LBB158_183:
	v_max_f32_e32 v29, v88, v88
	v_max_f32_e32 v28, v28, v28
	v_min_f32_e32 v28, v28, v29
	v_cvt_f64_f32_e32 v[28:29], v28
	v_lshl_add_u64 v[32:33], v[4:5], 3, v[24:25]
	global_store_dwordx2 v[32:33], v[28:29], off
	v_max_f32_e32 v28, v87, v87
	s_mov_b64 vcc, s[6:7]
	s_cbranch_vccz .LBB158_186
; %bb.184:
	v_min_f32_e32 v29, 0, v28
	v_cvt_f64_f32_e32 v[32:33], v29
	v_lshl_add_u64 v[34:35], v[18:19], 3, v[24:25]
	s_mov_b32 s4, 0
	global_store_dwordx2 v[34:35], v[32:33], off
	s_cbranch_execz .LBB158_187
; %bb.185:
	v_mov_b32_e32 v26, s4
	s_branch .LBB158_188
.LBB158_186:
                                        ; implicit-def: $sgpr4
.LBB158_187:
	v_lshl_add_u64 v[32:33], v[26:27], 0, v[22:23]
	flat_load_dwordx2 v[32:33], v[32:33]
	v_lshl_add_u64 v[34:35], v[24:25], 0, v[22:23]
	v_lshl_add_u64 v[26:27], v[6:7], 3, v[26:27]
	s_waitcnt vmcnt(0) lgkmcnt(0)
	v_mul_f64 v[32:33], v[32:33], s[10:11]
	v_cvt_f32_f64_e32 v29, v[32:33]
	v_min_f32_e32 v28, v29, v28
	v_cvt_f64_f32_e32 v[28:29], v28
	global_store_dwordx2 v[34:35], v[28:29], off
	flat_load_dwordx2 v[26:27], v[26:27]
	s_waitcnt vmcnt(0) lgkmcnt(0)
	v_mul_f64 v[26:27], v[26:27], s[10:11]
	v_cvt_f32_f64_e32 v26, v[26:27]
.LBB158_188:
	v_max_f32_e32 v27, v86, v86
	v_max_f32_e32 v26, v26, v26
	v_min_f32_e32 v26, v26, v27
	v_cvt_f64_f32_e32 v[26:27], v26
	v_lshl_add_u64 v[24:25], v[6:7], 3, v[24:25]
	global_store_dwordx2 v[24:25], v[26:27], off
	v_add_u32_e32 v26, 56, v30
	v_mad_i64_i32 v[24:25], s[2:3], v26, s13, 0
	v_lshl_add_u64 v[24:25], v[24:25], 3, s[0:1]
	v_mad_i64_i32 v[26:27], s[0:1], v26, s12, 0
	v_max_f32_e32 v28, v85, v85
	s_mov_b64 vcc, s[6:7]
	s_cbranch_vccz .LBB158_191
; %bb.189:
	v_min_f32_e32 v29, 0, v28
	v_cvt_f64_f32_e32 v[30:31], v29
	v_lshl_add_u64 v[8:9], v[8:9], 3, v[24:25]
	s_mov_b32 s2, 0
	global_store_dwordx2 v[8:9], v[30:31], off
	v_lshl_add_u64 v[8:9], v[26:27], 3, s[8:9]
	s_cbranch_execz .LBB158_192
; %bb.190:
	v_mov_b32_e32 v12, s2
	s_branch .LBB158_193
.LBB158_191:
                                        ; implicit-def: $sgpr2
	v_lshl_add_u64 v[8:9], v[26:27], 3, s[8:9]
.LBB158_192:
	v_lshl_add_u64 v[26:27], v[8:9], 0, v[12:13]
	flat_load_dwordx2 v[26:27], v[26:27]
	v_lshl_add_u64 v[12:13], v[24:25], 0, v[12:13]
	s_waitcnt vmcnt(0) lgkmcnt(0)
	v_mul_f64 v[26:27], v[26:27], s[10:11]
	v_cvt_f32_f64_e32 v26, v[26:27]
	v_min_f32_e32 v26, v26, v28
	v_cvt_f64_f32_e32 v[26:27], v26
	global_store_dwordx2 v[12:13], v[26:27], off
	v_lshl_add_u64 v[12:13], v[0:1], 3, v[8:9]
	flat_load_dwordx2 v[12:13], v[12:13]
	s_waitcnt vmcnt(0) lgkmcnt(0)
	v_mul_f64 v[12:13], v[12:13], s[10:11]
	v_cvt_f32_f64_e32 v12, v[12:13]
.LBB158_193:
	v_max_f32_e32 v13, v84, v84
	v_max_f32_e32 v12, v12, v12
	v_min_f32_e32 v12, v12, v13
	v_cvt_f64_f32_e32 v[12:13], v12
	v_lshl_add_u64 v[0:1], v[0:1], 3, v[24:25]
	global_store_dwordx2 v[0:1], v[12:13], off
	v_max_f32_e32 v0, v83, v83
	s_mov_b64 vcc, s[6:7]
	s_cbranch_vccz .LBB158_196
; %bb.194:
	v_min_f32_e32 v1, 0, v0
	v_cvt_f64_f32_e32 v[12:13], v1
	v_lshl_add_u64 v[10:11], v[10:11], 3, v[24:25]
	s_mov_b32 s2, 0
	global_store_dwordx2 v[10:11], v[12:13], off
	s_cbranch_execz .LBB158_197
; %bb.195:
	v_mov_b32_e32 v0, s2
	s_branch .LBB158_198
.LBB158_196:
                                        ; implicit-def: $sgpr2
.LBB158_197:
	v_lshl_add_u64 v[10:11], v[8:9], 0, v[16:17]
	flat_load_dwordx2 v[10:11], v[10:11]
	v_lshl_add_u64 v[12:13], v[24:25], 0, v[16:17]
	s_waitcnt vmcnt(0) lgkmcnt(0)
	v_mul_f64 v[10:11], v[10:11], s[10:11]
	v_cvt_f32_f64_e32 v1, v[10:11]
	v_min_f32_e32 v0, v1, v0
	v_cvt_f64_f32_e32 v[0:1], v0
	global_store_dwordx2 v[12:13], v[0:1], off
	v_lshl_add_u64 v[0:1], v[2:3], 3, v[8:9]
	flat_load_dwordx2 v[0:1], v[0:1]
	s_waitcnt vmcnt(0) lgkmcnt(0)
	v_mul_f64 v[0:1], v[0:1], s[10:11]
	v_cvt_f32_f64_e32 v0, v[0:1]
.LBB158_198:
	v_max_f32_e32 v1, v82, v82
	v_max_f32_e32 v0, v0, v0
	v_min_f32_e32 v0, v0, v1
	v_cvt_f64_f32_e32 v[0:1], v0
	v_lshl_add_u64 v[2:3], v[2:3], 3, v[24:25]
	global_store_dwordx2 v[2:3], v[0:1], off
	v_max_f32_e32 v0, v81, v81
	s_mov_b64 vcc, s[6:7]
	s_cbranch_vccz .LBB158_201
; %bb.199:
	v_min_f32_e32 v1, 0, v0
	v_cvt_f64_f32_e32 v[2:3], v1
	v_lshl_add_u64 v[10:11], v[14:15], 3, v[24:25]
	s_mov_b32 s2, 0
	global_store_dwordx2 v[10:11], v[2:3], off
	s_cbranch_execz .LBB158_202
; %bb.200:
	v_mov_b32_e32 v0, s2
	s_branch .LBB158_203
.LBB158_201:
                                        ; implicit-def: $sgpr2
.LBB158_202:
	v_lshl_add_u64 v[2:3], v[8:9], 0, v[20:21]
	flat_load_dwordx2 v[2:3], v[2:3]
	v_lshl_add_u64 v[10:11], v[24:25], 0, v[20:21]
	s_waitcnt vmcnt(0) lgkmcnt(0)
	v_mul_f64 v[2:3], v[2:3], s[10:11]
	v_cvt_f32_f64_e32 v1, v[2:3]
	v_min_f32_e32 v0, v1, v0
	v_cvt_f64_f32_e32 v[0:1], v0
	global_store_dwordx2 v[10:11], v[0:1], off
	v_lshl_add_u64 v[0:1], v[4:5], 3, v[8:9]
	flat_load_dwordx2 v[0:1], v[0:1]
	s_waitcnt vmcnt(0) lgkmcnt(0)
	v_mul_f64 v[0:1], v[0:1], s[10:11]
	v_cvt_f32_f64_e32 v0, v[0:1]
.LBB158_203:
	;; [unrolled: 37-line block ×3, first 2 shown]
	v_max_f32_e32 v1, v78, v78
	v_max_f32_e32 v0, v0, v0
	v_min_f32_e32 v0, v0, v1
	v_cvt_f64_f32_e32 v[0:1], v0
	v_lshl_add_u64 v[2:3], v[6:7], 3, v[24:25]
	global_store_dwordx2 v[2:3], v[0:1], off
	s_endpgm
	.section	.rodata,"a",@progbits
	.p2align	6, 0x0
	.amdhsa_kernel _ZN12_GLOBAL__N_120geam_min_plus_kernelId15HIP_vector_typeIdLj2EEdLi32ELi8ELi256ELi64ELi4ELi64ELi4ELi4ELi64ELc78ELc78ELb0ELb0ELb1EdKddEEviiiT16_PT17_ilS6_ilS4_S6_ilPT18_ili26rocblas_geam_ex_operation_
		.amdhsa_group_segment_fixed_size 20480
		.amdhsa_private_segment_fixed_size 0
		.amdhsa_kernarg_size 136
		.amdhsa_user_sgpr_count 2
		.amdhsa_user_sgpr_dispatch_ptr 0
		.amdhsa_user_sgpr_queue_ptr 0
		.amdhsa_user_sgpr_kernarg_segment_ptr 1
		.amdhsa_user_sgpr_dispatch_id 0
		.amdhsa_user_sgpr_kernarg_preload_length 0
		.amdhsa_user_sgpr_kernarg_preload_offset 0
		.amdhsa_user_sgpr_private_segment_size 0
		.amdhsa_uses_dynamic_stack 0
		.amdhsa_enable_private_segment 0
		.amdhsa_system_sgpr_workgroup_id_x 1
		.amdhsa_system_sgpr_workgroup_id_y 0
		.amdhsa_system_sgpr_workgroup_id_z 1
		.amdhsa_system_sgpr_workgroup_info 0
		.amdhsa_system_vgpr_workitem_id 1
		.amdhsa_next_free_vgpr 160
		.amdhsa_next_free_sgpr 29
		.amdhsa_accum_offset 160
		.amdhsa_reserve_vcc 1
		.amdhsa_float_round_mode_32 0
		.amdhsa_float_round_mode_16_64 0
		.amdhsa_float_denorm_mode_32 3
		.amdhsa_float_denorm_mode_16_64 3
		.amdhsa_dx10_clamp 1
		.amdhsa_ieee_mode 1
		.amdhsa_fp16_overflow 0
		.amdhsa_tg_split 0
		.amdhsa_exception_fp_ieee_invalid_op 0
		.amdhsa_exception_fp_denorm_src 0
		.amdhsa_exception_fp_ieee_div_zero 0
		.amdhsa_exception_fp_ieee_overflow 0
		.amdhsa_exception_fp_ieee_underflow 0
		.amdhsa_exception_fp_ieee_inexact 0
		.amdhsa_exception_int_div_zero 0
	.end_amdhsa_kernel
	.section	.text._ZN12_GLOBAL__N_120geam_min_plus_kernelId15HIP_vector_typeIdLj2EEdLi32ELi8ELi256ELi64ELi4ELi64ELi4ELi4ELi64ELc78ELc78ELb0ELb0ELb1EdKddEEviiiT16_PT17_ilS6_ilS4_S6_ilPT18_ili26rocblas_geam_ex_operation_,"axG",@progbits,_ZN12_GLOBAL__N_120geam_min_plus_kernelId15HIP_vector_typeIdLj2EEdLi32ELi8ELi256ELi64ELi4ELi64ELi4ELi4ELi64ELc78ELc78ELb0ELb0ELb1EdKddEEviiiT16_PT17_ilS6_ilS4_S6_ilPT18_ili26rocblas_geam_ex_operation_,comdat
.Lfunc_end158:
	.size	_ZN12_GLOBAL__N_120geam_min_plus_kernelId15HIP_vector_typeIdLj2EEdLi32ELi8ELi256ELi64ELi4ELi64ELi4ELi4ELi64ELc78ELc78ELb0ELb0ELb1EdKddEEviiiT16_PT17_ilS6_ilS4_S6_ilPT18_ili26rocblas_geam_ex_operation_, .Lfunc_end158-_ZN12_GLOBAL__N_120geam_min_plus_kernelId15HIP_vector_typeIdLj2EEdLi32ELi8ELi256ELi64ELi4ELi64ELi4ELi4ELi64ELc78ELc78ELb0ELb0ELb1EdKddEEviiiT16_PT17_ilS6_ilS4_S6_ilPT18_ili26rocblas_geam_ex_operation_
                                        ; -- End function
	.section	.AMDGPU.csdata,"",@progbits
; Kernel info:
; codeLenInByte = 17116
; NumSgprs: 35
; NumVgprs: 160
; NumAgprs: 0
; TotalNumVgprs: 160
; ScratchSize: 0
; MemoryBound: 1
; FloatMode: 240
; IeeeMode: 1
; LDSByteSize: 20480 bytes/workgroup (compile time only)
; SGPRBlocks: 4
; VGPRBlocks: 19
; NumSGPRsForWavesPerEU: 35
; NumVGPRsForWavesPerEU: 160
; AccumOffset: 160
; Occupancy: 3
; WaveLimiterHint : 1
; COMPUTE_PGM_RSRC2:SCRATCH_EN: 0
; COMPUTE_PGM_RSRC2:USER_SGPR: 2
; COMPUTE_PGM_RSRC2:TRAP_HANDLER: 0
; COMPUTE_PGM_RSRC2:TGID_X_EN: 1
; COMPUTE_PGM_RSRC2:TGID_Y_EN: 0
; COMPUTE_PGM_RSRC2:TGID_Z_EN: 1
; COMPUTE_PGM_RSRC2:TIDIG_COMP_CNT: 1
; COMPUTE_PGM_RSRC3_GFX90A:ACCUM_OFFSET: 39
; COMPUTE_PGM_RSRC3_GFX90A:TG_SPLIT: 0
	.section	.text._ZN12_GLOBAL__N_120geam_min_plus_kernelId15HIP_vector_typeIdLj2EEdLi32ELi8ELi256ELi64ELi4ELi64ELi4ELi4ELi64ELc78ELc78ELb0ELb1ELb1EPKdS3_dEEviiiT16_PT17_ilS7_ilS5_S7_ilPT18_ili26rocblas_geam_ex_operation_,"axG",@progbits,_ZN12_GLOBAL__N_120geam_min_plus_kernelId15HIP_vector_typeIdLj2EEdLi32ELi8ELi256ELi64ELi4ELi64ELi4ELi4ELi64ELc78ELc78ELb0ELb1ELb1EPKdS3_dEEviiiT16_PT17_ilS7_ilS5_S7_ilPT18_ili26rocblas_geam_ex_operation_,comdat
	.globl	_ZN12_GLOBAL__N_120geam_min_plus_kernelId15HIP_vector_typeIdLj2EEdLi32ELi8ELi256ELi64ELi4ELi64ELi4ELi4ELi64ELc78ELc78ELb0ELb1ELb1EPKdS3_dEEviiiT16_PT17_ilS7_ilS5_S7_ilPT18_ili26rocblas_geam_ex_operation_ ; -- Begin function _ZN12_GLOBAL__N_120geam_min_plus_kernelId15HIP_vector_typeIdLj2EEdLi32ELi8ELi256ELi64ELi4ELi64ELi4ELi4ELi64ELc78ELc78ELb0ELb1ELb1EPKdS3_dEEviiiT16_PT17_ilS7_ilS5_S7_ilPT18_ili26rocblas_geam_ex_operation_
	.p2align	8
	.type	_ZN12_GLOBAL__N_120geam_min_plus_kernelId15HIP_vector_typeIdLj2EEdLi32ELi8ELi256ELi64ELi4ELi64ELi4ELi4ELi64ELc78ELc78ELb0ELb1ELb1EPKdS3_dEEviiiT16_PT17_ilS7_ilS5_S7_ilPT18_ili26rocblas_geam_ex_operation_,@function
_ZN12_GLOBAL__N_120geam_min_plus_kernelId15HIP_vector_typeIdLj2EEdLi32ELi8ELi256ELi64ELi4ELi64ELi4ELi4ELi64ELc78ELc78ELb0ELb1ELb1EPKdS3_dEEviiiT16_PT17_ilS7_ilS5_S7_ilPT18_ili26rocblas_geam_ex_operation_: ; @_ZN12_GLOBAL__N_120geam_min_plus_kernelId15HIP_vector_typeIdLj2EEdLi32ELi8ELi256ELi64ELi4ELi64ELi4ELi4ELi64ELc78ELc78ELb0ELb1ELb1EPKdS3_dEEviiiT16_PT17_ilS7_ilS5_S7_ilPT18_ili26rocblas_geam_ex_operation_
; %bb.0:
	s_load_dwordx4 s[12:15], s[0:1], 0x10
	s_load_dwordx4 s[4:7], s[0:1], 0x28
	s_mov_b32 s16, s3
	s_mov_b32 s17, 0
	s_lshl_b64 s[22:23], s[16:17], 3
	s_load_dwordx4 s[8:11], s[0:1], 0x40
	s_waitcnt lgkmcnt(0)
	s_add_u32 s12, s12, s22
	s_addc_u32 s13, s13, s23
	s_load_dwordx2 s[18:19], s[12:13], 0x0
	s_load_dwordx2 s[20:21], s[0:1], 0x50
	s_mov_b64 s[36:37], 0
	s_add_u32 s10, s10, s22
	s_addc_u32 s11, s11, s23
	s_waitcnt lgkmcnt(0)
	v_cmp_eq_f64_e64 s[22:23], s[18:19], 0
	v_cmp_neq_f64_e64 s[12:13], s[18:19], 0
	s_and_b64 vcc, exec, s[22:23]
	s_mov_b64 s[30:31], 0
	s_cbranch_vccnz .LBB159_2
; %bb.1:
	s_mul_i32 s3, s16, s5
	s_mul_hi_u32 s5, s16, s4
	s_add_i32 s5, s5, s3
	s_mul_i32 s4, s16, s4
	s_lshl_b64 s[4:5], s[4:5], 3
	s_add_u32 s30, s14, s4
	s_addc_u32 s31, s15, s5
.LBB159_2:
	s_load_dwordx2 s[24:25], s[10:11], 0x0
	s_andn2_b64 vcc, exec, s[12:13]
	s_cbranch_vccnz .LBB159_4
; %bb.3:
	s_mul_i32 s3, s16, s9
	s_mul_hi_u32 s4, s16, s8
	s_add_i32 s5, s4, s3
	s_mul_i32 s4, s16, s8
	s_lshl_b64 s[4:5], s[4:5], 3
	s_add_u32 s36, s6, s4
	s_addc_u32 s37, s7, s5
.LBB159_4:
	s_load_dwordx4 s[12:15], s[0:1], 0x60
	s_waitcnt lgkmcnt(0)
	v_cmp_eq_f64_e64 s[4:5], s[24:25], 0
	s_mov_b64 s[26:27], 0
	v_cmp_neq_f64_e64 s[28:29], s[24:25], 0
	s_and_b64 vcc, exec, s[4:5]
	s_cbranch_vccnz .LBB159_6
; %bb.5:
	s_mul_i32 s3, s16, s13
	s_mul_hi_u32 s4, s16, s12
	s_add_i32 s5, s4, s3
	s_mul_i32 s4, s16, s12
	s_lshl_b64 s[4:5], s[4:5], 3
	s_add_u32 s26, s20, s4
	s_addc_u32 s27, s21, s5
.LBB159_6:
	s_load_dwordx4 s[20:23], s[0:1], 0x0
	v_and_b32_e32 v131, 0x3ff, v0
	v_bfe_u32 v132, v0, 10, 10
	s_waitcnt lgkmcnt(0)
	s_load_dword s23, s[0:1], 0x20
	v_lshl_add_u32 v10, v132, 5, v131
	s_add_i32 s3, s20, -1
	s_ashr_i32 s4, s3, 31
	s_lshr_b32 s4, s4, 24
	s_add_i32 s3, s3, s4
	s_ashr_i32 s3, s3, 8
	s_add_i32 s4, s3, 1
	v_cvt_f32_u32_e32 v1, s4
	s_not_b32 s3, s3
	v_lshrrev_b32_e32 v144, 6, v10
	v_and_b32_e32 v72, 63, v10
	v_rcp_iflag_f32_e32 v0, v1
	v_cmp_le_i32_e32 vcc, s22, v144
	v_cmp_eq_f64_e64 s[34:35], s[18:19], 0
	v_mov_b32_e32 v2, 0x7fefffff
	v_mul_f32_e32 v0, 0x4f7ffffe, v0
	v_cvt_u32_f32_e32 v0, v0
	s_nop 0
	v_readfirstlane_b32 s5, v0
	s_mul_i32 s3, s3, s5
	s_mul_hi_u32 s3, s5, s3
	s_add_i32 s5, s5, s3
	s_mul_hi_u32 s3, s2, s5
	s_mul_i32 s5, s3, s4
	s_sub_i32 s5, s2, s5
	s_add_i32 s6, s3, 1
	s_sub_i32 s7, s5, s4
	s_cmp_ge_u32 s5, s4
	s_cselect_b32 s3, s6, s3
	s_cselect_b32 s5, s7, s5
	s_add_i32 s6, s3, 1
	s_cmp_ge_u32 s5, s4
	s_cselect_b32 s12, s6, s3
	s_mul_i32 s3, s12, s4
	s_add_i32 s38, s22, -1
	s_sub_i32 s2, s2, s3
	v_min_i32_e32 v0, s38, v144
	s_lshl_b32 s17, s2, 8
	v_or_b32_e32 v60, s17, v72
	s_waitcnt lgkmcnt(0)
	v_mad_i64_i32 v[0:1], s[2:3], s23, v0, 0
	v_cmp_le_i32_e64 s[2:3], s20, v60
	s_or_b64 s[4:5], s[2:3], vcc
	s_or_b64 s[6:7], s[34:35], s[4:5]
	v_lshl_add_u64 v[8:9], v[0:1], 3, s[30:31]
	v_cndmask_b32_e64 v1, 0, v2, s[4:5]
	s_xor_b64 s[6:7], s[6:7], -1
	v_cndmask_b32_e64 v0, 0, -1, s[4:5]
	v_ashrrev_i32_e32 v61, 31, v60
	s_and_saveexec_b64 s[4:5], s[6:7]
	s_cbranch_execz .LBB159_8
; %bb.7:
	v_lshl_add_u64 v[0:1], v[60:61], 3, v[8:9]
	flat_load_dwordx2 v[0:1], v[0:1]
	s_waitcnt vmcnt(0) lgkmcnt(0)
	v_mul_f64 v[0:1], s[18:19], v[0:1]
.LBB159_8:
	s_or_b64 exec, exec, s[4:5]
	v_or_b32_e32 v3, 64, v60
	v_cmp_le_i32_e64 s[4:5], s20, v3
	s_or_b64 s[6:7], s[4:5], vcc
	s_or_b64 s[8:9], s[34:35], s[6:7]
	v_cndmask_b32_e64 v3, 0, v2, s[6:7]
	s_xor_b64 s[8:9], s[8:9], -1
	v_cndmask_b32_e64 v2, 0, -1, s[6:7]
	s_and_saveexec_b64 s[6:7], s[8:9]
	s_cbranch_execz .LBB159_10
; %bb.9:
	v_lshl_add_u64 v[2:3], v[60:61], 3, v[8:9]
	flat_load_dwordx2 v[2:3], v[2:3] offset:512
	s_waitcnt vmcnt(0) lgkmcnt(0)
	v_mul_f64 v[2:3], s[18:19], v[2:3]
.LBB159_10:
	s_or_b64 exec, exec, s[6:7]
	v_or_b32_e32 v4, 0x80, v60
	v_cmp_le_i32_e64 s[6:7], s20, v4
	s_or_b64 s[8:9], s[6:7], vcc
	v_mov_b32_e32 v6, 0x7fefffff
	s_or_b64 s[10:11], s[34:35], s[8:9]
	v_cndmask_b32_e64 v5, 0, v6, s[8:9]
	s_xor_b64 s[10:11], s[10:11], -1
	v_cndmask_b32_e64 v4, 0, -1, s[8:9]
	s_and_saveexec_b64 s[8:9], s[10:11]
	s_cbranch_execz .LBB159_12
; %bb.11:
	v_lshl_add_u64 v[4:5], v[60:61], 3, v[8:9]
	flat_load_dwordx2 v[4:5], v[4:5] offset:1024
	s_waitcnt vmcnt(0) lgkmcnt(0)
	v_mul_f64 v[4:5], s[18:19], v[4:5]
.LBB159_12:
	s_or_b64 exec, exec, s[8:9]
	v_or_b32_e32 v7, 0xc0, v60
	v_cmp_le_i32_e64 s[8:9], s20, v7
	s_or_b64 vcc, s[8:9], vcc
	s_or_b64 s[10:11], s[34:35], vcc
	v_cndmask_b32_e32 v7, 0, v6, vcc
	s_xor_b64 s[40:41], s[10:11], -1
	v_cndmask_b32_e64 v6, 0, -1, vcc
	s_and_saveexec_b64 s[10:11], s[40:41]
	s_cbranch_execz .LBB159_14
; %bb.13:
	v_lshl_add_u64 v[6:7], v[60:61], 3, v[8:9]
	flat_load_dwordx2 v[6:7], v[6:7] offset:1536
	s_waitcnt vmcnt(0) lgkmcnt(0)
	v_mul_f64 v[6:7], s[18:19], v[6:7]
.LBB159_14:
	s_or_b64 exec, exec, s[10:11]
	v_lshrrev_b32_e32 v12, 2, v10
	s_lshl_b32 s33, s12, 6
	s_load_dword s41, s[0:1], 0x38
	v_and_b32_e32 v145, 3, v131
	v_add_u32_e32 v73, s33, v12
	v_cmp_le_i32_e32 vcc, s22, v145
	v_cmp_le_i32_e64 s[10:11], s21, v73
	s_or_b64 vcc, vcc, s[10:11]
	v_mov_b32_e32 v13, 0x7fefffff
	s_or_b64 s[12:13], s[34:35], vcc
	v_cndmask_b32_e32 v9, 0, v13, vcc
	s_xor_b64 s[42:43], s[12:13], -1
	v_cndmask_b32_e64 v8, 0, -1, vcc
	s_and_saveexec_b64 s[12:13], s[42:43]
	s_cbranch_execz .LBB159_16
; %bb.15:
	v_min_u32_e32 v10, s38, v145
	s_waitcnt lgkmcnt(0)
	v_mad_i64_i32 v[8:9], s[42:43], v73, s41, 0
	v_lshl_add_u64 v[8:9], v[8:9], 3, s[36:37]
	v_lshlrev_b32_e32 v10, 3, v10
	v_mov_b32_e32 v11, 0
	v_lshl_add_u64 v[8:9], v[8:9], 0, v[10:11]
	flat_load_dwordx2 v[8:9], v[8:9]
	s_waitcnt vmcnt(0) lgkmcnt(0)
	v_mul_f64 v[8:9], s[18:19], v[8:9]
.LBB159_16:
	s_or_b64 exec, exec, s[12:13]
	v_add_u32_e32 v10, 4, v144
	v_cmp_le_i32_e32 vcc, s22, v10
	v_min_i32_e32 v10, s38, v10
	v_mad_i64_i32 v[10:11], s[12:13], s23, v10, 0
	s_or_b64 s[12:13], s[2:3], vcc
	s_or_b64 s[42:43], s[34:35], s[12:13]
	v_lshl_add_u64 v[10:11], v[10:11], 3, s[30:31]
	v_cndmask_b32_e64 v63, 0, v13, s[12:13]
	s_xor_b64 s[42:43], s[42:43], -1
	v_cndmask_b32_e64 v62, 0, -1, s[12:13]
	s_and_saveexec_b64 s[12:13], s[42:43]
	s_cbranch_execz .LBB159_18
; %bb.17:
	v_lshl_add_u64 v[14:15], v[60:61], 3, v[10:11]
	flat_load_dwordx2 v[14:15], v[14:15]
	s_waitcnt vmcnt(0) lgkmcnt(0)
	v_mul_f64 v[62:63], s[18:19], v[14:15]
.LBB159_18:
	s_or_b64 exec, exec, s[12:13]
	s_or_b64 s[12:13], s[4:5], vcc
	v_mov_b32_e32 v13, 0x7fefffff
	s_or_b64 s[42:43], s[34:35], s[12:13]
	v_cndmask_b32_e64 v65, 0, v13, s[12:13]
	s_xor_b64 s[42:43], s[42:43], -1
	v_cndmask_b32_e64 v64, 0, -1, s[12:13]
	s_and_saveexec_b64 s[12:13], s[42:43]
	s_cbranch_execz .LBB159_20
; %bb.19:
	v_lshl_add_u64 v[14:15], v[60:61], 3, v[10:11]
	flat_load_dwordx2 v[14:15], v[14:15] offset:512
	s_waitcnt vmcnt(0) lgkmcnt(0)
	v_mul_f64 v[64:65], s[18:19], v[14:15]
.LBB159_20:
	s_or_b64 exec, exec, s[12:13]
	s_or_b64 s[12:13], s[6:7], vcc
	s_or_b64 s[42:43], s[34:35], s[12:13]
	v_cndmask_b32_e64 v67, 0, v13, s[12:13]
	s_xor_b64 s[42:43], s[42:43], -1
	v_cndmask_b32_e64 v66, 0, -1, s[12:13]
	s_and_saveexec_b64 s[12:13], s[42:43]
	s_cbranch_execz .LBB159_22
; %bb.21:
	v_lshl_add_u64 v[14:15], v[60:61], 3, v[10:11]
	flat_load_dwordx2 v[14:15], v[14:15] offset:1024
	s_waitcnt vmcnt(0) lgkmcnt(0)
	v_mul_f64 v[66:67], s[18:19], v[14:15]
.LBB159_22:
	s_or_b64 exec, exec, s[12:13]
	s_or_b64 vcc, s[8:9], vcc
	v_mov_b32_e32 v13, 0x7fefffff
	s_or_b64 s[12:13], s[34:35], vcc
	v_cndmask_b32_e32 v69, 0, v13, vcc
	s_xor_b64 s[42:43], s[12:13], -1
	v_cndmask_b32_e64 v68, 0, -1, vcc
	s_and_saveexec_b64 s[12:13], s[42:43]
	s_cbranch_execz .LBB159_24
; %bb.23:
	v_lshl_add_u64 v[10:11], v[60:61], 3, v[10:11]
	flat_load_dwordx2 v[10:11], v[10:11] offset:1536
	s_waitcnt vmcnt(0) lgkmcnt(0)
	v_mul_f64 v[68:69], s[18:19], v[10:11]
.LBB159_24:
	s_or_b64 exec, exec, s[12:13]
	v_or_b32_e32 v10, 4, v145
	v_cmp_le_i32_e32 vcc, s22, v10
	s_or_b64 vcc, vcc, s[10:11]
	s_or_b64 s[12:13], s[34:35], vcc
	v_cndmask_b32_e32 v71, 0, v13, vcc
	s_xor_b64 s[42:43], s[12:13], -1
	s_mov_b32 s39, 0
	v_cndmask_b32_e64 v70, 0, -1, vcc
	s_and_saveexec_b64 s[12:13], s[42:43]
	s_cbranch_execz .LBB159_26
; %bb.25:
	v_min_u32_e32 v13, s38, v10
	s_waitcnt lgkmcnt(0)
	v_mad_i64_i32 v[10:11], s[42:43], v73, s41, 0
	v_lshl_add_u64 v[10:11], v[10:11], 3, s[36:37]
	v_lshlrev_b32_e32 v14, 3, v13
	v_mov_b32_e32 v15, 0
	v_lshl_add_u64 v[10:11], v[10:11], 0, v[14:15]
	flat_load_dwordx2 v[10:11], v[10:11]
	s_waitcnt vmcnt(0) lgkmcnt(0)
	v_mul_f64 v[70:71], s[18:19], v[10:11]
.LBB159_26:
	s_or_b64 exec, exec, s[12:13]
	v_lshlrev_b32_e32 v10, 3, v144
	v_lshl_add_u32 v146, v72, 5, v10
	ds_write2st64_b64 v146, v[0:1], v[2:3] offset1:4
	ds_write2st64_b64 v146, v[4:5], v[6:7] offset0:8 offset1:12
	v_lshlrev_b32_e32 v0, 3, v145
	v_lshl_or_b32 v74, v12, 5, v0
	v_add_u32_e32 v147, 0x4000, v74
	s_mov_b64 s[12:13], -1
	v_mov_b32_e32 v78, 0x7f800000
	v_mov_b32_e32 v79, 0x7f800000
	;; [unrolled: 1-line block ×64, first 2 shown]
	ds_write_b64 v74, v[8:9] offset:16384
	s_waitcnt lgkmcnt(0)
	s_barrier
.LBB159_27:                             ; =>This Inner Loop Header: Depth=1
	v_cndmask_b32_e64 v0, 0, 1, s[12:13]
	s_lshl_b32 s12, s39, 3
	v_cmp_ne_u32_e32 vcc, 1, v0
	v_lshl_add_u32 v0, v131, 5, s12
	v_lshl_add_u32 v20, v132, 5, s12
	ds_read_b128 v[32:35], v0
	ds_read_b128 v[28:31], v0 offset:1024
	ds_read_b128 v[24:27], v0 offset:2048
	ds_read_b128 v[16:19], v0 offset:3072
	ds_read_b128 v[12:15], v0 offset:4096
	ds_read_b128 v[8:11], v0 offset:5120
	ds_read_b128 v[4:7], v0 offset:6144
	ds_read_b128 v[0:3], v0 offset:7168
	ds_read_b128 v[148:151], v20 offset:16384
	ds_read_b128 v[56:59], v20 offset:16640
	ds_read_b128 v[52:55], v20 offset:16896
	ds_read_b128 v[48:51], v20 offset:17152
	ds_read_b128 v[44:47], v20 offset:17408
	ds_read_b128 v[40:43], v20 offset:17664
	ds_read_b128 v[36:39], v20 offset:17920
	ds_read_b128 v[20:23], v20 offset:18176
	s_waitcnt lgkmcnt(7)
	v_add_f64 v[76:77], v[34:35], v[150:151]
	v_add_f64 v[152:153], v[32:33], v[148:149]
	v_cvt_f32_f64_e32 v75, v[152:153]
	v_cvt_f32_f64_e32 v76, v[76:77]
	v_min3_f32 v143, v75, v76, v143
	v_add_f64 v[76:77], v[30:31], v[150:151]
	v_add_f64 v[152:153], v[28:29], v[148:149]
	v_cvt_f32_f64_e32 v75, v[152:153]
	v_cvt_f32_f64_e32 v76, v[76:77]
	v_min3_f32 v142, v75, v76, v142
	;; [unrolled: 5-line block ×8, first 2 shown]
	s_waitcnt lgkmcnt(6)
	v_add_f64 v[76:77], v[34:35], v[58:59]
	v_add_f64 v[148:149], v[32:33], v[56:57]
	v_cvt_f32_f64_e32 v75, v[148:149]
	v_cvt_f32_f64_e32 v76, v[76:77]
	v_min3_f32 v135, v75, v76, v135
	v_add_f64 v[76:77], v[30:31], v[58:59]
	v_add_f64 v[148:149], v[28:29], v[56:57]
	v_cvt_f32_f64_e32 v75, v[148:149]
	v_cvt_f32_f64_e32 v76, v[76:77]
	v_min3_f32 v134, v75, v76, v134
	v_add_f64 v[76:77], v[26:27], v[58:59]
	v_add_f64 v[148:149], v[24:25], v[56:57]
	v_cvt_f32_f64_e32 v75, v[148:149]
	v_cvt_f32_f64_e32 v76, v[76:77]
	v_min3_f32 v133, v75, v76, v133
	v_add_f64 v[76:77], v[18:19], v[58:59]
	v_add_f64 v[148:149], v[16:17], v[56:57]
	v_cvt_f32_f64_e32 v75, v[148:149]
	v_cvt_f32_f64_e32 v76, v[76:77]
	v_min3_f32 v130, v75, v76, v130
	v_add_f64 v[76:77], v[14:15], v[58:59]
	v_add_f64 v[148:149], v[12:13], v[56:57]
	v_cvt_f32_f64_e32 v75, v[148:149]
	v_cvt_f32_f64_e32 v76, v[76:77]
	v_min3_f32 v129, v75, v76, v129
	v_add_f64 v[76:77], v[10:11], v[58:59]
	v_add_f64 v[148:149], v[8:9], v[56:57]
	v_cvt_f32_f64_e32 v75, v[148:149]
	v_cvt_f32_f64_e32 v76, v[76:77]
	v_min3_f32 v128, v75, v76, v128
	v_add_f64 v[76:77], v[6:7], v[58:59]
	v_add_f64 v[148:149], v[4:5], v[56:57]
	v_add_f64 v[58:59], v[2:3], v[58:59]
	v_add_f64 v[56:57], v[0:1], v[56:57]
	v_cvt_f32_f64_e32 v56, v[56:57]
	v_cvt_f32_f64_e32 v57, v[58:59]
	v_min3_f32 v126, v56, v57, v126
	s_waitcnt lgkmcnt(5)
	v_add_f64 v[56:57], v[34:35], v[54:55]
	v_add_f64 v[58:59], v[32:33], v[52:53]
	v_cvt_f32_f64_e32 v58, v[58:59]
	v_cvt_f32_f64_e32 v56, v[56:57]
	v_min3_f32 v125, v58, v56, v125
	v_add_f64 v[56:57], v[30:31], v[54:55]
	v_add_f64 v[58:59], v[28:29], v[52:53]
	v_cvt_f32_f64_e32 v58, v[58:59]
	v_cvt_f32_f64_e32 v56, v[56:57]
	v_min3_f32 v124, v58, v56, v124
	v_add_f64 v[56:57], v[26:27], v[54:55]
	v_add_f64 v[58:59], v[24:25], v[52:53]
	v_cvt_f32_f64_e32 v58, v[58:59]
	v_cvt_f32_f64_e32 v56, v[56:57]
	v_min3_f32 v123, v58, v56, v123
	v_add_f64 v[56:57], v[18:19], v[54:55]
	v_add_f64 v[58:59], v[16:17], v[52:53]
	v_cvt_f32_f64_e32 v58, v[58:59]
	v_cvt_f32_f64_e32 v56, v[56:57]
	v_min3_f32 v122, v58, v56, v122
	v_add_f64 v[56:57], v[14:15], v[54:55]
	v_add_f64 v[58:59], v[12:13], v[52:53]
	v_cvt_f32_f64_e32 v58, v[58:59]
	v_cvt_f32_f64_e32 v56, v[56:57]
	v_min3_f32 v121, v58, v56, v121
	v_add_f64 v[56:57], v[10:11], v[54:55]
	v_add_f64 v[58:59], v[8:9], v[52:53]
	v_cvt_f32_f64_e32 v58, v[58:59]
	v_cvt_f32_f64_e32 v56, v[56:57]
	v_min3_f32 v120, v58, v56, v120
	v_add_f64 v[56:57], v[6:7], v[54:55]
	v_add_f64 v[58:59], v[4:5], v[52:53]
	v_add_f64 v[54:55], v[2:3], v[54:55]
	v_add_f64 v[52:53], v[0:1], v[52:53]
	v_cvt_f32_f64_e32 v52, v[52:53]
	v_cvt_f32_f64_e32 v53, v[54:55]
	v_min3_f32 v118, v52, v53, v118
	;; [unrolled: 38-line block ×5, first 2 shown]
	s_waitcnt lgkmcnt(1)
	v_add_f64 v[40:41], v[34:35], v[38:39]
	v_add_f64 v[42:43], v[32:33], v[36:37]
	v_cvt_f32_f64_e32 v42, v[42:43]
	v_cvt_f32_f64_e32 v40, v[40:41]
	v_min3_f32 v93, v42, v40, v93
	v_add_f64 v[40:41], v[30:31], v[38:39]
	v_add_f64 v[42:43], v[28:29], v[36:37]
	v_cvt_f32_f64_e32 v42, v[42:43]
	v_cvt_f32_f64_e32 v40, v[40:41]
	v_min3_f32 v92, v42, v40, v92
	;; [unrolled: 5-line block ×6, first 2 shown]
	v_add_f64 v[40:41], v[6:7], v[38:39]
	v_add_f64 v[42:43], v[4:5], v[36:37]
	;; [unrolled: 1-line block ×4, first 2 shown]
	s_waitcnt lgkmcnt(0)
	v_add_f64 v[34:35], v[34:35], v[22:23]
	v_add_f64 v[32:33], v[32:33], v[20:21]
	;; [unrolled: 1-line block ×16, first 2 shown]
	v_cvt_f32_f64_e32 v75, v[148:149]
	v_cvt_f32_f64_e32 v76, v[76:77]
	v_cvt_f32_f64_e32 v58, v[58:59]
	v_cvt_f32_f64_e32 v56, v[56:57]
	v_cvt_f32_f64_e32 v54, v[54:55]
	v_cvt_f32_f64_e32 v52, v[52:53]
	v_cvt_f32_f64_e32 v50, v[50:51]
	v_cvt_f32_f64_e32 v48, v[48:49]
	v_cvt_f32_f64_e32 v46, v[46:47]
	v_cvt_f32_f64_e32 v44, v[44:45]
	v_cvt_f32_f64_e32 v42, v[42:43]
	v_cvt_f32_f64_e32 v40, v[40:41]
	v_cvt_f32_f64_e32 v36, v[36:37]
	v_cvt_f32_f64_e32 v37, v[38:39]
	v_cvt_f32_f64_e32 v32, v[32:33]
	v_cvt_f32_f64_e32 v33, v[34:35]
	v_cvt_f32_f64_e32 v28, v[28:29]
	v_cvt_f32_f64_e32 v29, v[30:31]
	v_cvt_f32_f64_e32 v24, v[24:25]
	v_cvt_f32_f64_e32 v25, v[26:27]
	v_cvt_f32_f64_e32 v16, v[16:17]
	v_cvt_f32_f64_e32 v17, v[18:19]
	v_cvt_f32_f64_e32 v12, v[12:13]
	v_cvt_f32_f64_e32 v13, v[14:15]
	v_cvt_f32_f64_e32 v8, v[8:9]
	v_cvt_f32_f64_e32 v9, v[10:11]
	v_cvt_f32_f64_e32 v4, v[4:5]
	v_cvt_f32_f64_e32 v5, v[6:7]
	v_cvt_f32_f64_e32 v0, v[0:1]
	v_cvt_f32_f64_e32 v1, v[2:3]
	v_min3_f32 v127, v75, v76, v127
	v_min3_f32 v119, v58, v56, v119
	;; [unrolled: 1-line block ×15, first 2 shown]
	s_mov_b32 s39, 2
	s_mov_b64 s[12:13], 0
	s_cbranch_vccz .LBB159_27
; %bb.28:
	v_lshlrev_b32_e32 v0, 5, v72
	v_lshl_add_u32 v0, v144, 3, v0
	s_cmp_gt_i32 s22, 8
	s_mov_b32 s39, 8
	ds_write2st64_b64 v0, v[62:63], v[64:65] offset0:16 offset1:20
	ds_write2st64_b64 v0, v[66:67], v[68:69] offset0:24 offset1:28
	ds_write_b64 v74, v[70:71] offset:18432
	s_waitcnt lgkmcnt(0)
	s_barrier
	s_cbranch_scc0 .LBB159_55
; %bb.29:
	v_add_u32_e32 v148, 0x2000, v0
	v_mad_i64_i32 v[0:1], s[12:13], v73, s41, 0
	v_lshl_add_u64 v[62:63], v[0:1], 3, s[36:37]
	v_add_u32_e32 v149, 0x4800, v74
	s_add_i32 s40, s22, -8
	v_lshl_add_u64 v[64:65], v[62:63], 0, 32
	s_mov_b32 s36, 0
	v_mov_b32_e32 v150, 0x7fefffff
	v_mov_b32_e32 v67, 0
.LBB159_30:                             ; =>This Loop Header: Depth=1
                                        ;     Child Loop BB159_41 Depth 2
                                        ;     Child Loop BB159_53 Depth 2
	v_add_u32_e32 v0, s39, v144
	v_cmp_le_i32_e32 vcc, s22, v0
	v_min_i32_e32 v0, s38, v0
	v_mad_i64_i32 v[0:1], s[12:13], v0, s23, 0
	s_or_b64 s[12:13], s[2:3], vcc
	v_lshl_add_u64 v[0:1], v[0:1], 3, s[30:31]
	s_or_b64 s[42:43], s[34:35], s[12:13]
	v_cndmask_b32_e64 v69, 0, v150, s[12:13]
	s_xor_b64 s[42:43], s[42:43], -1
	v_cndmask_b32_e64 v68, 0, -1, s[12:13]
	v_lshl_add_u64 v[0:1], v[60:61], 3, v[0:1]
	s_and_saveexec_b64 s[12:13], s[42:43]
	s_cbranch_execz .LBB159_32
; %bb.31:                               ;   in Loop: Header=BB159_30 Depth=1
	flat_load_dwordx2 v[2:3], v[0:1]
	s_waitcnt vmcnt(0) lgkmcnt(0)
	v_mul_f64 v[68:69], s[18:19], v[2:3]
.LBB159_32:                             ;   in Loop: Header=BB159_30 Depth=1
	s_or_b64 exec, exec, s[12:13]
	s_or_b64 s[12:13], s[4:5], vcc
	s_or_b64 s[42:43], s[34:35], s[12:13]
	v_cndmask_b32_e64 v71, 0, v150, s[12:13]
	s_xor_b64 s[42:43], s[42:43], -1
	v_cndmask_b32_e64 v70, 0, -1, s[12:13]
	s_and_saveexec_b64 s[12:13], s[42:43]
	s_cbranch_execz .LBB159_34
; %bb.33:                               ;   in Loop: Header=BB159_30 Depth=1
	flat_load_dwordx2 v[2:3], v[0:1] offset:512
	s_waitcnt vmcnt(0) lgkmcnt(0)
	v_mul_f64 v[70:71], s[18:19], v[2:3]
.LBB159_34:                             ;   in Loop: Header=BB159_30 Depth=1
	s_or_b64 exec, exec, s[12:13]
	s_or_b64 s[12:13], s[6:7], vcc
	s_or_b64 s[42:43], s[34:35], s[12:13]
	v_cndmask_b32_e64 v73, 0, v150, s[12:13]
	s_xor_b64 s[42:43], s[42:43], -1
	v_cndmask_b32_e64 v72, 0, -1, s[12:13]
	s_and_saveexec_b64 s[12:13], s[42:43]
	s_cbranch_execz .LBB159_36
; %bb.35:                               ;   in Loop: Header=BB159_30 Depth=1
	flat_load_dwordx2 v[2:3], v[0:1] offset:1024
	s_waitcnt vmcnt(0) lgkmcnt(0)
	v_mul_f64 v[72:73], s[18:19], v[2:3]
.LBB159_36:                             ;   in Loop: Header=BB159_30 Depth=1
	s_or_b64 exec, exec, s[12:13]
	s_or_b64 vcc, s[8:9], vcc
	s_or_b64 s[12:13], s[34:35], vcc
	v_cndmask_b32_e32 v75, 0, v150, vcc
	s_xor_b64 s[42:43], s[12:13], -1
	v_cndmask_b32_e64 v74, 0, -1, vcc
	s_and_saveexec_b64 s[12:13], s[42:43]
	s_cbranch_execz .LBB159_38
; %bb.37:                               ;   in Loop: Header=BB159_30 Depth=1
	flat_load_dwordx2 v[0:1], v[0:1] offset:1536
	s_waitcnt vmcnt(0) lgkmcnt(0)
	v_mul_f64 v[74:75], s[18:19], v[0:1]
.LBB159_38:                             ;   in Loop: Header=BB159_30 Depth=1
	s_or_b64 exec, exec, s[12:13]
	v_or_b32_e32 v66, s39, v145
	v_cmp_le_i32_e32 vcc, s22, v66
	s_or_b64 vcc, vcc, s[10:11]
	s_or_b64 s[12:13], s[34:35], vcc
	v_cndmask_b32_e32 v77, 0, v150, vcc
	s_xor_b64 s[42:43], s[12:13], -1
	v_cndmask_b32_e64 v76, 0, -1, vcc
	s_and_saveexec_b64 s[12:13], s[42:43]
	s_cbranch_execz .LBB159_40
; %bb.39:                               ;   in Loop: Header=BB159_30 Depth=1
	v_lshl_add_u64 v[0:1], v[66:67], 3, v[62:63]
	flat_load_dwordx2 v[0:1], v[0:1]
	s_waitcnt vmcnt(0) lgkmcnt(0)
	v_mul_f64 v[76:77], s[18:19], v[0:1]
.LBB159_40:                             ;   in Loop: Header=BB159_30 Depth=1
	s_or_b64 exec, exec, s[12:13]
	s_mov_b32 s37, 0
	s_mov_b64 s[12:13], -1
.LBB159_41:                             ;   Parent Loop BB159_30 Depth=1
                                        ; =>  This Inner Loop Header: Depth=2
	v_cndmask_b32_e64 v0, 0, 1, s[12:13]
	s_lshl_b32 s12, s37, 3
	v_cmp_ne_u32_e32 vcc, 1, v0
	v_lshl_add_u32 v0, v131, 5, s12
	v_lshl_add_u32 v20, v132, 5, s12
	ds_read_b128 v[32:35], v0 offset:8192
	ds_read_b128 v[28:31], v0 offset:9216
	;; [unrolled: 1-line block ×16, first 2 shown]
	s_waitcnt lgkmcnt(7)
	v_add_f64 v[156:157], v[34:35], v[154:155]
	v_add_f64 v[158:159], v[32:33], v[152:153]
	v_cvt_f32_f64_e32 v151, v[158:159]
	v_cvt_f32_f64_e32 v156, v[156:157]
	v_min3_f32 v143, v151, v156, v143
	v_add_f64 v[156:157], v[30:31], v[154:155]
	v_add_f64 v[158:159], v[28:29], v[152:153]
	v_cvt_f32_f64_e32 v151, v[158:159]
	v_cvt_f32_f64_e32 v156, v[156:157]
	v_min3_f32 v142, v151, v156, v142
	;; [unrolled: 5-line block ×6, first 2 shown]
	v_add_f64 v[156:157], v[6:7], v[154:155]
	v_add_f64 v[158:159], v[4:5], v[152:153]
	v_cvt_f32_f64_e32 v151, v[158:159]
	v_cvt_f32_f64_e32 v156, v[156:157]
	v_add_f64 v[154:155], v[2:3], v[154:155]
	v_add_f64 v[152:153], v[0:1], v[152:153]
	v_min3_f32 v137, v151, v156, v137
	v_cvt_f32_f64_e32 v151, v[152:153]
	v_cvt_f32_f64_e32 v152, v[154:155]
	v_min3_f32 v136, v151, v152, v136
	s_waitcnt lgkmcnt(6)
	v_add_f64 v[152:153], v[34:35], v[58:59]
	v_add_f64 v[154:155], v[32:33], v[56:57]
	v_cvt_f32_f64_e32 v151, v[154:155]
	v_cvt_f32_f64_e32 v152, v[152:153]
	v_min3_f32 v135, v151, v152, v135
	v_add_f64 v[152:153], v[30:31], v[58:59]
	v_add_f64 v[154:155], v[28:29], v[56:57]
	v_cvt_f32_f64_e32 v151, v[154:155]
	v_cvt_f32_f64_e32 v152, v[152:153]
	v_min3_f32 v134, v151, v152, v134
	v_add_f64 v[152:153], v[26:27], v[58:59]
	v_add_f64 v[154:155], v[24:25], v[56:57]
	v_cvt_f32_f64_e32 v151, v[154:155]
	v_cvt_f32_f64_e32 v152, v[152:153]
	v_min3_f32 v133, v151, v152, v133
	v_add_f64 v[152:153], v[18:19], v[58:59]
	v_add_f64 v[154:155], v[16:17], v[56:57]
	v_cvt_f32_f64_e32 v151, v[154:155]
	v_cvt_f32_f64_e32 v152, v[152:153]
	v_min3_f32 v130, v151, v152, v130
	v_add_f64 v[152:153], v[14:15], v[58:59]
	v_add_f64 v[154:155], v[12:13], v[56:57]
	v_cvt_f32_f64_e32 v151, v[154:155]
	v_cvt_f32_f64_e32 v152, v[152:153]
	v_min3_f32 v129, v151, v152, v129
	v_add_f64 v[152:153], v[10:11], v[58:59]
	v_add_f64 v[154:155], v[8:9], v[56:57]
	v_cvt_f32_f64_e32 v151, v[154:155]
	v_cvt_f32_f64_e32 v152, v[152:153]
	v_min3_f32 v128, v151, v152, v128
	v_add_f64 v[152:153], v[6:7], v[58:59]
	v_add_f64 v[154:155], v[4:5], v[56:57]
	v_add_f64 v[58:59], v[2:3], v[58:59]
	v_add_f64 v[56:57], v[0:1], v[56:57]
	v_cvt_f32_f64_e32 v56, v[56:57]
	v_cvt_f32_f64_e32 v57, v[58:59]
	v_min3_f32 v126, v56, v57, v126
	s_waitcnt lgkmcnt(5)
	v_add_f64 v[56:57], v[34:35], v[54:55]
	v_add_f64 v[58:59], v[32:33], v[52:53]
	v_cvt_f32_f64_e32 v58, v[58:59]
	v_cvt_f32_f64_e32 v56, v[56:57]
	v_min3_f32 v125, v58, v56, v125
	v_add_f64 v[56:57], v[30:31], v[54:55]
	v_add_f64 v[58:59], v[28:29], v[52:53]
	v_cvt_f32_f64_e32 v58, v[58:59]
	v_cvt_f32_f64_e32 v56, v[56:57]
	v_min3_f32 v124, v58, v56, v124
	v_add_f64 v[56:57], v[26:27], v[54:55]
	v_add_f64 v[58:59], v[24:25], v[52:53]
	v_cvt_f32_f64_e32 v58, v[58:59]
	v_cvt_f32_f64_e32 v56, v[56:57]
	v_min3_f32 v123, v58, v56, v123
	v_add_f64 v[56:57], v[18:19], v[54:55]
	v_add_f64 v[58:59], v[16:17], v[52:53]
	v_cvt_f32_f64_e32 v58, v[58:59]
	v_cvt_f32_f64_e32 v56, v[56:57]
	v_min3_f32 v122, v58, v56, v122
	v_add_f64 v[56:57], v[14:15], v[54:55]
	v_add_f64 v[58:59], v[12:13], v[52:53]
	v_cvt_f32_f64_e32 v58, v[58:59]
	v_cvt_f32_f64_e32 v56, v[56:57]
	v_min3_f32 v121, v58, v56, v121
	v_add_f64 v[56:57], v[10:11], v[54:55]
	v_add_f64 v[58:59], v[8:9], v[52:53]
	v_cvt_f32_f64_e32 v58, v[58:59]
	v_cvt_f32_f64_e32 v56, v[56:57]
	v_min3_f32 v120, v58, v56, v120
	v_add_f64 v[56:57], v[6:7], v[54:55]
	v_add_f64 v[58:59], v[4:5], v[52:53]
	v_add_f64 v[54:55], v[2:3], v[54:55]
	v_add_f64 v[52:53], v[0:1], v[52:53]
	;; [unrolled: 38-line block ×6, first 2 shown]
	s_waitcnt lgkmcnt(0)
	v_add_f64 v[34:35], v[34:35], v[22:23]
	v_add_f64 v[32:33], v[32:33], v[20:21]
	;; [unrolled: 1-line block ×16, first 2 shown]
	v_cvt_f32_f64_e32 v151, v[154:155]
	v_cvt_f32_f64_e32 v152, v[152:153]
	;; [unrolled: 1-line block ×30, first 2 shown]
	v_min3_f32 v127, v151, v152, v127
	v_min3_f32 v119, v58, v56, v119
	;; [unrolled: 1-line block ×15, first 2 shown]
	s_mov_b32 s37, 2
	s_mov_b64 s[12:13], 0
	s_cbranch_vccz .LBB159_41
; %bb.42:                               ;   in Loop: Header=BB159_30 Depth=1
	v_add3_u32 v0, v144, s39, 4
	v_cmp_le_i32_e32 vcc, s22, v0
	v_min_i32_e32 v0, s38, v0
	v_mad_i64_i32 v[0:1], s[12:13], v0, s23, 0
	s_or_b64 s[12:13], s[2:3], vcc
	v_lshl_add_u64 v[0:1], v[0:1], 3, s[30:31]
	s_or_b64 s[42:43], s[34:35], s[12:13]
	ds_write2st64_b64 v146, v[68:69], v[70:71] offset1:4
	ds_write2st64_b64 v146, v[72:73], v[74:75] offset0:8 offset1:12
	ds_write_b64 v147, v[76:77]
	v_cndmask_b32_e64 v69, 0, v150, s[12:13]
	s_xor_b64 s[42:43], s[42:43], -1
	v_cndmask_b32_e64 v68, 0, -1, s[12:13]
	v_lshl_add_u64 v[0:1], v[60:61], 3, v[0:1]
	s_waitcnt lgkmcnt(0)
	s_barrier
	s_and_saveexec_b64 s[12:13], s[42:43]
	s_cbranch_execz .LBB159_44
; %bb.43:                               ;   in Loop: Header=BB159_30 Depth=1
	flat_load_dwordx2 v[2:3], v[0:1]
	s_waitcnt vmcnt(0) lgkmcnt(0)
	v_mul_f64 v[68:69], s[18:19], v[2:3]
.LBB159_44:                             ;   in Loop: Header=BB159_30 Depth=1
	s_or_b64 exec, exec, s[12:13]
	s_or_b64 s[12:13], s[4:5], vcc
	s_or_b64 s[42:43], s[34:35], s[12:13]
	v_cndmask_b32_e64 v71, 0, v150, s[12:13]
	s_xor_b64 s[42:43], s[42:43], -1
	v_cndmask_b32_e64 v70, 0, -1, s[12:13]
	s_and_saveexec_b64 s[12:13], s[42:43]
	s_cbranch_execz .LBB159_46
; %bb.45:                               ;   in Loop: Header=BB159_30 Depth=1
	flat_load_dwordx2 v[2:3], v[0:1] offset:512
	s_waitcnt vmcnt(0) lgkmcnt(0)
	v_mul_f64 v[70:71], s[18:19], v[2:3]
.LBB159_46:                             ;   in Loop: Header=BB159_30 Depth=1
	s_or_b64 exec, exec, s[12:13]
	s_or_b64 s[12:13], s[6:7], vcc
	s_or_b64 s[42:43], s[34:35], s[12:13]
	v_cndmask_b32_e64 v73, 0, v150, s[12:13]
	s_xor_b64 s[42:43], s[42:43], -1
	v_cndmask_b32_e64 v72, 0, -1, s[12:13]
	s_and_saveexec_b64 s[12:13], s[42:43]
	s_cbranch_execz .LBB159_48
; %bb.47:                               ;   in Loop: Header=BB159_30 Depth=1
	flat_load_dwordx2 v[2:3], v[0:1] offset:1024
	s_waitcnt vmcnt(0) lgkmcnt(0)
	v_mul_f64 v[72:73], s[18:19], v[2:3]
.LBB159_48:                             ;   in Loop: Header=BB159_30 Depth=1
	s_or_b64 exec, exec, s[12:13]
	s_or_b64 vcc, s[8:9], vcc
	s_or_b64 s[12:13], s[34:35], vcc
	v_cndmask_b32_e32 v75, 0, v150, vcc
	s_xor_b64 s[42:43], s[12:13], -1
	v_cndmask_b32_e64 v74, 0, -1, vcc
	s_and_saveexec_b64 s[12:13], s[42:43]
	s_cbranch_execz .LBB159_50
; %bb.49:                               ;   in Loop: Header=BB159_30 Depth=1
	flat_load_dwordx2 v[0:1], v[0:1] offset:1536
	s_waitcnt vmcnt(0) lgkmcnt(0)
	v_mul_f64 v[74:75], s[18:19], v[0:1]
.LBB159_50:                             ;   in Loop: Header=BB159_30 Depth=1
	s_or_b64 exec, exec, s[12:13]
	v_or_b32_e32 v0, 4, v66
	v_cmp_le_i32_e32 vcc, s22, v0
	s_or_b64 vcc, vcc, s[10:11]
	s_or_b64 s[12:13], s[34:35], vcc
	v_cndmask_b32_e32 v77, 0, v150, vcc
	s_xor_b64 s[42:43], s[12:13], -1
	v_cndmask_b32_e64 v76, 0, -1, vcc
	s_and_saveexec_b64 s[12:13], s[42:43]
	s_cbranch_execz .LBB159_52
; %bb.51:                               ;   in Loop: Header=BB159_30 Depth=1
	v_lshl_add_u64 v[0:1], v[66:67], 3, v[64:65]
	flat_load_dwordx2 v[0:1], v[0:1]
	s_waitcnt vmcnt(0) lgkmcnt(0)
	v_mul_f64 v[76:77], s[18:19], v[0:1]
.LBB159_52:                             ;   in Loop: Header=BB159_30 Depth=1
	s_or_b64 exec, exec, s[12:13]
	s_mov_b32 s37, 0
	s_mov_b64 s[12:13], -1
.LBB159_53:                             ;   Parent Loop BB159_30 Depth=1
                                        ; =>  This Inner Loop Header: Depth=2
	v_cndmask_b32_e64 v0, 0, 1, s[12:13]
	s_lshl_b32 s12, s37, 3
	v_cmp_ne_u32_e32 vcc, 1, v0
	v_lshl_add_u32 v0, v131, 5, s12
	v_lshl_add_u32 v20, v132, 5, s12
	ds_read_b128 v[32:35], v0
	ds_read_b128 v[28:31], v0 offset:1024
	ds_read_b128 v[24:27], v0 offset:2048
	;; [unrolled: 1-line block ×15, first 2 shown]
	s_waitcnt lgkmcnt(7)
	v_add_f64 v[156:157], v[34:35], v[154:155]
	v_add_f64 v[158:159], v[32:33], v[152:153]
	v_cvt_f32_f64_e32 v66, v[158:159]
	v_cvt_f32_f64_e32 v151, v[156:157]
	v_add_f64 v[156:157], v[30:31], v[154:155]
	v_add_f64 v[158:159], v[28:29], v[152:153]
	v_min3_f32 v143, v66, v151, v143
	v_cvt_f32_f64_e32 v66, v[158:159]
	v_cvt_f32_f64_e32 v151, v[156:157]
	v_add_f64 v[156:157], v[26:27], v[154:155]
	v_add_f64 v[158:159], v[24:25], v[152:153]
	v_min3_f32 v142, v66, v151, v142
	;; [unrolled: 5-line block ×7, first 2 shown]
	v_cvt_f32_f64_e32 v66, v[152:153]
	v_cvt_f32_f64_e32 v151, v[154:155]
	s_waitcnt lgkmcnt(6)
	v_add_f64 v[152:153], v[34:35], v[58:59]
	v_add_f64 v[154:155], v[32:33], v[56:57]
	v_min3_f32 v136, v66, v151, v136
	v_cvt_f32_f64_e32 v66, v[154:155]
	v_cvt_f32_f64_e32 v151, v[152:153]
	v_add_f64 v[152:153], v[30:31], v[58:59]
	v_add_f64 v[154:155], v[28:29], v[56:57]
	v_min3_f32 v135, v66, v151, v135
	v_cvt_f32_f64_e32 v66, v[154:155]
	v_cvt_f32_f64_e32 v151, v[152:153]
	;; [unrolled: 5-line block ×6, first 2 shown]
	v_add_f64 v[152:153], v[6:7], v[58:59]
	v_add_f64 v[154:155], v[4:5], v[56:57]
	v_add_f64 v[58:59], v[2:3], v[58:59]
	v_add_f64 v[56:57], v[0:1], v[56:57]
	v_cvt_f32_f64_e32 v56, v[56:57]
	v_cvt_f32_f64_e32 v57, v[58:59]
	v_min3_f32 v126, v56, v57, v126
	s_waitcnt lgkmcnt(5)
	v_add_f64 v[56:57], v[34:35], v[54:55]
	v_add_f64 v[58:59], v[32:33], v[52:53]
	v_cvt_f32_f64_e32 v58, v[58:59]
	v_cvt_f32_f64_e32 v56, v[56:57]
	v_min3_f32 v125, v58, v56, v125
	v_add_f64 v[56:57], v[30:31], v[54:55]
	v_add_f64 v[58:59], v[28:29], v[52:53]
	v_cvt_f32_f64_e32 v58, v[58:59]
	v_cvt_f32_f64_e32 v56, v[56:57]
	v_min3_f32 v124, v58, v56, v124
	v_add_f64 v[56:57], v[26:27], v[54:55]
	v_add_f64 v[58:59], v[24:25], v[52:53]
	v_cvt_f32_f64_e32 v58, v[58:59]
	v_cvt_f32_f64_e32 v56, v[56:57]
	v_min3_f32 v123, v58, v56, v123
	v_add_f64 v[56:57], v[18:19], v[54:55]
	v_add_f64 v[58:59], v[16:17], v[52:53]
	v_cvt_f32_f64_e32 v58, v[58:59]
	v_cvt_f32_f64_e32 v56, v[56:57]
	v_min3_f32 v122, v58, v56, v122
	v_add_f64 v[56:57], v[14:15], v[54:55]
	v_add_f64 v[58:59], v[12:13], v[52:53]
	v_cvt_f32_f64_e32 v58, v[58:59]
	v_cvt_f32_f64_e32 v56, v[56:57]
	v_min3_f32 v121, v58, v56, v121
	v_add_f64 v[56:57], v[10:11], v[54:55]
	v_add_f64 v[58:59], v[8:9], v[52:53]
	v_cvt_f32_f64_e32 v58, v[58:59]
	v_cvt_f32_f64_e32 v56, v[56:57]
	v_min3_f32 v120, v58, v56, v120
	v_add_f64 v[56:57], v[6:7], v[54:55]
	v_add_f64 v[58:59], v[4:5], v[52:53]
	v_add_f64 v[54:55], v[2:3], v[54:55]
	v_add_f64 v[52:53], v[0:1], v[52:53]
	v_cvt_f32_f64_e32 v52, v[52:53]
	v_cvt_f32_f64_e32 v53, v[54:55]
	v_min3_f32 v118, v52, v53, v118
	s_waitcnt lgkmcnt(4)
	v_add_f64 v[52:53], v[34:35], v[50:51]
	v_add_f64 v[54:55], v[32:33], v[48:49]
	v_cvt_f32_f64_e32 v54, v[54:55]
	v_cvt_f32_f64_e32 v52, v[52:53]
	v_min3_f32 v117, v54, v52, v117
	v_add_f64 v[52:53], v[30:31], v[50:51]
	v_add_f64 v[54:55], v[28:29], v[48:49]
	v_cvt_f32_f64_e32 v54, v[54:55]
	v_cvt_f32_f64_e32 v52, v[52:53]
	v_min3_f32 v116, v54, v52, v116
	v_add_f64 v[52:53], v[26:27], v[50:51]
	v_add_f64 v[54:55], v[24:25], v[48:49]
	v_cvt_f32_f64_e32 v54, v[54:55]
	v_cvt_f32_f64_e32 v52, v[52:53]
	v_min3_f32 v115, v54, v52, v115
	v_add_f64 v[52:53], v[18:19], v[50:51]
	v_add_f64 v[54:55], v[16:17], v[48:49]
	v_cvt_f32_f64_e32 v54, v[54:55]
	v_cvt_f32_f64_e32 v52, v[52:53]
	v_min3_f32 v114, v54, v52, v114
	v_add_f64 v[52:53], v[14:15], v[50:51]
	v_add_f64 v[54:55], v[12:13], v[48:49]
	v_cvt_f32_f64_e32 v54, v[54:55]
	v_cvt_f32_f64_e32 v52, v[52:53]
	v_min3_f32 v113, v54, v52, v113
	v_add_f64 v[52:53], v[10:11], v[50:51]
	v_add_f64 v[54:55], v[8:9], v[48:49]
	v_cvt_f32_f64_e32 v54, v[54:55]
	v_cvt_f32_f64_e32 v52, v[52:53]
	v_min3_f32 v112, v54, v52, v112
	;; [unrolled: 38-line block ×5, first 2 shown]
	v_add_f64 v[40:41], v[6:7], v[38:39]
	v_add_f64 v[42:43], v[4:5], v[36:37]
	;; [unrolled: 1-line block ×4, first 2 shown]
	s_waitcnt lgkmcnt(0)
	v_add_f64 v[34:35], v[34:35], v[22:23]
	v_add_f64 v[32:33], v[32:33], v[20:21]
	;; [unrolled: 1-line block ×16, first 2 shown]
	v_min3_f32 v128, v66, v151, v128
	v_cvt_f32_f64_e32 v66, v[154:155]
	v_cvt_f32_f64_e32 v151, v[152:153]
	;; [unrolled: 1-line block ×30, first 2 shown]
	v_min3_f32 v127, v66, v151, v127
	v_min3_f32 v119, v58, v56, v119
	;; [unrolled: 1-line block ×15, first 2 shown]
	s_mov_b32 s37, 2
	s_mov_b64 s[12:13], 0
	s_cbranch_vccz .LBB159_53
; %bb.54:                               ;   in Loop: Header=BB159_30 Depth=1
	s_add_i32 s39, s39, 8
	s_add_i32 s36, s36, 8
	s_cmp_ge_i32 s36, s40
	ds_write2st64_b64 v148, v[68:69], v[70:71] offset1:4
	ds_write2st64_b64 v148, v[72:73], v[74:75] offset0:8 offset1:12
	ds_write_b64 v149, v[76:77]
	s_waitcnt lgkmcnt(0)
	s_barrier
	s_cbranch_scc0 .LBB159_30
.LBB159_55:
	s_mov_b32 s4, 0
	s_mov_b64 s[2:3], -1
.LBB159_56:                             ; =>This Inner Loop Header: Depth=1
	v_cndmask_b32_e64 v0, 0, 1, s[2:3]
	s_lshl_b32 s2, s4, 3
	v_cmp_ne_u32_e32 vcc, 1, v0
	v_lshl_add_u32 v0, v131, 5, s2
	v_lshl_add_u32 v20, v132, 5, s2
	ds_read_b128 v[32:35], v0 offset:8192
	ds_read_b128 v[28:31], v0 offset:9216
	;; [unrolled: 1-line block ×16, first 2 shown]
	s_waitcnt lgkmcnt(7)
	v_add_f64 v[64:65], v[34:35], v[62:63]
	v_add_f64 v[66:67], v[32:33], v[60:61]
	v_cvt_f32_f64_e32 v66, v[66:67]
	v_cvt_f32_f64_e32 v64, v[64:65]
	v_min3_f32 v143, v66, v64, v143
	v_add_f64 v[64:65], v[30:31], v[62:63]
	v_add_f64 v[66:67], v[28:29], v[60:61]
	v_cvt_f32_f64_e32 v66, v[66:67]
	v_cvt_f32_f64_e32 v64, v[64:65]
	v_min3_f32 v142, v66, v64, v142
	v_add_f64 v[64:65], v[26:27], v[62:63]
	v_add_f64 v[66:67], v[24:25], v[60:61]
	v_cvt_f32_f64_e32 v66, v[66:67]
	v_cvt_f32_f64_e32 v64, v[64:65]
	v_min3_f32 v141, v66, v64, v141
	v_add_f64 v[64:65], v[18:19], v[62:63]
	v_add_f64 v[66:67], v[16:17], v[60:61]
	v_cvt_f32_f64_e32 v66, v[66:67]
	v_cvt_f32_f64_e32 v64, v[64:65]
	v_min3_f32 v140, v66, v64, v140
	v_add_f64 v[64:65], v[14:15], v[62:63]
	v_add_f64 v[66:67], v[12:13], v[60:61]
	v_cvt_f32_f64_e32 v66, v[66:67]
	v_cvt_f32_f64_e32 v64, v[64:65]
	v_min3_f32 v139, v66, v64, v139
	v_add_f64 v[64:65], v[10:11], v[62:63]
	v_add_f64 v[66:67], v[8:9], v[60:61]
	v_cvt_f32_f64_e32 v66, v[66:67]
	v_cvt_f32_f64_e32 v64, v[64:65]
	v_min3_f32 v138, v66, v64, v138
	v_add_f64 v[64:65], v[6:7], v[62:63]
	v_add_f64 v[66:67], v[4:5], v[60:61]
	v_add_f64 v[62:63], v[2:3], v[62:63]
	v_add_f64 v[60:61], v[0:1], v[60:61]
	v_cvt_f32_f64_e32 v60, v[60:61]
	v_cvt_f32_f64_e32 v61, v[62:63]
	v_min3_f32 v136, v60, v61, v136
	s_waitcnt lgkmcnt(6)
	v_add_f64 v[60:61], v[34:35], v[58:59]
	v_add_f64 v[62:63], v[32:33], v[56:57]
	v_cvt_f32_f64_e32 v62, v[62:63]
	v_cvt_f32_f64_e32 v60, v[60:61]
	v_min3_f32 v135, v62, v60, v135
	v_add_f64 v[60:61], v[30:31], v[58:59]
	v_add_f64 v[62:63], v[28:29], v[56:57]
	v_cvt_f32_f64_e32 v62, v[62:63]
	v_cvt_f32_f64_e32 v60, v[60:61]
	v_min3_f32 v134, v62, v60, v134
	v_add_f64 v[60:61], v[26:27], v[58:59]
	v_add_f64 v[62:63], v[24:25], v[56:57]
	v_cvt_f32_f64_e32 v62, v[62:63]
	v_cvt_f32_f64_e32 v60, v[60:61]
	v_min3_f32 v133, v62, v60, v133
	v_add_f64 v[60:61], v[18:19], v[58:59]
	v_add_f64 v[62:63], v[16:17], v[56:57]
	v_cvt_f32_f64_e32 v62, v[62:63]
	v_cvt_f32_f64_e32 v60, v[60:61]
	v_min3_f32 v130, v62, v60, v130
	v_add_f64 v[60:61], v[14:15], v[58:59]
	v_add_f64 v[62:63], v[12:13], v[56:57]
	v_cvt_f32_f64_e32 v62, v[62:63]
	v_cvt_f32_f64_e32 v60, v[60:61]
	v_min3_f32 v129, v62, v60, v129
	v_add_f64 v[60:61], v[10:11], v[58:59]
	v_add_f64 v[62:63], v[8:9], v[56:57]
	v_cvt_f32_f64_e32 v62, v[62:63]
	v_cvt_f32_f64_e32 v60, v[60:61]
	v_min3_f32 v128, v62, v60, v128
	v_add_f64 v[60:61], v[6:7], v[58:59]
	v_add_f64 v[62:63], v[4:5], v[56:57]
	v_add_f64 v[58:59], v[2:3], v[58:59]
	v_add_f64 v[56:57], v[0:1], v[56:57]
	v_cvt_f32_f64_e32 v56, v[56:57]
	v_cvt_f32_f64_e32 v57, v[58:59]
	v_min3_f32 v126, v56, v57, v126
	;; [unrolled: 38-line block ×6, first 2 shown]
	s_waitcnt lgkmcnt(1)
	v_add_f64 v[40:41], v[34:35], v[38:39]
	v_add_f64 v[42:43], v[32:33], v[36:37]
	v_cvt_f32_f64_e32 v42, v[42:43]
	v_cvt_f32_f64_e32 v40, v[40:41]
	v_min3_f32 v93, v42, v40, v93
	v_add_f64 v[40:41], v[30:31], v[38:39]
	v_add_f64 v[42:43], v[28:29], v[36:37]
	v_cvt_f32_f64_e32 v42, v[42:43]
	v_cvt_f32_f64_e32 v40, v[40:41]
	v_min3_f32 v92, v42, v40, v92
	;; [unrolled: 5-line block ×6, first 2 shown]
	v_add_f64 v[40:41], v[6:7], v[38:39]
	v_add_f64 v[42:43], v[4:5], v[36:37]
	;; [unrolled: 1-line block ×4, first 2 shown]
	s_waitcnt lgkmcnt(0)
	v_add_f64 v[34:35], v[34:35], v[22:23]
	v_add_f64 v[32:33], v[32:33], v[20:21]
	;; [unrolled: 1-line block ×16, first 2 shown]
	v_cvt_f32_f64_e32 v66, v[66:67]
	v_cvt_f32_f64_e32 v64, v[64:65]
	;; [unrolled: 1-line block ×32, first 2 shown]
	v_min3_f32 v137, v66, v64, v137
	v_min3_f32 v127, v62, v60, v127
	v_min3_f32 v119, v58, v56, v119
	v_min3_f32 v111, v54, v52, v111
	v_min3_f32 v103, v50, v48, v103
	v_min3_f32 v95, v46, v44, v95
	v_min3_f32 v87, v42, v40, v87
	v_min3_f32 v86, v36, v37, v86
	v_min3_f32 v85, v32, v33, v85
	v_min3_f32 v84, v28, v29, v84
	v_min3_f32 v83, v24, v25, v83
	v_min3_f32 v82, v16, v17, v82
	v_min3_f32 v81, v12, v13, v81
	v_min3_f32 v80, v8, v9, v80
	v_min3_f32 v79, v4, v5, v79
	v_min3_f32 v78, v0, v1, v78
	s_mov_b32 s4, 2
	s_mov_b64 s[2:3], 0
	s_cbranch_vccz .LBB159_56
; %bb.57:
	s_load_dwordx2 s[2:3], s[0:1], 0x78
	s_load_dword s31, s[0:1], 0x58
	s_load_dword s30, s[0:1], 0x70
	v_add_u32_e32 v22, s33, v132
	v_add_u32_e32 v0, s17, v131
	s_waitcnt lgkmcnt(0)
	s_mul_i32 s1, s16, s3
	s_mul_hi_u32 s3, s16, s2
	s_mul_i32 s0, s16, s2
	s_add_i32 s1, s3, s1
	s_lshl_b64 s[0:1], s[0:1], 3
	s_add_u32 s22, s14, s0
	s_addc_u32 s23, s15, s1
	v_mad_i64_i32 v[2:3], s[0:1], v22, s31, 0
	v_lshl_add_u64 v[18:19], v[2:3], 3, s[26:27]
	v_mad_i64_i32 v[2:3], s[0:1], v22, s30, 0
	v_cmp_gt_i32_e64 s[2:3], s20, v0
	v_cmp_gt_i32_e64 s[18:19], s21, v22
	v_lshl_add_u64 v[16:17], v[2:3], 3, s[22:23]
	v_cndmask_b32_e64 v2, 0, 1, s[28:29]
	v_ashrrev_i32_e32 v1, 31, v0
	s_and_b64 s[6:7], s[2:3], s[18:19]
	v_cmp_ne_u32_e64 s[0:1], 1, v2
	s_and_saveexec_b64 s[4:5], s[6:7]
	s_cbranch_execz .LBB159_62
; %bb.58:
	s_and_b64 vcc, exec, s[0:1]
	s_cbranch_vccnz .LBB159_60
; %bb.59:
	v_lshl_add_u64 v[2:3], v[0:1], 3, v[18:19]
	flat_load_dwordx2 v[2:3], v[2:3]
	s_waitcnt vmcnt(0) lgkmcnt(0)
	v_mul_f64 v[2:3], s[24:25], v[2:3]
	s_branch .LBB159_61
.LBB159_60:
	v_mov_b64_e32 v[2:3], 0
.LBB159_61:
	v_cvt_f32_f64_e32 v2, v[2:3]
	v_max_f32_e32 v3, v143, v143
	v_min_f32_e32 v2, v2, v3
	v_cvt_f64_f32_e32 v[2:3], v2
	v_lshl_add_u64 v[4:5], v[0:1], 3, v[16:17]
	global_store_dwordx2 v[4:5], v[2:3], off
.LBB159_62:
	s_or_b64 exec, exec, s[4:5]
	v_add_u32_e32 v2, 32, v0
	v_cmp_gt_i32_e64 s[4:5], s20, v2
	v_ashrrev_i32_e32 v3, 31, v2
	s_and_b64 s[8:9], s[4:5], s[18:19]
	s_and_saveexec_b64 s[6:7], s[8:9]
	s_cbranch_execz .LBB159_67
; %bb.63:
	s_and_b64 vcc, exec, s[0:1]
	s_cbranch_vccnz .LBB159_65
; %bb.64:
	v_lshl_add_u64 v[4:5], v[2:3], 3, v[18:19]
	flat_load_dwordx2 v[4:5], v[4:5]
	s_waitcnt vmcnt(0) lgkmcnt(0)
	v_mul_f64 v[4:5], s[24:25], v[4:5]
	s_branch .LBB159_66
.LBB159_65:
	v_mov_b64_e32 v[4:5], 0
.LBB159_66:
	v_cvt_f32_f64_e32 v4, v[4:5]
	v_max_f32_e32 v5, v142, v142
	v_min_f32_e32 v4, v4, v5
	v_cvt_f64_f32_e32 v[4:5], v4
	v_lshl_add_u64 v[6:7], v[2:3], 3, v[16:17]
	global_store_dwordx2 v[6:7], v[4:5], off
.LBB159_67:
	s_or_b64 exec, exec, s[6:7]
	v_add_u32_e32 v4, 64, v0
	v_cmp_gt_i32_e64 s[6:7], s20, v4
	v_ashrrev_i32_e32 v5, 31, v4
	s_and_b64 s[10:11], s[6:7], s[18:19]
	;; [unrolled: 26-line block ×7, first 2 shown]
	s_and_saveexec_b64 s[18:19], s[28:29]
	s_cbranch_execz .LBB159_97
; %bb.93:
	s_and_b64 vcc, exec, s[0:1]
	s_cbranch_vccnz .LBB159_95
; %bb.94:
	v_lshl_add_u64 v[18:19], v[14:15], 3, v[18:19]
	flat_load_dwordx2 v[18:19], v[18:19]
	s_waitcnt vmcnt(0) lgkmcnt(0)
	v_mul_f64 v[18:19], s[24:25], v[18:19]
	s_branch .LBB159_96
.LBB159_95:
	v_mov_b64_e32 v[18:19], 0
.LBB159_96:
	v_cvt_f32_f64_e32 v18, v[18:19]
	v_max_f32_e32 v19, v136, v136
	v_min_f32_e32 v18, v18, v19
	v_cvt_f64_f32_e32 v[18:19], v18
	v_lshl_add_u64 v[16:17], v[14:15], 3, v[16:17]
	global_store_dwordx2 v[16:17], v[18:19], off
.LBB159_97:
	s_or_b64 exec, exec, s[18:19]
	v_add_u32_e32 v20, 8, v22
	v_mad_i64_i32 v[16:17], s[28:29], v20, s31, 0
	v_cmp_gt_i32_e64 s[18:19], s21, v20
	v_lshl_add_u64 v[18:19], v[16:17], 3, s[26:27]
	v_mad_i64_i32 v[16:17], s[28:29], v20, s30, 0
	v_lshl_add_u64 v[16:17], v[16:17], 3, s[22:23]
	s_and_b64 s[34:35], s[2:3], s[18:19]
	s_and_saveexec_b64 s[28:29], s[34:35]
	s_cbranch_execnz .LBB159_105
; %bb.98:
	s_or_b64 exec, exec, s[28:29]
	s_and_b64 s[34:35], s[4:5], s[18:19]
	s_and_saveexec_b64 s[28:29], s[34:35]
	s_cbranch_execnz .LBB159_109
.LBB159_99:
	s_or_b64 exec, exec, s[28:29]
	s_and_b64 s[34:35], s[6:7], s[18:19]
	s_and_saveexec_b64 s[28:29], s[34:35]
	s_cbranch_execnz .LBB159_113
.LBB159_100:
	s_or_b64 exec, exec, s[28:29]
	s_and_b64 s[34:35], s[8:9], s[18:19]
	s_and_saveexec_b64 s[28:29], s[34:35]
	s_cbranch_execnz .LBB159_117
.LBB159_101:
	s_or_b64 exec, exec, s[28:29]
	s_and_b64 s[34:35], s[10:11], s[18:19]
	s_and_saveexec_b64 s[28:29], s[34:35]
	s_cbranch_execnz .LBB159_121
.LBB159_102:
	s_or_b64 exec, exec, s[28:29]
	s_and_b64 s[34:35], s[12:13], s[18:19]
	s_and_saveexec_b64 s[28:29], s[34:35]
	s_cbranch_execnz .LBB159_125
.LBB159_103:
	s_or_b64 exec, exec, s[28:29]
	s_and_b64 s[34:35], s[14:15], s[18:19]
	s_and_saveexec_b64 s[28:29], s[34:35]
	s_cbranch_execnz .LBB159_129
.LBB159_104:
	s_or_b64 exec, exec, s[28:29]
	s_and_b64 s[28:29], s[16:17], s[18:19]
	s_and_saveexec_b64 s[18:19], s[28:29]
	s_cbranch_execnz .LBB159_133
	s_branch .LBB159_137
.LBB159_105:
	s_and_b64 vcc, exec, s[0:1]
	s_cbranch_vccnz .LBB159_107
; %bb.106:
	v_lshl_add_u64 v[20:21], v[0:1], 3, v[18:19]
	flat_load_dwordx2 v[20:21], v[20:21]
	s_waitcnt vmcnt(0) lgkmcnt(0)
	v_mul_f64 v[20:21], s[24:25], v[20:21]
	s_branch .LBB159_108
.LBB159_107:
	v_mov_b64_e32 v[20:21], 0
.LBB159_108:
	v_cvt_f32_f64_e32 v20, v[20:21]
	v_max_f32_e32 v21, v135, v135
	v_min_f32_e32 v20, v20, v21
	v_cvt_f64_f32_e32 v[20:21], v20
	v_lshl_add_u64 v[24:25], v[0:1], 3, v[16:17]
	global_store_dwordx2 v[24:25], v[20:21], off
	s_or_b64 exec, exec, s[28:29]
	s_and_b64 s[34:35], s[4:5], s[18:19]
	s_and_saveexec_b64 s[28:29], s[34:35]
	s_cbranch_execz .LBB159_99
.LBB159_109:
	s_and_b64 vcc, exec, s[0:1]
	s_cbranch_vccnz .LBB159_111
; %bb.110:
	v_lshl_add_u64 v[20:21], v[2:3], 3, v[18:19]
	flat_load_dwordx2 v[20:21], v[20:21]
	s_waitcnt vmcnt(0) lgkmcnt(0)
	v_mul_f64 v[20:21], s[24:25], v[20:21]
	s_branch .LBB159_112
.LBB159_111:
	v_mov_b64_e32 v[20:21], 0
.LBB159_112:
	v_cvt_f32_f64_e32 v20, v[20:21]
	v_max_f32_e32 v21, v134, v134
	v_min_f32_e32 v20, v20, v21
	v_cvt_f64_f32_e32 v[20:21], v20
	v_lshl_add_u64 v[24:25], v[2:3], 3, v[16:17]
	global_store_dwordx2 v[24:25], v[20:21], off
	s_or_b64 exec, exec, s[28:29]
	s_and_b64 s[34:35], s[6:7], s[18:19]
	s_and_saveexec_b64 s[28:29], s[34:35]
	s_cbranch_execz .LBB159_100
.LBB159_113:
	s_and_b64 vcc, exec, s[0:1]
	s_cbranch_vccnz .LBB159_115
; %bb.114:
	v_lshl_add_u64 v[20:21], v[4:5], 3, v[18:19]
	flat_load_dwordx2 v[20:21], v[20:21]
	s_waitcnt vmcnt(0) lgkmcnt(0)
	v_mul_f64 v[20:21], s[24:25], v[20:21]
	s_branch .LBB159_116
.LBB159_115:
	v_mov_b64_e32 v[20:21], 0
.LBB159_116:
	v_cvt_f32_f64_e32 v20, v[20:21]
	v_max_f32_e32 v21, v133, v133
	v_min_f32_e32 v20, v20, v21
	v_cvt_f64_f32_e32 v[20:21], v20
	v_lshl_add_u64 v[24:25], v[4:5], 3, v[16:17]
	global_store_dwordx2 v[24:25], v[20:21], off
	s_or_b64 exec, exec, s[28:29]
	s_and_b64 s[34:35], s[8:9], s[18:19]
	s_and_saveexec_b64 s[28:29], s[34:35]
	s_cbranch_execz .LBB159_101
.LBB159_117:
	s_and_b64 vcc, exec, s[0:1]
	s_cbranch_vccnz .LBB159_119
; %bb.118:
	v_lshl_add_u64 v[20:21], v[6:7], 3, v[18:19]
	flat_load_dwordx2 v[20:21], v[20:21]
	s_waitcnt vmcnt(0) lgkmcnt(0)
	v_mul_f64 v[20:21], s[24:25], v[20:21]
	s_branch .LBB159_120
.LBB159_119:
	v_mov_b64_e32 v[20:21], 0
.LBB159_120:
	v_cvt_f32_f64_e32 v20, v[20:21]
	v_max_f32_e32 v21, v130, v130
	v_min_f32_e32 v20, v20, v21
	v_cvt_f64_f32_e32 v[20:21], v20
	v_lshl_add_u64 v[24:25], v[6:7], 3, v[16:17]
	global_store_dwordx2 v[24:25], v[20:21], off
	s_or_b64 exec, exec, s[28:29]
	s_and_b64 s[34:35], s[10:11], s[18:19]
	s_and_saveexec_b64 s[28:29], s[34:35]
	s_cbranch_execz .LBB159_102
.LBB159_121:
	s_and_b64 vcc, exec, s[0:1]
	s_cbranch_vccnz .LBB159_123
; %bb.122:
	v_lshl_add_u64 v[20:21], v[8:9], 3, v[18:19]
	flat_load_dwordx2 v[20:21], v[20:21]
	s_waitcnt vmcnt(0) lgkmcnt(0)
	v_mul_f64 v[20:21], s[24:25], v[20:21]
	s_branch .LBB159_124
.LBB159_123:
	v_mov_b64_e32 v[20:21], 0
.LBB159_124:
	v_cvt_f32_f64_e32 v20, v[20:21]
	v_max_f32_e32 v21, v129, v129
	v_min_f32_e32 v20, v20, v21
	v_cvt_f64_f32_e32 v[20:21], v20
	v_lshl_add_u64 v[24:25], v[8:9], 3, v[16:17]
	global_store_dwordx2 v[24:25], v[20:21], off
	s_or_b64 exec, exec, s[28:29]
	s_and_b64 s[34:35], s[12:13], s[18:19]
	s_and_saveexec_b64 s[28:29], s[34:35]
	s_cbranch_execz .LBB159_103
.LBB159_125:
	s_and_b64 vcc, exec, s[0:1]
	s_cbranch_vccnz .LBB159_127
; %bb.126:
	v_lshl_add_u64 v[20:21], v[10:11], 3, v[18:19]
	flat_load_dwordx2 v[20:21], v[20:21]
	s_waitcnt vmcnt(0) lgkmcnt(0)
	v_mul_f64 v[20:21], s[24:25], v[20:21]
	s_branch .LBB159_128
.LBB159_127:
	v_mov_b64_e32 v[20:21], 0
.LBB159_128:
	v_cvt_f32_f64_e32 v20, v[20:21]
	v_max_f32_e32 v21, v128, v128
	v_min_f32_e32 v20, v20, v21
	v_cvt_f64_f32_e32 v[20:21], v20
	v_lshl_add_u64 v[24:25], v[10:11], 3, v[16:17]
	global_store_dwordx2 v[24:25], v[20:21], off
	s_or_b64 exec, exec, s[28:29]
	s_and_b64 s[34:35], s[14:15], s[18:19]
	s_and_saveexec_b64 s[28:29], s[34:35]
	s_cbranch_execz .LBB159_104
.LBB159_129:
	s_and_b64 vcc, exec, s[0:1]
	s_cbranch_vccnz .LBB159_131
; %bb.130:
	v_lshl_add_u64 v[20:21], v[12:13], 3, v[18:19]
	flat_load_dwordx2 v[20:21], v[20:21]
	s_waitcnt vmcnt(0) lgkmcnt(0)
	v_mul_f64 v[20:21], s[24:25], v[20:21]
	s_branch .LBB159_132
.LBB159_131:
	v_mov_b64_e32 v[20:21], 0
.LBB159_132:
	v_cvt_f32_f64_e32 v20, v[20:21]
	v_max_f32_e32 v21, v127, v127
	v_min_f32_e32 v20, v20, v21
	v_cvt_f64_f32_e32 v[20:21], v20
	v_lshl_add_u64 v[24:25], v[12:13], 3, v[16:17]
	global_store_dwordx2 v[24:25], v[20:21], off
	s_or_b64 exec, exec, s[28:29]
	s_and_b64 s[28:29], s[16:17], s[18:19]
	s_and_saveexec_b64 s[18:19], s[28:29]
	s_cbranch_execz .LBB159_137
.LBB159_133:
	s_and_b64 vcc, exec, s[0:1]
	s_cbranch_vccnz .LBB159_135
; %bb.134:
	v_lshl_add_u64 v[18:19], v[14:15], 3, v[18:19]
	flat_load_dwordx2 v[18:19], v[18:19]
	s_waitcnt vmcnt(0) lgkmcnt(0)
	v_mul_f64 v[18:19], s[24:25], v[18:19]
	s_branch .LBB159_136
.LBB159_135:
	v_mov_b64_e32 v[18:19], 0
.LBB159_136:
	v_cvt_f32_f64_e32 v18, v[18:19]
	v_max_f32_e32 v19, v126, v126
	v_min_f32_e32 v18, v18, v19
	v_cvt_f64_f32_e32 v[18:19], v18
	v_lshl_add_u64 v[16:17], v[14:15], 3, v[16:17]
	global_store_dwordx2 v[16:17], v[18:19], off
.LBB159_137:
	s_or_b64 exec, exec, s[18:19]
	v_add_u32_e32 v20, 16, v22
	v_mad_i64_i32 v[16:17], s[28:29], v20, s31, 0
	v_cmp_gt_i32_e64 s[18:19], s21, v20
	v_lshl_add_u64 v[18:19], v[16:17], 3, s[26:27]
	v_mad_i64_i32 v[16:17], s[28:29], v20, s30, 0
	v_lshl_add_u64 v[16:17], v[16:17], 3, s[22:23]
	s_and_b64 s[34:35], s[2:3], s[18:19]
	s_and_saveexec_b64 s[28:29], s[34:35]
	s_cbranch_execnz .LBB159_145
; %bb.138:
	s_or_b64 exec, exec, s[28:29]
	s_and_b64 s[34:35], s[4:5], s[18:19]
	s_and_saveexec_b64 s[28:29], s[34:35]
	s_cbranch_execnz .LBB159_149
.LBB159_139:
	s_or_b64 exec, exec, s[28:29]
	s_and_b64 s[34:35], s[6:7], s[18:19]
	s_and_saveexec_b64 s[28:29], s[34:35]
	s_cbranch_execnz .LBB159_153
.LBB159_140:
	s_or_b64 exec, exec, s[28:29]
	s_and_b64 s[34:35], s[8:9], s[18:19]
	s_and_saveexec_b64 s[28:29], s[34:35]
	s_cbranch_execnz .LBB159_157
.LBB159_141:
	s_or_b64 exec, exec, s[28:29]
	s_and_b64 s[34:35], s[10:11], s[18:19]
	s_and_saveexec_b64 s[28:29], s[34:35]
	s_cbranch_execnz .LBB159_161
.LBB159_142:
	s_or_b64 exec, exec, s[28:29]
	s_and_b64 s[34:35], s[12:13], s[18:19]
	s_and_saveexec_b64 s[28:29], s[34:35]
	s_cbranch_execnz .LBB159_165
.LBB159_143:
	s_or_b64 exec, exec, s[28:29]
	s_and_b64 s[34:35], s[14:15], s[18:19]
	s_and_saveexec_b64 s[28:29], s[34:35]
	s_cbranch_execnz .LBB159_169
.LBB159_144:
	s_or_b64 exec, exec, s[28:29]
	s_and_b64 s[28:29], s[16:17], s[18:19]
	s_and_saveexec_b64 s[18:19], s[28:29]
	s_cbranch_execnz .LBB159_173
	s_branch .LBB159_177
.LBB159_145:
	s_and_b64 vcc, exec, s[0:1]
	s_cbranch_vccnz .LBB159_147
; %bb.146:
	v_lshl_add_u64 v[20:21], v[0:1], 3, v[18:19]
	flat_load_dwordx2 v[20:21], v[20:21]
	s_waitcnt vmcnt(0) lgkmcnt(0)
	v_mul_f64 v[20:21], s[24:25], v[20:21]
	s_branch .LBB159_148
.LBB159_147:
	v_mov_b64_e32 v[20:21], 0
.LBB159_148:
	v_cvt_f32_f64_e32 v20, v[20:21]
	v_max_f32_e32 v21, v125, v125
	v_min_f32_e32 v20, v20, v21
	v_cvt_f64_f32_e32 v[20:21], v20
	v_lshl_add_u64 v[24:25], v[0:1], 3, v[16:17]
	global_store_dwordx2 v[24:25], v[20:21], off
	s_or_b64 exec, exec, s[28:29]
	s_and_b64 s[34:35], s[4:5], s[18:19]
	s_and_saveexec_b64 s[28:29], s[34:35]
	s_cbranch_execz .LBB159_139
.LBB159_149:
	s_and_b64 vcc, exec, s[0:1]
	s_cbranch_vccnz .LBB159_151
; %bb.150:
	v_lshl_add_u64 v[20:21], v[2:3], 3, v[18:19]
	flat_load_dwordx2 v[20:21], v[20:21]
	s_waitcnt vmcnt(0) lgkmcnt(0)
	v_mul_f64 v[20:21], s[24:25], v[20:21]
	s_branch .LBB159_152
.LBB159_151:
	v_mov_b64_e32 v[20:21], 0
.LBB159_152:
	v_cvt_f32_f64_e32 v20, v[20:21]
	v_max_f32_e32 v21, v124, v124
	v_min_f32_e32 v20, v20, v21
	v_cvt_f64_f32_e32 v[20:21], v20
	v_lshl_add_u64 v[24:25], v[2:3], 3, v[16:17]
	global_store_dwordx2 v[24:25], v[20:21], off
	s_or_b64 exec, exec, s[28:29]
	s_and_b64 s[34:35], s[6:7], s[18:19]
	s_and_saveexec_b64 s[28:29], s[34:35]
	s_cbranch_execz .LBB159_140
.LBB159_153:
	s_and_b64 vcc, exec, s[0:1]
	s_cbranch_vccnz .LBB159_155
; %bb.154:
	v_lshl_add_u64 v[20:21], v[4:5], 3, v[18:19]
	flat_load_dwordx2 v[20:21], v[20:21]
	s_waitcnt vmcnt(0) lgkmcnt(0)
	v_mul_f64 v[20:21], s[24:25], v[20:21]
	s_branch .LBB159_156
.LBB159_155:
	v_mov_b64_e32 v[20:21], 0
.LBB159_156:
	v_cvt_f32_f64_e32 v20, v[20:21]
	v_max_f32_e32 v21, v123, v123
	v_min_f32_e32 v20, v20, v21
	v_cvt_f64_f32_e32 v[20:21], v20
	v_lshl_add_u64 v[24:25], v[4:5], 3, v[16:17]
	global_store_dwordx2 v[24:25], v[20:21], off
	s_or_b64 exec, exec, s[28:29]
	s_and_b64 s[34:35], s[8:9], s[18:19]
	s_and_saveexec_b64 s[28:29], s[34:35]
	s_cbranch_execz .LBB159_141
.LBB159_157:
	s_and_b64 vcc, exec, s[0:1]
	s_cbranch_vccnz .LBB159_159
; %bb.158:
	v_lshl_add_u64 v[20:21], v[6:7], 3, v[18:19]
	flat_load_dwordx2 v[20:21], v[20:21]
	s_waitcnt vmcnt(0) lgkmcnt(0)
	v_mul_f64 v[20:21], s[24:25], v[20:21]
	s_branch .LBB159_160
.LBB159_159:
	v_mov_b64_e32 v[20:21], 0
.LBB159_160:
	v_cvt_f32_f64_e32 v20, v[20:21]
	v_max_f32_e32 v21, v122, v122
	v_min_f32_e32 v20, v20, v21
	v_cvt_f64_f32_e32 v[20:21], v20
	v_lshl_add_u64 v[24:25], v[6:7], 3, v[16:17]
	global_store_dwordx2 v[24:25], v[20:21], off
	s_or_b64 exec, exec, s[28:29]
	s_and_b64 s[34:35], s[10:11], s[18:19]
	s_and_saveexec_b64 s[28:29], s[34:35]
	s_cbranch_execz .LBB159_142
.LBB159_161:
	s_and_b64 vcc, exec, s[0:1]
	s_cbranch_vccnz .LBB159_163
; %bb.162:
	v_lshl_add_u64 v[20:21], v[8:9], 3, v[18:19]
	flat_load_dwordx2 v[20:21], v[20:21]
	s_waitcnt vmcnt(0) lgkmcnt(0)
	v_mul_f64 v[20:21], s[24:25], v[20:21]
	s_branch .LBB159_164
.LBB159_163:
	v_mov_b64_e32 v[20:21], 0
.LBB159_164:
	v_cvt_f32_f64_e32 v20, v[20:21]
	v_max_f32_e32 v21, v121, v121
	v_min_f32_e32 v20, v20, v21
	v_cvt_f64_f32_e32 v[20:21], v20
	v_lshl_add_u64 v[24:25], v[8:9], 3, v[16:17]
	global_store_dwordx2 v[24:25], v[20:21], off
	s_or_b64 exec, exec, s[28:29]
	s_and_b64 s[34:35], s[12:13], s[18:19]
	s_and_saveexec_b64 s[28:29], s[34:35]
	s_cbranch_execz .LBB159_143
.LBB159_165:
	s_and_b64 vcc, exec, s[0:1]
	s_cbranch_vccnz .LBB159_167
; %bb.166:
	v_lshl_add_u64 v[20:21], v[10:11], 3, v[18:19]
	flat_load_dwordx2 v[20:21], v[20:21]
	s_waitcnt vmcnt(0) lgkmcnt(0)
	v_mul_f64 v[20:21], s[24:25], v[20:21]
	s_branch .LBB159_168
.LBB159_167:
	v_mov_b64_e32 v[20:21], 0
.LBB159_168:
	v_cvt_f32_f64_e32 v20, v[20:21]
	v_max_f32_e32 v21, v120, v120
	v_min_f32_e32 v20, v20, v21
	v_cvt_f64_f32_e32 v[20:21], v20
	v_lshl_add_u64 v[24:25], v[10:11], 3, v[16:17]
	global_store_dwordx2 v[24:25], v[20:21], off
	s_or_b64 exec, exec, s[28:29]
	s_and_b64 s[34:35], s[14:15], s[18:19]
	s_and_saveexec_b64 s[28:29], s[34:35]
	s_cbranch_execz .LBB159_144
.LBB159_169:
	s_and_b64 vcc, exec, s[0:1]
	s_cbranch_vccnz .LBB159_171
; %bb.170:
	v_lshl_add_u64 v[20:21], v[12:13], 3, v[18:19]
	flat_load_dwordx2 v[20:21], v[20:21]
	s_waitcnt vmcnt(0) lgkmcnt(0)
	v_mul_f64 v[20:21], s[24:25], v[20:21]
	s_branch .LBB159_172
.LBB159_171:
	v_mov_b64_e32 v[20:21], 0
.LBB159_172:
	v_cvt_f32_f64_e32 v20, v[20:21]
	v_max_f32_e32 v21, v119, v119
	v_min_f32_e32 v20, v20, v21
	v_cvt_f64_f32_e32 v[20:21], v20
	v_lshl_add_u64 v[24:25], v[12:13], 3, v[16:17]
	global_store_dwordx2 v[24:25], v[20:21], off
	s_or_b64 exec, exec, s[28:29]
	s_and_b64 s[28:29], s[16:17], s[18:19]
	s_and_saveexec_b64 s[18:19], s[28:29]
	s_cbranch_execz .LBB159_177
.LBB159_173:
	s_and_b64 vcc, exec, s[0:1]
	s_cbranch_vccnz .LBB159_175
; %bb.174:
	v_lshl_add_u64 v[18:19], v[14:15], 3, v[18:19]
	flat_load_dwordx2 v[18:19], v[18:19]
	s_waitcnt vmcnt(0) lgkmcnt(0)
	v_mul_f64 v[18:19], s[24:25], v[18:19]
	s_branch .LBB159_176
.LBB159_175:
	v_mov_b64_e32 v[18:19], 0
.LBB159_176:
	v_cvt_f32_f64_e32 v18, v[18:19]
	v_max_f32_e32 v19, v118, v118
	v_min_f32_e32 v18, v18, v19
	v_cvt_f64_f32_e32 v[18:19], v18
	v_lshl_add_u64 v[16:17], v[14:15], 3, v[16:17]
	global_store_dwordx2 v[16:17], v[18:19], off
.LBB159_177:
	s_or_b64 exec, exec, s[18:19]
	v_add_u32_e32 v20, 24, v22
	v_mad_i64_i32 v[16:17], s[28:29], v20, s31, 0
	v_cmp_gt_i32_e64 s[18:19], s21, v20
	v_lshl_add_u64 v[18:19], v[16:17], 3, s[26:27]
	v_mad_i64_i32 v[16:17], s[28:29], v20, s30, 0
	v_lshl_add_u64 v[16:17], v[16:17], 3, s[22:23]
	s_and_b64 s[34:35], s[2:3], s[18:19]
	s_and_saveexec_b64 s[28:29], s[34:35]
	s_cbranch_execnz .LBB159_185
; %bb.178:
	s_or_b64 exec, exec, s[28:29]
	s_and_b64 s[34:35], s[4:5], s[18:19]
	s_and_saveexec_b64 s[28:29], s[34:35]
	s_cbranch_execnz .LBB159_189
.LBB159_179:
	s_or_b64 exec, exec, s[28:29]
	s_and_b64 s[34:35], s[6:7], s[18:19]
	s_and_saveexec_b64 s[28:29], s[34:35]
	s_cbranch_execnz .LBB159_193
.LBB159_180:
	s_or_b64 exec, exec, s[28:29]
	s_and_b64 s[34:35], s[8:9], s[18:19]
	s_and_saveexec_b64 s[28:29], s[34:35]
	s_cbranch_execnz .LBB159_197
.LBB159_181:
	s_or_b64 exec, exec, s[28:29]
	s_and_b64 s[34:35], s[10:11], s[18:19]
	s_and_saveexec_b64 s[28:29], s[34:35]
	s_cbranch_execnz .LBB159_201
.LBB159_182:
	s_or_b64 exec, exec, s[28:29]
	s_and_b64 s[34:35], s[12:13], s[18:19]
	s_and_saveexec_b64 s[28:29], s[34:35]
	s_cbranch_execnz .LBB159_205
.LBB159_183:
	s_or_b64 exec, exec, s[28:29]
	s_and_b64 s[34:35], s[14:15], s[18:19]
	s_and_saveexec_b64 s[28:29], s[34:35]
	s_cbranch_execnz .LBB159_209
.LBB159_184:
	s_or_b64 exec, exec, s[28:29]
	s_and_b64 s[28:29], s[16:17], s[18:19]
	s_and_saveexec_b64 s[18:19], s[28:29]
	s_cbranch_execnz .LBB159_213
	s_branch .LBB159_217
.LBB159_185:
	s_and_b64 vcc, exec, s[0:1]
	s_cbranch_vccnz .LBB159_187
; %bb.186:
	v_lshl_add_u64 v[20:21], v[0:1], 3, v[18:19]
	flat_load_dwordx2 v[20:21], v[20:21]
	s_waitcnt vmcnt(0) lgkmcnt(0)
	v_mul_f64 v[20:21], s[24:25], v[20:21]
	s_branch .LBB159_188
.LBB159_187:
	v_mov_b64_e32 v[20:21], 0
.LBB159_188:
	v_cvt_f32_f64_e32 v20, v[20:21]
	v_max_f32_e32 v21, v117, v117
	v_min_f32_e32 v20, v20, v21
	v_cvt_f64_f32_e32 v[20:21], v20
	v_lshl_add_u64 v[24:25], v[0:1], 3, v[16:17]
	global_store_dwordx2 v[24:25], v[20:21], off
	s_or_b64 exec, exec, s[28:29]
	s_and_b64 s[34:35], s[4:5], s[18:19]
	s_and_saveexec_b64 s[28:29], s[34:35]
	s_cbranch_execz .LBB159_179
.LBB159_189:
	s_and_b64 vcc, exec, s[0:1]
	s_cbranch_vccnz .LBB159_191
; %bb.190:
	v_lshl_add_u64 v[20:21], v[2:3], 3, v[18:19]
	flat_load_dwordx2 v[20:21], v[20:21]
	s_waitcnt vmcnt(0) lgkmcnt(0)
	v_mul_f64 v[20:21], s[24:25], v[20:21]
	s_branch .LBB159_192
.LBB159_191:
	v_mov_b64_e32 v[20:21], 0
.LBB159_192:
	v_cvt_f32_f64_e32 v20, v[20:21]
	v_max_f32_e32 v21, v116, v116
	v_min_f32_e32 v20, v20, v21
	v_cvt_f64_f32_e32 v[20:21], v20
	v_lshl_add_u64 v[24:25], v[2:3], 3, v[16:17]
	global_store_dwordx2 v[24:25], v[20:21], off
	s_or_b64 exec, exec, s[28:29]
	s_and_b64 s[34:35], s[6:7], s[18:19]
	s_and_saveexec_b64 s[28:29], s[34:35]
	s_cbranch_execz .LBB159_180
.LBB159_193:
	s_and_b64 vcc, exec, s[0:1]
	s_cbranch_vccnz .LBB159_195
; %bb.194:
	v_lshl_add_u64 v[20:21], v[4:5], 3, v[18:19]
	flat_load_dwordx2 v[20:21], v[20:21]
	s_waitcnt vmcnt(0) lgkmcnt(0)
	v_mul_f64 v[20:21], s[24:25], v[20:21]
	s_branch .LBB159_196
.LBB159_195:
	v_mov_b64_e32 v[20:21], 0
.LBB159_196:
	v_cvt_f32_f64_e32 v20, v[20:21]
	v_max_f32_e32 v21, v115, v115
	v_min_f32_e32 v20, v20, v21
	v_cvt_f64_f32_e32 v[20:21], v20
	v_lshl_add_u64 v[24:25], v[4:5], 3, v[16:17]
	global_store_dwordx2 v[24:25], v[20:21], off
	s_or_b64 exec, exec, s[28:29]
	s_and_b64 s[34:35], s[8:9], s[18:19]
	s_and_saveexec_b64 s[28:29], s[34:35]
	s_cbranch_execz .LBB159_181
.LBB159_197:
	s_and_b64 vcc, exec, s[0:1]
	s_cbranch_vccnz .LBB159_199
; %bb.198:
	v_lshl_add_u64 v[20:21], v[6:7], 3, v[18:19]
	flat_load_dwordx2 v[20:21], v[20:21]
	s_waitcnt vmcnt(0) lgkmcnt(0)
	v_mul_f64 v[20:21], s[24:25], v[20:21]
	s_branch .LBB159_200
.LBB159_199:
	v_mov_b64_e32 v[20:21], 0
.LBB159_200:
	v_cvt_f32_f64_e32 v20, v[20:21]
	v_max_f32_e32 v21, v114, v114
	v_min_f32_e32 v20, v20, v21
	v_cvt_f64_f32_e32 v[20:21], v20
	v_lshl_add_u64 v[24:25], v[6:7], 3, v[16:17]
	global_store_dwordx2 v[24:25], v[20:21], off
	s_or_b64 exec, exec, s[28:29]
	s_and_b64 s[34:35], s[10:11], s[18:19]
	s_and_saveexec_b64 s[28:29], s[34:35]
	s_cbranch_execz .LBB159_182
.LBB159_201:
	s_and_b64 vcc, exec, s[0:1]
	s_cbranch_vccnz .LBB159_203
; %bb.202:
	v_lshl_add_u64 v[20:21], v[8:9], 3, v[18:19]
	flat_load_dwordx2 v[20:21], v[20:21]
	s_waitcnt vmcnt(0) lgkmcnt(0)
	v_mul_f64 v[20:21], s[24:25], v[20:21]
	s_branch .LBB159_204
.LBB159_203:
	v_mov_b64_e32 v[20:21], 0
.LBB159_204:
	v_cvt_f32_f64_e32 v20, v[20:21]
	v_max_f32_e32 v21, v113, v113
	v_min_f32_e32 v20, v20, v21
	v_cvt_f64_f32_e32 v[20:21], v20
	v_lshl_add_u64 v[24:25], v[8:9], 3, v[16:17]
	global_store_dwordx2 v[24:25], v[20:21], off
	s_or_b64 exec, exec, s[28:29]
	s_and_b64 s[34:35], s[12:13], s[18:19]
	s_and_saveexec_b64 s[28:29], s[34:35]
	s_cbranch_execz .LBB159_183
.LBB159_205:
	s_and_b64 vcc, exec, s[0:1]
	s_cbranch_vccnz .LBB159_207
; %bb.206:
	v_lshl_add_u64 v[20:21], v[10:11], 3, v[18:19]
	flat_load_dwordx2 v[20:21], v[20:21]
	s_waitcnt vmcnt(0) lgkmcnt(0)
	v_mul_f64 v[20:21], s[24:25], v[20:21]
	s_branch .LBB159_208
.LBB159_207:
	v_mov_b64_e32 v[20:21], 0
.LBB159_208:
	v_cvt_f32_f64_e32 v20, v[20:21]
	v_max_f32_e32 v21, v112, v112
	v_min_f32_e32 v20, v20, v21
	v_cvt_f64_f32_e32 v[20:21], v20
	v_lshl_add_u64 v[24:25], v[10:11], 3, v[16:17]
	global_store_dwordx2 v[24:25], v[20:21], off
	s_or_b64 exec, exec, s[28:29]
	s_and_b64 s[34:35], s[14:15], s[18:19]
	s_and_saveexec_b64 s[28:29], s[34:35]
	s_cbranch_execz .LBB159_184
.LBB159_209:
	s_and_b64 vcc, exec, s[0:1]
	s_cbranch_vccnz .LBB159_211
; %bb.210:
	v_lshl_add_u64 v[20:21], v[12:13], 3, v[18:19]
	flat_load_dwordx2 v[20:21], v[20:21]
	s_waitcnt vmcnt(0) lgkmcnt(0)
	v_mul_f64 v[20:21], s[24:25], v[20:21]
	s_branch .LBB159_212
.LBB159_211:
	v_mov_b64_e32 v[20:21], 0
.LBB159_212:
	v_cvt_f32_f64_e32 v20, v[20:21]
	v_max_f32_e32 v21, v111, v111
	v_min_f32_e32 v20, v20, v21
	v_cvt_f64_f32_e32 v[20:21], v20
	v_lshl_add_u64 v[24:25], v[12:13], 3, v[16:17]
	global_store_dwordx2 v[24:25], v[20:21], off
	s_or_b64 exec, exec, s[28:29]
	s_and_b64 s[28:29], s[16:17], s[18:19]
	s_and_saveexec_b64 s[18:19], s[28:29]
	s_cbranch_execz .LBB159_217
.LBB159_213:
	s_and_b64 vcc, exec, s[0:1]
	s_cbranch_vccnz .LBB159_215
; %bb.214:
	v_lshl_add_u64 v[18:19], v[14:15], 3, v[18:19]
	flat_load_dwordx2 v[18:19], v[18:19]
	s_waitcnt vmcnt(0) lgkmcnt(0)
	v_mul_f64 v[18:19], s[24:25], v[18:19]
	s_branch .LBB159_216
.LBB159_215:
	v_mov_b64_e32 v[18:19], 0
.LBB159_216:
	v_cvt_f32_f64_e32 v18, v[18:19]
	v_max_f32_e32 v19, v110, v110
	v_min_f32_e32 v18, v18, v19
	v_cvt_f64_f32_e32 v[18:19], v18
	v_lshl_add_u64 v[16:17], v[14:15], 3, v[16:17]
	global_store_dwordx2 v[16:17], v[18:19], off
.LBB159_217:
	s_or_b64 exec, exec, s[18:19]
	v_add_u32_e32 v20, 32, v22
	v_mad_i64_i32 v[16:17], s[28:29], v20, s31, 0
	v_cmp_gt_i32_e64 s[18:19], s21, v20
	v_lshl_add_u64 v[18:19], v[16:17], 3, s[26:27]
	v_mad_i64_i32 v[16:17], s[28:29], v20, s30, 0
	v_lshl_add_u64 v[16:17], v[16:17], 3, s[22:23]
	s_and_b64 s[34:35], s[2:3], s[18:19]
	s_and_saveexec_b64 s[28:29], s[34:35]
	s_cbranch_execnz .LBB159_225
; %bb.218:
	s_or_b64 exec, exec, s[28:29]
	s_and_b64 s[34:35], s[4:5], s[18:19]
	s_and_saveexec_b64 s[28:29], s[34:35]
	s_cbranch_execnz .LBB159_229
.LBB159_219:
	s_or_b64 exec, exec, s[28:29]
	s_and_b64 s[34:35], s[6:7], s[18:19]
	s_and_saveexec_b64 s[28:29], s[34:35]
	s_cbranch_execnz .LBB159_233
.LBB159_220:
	s_or_b64 exec, exec, s[28:29]
	s_and_b64 s[34:35], s[8:9], s[18:19]
	s_and_saveexec_b64 s[28:29], s[34:35]
	s_cbranch_execnz .LBB159_237
.LBB159_221:
	s_or_b64 exec, exec, s[28:29]
	s_and_b64 s[34:35], s[10:11], s[18:19]
	s_and_saveexec_b64 s[28:29], s[34:35]
	s_cbranch_execnz .LBB159_241
.LBB159_222:
	s_or_b64 exec, exec, s[28:29]
	s_and_b64 s[34:35], s[12:13], s[18:19]
	s_and_saveexec_b64 s[28:29], s[34:35]
	s_cbranch_execnz .LBB159_245
.LBB159_223:
	s_or_b64 exec, exec, s[28:29]
	s_and_b64 s[34:35], s[14:15], s[18:19]
	s_and_saveexec_b64 s[28:29], s[34:35]
	s_cbranch_execnz .LBB159_249
.LBB159_224:
	s_or_b64 exec, exec, s[28:29]
	s_and_b64 s[28:29], s[16:17], s[18:19]
	s_and_saveexec_b64 s[18:19], s[28:29]
	s_cbranch_execnz .LBB159_253
	s_branch .LBB159_257
.LBB159_225:
	s_and_b64 vcc, exec, s[0:1]
	s_cbranch_vccnz .LBB159_227
; %bb.226:
	v_lshl_add_u64 v[20:21], v[0:1], 3, v[18:19]
	flat_load_dwordx2 v[20:21], v[20:21]
	s_waitcnt vmcnt(0) lgkmcnt(0)
	v_mul_f64 v[20:21], s[24:25], v[20:21]
	s_branch .LBB159_228
.LBB159_227:
	v_mov_b64_e32 v[20:21], 0
.LBB159_228:
	v_cvt_f32_f64_e32 v20, v[20:21]
	v_max_f32_e32 v21, v109, v109
	v_min_f32_e32 v20, v20, v21
	v_cvt_f64_f32_e32 v[20:21], v20
	v_lshl_add_u64 v[24:25], v[0:1], 3, v[16:17]
	global_store_dwordx2 v[24:25], v[20:21], off
	s_or_b64 exec, exec, s[28:29]
	s_and_b64 s[34:35], s[4:5], s[18:19]
	s_and_saveexec_b64 s[28:29], s[34:35]
	s_cbranch_execz .LBB159_219
.LBB159_229:
	s_and_b64 vcc, exec, s[0:1]
	s_cbranch_vccnz .LBB159_231
; %bb.230:
	v_lshl_add_u64 v[20:21], v[2:3], 3, v[18:19]
	flat_load_dwordx2 v[20:21], v[20:21]
	s_waitcnt vmcnt(0) lgkmcnt(0)
	v_mul_f64 v[20:21], s[24:25], v[20:21]
	s_branch .LBB159_232
.LBB159_231:
	v_mov_b64_e32 v[20:21], 0
.LBB159_232:
	v_cvt_f32_f64_e32 v20, v[20:21]
	v_max_f32_e32 v21, v108, v108
	v_min_f32_e32 v20, v20, v21
	v_cvt_f64_f32_e32 v[20:21], v20
	v_lshl_add_u64 v[24:25], v[2:3], 3, v[16:17]
	global_store_dwordx2 v[24:25], v[20:21], off
	s_or_b64 exec, exec, s[28:29]
	s_and_b64 s[34:35], s[6:7], s[18:19]
	s_and_saveexec_b64 s[28:29], s[34:35]
	s_cbranch_execz .LBB159_220
.LBB159_233:
	s_and_b64 vcc, exec, s[0:1]
	s_cbranch_vccnz .LBB159_235
; %bb.234:
	v_lshl_add_u64 v[20:21], v[4:5], 3, v[18:19]
	flat_load_dwordx2 v[20:21], v[20:21]
	s_waitcnt vmcnt(0) lgkmcnt(0)
	v_mul_f64 v[20:21], s[24:25], v[20:21]
	s_branch .LBB159_236
.LBB159_235:
	v_mov_b64_e32 v[20:21], 0
.LBB159_236:
	v_cvt_f32_f64_e32 v20, v[20:21]
	v_max_f32_e32 v21, v107, v107
	v_min_f32_e32 v20, v20, v21
	v_cvt_f64_f32_e32 v[20:21], v20
	v_lshl_add_u64 v[24:25], v[4:5], 3, v[16:17]
	global_store_dwordx2 v[24:25], v[20:21], off
	s_or_b64 exec, exec, s[28:29]
	s_and_b64 s[34:35], s[8:9], s[18:19]
	s_and_saveexec_b64 s[28:29], s[34:35]
	s_cbranch_execz .LBB159_221
.LBB159_237:
	s_and_b64 vcc, exec, s[0:1]
	s_cbranch_vccnz .LBB159_239
; %bb.238:
	v_lshl_add_u64 v[20:21], v[6:7], 3, v[18:19]
	flat_load_dwordx2 v[20:21], v[20:21]
	s_waitcnt vmcnt(0) lgkmcnt(0)
	v_mul_f64 v[20:21], s[24:25], v[20:21]
	s_branch .LBB159_240
.LBB159_239:
	v_mov_b64_e32 v[20:21], 0
.LBB159_240:
	v_cvt_f32_f64_e32 v20, v[20:21]
	v_max_f32_e32 v21, v106, v106
	v_min_f32_e32 v20, v20, v21
	v_cvt_f64_f32_e32 v[20:21], v20
	v_lshl_add_u64 v[24:25], v[6:7], 3, v[16:17]
	global_store_dwordx2 v[24:25], v[20:21], off
	s_or_b64 exec, exec, s[28:29]
	s_and_b64 s[34:35], s[10:11], s[18:19]
	s_and_saveexec_b64 s[28:29], s[34:35]
	s_cbranch_execz .LBB159_222
.LBB159_241:
	s_and_b64 vcc, exec, s[0:1]
	s_cbranch_vccnz .LBB159_243
; %bb.242:
	v_lshl_add_u64 v[20:21], v[8:9], 3, v[18:19]
	flat_load_dwordx2 v[20:21], v[20:21]
	s_waitcnt vmcnt(0) lgkmcnt(0)
	v_mul_f64 v[20:21], s[24:25], v[20:21]
	s_branch .LBB159_244
.LBB159_243:
	v_mov_b64_e32 v[20:21], 0
.LBB159_244:
	v_cvt_f32_f64_e32 v20, v[20:21]
	v_max_f32_e32 v21, v105, v105
	v_min_f32_e32 v20, v20, v21
	v_cvt_f64_f32_e32 v[20:21], v20
	v_lshl_add_u64 v[24:25], v[8:9], 3, v[16:17]
	global_store_dwordx2 v[24:25], v[20:21], off
	s_or_b64 exec, exec, s[28:29]
	s_and_b64 s[34:35], s[12:13], s[18:19]
	s_and_saveexec_b64 s[28:29], s[34:35]
	s_cbranch_execz .LBB159_223
.LBB159_245:
	s_and_b64 vcc, exec, s[0:1]
	s_cbranch_vccnz .LBB159_247
; %bb.246:
	v_lshl_add_u64 v[20:21], v[10:11], 3, v[18:19]
	flat_load_dwordx2 v[20:21], v[20:21]
	s_waitcnt vmcnt(0) lgkmcnt(0)
	v_mul_f64 v[20:21], s[24:25], v[20:21]
	s_branch .LBB159_248
.LBB159_247:
	v_mov_b64_e32 v[20:21], 0
.LBB159_248:
	v_cvt_f32_f64_e32 v20, v[20:21]
	v_max_f32_e32 v21, v104, v104
	v_min_f32_e32 v20, v20, v21
	v_cvt_f64_f32_e32 v[20:21], v20
	v_lshl_add_u64 v[24:25], v[10:11], 3, v[16:17]
	global_store_dwordx2 v[24:25], v[20:21], off
	s_or_b64 exec, exec, s[28:29]
	s_and_b64 s[34:35], s[14:15], s[18:19]
	s_and_saveexec_b64 s[28:29], s[34:35]
	s_cbranch_execz .LBB159_224
.LBB159_249:
	s_and_b64 vcc, exec, s[0:1]
	s_cbranch_vccnz .LBB159_251
; %bb.250:
	v_lshl_add_u64 v[20:21], v[12:13], 3, v[18:19]
	flat_load_dwordx2 v[20:21], v[20:21]
	s_waitcnt vmcnt(0) lgkmcnt(0)
	v_mul_f64 v[20:21], s[24:25], v[20:21]
	s_branch .LBB159_252
.LBB159_251:
	v_mov_b64_e32 v[20:21], 0
.LBB159_252:
	v_cvt_f32_f64_e32 v20, v[20:21]
	v_max_f32_e32 v21, v103, v103
	v_min_f32_e32 v20, v20, v21
	v_cvt_f64_f32_e32 v[20:21], v20
	v_lshl_add_u64 v[24:25], v[12:13], 3, v[16:17]
	global_store_dwordx2 v[24:25], v[20:21], off
	s_or_b64 exec, exec, s[28:29]
	s_and_b64 s[28:29], s[16:17], s[18:19]
	s_and_saveexec_b64 s[18:19], s[28:29]
	s_cbranch_execz .LBB159_257
.LBB159_253:
	s_and_b64 vcc, exec, s[0:1]
	s_cbranch_vccnz .LBB159_255
; %bb.254:
	v_lshl_add_u64 v[18:19], v[14:15], 3, v[18:19]
	flat_load_dwordx2 v[18:19], v[18:19]
	s_waitcnt vmcnt(0) lgkmcnt(0)
	v_mul_f64 v[18:19], s[24:25], v[18:19]
	s_branch .LBB159_256
.LBB159_255:
	v_mov_b64_e32 v[18:19], 0
.LBB159_256:
	v_cvt_f32_f64_e32 v18, v[18:19]
	v_max_f32_e32 v19, v102, v102
	v_min_f32_e32 v18, v18, v19
	v_cvt_f64_f32_e32 v[18:19], v18
	v_lshl_add_u64 v[16:17], v[14:15], 3, v[16:17]
	global_store_dwordx2 v[16:17], v[18:19], off
.LBB159_257:
	s_or_b64 exec, exec, s[18:19]
	v_add_u32_e32 v20, 40, v22
	v_mad_i64_i32 v[16:17], s[28:29], v20, s31, 0
	v_cmp_gt_i32_e64 s[18:19], s21, v20
	v_lshl_add_u64 v[18:19], v[16:17], 3, s[26:27]
	v_mad_i64_i32 v[16:17], s[28:29], v20, s30, 0
	v_lshl_add_u64 v[16:17], v[16:17], 3, s[22:23]
	s_and_b64 s[34:35], s[2:3], s[18:19]
	s_and_saveexec_b64 s[28:29], s[34:35]
	s_cbranch_execnz .LBB159_265
; %bb.258:
	s_or_b64 exec, exec, s[28:29]
	s_and_b64 s[34:35], s[4:5], s[18:19]
	s_and_saveexec_b64 s[28:29], s[34:35]
	s_cbranch_execnz .LBB159_269
.LBB159_259:
	s_or_b64 exec, exec, s[28:29]
	s_and_b64 s[34:35], s[6:7], s[18:19]
	s_and_saveexec_b64 s[28:29], s[34:35]
	s_cbranch_execnz .LBB159_273
.LBB159_260:
	s_or_b64 exec, exec, s[28:29]
	s_and_b64 s[34:35], s[8:9], s[18:19]
	s_and_saveexec_b64 s[28:29], s[34:35]
	s_cbranch_execnz .LBB159_277
.LBB159_261:
	s_or_b64 exec, exec, s[28:29]
	s_and_b64 s[34:35], s[10:11], s[18:19]
	s_and_saveexec_b64 s[28:29], s[34:35]
	s_cbranch_execnz .LBB159_281
.LBB159_262:
	s_or_b64 exec, exec, s[28:29]
	s_and_b64 s[34:35], s[12:13], s[18:19]
	s_and_saveexec_b64 s[28:29], s[34:35]
	s_cbranch_execnz .LBB159_285
.LBB159_263:
	s_or_b64 exec, exec, s[28:29]
	s_and_b64 s[34:35], s[14:15], s[18:19]
	s_and_saveexec_b64 s[28:29], s[34:35]
	s_cbranch_execnz .LBB159_289
.LBB159_264:
	s_or_b64 exec, exec, s[28:29]
	s_and_b64 s[28:29], s[16:17], s[18:19]
	s_and_saveexec_b64 s[18:19], s[28:29]
	s_cbranch_execnz .LBB159_293
	s_branch .LBB159_297
.LBB159_265:
	s_and_b64 vcc, exec, s[0:1]
	s_cbranch_vccnz .LBB159_267
; %bb.266:
	v_lshl_add_u64 v[20:21], v[0:1], 3, v[18:19]
	flat_load_dwordx2 v[20:21], v[20:21]
	s_waitcnt vmcnt(0) lgkmcnt(0)
	v_mul_f64 v[20:21], s[24:25], v[20:21]
	s_branch .LBB159_268
.LBB159_267:
	v_mov_b64_e32 v[20:21], 0
.LBB159_268:
	v_cvt_f32_f64_e32 v20, v[20:21]
	v_max_f32_e32 v21, v101, v101
	v_min_f32_e32 v20, v20, v21
	v_cvt_f64_f32_e32 v[20:21], v20
	v_lshl_add_u64 v[24:25], v[0:1], 3, v[16:17]
	global_store_dwordx2 v[24:25], v[20:21], off
	s_or_b64 exec, exec, s[28:29]
	s_and_b64 s[34:35], s[4:5], s[18:19]
	s_and_saveexec_b64 s[28:29], s[34:35]
	s_cbranch_execz .LBB159_259
.LBB159_269:
	s_and_b64 vcc, exec, s[0:1]
	s_cbranch_vccnz .LBB159_271
; %bb.270:
	v_lshl_add_u64 v[20:21], v[2:3], 3, v[18:19]
	flat_load_dwordx2 v[20:21], v[20:21]
	s_waitcnt vmcnt(0) lgkmcnt(0)
	v_mul_f64 v[20:21], s[24:25], v[20:21]
	s_branch .LBB159_272
.LBB159_271:
	v_mov_b64_e32 v[20:21], 0
.LBB159_272:
	v_cvt_f32_f64_e32 v20, v[20:21]
	v_max_f32_e32 v21, v100, v100
	v_min_f32_e32 v20, v20, v21
	v_cvt_f64_f32_e32 v[20:21], v20
	v_lshl_add_u64 v[24:25], v[2:3], 3, v[16:17]
	global_store_dwordx2 v[24:25], v[20:21], off
	s_or_b64 exec, exec, s[28:29]
	s_and_b64 s[34:35], s[6:7], s[18:19]
	s_and_saveexec_b64 s[28:29], s[34:35]
	s_cbranch_execz .LBB159_260
.LBB159_273:
	s_and_b64 vcc, exec, s[0:1]
	s_cbranch_vccnz .LBB159_275
; %bb.274:
	v_lshl_add_u64 v[20:21], v[4:5], 3, v[18:19]
	flat_load_dwordx2 v[20:21], v[20:21]
	s_waitcnt vmcnt(0) lgkmcnt(0)
	v_mul_f64 v[20:21], s[24:25], v[20:21]
	s_branch .LBB159_276
.LBB159_275:
	v_mov_b64_e32 v[20:21], 0
.LBB159_276:
	v_cvt_f32_f64_e32 v20, v[20:21]
	v_max_f32_e32 v21, v99, v99
	v_min_f32_e32 v20, v20, v21
	v_cvt_f64_f32_e32 v[20:21], v20
	v_lshl_add_u64 v[24:25], v[4:5], 3, v[16:17]
	global_store_dwordx2 v[24:25], v[20:21], off
	s_or_b64 exec, exec, s[28:29]
	s_and_b64 s[34:35], s[8:9], s[18:19]
	s_and_saveexec_b64 s[28:29], s[34:35]
	s_cbranch_execz .LBB159_261
.LBB159_277:
	s_and_b64 vcc, exec, s[0:1]
	s_cbranch_vccnz .LBB159_279
; %bb.278:
	v_lshl_add_u64 v[20:21], v[6:7], 3, v[18:19]
	flat_load_dwordx2 v[20:21], v[20:21]
	s_waitcnt vmcnt(0) lgkmcnt(0)
	v_mul_f64 v[20:21], s[24:25], v[20:21]
	s_branch .LBB159_280
.LBB159_279:
	v_mov_b64_e32 v[20:21], 0
.LBB159_280:
	v_cvt_f32_f64_e32 v20, v[20:21]
	v_max_f32_e32 v21, v98, v98
	v_min_f32_e32 v20, v20, v21
	v_cvt_f64_f32_e32 v[20:21], v20
	v_lshl_add_u64 v[24:25], v[6:7], 3, v[16:17]
	global_store_dwordx2 v[24:25], v[20:21], off
	s_or_b64 exec, exec, s[28:29]
	s_and_b64 s[34:35], s[10:11], s[18:19]
	s_and_saveexec_b64 s[28:29], s[34:35]
	s_cbranch_execz .LBB159_262
.LBB159_281:
	s_and_b64 vcc, exec, s[0:1]
	s_cbranch_vccnz .LBB159_283
; %bb.282:
	v_lshl_add_u64 v[20:21], v[8:9], 3, v[18:19]
	flat_load_dwordx2 v[20:21], v[20:21]
	s_waitcnt vmcnt(0) lgkmcnt(0)
	v_mul_f64 v[20:21], s[24:25], v[20:21]
	s_branch .LBB159_284
.LBB159_283:
	v_mov_b64_e32 v[20:21], 0
.LBB159_284:
	v_cvt_f32_f64_e32 v20, v[20:21]
	v_max_f32_e32 v21, v97, v97
	v_min_f32_e32 v20, v20, v21
	v_cvt_f64_f32_e32 v[20:21], v20
	v_lshl_add_u64 v[24:25], v[8:9], 3, v[16:17]
	global_store_dwordx2 v[24:25], v[20:21], off
	s_or_b64 exec, exec, s[28:29]
	s_and_b64 s[34:35], s[12:13], s[18:19]
	s_and_saveexec_b64 s[28:29], s[34:35]
	s_cbranch_execz .LBB159_263
.LBB159_285:
	s_and_b64 vcc, exec, s[0:1]
	s_cbranch_vccnz .LBB159_287
; %bb.286:
	v_lshl_add_u64 v[20:21], v[10:11], 3, v[18:19]
	flat_load_dwordx2 v[20:21], v[20:21]
	s_waitcnt vmcnt(0) lgkmcnt(0)
	v_mul_f64 v[20:21], s[24:25], v[20:21]
	s_branch .LBB159_288
.LBB159_287:
	v_mov_b64_e32 v[20:21], 0
.LBB159_288:
	v_cvt_f32_f64_e32 v20, v[20:21]
	v_max_f32_e32 v21, v96, v96
	v_min_f32_e32 v20, v20, v21
	v_cvt_f64_f32_e32 v[20:21], v20
	v_lshl_add_u64 v[24:25], v[10:11], 3, v[16:17]
	global_store_dwordx2 v[24:25], v[20:21], off
	s_or_b64 exec, exec, s[28:29]
	s_and_b64 s[34:35], s[14:15], s[18:19]
	s_and_saveexec_b64 s[28:29], s[34:35]
	s_cbranch_execz .LBB159_264
.LBB159_289:
	s_and_b64 vcc, exec, s[0:1]
	s_cbranch_vccnz .LBB159_291
; %bb.290:
	v_lshl_add_u64 v[20:21], v[12:13], 3, v[18:19]
	flat_load_dwordx2 v[20:21], v[20:21]
	s_waitcnt vmcnt(0) lgkmcnt(0)
	v_mul_f64 v[20:21], s[24:25], v[20:21]
	s_branch .LBB159_292
.LBB159_291:
	v_mov_b64_e32 v[20:21], 0
.LBB159_292:
	v_cvt_f32_f64_e32 v20, v[20:21]
	v_max_f32_e32 v21, v95, v95
	v_min_f32_e32 v20, v20, v21
	v_cvt_f64_f32_e32 v[20:21], v20
	v_lshl_add_u64 v[24:25], v[12:13], 3, v[16:17]
	global_store_dwordx2 v[24:25], v[20:21], off
	s_or_b64 exec, exec, s[28:29]
	s_and_b64 s[28:29], s[16:17], s[18:19]
	s_and_saveexec_b64 s[18:19], s[28:29]
	s_cbranch_execz .LBB159_297
.LBB159_293:
	s_and_b64 vcc, exec, s[0:1]
	s_cbranch_vccnz .LBB159_295
; %bb.294:
	v_lshl_add_u64 v[18:19], v[14:15], 3, v[18:19]
	flat_load_dwordx2 v[18:19], v[18:19]
	s_waitcnt vmcnt(0) lgkmcnt(0)
	v_mul_f64 v[18:19], s[24:25], v[18:19]
	s_branch .LBB159_296
.LBB159_295:
	v_mov_b64_e32 v[18:19], 0
.LBB159_296:
	v_cvt_f32_f64_e32 v18, v[18:19]
	v_max_f32_e32 v19, v94, v94
	v_min_f32_e32 v18, v18, v19
	v_cvt_f64_f32_e32 v[18:19], v18
	v_lshl_add_u64 v[16:17], v[14:15], 3, v[16:17]
	global_store_dwordx2 v[16:17], v[18:19], off
.LBB159_297:
	s_or_b64 exec, exec, s[18:19]
	v_add_u32_e32 v20, 48, v22
	v_mad_i64_i32 v[16:17], s[28:29], v20, s31, 0
	v_cmp_gt_i32_e64 s[18:19], s21, v20
	v_lshl_add_u64 v[18:19], v[16:17], 3, s[26:27]
	v_mad_i64_i32 v[16:17], s[28:29], v20, s30, 0
	v_lshl_add_u64 v[16:17], v[16:17], 3, s[22:23]
	s_and_b64 s[34:35], s[2:3], s[18:19]
	s_and_saveexec_b64 s[28:29], s[34:35]
	s_cbranch_execnz .LBB159_305
; %bb.298:
	s_or_b64 exec, exec, s[28:29]
	s_and_b64 s[34:35], s[4:5], s[18:19]
	s_and_saveexec_b64 s[28:29], s[34:35]
	s_cbranch_execnz .LBB159_309
.LBB159_299:
	s_or_b64 exec, exec, s[28:29]
	s_and_b64 s[34:35], s[6:7], s[18:19]
	s_and_saveexec_b64 s[28:29], s[34:35]
	s_cbranch_execnz .LBB159_313
.LBB159_300:
	s_or_b64 exec, exec, s[28:29]
	s_and_b64 s[34:35], s[8:9], s[18:19]
	s_and_saveexec_b64 s[28:29], s[34:35]
	s_cbranch_execnz .LBB159_317
.LBB159_301:
	s_or_b64 exec, exec, s[28:29]
	s_and_b64 s[34:35], s[10:11], s[18:19]
	s_and_saveexec_b64 s[28:29], s[34:35]
	s_cbranch_execnz .LBB159_321
.LBB159_302:
	s_or_b64 exec, exec, s[28:29]
	s_and_b64 s[34:35], s[12:13], s[18:19]
	s_and_saveexec_b64 s[28:29], s[34:35]
	s_cbranch_execnz .LBB159_325
.LBB159_303:
	s_or_b64 exec, exec, s[28:29]
	s_and_b64 s[34:35], s[14:15], s[18:19]
	s_and_saveexec_b64 s[28:29], s[34:35]
	s_cbranch_execnz .LBB159_329
.LBB159_304:
	s_or_b64 exec, exec, s[28:29]
	s_and_b64 s[28:29], s[16:17], s[18:19]
	s_and_saveexec_b64 s[18:19], s[28:29]
	s_cbranch_execnz .LBB159_333
	s_branch .LBB159_337
.LBB159_305:
	s_and_b64 vcc, exec, s[0:1]
	s_cbranch_vccnz .LBB159_307
; %bb.306:
	v_lshl_add_u64 v[20:21], v[0:1], 3, v[18:19]
	flat_load_dwordx2 v[20:21], v[20:21]
	s_waitcnt vmcnt(0) lgkmcnt(0)
	v_mul_f64 v[20:21], s[24:25], v[20:21]
	s_branch .LBB159_308
.LBB159_307:
	v_mov_b64_e32 v[20:21], 0
.LBB159_308:
	v_cvt_f32_f64_e32 v20, v[20:21]
	v_max_f32_e32 v21, v93, v93
	v_min_f32_e32 v20, v20, v21
	v_cvt_f64_f32_e32 v[20:21], v20
	v_lshl_add_u64 v[24:25], v[0:1], 3, v[16:17]
	global_store_dwordx2 v[24:25], v[20:21], off
	s_or_b64 exec, exec, s[28:29]
	s_and_b64 s[34:35], s[4:5], s[18:19]
	s_and_saveexec_b64 s[28:29], s[34:35]
	s_cbranch_execz .LBB159_299
.LBB159_309:
	s_and_b64 vcc, exec, s[0:1]
	s_cbranch_vccnz .LBB159_311
; %bb.310:
	v_lshl_add_u64 v[20:21], v[2:3], 3, v[18:19]
	flat_load_dwordx2 v[20:21], v[20:21]
	s_waitcnt vmcnt(0) lgkmcnt(0)
	v_mul_f64 v[20:21], s[24:25], v[20:21]
	s_branch .LBB159_312
.LBB159_311:
	v_mov_b64_e32 v[20:21], 0
.LBB159_312:
	v_cvt_f32_f64_e32 v20, v[20:21]
	v_max_f32_e32 v21, v92, v92
	v_min_f32_e32 v20, v20, v21
	v_cvt_f64_f32_e32 v[20:21], v20
	v_lshl_add_u64 v[24:25], v[2:3], 3, v[16:17]
	global_store_dwordx2 v[24:25], v[20:21], off
	s_or_b64 exec, exec, s[28:29]
	s_and_b64 s[34:35], s[6:7], s[18:19]
	s_and_saveexec_b64 s[28:29], s[34:35]
	s_cbranch_execz .LBB159_300
.LBB159_313:
	s_and_b64 vcc, exec, s[0:1]
	s_cbranch_vccnz .LBB159_315
; %bb.314:
	v_lshl_add_u64 v[20:21], v[4:5], 3, v[18:19]
	flat_load_dwordx2 v[20:21], v[20:21]
	s_waitcnt vmcnt(0) lgkmcnt(0)
	v_mul_f64 v[20:21], s[24:25], v[20:21]
	s_branch .LBB159_316
.LBB159_315:
	v_mov_b64_e32 v[20:21], 0
.LBB159_316:
	v_cvt_f32_f64_e32 v20, v[20:21]
	v_max_f32_e32 v21, v91, v91
	v_min_f32_e32 v20, v20, v21
	v_cvt_f64_f32_e32 v[20:21], v20
	v_lshl_add_u64 v[24:25], v[4:5], 3, v[16:17]
	global_store_dwordx2 v[24:25], v[20:21], off
	s_or_b64 exec, exec, s[28:29]
	s_and_b64 s[34:35], s[8:9], s[18:19]
	s_and_saveexec_b64 s[28:29], s[34:35]
	s_cbranch_execz .LBB159_301
.LBB159_317:
	s_and_b64 vcc, exec, s[0:1]
	s_cbranch_vccnz .LBB159_319
; %bb.318:
	v_lshl_add_u64 v[20:21], v[6:7], 3, v[18:19]
	flat_load_dwordx2 v[20:21], v[20:21]
	s_waitcnt vmcnt(0) lgkmcnt(0)
	v_mul_f64 v[20:21], s[24:25], v[20:21]
	s_branch .LBB159_320
.LBB159_319:
	v_mov_b64_e32 v[20:21], 0
.LBB159_320:
	v_cvt_f32_f64_e32 v20, v[20:21]
	v_max_f32_e32 v21, v90, v90
	v_min_f32_e32 v20, v20, v21
	v_cvt_f64_f32_e32 v[20:21], v20
	v_lshl_add_u64 v[24:25], v[6:7], 3, v[16:17]
	global_store_dwordx2 v[24:25], v[20:21], off
	s_or_b64 exec, exec, s[28:29]
	s_and_b64 s[34:35], s[10:11], s[18:19]
	s_and_saveexec_b64 s[28:29], s[34:35]
	s_cbranch_execz .LBB159_302
.LBB159_321:
	s_and_b64 vcc, exec, s[0:1]
	s_cbranch_vccnz .LBB159_323
; %bb.322:
	v_lshl_add_u64 v[20:21], v[8:9], 3, v[18:19]
	flat_load_dwordx2 v[20:21], v[20:21]
	s_waitcnt vmcnt(0) lgkmcnt(0)
	v_mul_f64 v[20:21], s[24:25], v[20:21]
	s_branch .LBB159_324
.LBB159_323:
	v_mov_b64_e32 v[20:21], 0
.LBB159_324:
	v_cvt_f32_f64_e32 v20, v[20:21]
	v_max_f32_e32 v21, v89, v89
	v_min_f32_e32 v20, v20, v21
	v_cvt_f64_f32_e32 v[20:21], v20
	v_lshl_add_u64 v[24:25], v[8:9], 3, v[16:17]
	global_store_dwordx2 v[24:25], v[20:21], off
	s_or_b64 exec, exec, s[28:29]
	s_and_b64 s[34:35], s[12:13], s[18:19]
	s_and_saveexec_b64 s[28:29], s[34:35]
	s_cbranch_execz .LBB159_303
.LBB159_325:
	s_and_b64 vcc, exec, s[0:1]
	s_cbranch_vccnz .LBB159_327
; %bb.326:
	v_lshl_add_u64 v[20:21], v[10:11], 3, v[18:19]
	flat_load_dwordx2 v[20:21], v[20:21]
	s_waitcnt vmcnt(0) lgkmcnt(0)
	v_mul_f64 v[20:21], s[24:25], v[20:21]
	s_branch .LBB159_328
.LBB159_327:
	v_mov_b64_e32 v[20:21], 0
.LBB159_328:
	v_cvt_f32_f64_e32 v20, v[20:21]
	v_max_f32_e32 v21, v88, v88
	v_min_f32_e32 v20, v20, v21
	v_cvt_f64_f32_e32 v[20:21], v20
	v_lshl_add_u64 v[24:25], v[10:11], 3, v[16:17]
	global_store_dwordx2 v[24:25], v[20:21], off
	s_or_b64 exec, exec, s[28:29]
	s_and_b64 s[34:35], s[14:15], s[18:19]
	s_and_saveexec_b64 s[28:29], s[34:35]
	s_cbranch_execz .LBB159_304
.LBB159_329:
	s_and_b64 vcc, exec, s[0:1]
	s_cbranch_vccnz .LBB159_331
; %bb.330:
	v_lshl_add_u64 v[20:21], v[12:13], 3, v[18:19]
	flat_load_dwordx2 v[20:21], v[20:21]
	s_waitcnt vmcnt(0) lgkmcnt(0)
	v_mul_f64 v[20:21], s[24:25], v[20:21]
	s_branch .LBB159_332
.LBB159_331:
	v_mov_b64_e32 v[20:21], 0
.LBB159_332:
	v_cvt_f32_f64_e32 v20, v[20:21]
	v_max_f32_e32 v21, v87, v87
	v_min_f32_e32 v20, v20, v21
	v_cvt_f64_f32_e32 v[20:21], v20
	v_lshl_add_u64 v[24:25], v[12:13], 3, v[16:17]
	global_store_dwordx2 v[24:25], v[20:21], off
	s_or_b64 exec, exec, s[28:29]
	s_and_b64 s[28:29], s[16:17], s[18:19]
	s_and_saveexec_b64 s[18:19], s[28:29]
	s_cbranch_execz .LBB159_337
.LBB159_333:
	s_and_b64 vcc, exec, s[0:1]
	s_cbranch_vccnz .LBB159_335
; %bb.334:
	v_lshl_add_u64 v[18:19], v[14:15], 3, v[18:19]
	flat_load_dwordx2 v[18:19], v[18:19]
	s_waitcnt vmcnt(0) lgkmcnt(0)
	v_mul_f64 v[18:19], s[24:25], v[18:19]
	s_branch .LBB159_336
.LBB159_335:
	v_mov_b64_e32 v[18:19], 0
.LBB159_336:
	v_cvt_f32_f64_e32 v18, v[18:19]
	v_max_f32_e32 v19, v86, v86
	v_min_f32_e32 v18, v18, v19
	v_cvt_f64_f32_e32 v[18:19], v18
	v_lshl_add_u64 v[16:17], v[14:15], 3, v[16:17]
	global_store_dwordx2 v[16:17], v[18:19], off
.LBB159_337:
	s_or_b64 exec, exec, s[18:19]
	v_add_u32_e32 v20, 56, v22
	v_cmp_gt_i32_e64 s[18:19], s21, v20
	v_mad_i64_i32 v[16:17], s[20:21], v20, s31, 0
	v_lshl_add_u64 v[18:19], v[16:17], 3, s[26:27]
	v_mad_i64_i32 v[16:17], s[20:21], v20, s30, 0
	v_lshl_add_u64 v[16:17], v[16:17], 3, s[22:23]
	s_and_b64 s[20:21], s[2:3], s[18:19]
	s_and_saveexec_b64 s[2:3], s[20:21]
	s_cbranch_execnz .LBB159_346
; %bb.338:
	s_or_b64 exec, exec, s[2:3]
	s_and_b64 s[4:5], s[4:5], s[18:19]
	s_and_saveexec_b64 s[2:3], s[4:5]
	s_cbranch_execnz .LBB159_350
.LBB159_339:
	s_or_b64 exec, exec, s[2:3]
	s_and_b64 s[4:5], s[6:7], s[18:19]
	s_and_saveexec_b64 s[2:3], s[4:5]
	s_cbranch_execnz .LBB159_354
.LBB159_340:
	s_or_b64 exec, exec, s[2:3]
	s_and_b64 s[4:5], s[8:9], s[18:19]
	s_and_saveexec_b64 s[2:3], s[4:5]
	s_cbranch_execnz .LBB159_358
.LBB159_341:
	s_or_b64 exec, exec, s[2:3]
	s_and_b64 s[4:5], s[10:11], s[18:19]
	s_and_saveexec_b64 s[2:3], s[4:5]
	s_cbranch_execnz .LBB159_362
.LBB159_342:
	s_or_b64 exec, exec, s[2:3]
	s_and_b64 s[4:5], s[12:13], s[18:19]
	s_and_saveexec_b64 s[2:3], s[4:5]
	s_cbranch_execnz .LBB159_366
.LBB159_343:
	s_or_b64 exec, exec, s[2:3]
	s_and_b64 s[4:5], s[14:15], s[18:19]
	s_and_saveexec_b64 s[2:3], s[4:5]
	s_cbranch_execnz .LBB159_370
.LBB159_344:
	s_or_b64 exec, exec, s[2:3]
	s_and_b64 s[2:3], s[16:17], s[18:19]
	s_and_saveexec_b64 s[4:5], s[2:3]
	s_cbranch_execnz .LBB159_374
.LBB159_345:
	s_endpgm
.LBB159_346:
	s_and_b64 vcc, exec, s[0:1]
	s_cbranch_vccnz .LBB159_348
; %bb.347:
	v_lshl_add_u64 v[20:21], v[0:1], 3, v[18:19]
	flat_load_dwordx2 v[20:21], v[20:21]
	s_waitcnt vmcnt(0) lgkmcnt(0)
	v_mul_f64 v[20:21], s[24:25], v[20:21]
	v_cvt_f32_f64_e32 v20, v[20:21]
	s_branch .LBB159_349
.LBB159_348:
	v_mov_b32_e32 v20, 0
.LBB159_349:
	v_max_f32_e32 v21, v85, v85
	v_max_f32_e32 v20, v20, v20
	v_min_f32_e32 v20, v20, v21
	v_cvt_f64_f32_e32 v[20:21], v20
	v_lshl_add_u64 v[0:1], v[0:1], 3, v[16:17]
	global_store_dwordx2 v[0:1], v[20:21], off
	s_or_b64 exec, exec, s[2:3]
	s_and_b64 s[4:5], s[4:5], s[18:19]
	s_and_saveexec_b64 s[2:3], s[4:5]
	s_cbranch_execz .LBB159_339
.LBB159_350:
	s_and_b64 vcc, exec, s[0:1]
	s_cbranch_vccnz .LBB159_352
; %bb.351:
	v_lshl_add_u64 v[0:1], v[2:3], 3, v[18:19]
	flat_load_dwordx2 v[0:1], v[0:1]
	s_waitcnt vmcnt(0) lgkmcnt(0)
	v_mul_f64 v[0:1], s[24:25], v[0:1]
	v_cvt_f32_f64_e32 v0, v[0:1]
	s_branch .LBB159_353
.LBB159_352:
	v_mov_b32_e32 v0, 0
.LBB159_353:
	v_max_f32_e32 v1, v84, v84
	v_max_f32_e32 v0, v0, v0
	v_min_f32_e32 v0, v0, v1
	v_cvt_f64_f32_e32 v[0:1], v0
	v_lshl_add_u64 v[2:3], v[2:3], 3, v[16:17]
	global_store_dwordx2 v[2:3], v[0:1], off
	s_or_b64 exec, exec, s[2:3]
	s_and_b64 s[4:5], s[6:7], s[18:19]
	s_and_saveexec_b64 s[2:3], s[4:5]
	s_cbranch_execz .LBB159_340
.LBB159_354:
	s_and_b64 vcc, exec, s[0:1]
	s_cbranch_vccnz .LBB159_356
; %bb.355:
	v_lshl_add_u64 v[0:1], v[4:5], 3, v[18:19]
	flat_load_dwordx2 v[0:1], v[0:1]
	s_waitcnt vmcnt(0) lgkmcnt(0)
	v_mul_f64 v[0:1], s[24:25], v[0:1]
	v_cvt_f32_f64_e32 v0, v[0:1]
	s_branch .LBB159_357
.LBB159_356:
	v_mov_b32_e32 v0, 0
.LBB159_357:
	v_max_f32_e32 v1, v83, v83
	v_max_f32_e32 v0, v0, v0
	v_min_f32_e32 v0, v0, v1
	v_cvt_f64_f32_e32 v[0:1], v0
	v_lshl_add_u64 v[2:3], v[4:5], 3, v[16:17]
	global_store_dwordx2 v[2:3], v[0:1], off
	s_or_b64 exec, exec, s[2:3]
	s_and_b64 s[4:5], s[8:9], s[18:19]
	s_and_saveexec_b64 s[2:3], s[4:5]
	s_cbranch_execz .LBB159_341
.LBB159_358:
	s_and_b64 vcc, exec, s[0:1]
	s_cbranch_vccnz .LBB159_360
; %bb.359:
	v_lshl_add_u64 v[0:1], v[6:7], 3, v[18:19]
	flat_load_dwordx2 v[0:1], v[0:1]
	s_waitcnt vmcnt(0) lgkmcnt(0)
	v_mul_f64 v[0:1], s[24:25], v[0:1]
	v_cvt_f32_f64_e32 v0, v[0:1]
	s_branch .LBB159_361
.LBB159_360:
	v_mov_b32_e32 v0, 0
.LBB159_361:
	v_max_f32_e32 v1, v82, v82
	v_max_f32_e32 v0, v0, v0
	v_min_f32_e32 v0, v0, v1
	v_cvt_f64_f32_e32 v[0:1], v0
	v_lshl_add_u64 v[2:3], v[6:7], 3, v[16:17]
	global_store_dwordx2 v[2:3], v[0:1], off
	s_or_b64 exec, exec, s[2:3]
	s_and_b64 s[4:5], s[10:11], s[18:19]
	s_and_saveexec_b64 s[2:3], s[4:5]
	s_cbranch_execz .LBB159_342
.LBB159_362:
	s_and_b64 vcc, exec, s[0:1]
	s_cbranch_vccnz .LBB159_364
; %bb.363:
	v_lshl_add_u64 v[0:1], v[8:9], 3, v[18:19]
	flat_load_dwordx2 v[0:1], v[0:1]
	s_waitcnt vmcnt(0) lgkmcnt(0)
	v_mul_f64 v[0:1], s[24:25], v[0:1]
	v_cvt_f32_f64_e32 v0, v[0:1]
	s_branch .LBB159_365
.LBB159_364:
	v_mov_b32_e32 v0, 0
.LBB159_365:
	v_max_f32_e32 v1, v81, v81
	v_max_f32_e32 v0, v0, v0
	v_min_f32_e32 v0, v0, v1
	v_cvt_f64_f32_e32 v[0:1], v0
	v_lshl_add_u64 v[2:3], v[8:9], 3, v[16:17]
	global_store_dwordx2 v[2:3], v[0:1], off
	s_or_b64 exec, exec, s[2:3]
	s_and_b64 s[4:5], s[12:13], s[18:19]
	s_and_saveexec_b64 s[2:3], s[4:5]
	s_cbranch_execz .LBB159_343
.LBB159_366:
	s_and_b64 vcc, exec, s[0:1]
	s_cbranch_vccnz .LBB159_368
; %bb.367:
	v_lshl_add_u64 v[0:1], v[10:11], 3, v[18:19]
	flat_load_dwordx2 v[0:1], v[0:1]
	s_waitcnt vmcnt(0) lgkmcnt(0)
	v_mul_f64 v[0:1], s[24:25], v[0:1]
	v_cvt_f32_f64_e32 v0, v[0:1]
	s_branch .LBB159_369
.LBB159_368:
	v_mov_b32_e32 v0, 0
.LBB159_369:
	v_max_f32_e32 v1, v80, v80
	v_max_f32_e32 v0, v0, v0
	v_min_f32_e32 v0, v0, v1
	v_cvt_f64_f32_e32 v[0:1], v0
	v_lshl_add_u64 v[2:3], v[10:11], 3, v[16:17]
	global_store_dwordx2 v[2:3], v[0:1], off
	s_or_b64 exec, exec, s[2:3]
	s_and_b64 s[4:5], s[14:15], s[18:19]
	s_and_saveexec_b64 s[2:3], s[4:5]
	s_cbranch_execz .LBB159_344
.LBB159_370:
	s_and_b64 vcc, exec, s[0:1]
	s_cbranch_vccnz .LBB159_372
; %bb.371:
	v_lshl_add_u64 v[0:1], v[12:13], 3, v[18:19]
	flat_load_dwordx2 v[0:1], v[0:1]
	s_waitcnt vmcnt(0) lgkmcnt(0)
	v_mul_f64 v[0:1], s[24:25], v[0:1]
	v_cvt_f32_f64_e32 v0, v[0:1]
	s_branch .LBB159_373
.LBB159_372:
	v_mov_b32_e32 v0, 0
.LBB159_373:
	v_max_f32_e32 v1, v79, v79
	v_max_f32_e32 v0, v0, v0
	v_min_f32_e32 v0, v0, v1
	v_cvt_f64_f32_e32 v[0:1], v0
	v_lshl_add_u64 v[2:3], v[12:13], 3, v[16:17]
	global_store_dwordx2 v[2:3], v[0:1], off
	s_or_b64 exec, exec, s[2:3]
	s_and_b64 s[2:3], s[16:17], s[18:19]
	s_and_saveexec_b64 s[4:5], s[2:3]
	s_cbranch_execz .LBB159_345
.LBB159_374:
	s_and_b64 vcc, exec, s[0:1]
	s_cbranch_vccnz .LBB159_376
; %bb.375:
	v_lshl_add_u64 v[0:1], v[14:15], 3, v[18:19]
	flat_load_dwordx2 v[0:1], v[0:1]
	s_waitcnt vmcnt(0) lgkmcnt(0)
	v_mul_f64 v[0:1], s[24:25], v[0:1]
	v_cvt_f32_f64_e32 v0, v[0:1]
	s_branch .LBB159_377
.LBB159_376:
	v_mov_b32_e32 v0, 0
.LBB159_377:
	v_max_f32_e32 v1, v78, v78
	v_max_f32_e32 v0, v0, v0
	v_min_f32_e32 v0, v0, v1
	v_cvt_f64_f32_e32 v[0:1], v0
	v_lshl_add_u64 v[2:3], v[14:15], 3, v[16:17]
	global_store_dwordx2 v[2:3], v[0:1], off
	s_endpgm
	.section	.rodata,"a",@progbits
	.p2align	6, 0x0
	.amdhsa_kernel _ZN12_GLOBAL__N_120geam_min_plus_kernelId15HIP_vector_typeIdLj2EEdLi32ELi8ELi256ELi64ELi4ELi64ELi4ELi4ELi64ELc78ELc78ELb0ELb1ELb1EPKdS3_dEEviiiT16_PT17_ilS7_ilS5_S7_ilPT18_ili26rocblas_geam_ex_operation_
		.amdhsa_group_segment_fixed_size 20480
		.amdhsa_private_segment_fixed_size 0
		.amdhsa_kernarg_size 136
		.amdhsa_user_sgpr_count 2
		.amdhsa_user_sgpr_dispatch_ptr 0
		.amdhsa_user_sgpr_queue_ptr 0
		.amdhsa_user_sgpr_kernarg_segment_ptr 1
		.amdhsa_user_sgpr_dispatch_id 0
		.amdhsa_user_sgpr_kernarg_preload_length 0
		.amdhsa_user_sgpr_kernarg_preload_offset 0
		.amdhsa_user_sgpr_private_segment_size 0
		.amdhsa_uses_dynamic_stack 0
		.amdhsa_enable_private_segment 0
		.amdhsa_system_sgpr_workgroup_id_x 1
		.amdhsa_system_sgpr_workgroup_id_y 0
		.amdhsa_system_sgpr_workgroup_id_z 1
		.amdhsa_system_sgpr_workgroup_info 0
		.amdhsa_system_vgpr_workitem_id 1
		.amdhsa_next_free_vgpr 160
		.amdhsa_next_free_sgpr 44
		.amdhsa_accum_offset 160
		.amdhsa_reserve_vcc 1
		.amdhsa_float_round_mode_32 0
		.amdhsa_float_round_mode_16_64 0
		.amdhsa_float_denorm_mode_32 3
		.amdhsa_float_denorm_mode_16_64 3
		.amdhsa_dx10_clamp 1
		.amdhsa_ieee_mode 1
		.amdhsa_fp16_overflow 0
		.amdhsa_tg_split 0
		.amdhsa_exception_fp_ieee_invalid_op 0
		.amdhsa_exception_fp_denorm_src 0
		.amdhsa_exception_fp_ieee_div_zero 0
		.amdhsa_exception_fp_ieee_overflow 0
		.amdhsa_exception_fp_ieee_underflow 0
		.amdhsa_exception_fp_ieee_inexact 0
		.amdhsa_exception_int_div_zero 0
	.end_amdhsa_kernel
	.section	.text._ZN12_GLOBAL__N_120geam_min_plus_kernelId15HIP_vector_typeIdLj2EEdLi32ELi8ELi256ELi64ELi4ELi64ELi4ELi4ELi64ELc78ELc78ELb0ELb1ELb1EPKdS3_dEEviiiT16_PT17_ilS7_ilS5_S7_ilPT18_ili26rocblas_geam_ex_operation_,"axG",@progbits,_ZN12_GLOBAL__N_120geam_min_plus_kernelId15HIP_vector_typeIdLj2EEdLi32ELi8ELi256ELi64ELi4ELi64ELi4ELi4ELi64ELc78ELc78ELb0ELb1ELb1EPKdS3_dEEviiiT16_PT17_ilS7_ilS5_S7_ilPT18_ili26rocblas_geam_ex_operation_,comdat
.Lfunc_end159:
	.size	_ZN12_GLOBAL__N_120geam_min_plus_kernelId15HIP_vector_typeIdLj2EEdLi32ELi8ELi256ELi64ELi4ELi64ELi4ELi4ELi64ELc78ELc78ELb0ELb1ELb1EPKdS3_dEEviiiT16_PT17_ilS7_ilS5_S7_ilPT18_ili26rocblas_geam_ex_operation_, .Lfunc_end159-_ZN12_GLOBAL__N_120geam_min_plus_kernelId15HIP_vector_typeIdLj2EEdLi32ELi8ELi256ELi64ELi4ELi64ELi4ELi4ELi64ELc78ELc78ELb0ELb1ELb1EPKdS3_dEEviiiT16_PT17_ilS7_ilS5_S7_ilPT18_ili26rocblas_geam_ex_operation_
                                        ; -- End function
	.section	.AMDGPU.csdata,"",@progbits
; Kernel info:
; codeLenInByte = 19172
; NumSgprs: 50
; NumVgprs: 160
; NumAgprs: 0
; TotalNumVgprs: 160
; ScratchSize: 0
; MemoryBound: 0
; FloatMode: 240
; IeeeMode: 1
; LDSByteSize: 20480 bytes/workgroup (compile time only)
; SGPRBlocks: 6
; VGPRBlocks: 19
; NumSGPRsForWavesPerEU: 50
; NumVGPRsForWavesPerEU: 160
; AccumOffset: 160
; Occupancy: 3
; WaveLimiterHint : 0
; COMPUTE_PGM_RSRC2:SCRATCH_EN: 0
; COMPUTE_PGM_RSRC2:USER_SGPR: 2
; COMPUTE_PGM_RSRC2:TRAP_HANDLER: 0
; COMPUTE_PGM_RSRC2:TGID_X_EN: 1
; COMPUTE_PGM_RSRC2:TGID_Y_EN: 0
; COMPUTE_PGM_RSRC2:TGID_Z_EN: 1
; COMPUTE_PGM_RSRC2:TIDIG_COMP_CNT: 1
; COMPUTE_PGM_RSRC3_GFX90A:ACCUM_OFFSET: 39
; COMPUTE_PGM_RSRC3_GFX90A:TG_SPLIT: 0
	.section	.text._ZN12_GLOBAL__N_120geam_min_plus_kernelId15HIP_vector_typeIdLj2EEdLi32ELi8ELi256ELi64ELi4ELi64ELi4ELi4ELi64ELc78ELc78ELb1ELb1ELb1EdKddEEviiiT16_PT17_ilS6_ilS4_S6_ilPT18_ili26rocblas_geam_ex_operation_,"axG",@progbits,_ZN12_GLOBAL__N_120geam_min_plus_kernelId15HIP_vector_typeIdLj2EEdLi32ELi8ELi256ELi64ELi4ELi64ELi4ELi4ELi64ELc78ELc78ELb1ELb1ELb1EdKddEEviiiT16_PT17_ilS6_ilS4_S6_ilPT18_ili26rocblas_geam_ex_operation_,comdat
	.globl	_ZN12_GLOBAL__N_120geam_min_plus_kernelId15HIP_vector_typeIdLj2EEdLi32ELi8ELi256ELi64ELi4ELi64ELi4ELi4ELi64ELc78ELc78ELb1ELb1ELb1EdKddEEviiiT16_PT17_ilS6_ilS4_S6_ilPT18_ili26rocblas_geam_ex_operation_ ; -- Begin function _ZN12_GLOBAL__N_120geam_min_plus_kernelId15HIP_vector_typeIdLj2EEdLi32ELi8ELi256ELi64ELi4ELi64ELi4ELi4ELi64ELc78ELc78ELb1ELb1ELb1EdKddEEviiiT16_PT17_ilS6_ilS4_S6_ilPT18_ili26rocblas_geam_ex_operation_
	.p2align	8
	.type	_ZN12_GLOBAL__N_120geam_min_plus_kernelId15HIP_vector_typeIdLj2EEdLi32ELi8ELi256ELi64ELi4ELi64ELi4ELi4ELi64ELc78ELc78ELb1ELb1ELb1EdKddEEviiiT16_PT17_ilS6_ilS4_S6_ilPT18_ili26rocblas_geam_ex_operation_,@function
_ZN12_GLOBAL__N_120geam_min_plus_kernelId15HIP_vector_typeIdLj2EEdLi32ELi8ELi256ELi64ELi4ELi64ELi4ELi4ELi64ELc78ELc78ELb1ELb1ELb1EdKddEEviiiT16_PT17_ilS6_ilS4_S6_ilPT18_ili26rocblas_geam_ex_operation_: ; @_ZN12_GLOBAL__N_120geam_min_plus_kernelId15HIP_vector_typeIdLj2EEdLi32ELi8ELi256ELi64ELi4ELi64ELi4ELi4ELi64ELc78ELc78ELb1ELb1ELb1EdKddEEviiiT16_PT17_ilS6_ilS4_S6_ilPT18_ili26rocblas_geam_ex_operation_
; %bb.0:
	s_load_dwordx4 s[8:11], s[0:1], 0x10
	s_load_dwordx4 s[4:7], s[0:1], 0x28
	s_mov_b64 s[18:19], 0
	s_waitcnt lgkmcnt(0)
	v_cmp_eq_f64_e64 s[8:9], s[8:9], 0
	s_and_b64 vcc, exec, s[8:9]
	s_cbranch_vccnz .LBB160_2
; %bb.1:
	s_mul_i32 s5, s3, s5
	s_mul_hi_u32 s12, s3, s4
	s_add_i32 s5, s12, s5
	s_mul_i32 s4, s3, s4
	s_lshl_b64 s[4:5], s[4:5], 3
	s_add_u32 s18, s10, s4
	s_addc_u32 s19, s11, s5
.LBB160_2:
	s_load_dwordx4 s[20:23], s[0:1], 0x40
	s_load_dwordx2 s[4:5], s[0:1], 0x50
	s_andn2_b64 vcc, exec, s[8:9]
	s_cbranch_vccnz .LBB160_4
; %bb.3:
	s_mov_b32 s17, 0
	s_mov_b64 s[30:31], 0
	s_cbranch_execz .LBB160_5
	s_branch .LBB160_6
.LBB160_4:
                                        ; implicit-def: $sgpr30_sgpr31
                                        ; implicit-def: $sgpr16_sgpr17
.LBB160_5:
	s_waitcnt lgkmcnt(0)
	s_mul_i32 s8, s3, s21
	s_mul_hi_u32 s9, s3, s20
	s_add_i32 s9, s9, s8
	s_mul_i32 s8, s3, s20
	s_lshl_b64 s[8:9], s[8:9], 3
	s_add_u32 s30, s6, s8
	s_mov_b32 s17, 0
	s_addc_u32 s31, s7, s9
.LBB160_6:
	s_load_dwordx4 s[12:15], s[0:1], 0x60
	s_waitcnt lgkmcnt(0)
	v_cmp_eq_f64_e64 s[6:7], s[22:23], 0
	s_mov_b64 s[20:21], 0
	v_cmp_neq_f64_e64 s[28:29], s[22:23], 0
	s_and_b64 vcc, exec, s[6:7]
	s_cbranch_vccnz .LBB160_8
; %bb.7:
	s_mul_i32 s6, s3, s13
	s_mul_hi_u32 s7, s3, s12
	s_add_i32 s6, s7, s6
	s_mul_i32 s7, s17, s12
	s_add_i32 s7, s6, s7
	s_mul_i32 s6, s3, s12
	s_lshl_b64 s[6:7], s[6:7], 3
	s_add_u32 s20, s4, s6
	s_addc_u32 s21, s5, s7
.LBB160_8:
	s_load_dwordx4 s[24:27], s[0:1], 0x0
	v_and_b32_e32 v133, 0x3ff, v0
	v_bfe_u32 v134, v0, 10, 10
	s_waitcnt lgkmcnt(0)
	s_load_dword s27, s[0:1], 0x20
	v_lshl_add_u32 v10, v134, 5, v133
	s_add_i32 s4, s24, -1
	s_ashr_i32 s5, s4, 31
	s_lshr_b32 s5, s5, 24
	s_add_i32 s4, s4, s5
	s_ashr_i32 s4, s4, 8
	s_add_i32 s5, s4, 1
	v_cvt_f32_u32_e32 v1, s5
	s_not_b32 s4, s4
	v_and_b32_e32 v72, 63, v10
	v_lshrrev_b32_e32 v144, 6, v10
	v_rcp_iflag_f32_e32 v1, v1
	s_mov_b32 s6, -1
	v_cmp_le_i32_e32 vcc, s26, v144
	s_mov_b32 s7, 0x7fefffff
	v_mul_f32_e32 v0, 0x4f7ffffe, v1
	v_cvt_u32_f32_e32 v0, v0
	s_nop 0
	v_readfirstlane_b32 s8, v0
	s_mul_i32 s4, s4, s8
	s_mul_hi_u32 s4, s8, s4
	s_add_i32 s8, s8, s4
	s_mul_hi_u32 s4, s2, s8
	s_mul_i32 s8, s4, s5
	s_sub_i32 s8, s2, s8
	s_add_i32 s9, s4, 1
	s_sub_i32 s10, s8, s5
	s_cmp_ge_u32 s8, s5
	s_cselect_b32 s4, s9, s4
	s_cselect_b32 s8, s10, s8
	s_add_i32 s9, s4, 1
	s_cmp_ge_u32 s8, s5
	s_cselect_b32 s16, s9, s4
	s_mul_i32 s4, s16, s5
	s_sub_i32 s2, s2, s4
	s_lshl_b32 s2, s2, 8
	v_or_b32_e32 v60, s2, v72
	s_waitcnt lgkmcnt(0)
	v_mad_i64_i32 v[0:1], s[4:5], s27, v144, 0
	v_cmp_le_i32_e64 s[10:11], s24, v60
	s_or_b64 s[4:5], s[10:11], vcc
	v_lshl_add_u64 v[8:9], v[0:1], 3, s[18:19]
	s_xor_b64 s[8:9], s[4:5], -1
	v_mov_b64_e32 v[0:1], s[6:7]
	v_ashrrev_i32_e32 v61, 31, v60
	s_and_saveexec_b64 s[4:5], s[8:9]
	s_cbranch_execz .LBB160_10
; %bb.9:
	v_lshl_add_u64 v[0:1], v[60:61], 3, v[8:9]
	flat_load_dwordx2 v[0:1], v[0:1]
.LBB160_10:
	s_or_b64 exec, exec, s[4:5]
	v_or_b32_e32 v2, 64, v60
	v_cmp_le_i32_e64 s[4:5], s24, v2
	s_or_b64 s[8:9], s[4:5], vcc
	s_xor_b64 s[8:9], s[8:9], -1
	v_mov_b64_e32 v[2:3], s[6:7]
	s_and_saveexec_b64 s[6:7], s[8:9]
	s_cbranch_execz .LBB160_12
; %bb.11:
	v_lshl_add_u64 v[2:3], v[60:61], 3, v[8:9]
	flat_load_dwordx2 v[2:3], v[2:3] offset:512
.LBB160_12:
	s_or_b64 exec, exec, s[6:7]
	v_or_b32_e32 v4, 0x80, v60
	v_cmp_le_i32_e64 s[6:7], s24, v4
	s_mov_b32 s12, -1
	s_or_b64 s[8:9], s[6:7], vcc
	s_mov_b32 s13, 0x7fefffff
	s_ashr_i32 s33, s27, 31
	s_xor_b64 s[34:35], s[8:9], -1
	v_mov_b64_e32 v[4:5], s[12:13]
	s_and_saveexec_b64 s[8:9], s[34:35]
	s_cbranch_execz .LBB160_14
; %bb.13:
	v_lshl_add_u64 v[4:5], v[60:61], 3, v[8:9]
	flat_load_dwordx2 v[4:5], v[4:5] offset:1024
.LBB160_14:
	s_or_b64 exec, exec, s[8:9]
	v_or_b32_e32 v6, 0xc0, v60
	v_cmp_le_i32_e64 s[8:9], s24, v6
	s_or_b64 s[34:35], s[8:9], vcc
	s_xor_b64 s[34:35], s[34:35], -1
	v_mov_b64_e32 v[6:7], s[12:13]
	s_and_saveexec_b64 s[12:13], s[34:35]
	s_cbranch_execz .LBB160_16
; %bb.15:
	v_lshl_add_u64 v[6:7], v[60:61], 3, v[8:9]
	flat_load_dwordx2 v[6:7], v[6:7] offset:1536
.LBB160_16:
	s_or_b64 exec, exec, s[12:13]
	s_load_dword s38, s[0:1], 0x38
	v_lshrrev_b32_e32 v14, 2, v10
	s_lshl_b32 s16, s16, 6
	v_add_u32_e32 v73, s16, v14
	v_and_b32_e32 v145, 3, v133
	v_cmp_le_i32_e64 s[12:13], s25, v73
	s_mov_b32 s34, -1
	v_cmp_gt_i32_e32 vcc, s26, v145
	s_xor_b64 s[12:13], s[12:13], -1
	s_mov_b32 s35, 0x7fefffff
	s_and_b64 s[40:41], vcc, s[12:13]
	v_mov_b64_e32 v[10:11], s[34:35]
	v_lshlrev_b32_e32 v8, 3, v145
	s_and_saveexec_b64 s[36:37], s[40:41]
	s_cbranch_execz .LBB160_18
; %bb.17:
	s_waitcnt lgkmcnt(0)
	v_mad_i64_i32 v[10:11], s[40:41], v73, s38, 0
	v_lshl_add_u64 v[10:11], v[10:11], 3, s[30:31]
	v_mov_b32_e32 v9, 0
	v_lshl_add_u64 v[10:11], v[10:11], 0, v[8:9]
	flat_load_dwordx2 v[10:11], v[10:11]
.LBB160_18:
	s_or_b64 exec, exec, s[36:37]
	v_add_u32_e32 v9, 4, v144
	v_cmp_le_i32_e32 vcc, s26, v9
	v_mad_i64_i32 v[12:13], s[36:37], s27, v9, 0
	s_or_b64 s[36:37], s[10:11], vcc
	v_lshl_add_u64 v[12:13], v[12:13], 3, s[18:19]
	s_xor_b64 s[36:37], s[36:37], -1
	v_mov_b64_e32 v[62:63], s[34:35]
	s_and_saveexec_b64 s[34:35], s[36:37]
	s_cbranch_execz .LBB160_20
; %bb.19:
	v_lshl_add_u64 v[16:17], v[60:61], 3, v[12:13]
	flat_load_dwordx2 v[62:63], v[16:17]
.LBB160_20:
	s_or_b64 exec, exec, s[34:35]
	s_or_b64 s[34:35], s[4:5], vcc
	s_xor_b64 s[40:41], s[34:35], -1
	s_mov_b32 s34, -1
	s_mov_b32 s35, 0x7fefffff
	v_mov_b64_e32 v[64:65], s[34:35]
	s_and_saveexec_b64 s[36:37], s[40:41]
	s_cbranch_execz .LBB160_22
; %bb.21:
	v_lshl_add_u64 v[16:17], v[60:61], 3, v[12:13]
	flat_load_dwordx2 v[64:65], v[16:17] offset:512
.LBB160_22:
	s_or_b64 exec, exec, s[36:37]
	s_or_b64 s[36:37], s[6:7], vcc
	s_xor_b64 s[36:37], s[36:37], -1
	v_mov_b64_e32 v[66:67], s[34:35]
	s_and_saveexec_b64 s[34:35], s[36:37]
	s_cbranch_execz .LBB160_24
; %bb.23:
	v_lshl_add_u64 v[16:17], v[60:61], 3, v[12:13]
	flat_load_dwordx2 v[66:67], v[16:17] offset:1024
.LBB160_24:
	s_or_b64 exec, exec, s[34:35]
	s_or_b64 s[34:35], s[8:9], vcc
	s_xor_b64 s[40:41], s[34:35], -1
	s_mov_b32 s34, -1
	s_mov_b32 s35, 0x7fefffff
	v_mov_b64_e32 v[68:69], s[34:35]
	s_and_saveexec_b64 s[36:37], s[40:41]
	s_cbranch_execz .LBB160_26
; %bb.25:
	v_lshl_add_u64 v[12:13], v[60:61], 3, v[12:13]
	flat_load_dwordx2 v[68:69], v[12:13] offset:1536
.LBB160_26:
	s_or_b64 exec, exec, s[36:37]
	v_or_b32_e32 v9, 4, v145
	v_cmp_gt_i32_e32 vcc, s26, v9
	s_and_b64 s[36:37], vcc, s[12:13]
	v_mov_b64_e32 v[70:71], s[34:35]
	s_and_saveexec_b64 s[34:35], s[36:37]
	s_cbranch_execz .LBB160_28
; %bb.27:
	s_waitcnt lgkmcnt(0)
	v_mad_i64_i32 v[12:13], s[36:37], v73, s38, 0
	v_lshl_add_u64 v[12:13], v[12:13], 3, s[30:31]
	v_mov_b32_e32 v9, 0
	v_lshl_add_u64 v[12:13], v[12:13], 0, v[8:9]
	flat_load_dwordx2 v[70:71], v[12:13] offset:32
.LBB160_28:
	s_or_b64 exec, exec, s[34:35]
	v_lshlrev_b32_e32 v9, 3, v144
	v_lshl_or_b32 v74, v14, 5, v8
	v_lshl_add_u32 v146, v72, 5, v9
	v_add_u32_e32 v147, 0x4000, v74
	s_mov_b32 s36, 0
	s_mov_b64 s[34:35], -1
	v_mov_b32_e32 v78, 0x7f800000
	v_mov_b32_e32 v79, 0x7f800000
	;; [unrolled: 1-line block ×64, first 2 shown]
	s_waitcnt vmcnt(0) lgkmcnt(0)
	ds_write2st64_b64 v146, v[0:1], v[2:3] offset1:4
	ds_write2st64_b64 v146, v[4:5], v[6:7] offset0:8 offset1:12
	ds_write_b64 v74, v[10:11] offset:16384
	s_waitcnt lgkmcnt(0)
	s_barrier
.LBB160_29:                             ; =>This Inner Loop Header: Depth=1
	v_cndmask_b32_e64 v0, 0, 1, s[34:35]
	s_lshl_b32 s34, s36, 3
	v_cmp_ne_u32_e32 vcc, 1, v0
	v_lshl_add_u32 v0, v133, 5, s34
	v_lshl_add_u32 v20, v134, 5, s34
	ds_read_b128 v[32:35], v0
	ds_read_b128 v[28:31], v0 offset:1024
	ds_read_b128 v[24:27], v0 offset:2048
	;; [unrolled: 1-line block ×15, first 2 shown]
	s_waitcnt lgkmcnt(7)
	v_add_f64 v[76:77], v[34:35], v[150:151]
	v_add_f64 v[152:153], v[32:33], v[148:149]
	v_cvt_f32_f64_e32 v75, v[152:153]
	v_cvt_f32_f64_e32 v76, v[76:77]
	v_min3_f32 v143, v75, v76, v143
	v_add_f64 v[76:77], v[30:31], v[150:151]
	v_add_f64 v[152:153], v[28:29], v[148:149]
	v_cvt_f32_f64_e32 v75, v[152:153]
	v_cvt_f32_f64_e32 v76, v[76:77]
	v_min3_f32 v142, v75, v76, v142
	;; [unrolled: 5-line block ×8, first 2 shown]
	s_waitcnt lgkmcnt(6)
	v_add_f64 v[76:77], v[34:35], v[58:59]
	v_add_f64 v[148:149], v[32:33], v[56:57]
	v_cvt_f32_f64_e32 v75, v[148:149]
	v_cvt_f32_f64_e32 v76, v[76:77]
	v_min3_f32 v135, v75, v76, v135
	v_add_f64 v[76:77], v[30:31], v[58:59]
	v_add_f64 v[148:149], v[28:29], v[56:57]
	v_cvt_f32_f64_e32 v75, v[148:149]
	v_cvt_f32_f64_e32 v76, v[76:77]
	v_min3_f32 v132, v75, v76, v132
	v_add_f64 v[76:77], v[26:27], v[58:59]
	v_add_f64 v[148:149], v[24:25], v[56:57]
	v_cvt_f32_f64_e32 v75, v[148:149]
	v_cvt_f32_f64_e32 v76, v[76:77]
	v_min3_f32 v131, v75, v76, v131
	v_add_f64 v[76:77], v[18:19], v[58:59]
	v_add_f64 v[148:149], v[16:17], v[56:57]
	v_cvt_f32_f64_e32 v75, v[148:149]
	v_cvt_f32_f64_e32 v76, v[76:77]
	v_min3_f32 v130, v75, v76, v130
	v_add_f64 v[76:77], v[14:15], v[58:59]
	v_add_f64 v[148:149], v[12:13], v[56:57]
	v_cvt_f32_f64_e32 v75, v[148:149]
	v_cvt_f32_f64_e32 v76, v[76:77]
	v_min3_f32 v129, v75, v76, v129
	v_add_f64 v[76:77], v[10:11], v[58:59]
	v_add_f64 v[148:149], v[8:9], v[56:57]
	v_cvt_f32_f64_e32 v75, v[148:149]
	v_cvt_f32_f64_e32 v76, v[76:77]
	v_min3_f32 v128, v75, v76, v128
	v_add_f64 v[76:77], v[6:7], v[58:59]
	v_add_f64 v[148:149], v[4:5], v[56:57]
	v_add_f64 v[58:59], v[2:3], v[58:59]
	v_add_f64 v[56:57], v[0:1], v[56:57]
	v_cvt_f32_f64_e32 v56, v[56:57]
	v_cvt_f32_f64_e32 v57, v[58:59]
	v_min3_f32 v126, v56, v57, v126
	s_waitcnt lgkmcnt(5)
	v_add_f64 v[56:57], v[34:35], v[54:55]
	v_add_f64 v[58:59], v[32:33], v[52:53]
	v_cvt_f32_f64_e32 v58, v[58:59]
	v_cvt_f32_f64_e32 v56, v[56:57]
	v_min3_f32 v125, v58, v56, v125
	v_add_f64 v[56:57], v[30:31], v[54:55]
	v_add_f64 v[58:59], v[28:29], v[52:53]
	v_cvt_f32_f64_e32 v58, v[58:59]
	v_cvt_f32_f64_e32 v56, v[56:57]
	v_min3_f32 v124, v58, v56, v124
	v_add_f64 v[56:57], v[26:27], v[54:55]
	v_add_f64 v[58:59], v[24:25], v[52:53]
	v_cvt_f32_f64_e32 v58, v[58:59]
	v_cvt_f32_f64_e32 v56, v[56:57]
	v_min3_f32 v123, v58, v56, v123
	v_add_f64 v[56:57], v[18:19], v[54:55]
	v_add_f64 v[58:59], v[16:17], v[52:53]
	v_cvt_f32_f64_e32 v58, v[58:59]
	v_cvt_f32_f64_e32 v56, v[56:57]
	v_min3_f32 v122, v58, v56, v122
	v_add_f64 v[56:57], v[14:15], v[54:55]
	v_add_f64 v[58:59], v[12:13], v[52:53]
	v_cvt_f32_f64_e32 v58, v[58:59]
	v_cvt_f32_f64_e32 v56, v[56:57]
	v_min3_f32 v121, v58, v56, v121
	v_add_f64 v[56:57], v[10:11], v[54:55]
	v_add_f64 v[58:59], v[8:9], v[52:53]
	v_cvt_f32_f64_e32 v58, v[58:59]
	v_cvt_f32_f64_e32 v56, v[56:57]
	v_min3_f32 v120, v58, v56, v120
	v_add_f64 v[56:57], v[6:7], v[54:55]
	v_add_f64 v[58:59], v[4:5], v[52:53]
	v_add_f64 v[54:55], v[2:3], v[54:55]
	v_add_f64 v[52:53], v[0:1], v[52:53]
	v_cvt_f32_f64_e32 v52, v[52:53]
	v_cvt_f32_f64_e32 v53, v[54:55]
	v_min3_f32 v118, v52, v53, v118
	;; [unrolled: 38-line block ×5, first 2 shown]
	s_waitcnt lgkmcnt(1)
	v_add_f64 v[40:41], v[34:35], v[38:39]
	v_add_f64 v[42:43], v[32:33], v[36:37]
	v_cvt_f32_f64_e32 v42, v[42:43]
	v_cvt_f32_f64_e32 v40, v[40:41]
	v_min3_f32 v93, v42, v40, v93
	v_add_f64 v[40:41], v[30:31], v[38:39]
	v_add_f64 v[42:43], v[28:29], v[36:37]
	v_cvt_f32_f64_e32 v42, v[42:43]
	v_cvt_f32_f64_e32 v40, v[40:41]
	v_min3_f32 v92, v42, v40, v92
	v_add_f64 v[40:41], v[26:27], v[38:39]
	v_add_f64 v[42:43], v[24:25], v[36:37]
	v_cvt_f32_f64_e32 v42, v[42:43]
	v_cvt_f32_f64_e32 v40, v[40:41]
	v_min3_f32 v91, v42, v40, v91
	v_add_f64 v[40:41], v[18:19], v[38:39]
	v_add_f64 v[42:43], v[16:17], v[36:37]
	v_cvt_f32_f64_e32 v42, v[42:43]
	v_cvt_f32_f64_e32 v40, v[40:41]
	v_min3_f32 v90, v42, v40, v90
	v_add_f64 v[40:41], v[14:15], v[38:39]
	v_add_f64 v[42:43], v[12:13], v[36:37]
	v_cvt_f32_f64_e32 v42, v[42:43]
	v_cvt_f32_f64_e32 v40, v[40:41]
	v_min3_f32 v89, v42, v40, v89
	v_add_f64 v[40:41], v[10:11], v[38:39]
	v_add_f64 v[42:43], v[8:9], v[36:37]
	v_cvt_f32_f64_e32 v42, v[42:43]
	v_cvt_f32_f64_e32 v40, v[40:41]
	v_min3_f32 v88, v42, v40, v88
	v_add_f64 v[40:41], v[6:7], v[38:39]
	v_add_f64 v[42:43], v[4:5], v[36:37]
	;; [unrolled: 1-line block ×4, first 2 shown]
	s_waitcnt lgkmcnt(0)
	v_add_f64 v[34:35], v[34:35], v[22:23]
	v_add_f64 v[32:33], v[32:33], v[20:21]
	v_add_f64 v[30:31], v[30:31], v[22:23]
	v_add_f64 v[28:29], v[28:29], v[20:21]
	v_add_f64 v[26:27], v[26:27], v[22:23]
	v_add_f64 v[24:25], v[24:25], v[20:21]
	v_add_f64 v[18:19], v[18:19], v[22:23]
	v_add_f64 v[16:17], v[16:17], v[20:21]
	v_add_f64 v[14:15], v[14:15], v[22:23]
	v_add_f64 v[12:13], v[12:13], v[20:21]
	v_add_f64 v[10:11], v[10:11], v[22:23]
	v_add_f64 v[8:9], v[8:9], v[20:21]
	v_add_f64 v[6:7], v[6:7], v[22:23]
	v_add_f64 v[4:5], v[4:5], v[20:21]
	v_add_f64 v[2:3], v[2:3], v[22:23]
	v_add_f64 v[0:1], v[0:1], v[20:21]
	v_cvt_f32_f64_e32 v75, v[148:149]
	v_cvt_f32_f64_e32 v76, v[76:77]
	;; [unrolled: 1-line block ×30, first 2 shown]
	v_min3_f32 v127, v75, v76, v127
	v_min3_f32 v119, v58, v56, v119
	;; [unrolled: 1-line block ×15, first 2 shown]
	s_mov_b32 s36, 2
	s_mov_b64 s[34:35], 0
	s_cbranch_vccz .LBB160_29
; %bb.30:
	v_lshlrev_b32_e32 v0, 5, v72
	v_lshl_add_u32 v0, v144, 3, v0
	s_cmp_gt_i32 s26, 8
	s_mov_b32 s36, 8
	ds_write2st64_b64 v0, v[62:63], v[64:65] offset0:16 offset1:20
	ds_write2st64_b64 v0, v[66:67], v[68:69] offset0:24 offset1:28
	ds_write_b64 v74, v[70:71] offset:18432
	s_waitcnt lgkmcnt(0)
	s_barrier
	s_cbranch_scc0 .LBB160_57
; %bb.31:
	v_add_u32_e32 v148, 0x2000, v0
	v_mad_i64_i32 v[0:1], s[34:35], v73, s38, 0
	v_lshl_add_u64 v[62:63], v[0:1], 3, s[30:31]
	s_mov_b32 s30, -1
	v_add_u32_e32 v149, 0x4800, v74
	s_add_i32 s37, s26, -8
	v_lshl_add_u64 v[64:65], v[62:63], 0, 32
	s_mov_b32 s38, 0
	s_mov_b32 s31, 0x7fefffff
	v_mov_b32_e32 v67, 0
.LBB160_32:                             ; =>This Loop Header: Depth=1
                                        ;     Child Loop BB160_43 Depth 2
                                        ;     Child Loop BB160_55 Depth 2
	v_add_u32_e32 v3, s36, v144
	v_mad_u64_u32 v[0:1], s[34:35], v3, s27, 0
	v_mov_b32_e32 v2, v1
	v_cmp_le_i32_e32 vcc, s26, v3
	v_mad_u64_u32 v[2:3], s[34:35], v3, s33, v[2:3]
	v_mov_b32_e32 v1, v2
	v_lshl_add_u64 v[0:1], v[0:1], 3, s[18:19]
	s_or_b64 s[34:35], s[10:11], vcc
	s_xor_b64 s[40:41], s[34:35], -1
	v_mov_b64_e32 v[68:69], s[30:31]
	v_lshl_add_u64 v[0:1], v[60:61], 3, v[0:1]
	s_and_saveexec_b64 s[34:35], s[40:41]
	s_cbranch_execz .LBB160_34
; %bb.33:                               ;   in Loop: Header=BB160_32 Depth=1
	flat_load_dwordx2 v[68:69], v[0:1]
.LBB160_34:                             ;   in Loop: Header=BB160_32 Depth=1
	s_or_b64 exec, exec, s[34:35]
	s_or_b64 s[34:35], s[4:5], vcc
	s_xor_b64 s[40:41], s[34:35], -1
	v_mov_b64_e32 v[70:71], s[30:31]
	s_and_saveexec_b64 s[34:35], s[40:41]
	s_cbranch_execz .LBB160_36
; %bb.35:                               ;   in Loop: Header=BB160_32 Depth=1
	flat_load_dwordx2 v[70:71], v[0:1] offset:512
.LBB160_36:                             ;   in Loop: Header=BB160_32 Depth=1
	s_or_b64 exec, exec, s[34:35]
	s_or_b64 s[34:35], s[6:7], vcc
	s_xor_b64 s[40:41], s[34:35], -1
	v_mov_b64_e32 v[72:73], s[30:31]
	s_and_saveexec_b64 s[34:35], s[40:41]
	s_cbranch_execz .LBB160_38
; %bb.37:                               ;   in Loop: Header=BB160_32 Depth=1
	flat_load_dwordx2 v[72:73], v[0:1] offset:1024
.LBB160_38:                             ;   in Loop: Header=BB160_32 Depth=1
	;; [unrolled: 9-line block ×3, first 2 shown]
	s_or_b64 exec, exec, s[34:35]
	v_or_b32_e32 v66, s36, v145
	v_cmp_gt_i32_e32 vcc, s26, v66
	s_and_b64 s[40:41], vcc, s[12:13]
	v_mov_b64_e32 v[76:77], s[30:31]
	s_and_saveexec_b64 s[34:35], s[40:41]
	s_cbranch_execz .LBB160_42
; %bb.41:                               ;   in Loop: Header=BB160_32 Depth=1
	v_lshl_add_u64 v[0:1], v[66:67], 3, v[62:63]
	flat_load_dwordx2 v[76:77], v[0:1]
.LBB160_42:                             ;   in Loop: Header=BB160_32 Depth=1
	s_or_b64 exec, exec, s[34:35]
	s_mov_b32 s39, 0
	s_mov_b64 s[34:35], -1
.LBB160_43:                             ;   Parent Loop BB160_32 Depth=1
                                        ; =>  This Inner Loop Header: Depth=2
	v_cndmask_b32_e64 v0, 0, 1, s[34:35]
	s_lshl_b32 s34, s39, 3
	v_cmp_ne_u32_e32 vcc, 1, v0
	v_lshl_add_u32 v0, v133, 5, s34
	v_lshl_add_u32 v20, v134, 5, s34
	ds_read_b128 v[32:35], v0 offset:8192
	ds_read_b128 v[28:31], v0 offset:9216
	ds_read_b128 v[24:27], v0 offset:10240
	ds_read_b128 v[16:19], v0 offset:11264
	ds_read_b128 v[12:15], v0 offset:12288
	ds_read_b128 v[8:11], v0 offset:13312
	ds_read_b128 v[4:7], v0 offset:14336
	ds_read_b128 v[0:3], v0 offset:15360
	ds_read_b128 v[150:153], v20 offset:18432
	ds_read_b128 v[56:59], v20 offset:18688
	ds_read_b128 v[52:55], v20 offset:18944
	ds_read_b128 v[48:51], v20 offset:19200
	ds_read_b128 v[44:47], v20 offset:19456
	ds_read_b128 v[40:43], v20 offset:19712
	ds_read_b128 v[36:39], v20 offset:19968
	ds_read_b128 v[20:23], v20 offset:20224
	s_waitcnt lgkmcnt(0)
	v_add_f64 v[154:155], v[34:35], v[152:153]
	v_add_f64 v[156:157], v[32:33], v[150:151]
	v_cvt_f32_f64_e32 v156, v[156:157]
	v_cvt_f32_f64_e32 v154, v[154:155]
	v_min3_f32 v143, v156, v154, v143
	v_add_f64 v[154:155], v[30:31], v[152:153]
	v_add_f64 v[156:157], v[28:29], v[150:151]
	v_cvt_f32_f64_e32 v156, v[156:157]
	v_cvt_f32_f64_e32 v154, v[154:155]
	v_min3_f32 v142, v156, v154, v142
	v_add_f64 v[154:155], v[26:27], v[152:153]
	v_add_f64 v[156:157], v[24:25], v[150:151]
	v_cvt_f32_f64_e32 v156, v[156:157]
	v_cvt_f32_f64_e32 v154, v[154:155]
	v_min3_f32 v141, v156, v154, v141
	v_add_f64 v[154:155], v[18:19], v[152:153]
	v_add_f64 v[156:157], v[16:17], v[150:151]
	v_cvt_f32_f64_e32 v156, v[156:157]
	v_cvt_f32_f64_e32 v154, v[154:155]
	v_min3_f32 v140, v156, v154, v140
	v_add_f64 v[154:155], v[14:15], v[152:153]
	v_add_f64 v[156:157], v[12:13], v[150:151]
	v_cvt_f32_f64_e32 v156, v[156:157]
	v_cvt_f32_f64_e32 v154, v[154:155]
	v_min3_f32 v139, v156, v154, v139
	v_add_f64 v[154:155], v[10:11], v[152:153]
	v_add_f64 v[156:157], v[8:9], v[150:151]
	v_cvt_f32_f64_e32 v156, v[156:157]
	v_cvt_f32_f64_e32 v154, v[154:155]
	v_min3_f32 v138, v156, v154, v138
	v_add_f64 v[154:155], v[6:7], v[152:153]
	v_add_f64 v[156:157], v[4:5], v[150:151]
	v_add_f64 v[152:153], v[2:3], v[152:153]
	v_add_f64 v[150:151], v[0:1], v[150:151]
	v_cvt_f32_f64_e32 v150, v[150:151]
	v_cvt_f32_f64_e32 v151, v[152:153]
	v_min3_f32 v136, v150, v151, v136
	v_add_f64 v[150:151], v[34:35], v[58:59]
	v_add_f64 v[152:153], v[32:33], v[56:57]
	v_cvt_f32_f64_e32 v152, v[152:153]
	v_cvt_f32_f64_e32 v150, v[150:151]
	v_min3_f32 v135, v152, v150, v135
	v_add_f64 v[150:151], v[30:31], v[58:59]
	v_add_f64 v[152:153], v[28:29], v[56:57]
	v_cvt_f32_f64_e32 v152, v[152:153]
	v_cvt_f32_f64_e32 v150, v[150:151]
	v_min3_f32 v132, v152, v150, v132
	v_add_f64 v[150:151], v[26:27], v[58:59]
	v_add_f64 v[152:153], v[24:25], v[56:57]
	v_cvt_f32_f64_e32 v152, v[152:153]
	v_cvt_f32_f64_e32 v150, v[150:151]
	v_min3_f32 v131, v152, v150, v131
	v_add_f64 v[150:151], v[18:19], v[58:59]
	v_add_f64 v[152:153], v[16:17], v[56:57]
	v_cvt_f32_f64_e32 v152, v[152:153]
	v_cvt_f32_f64_e32 v150, v[150:151]
	v_min3_f32 v130, v152, v150, v130
	v_add_f64 v[150:151], v[14:15], v[58:59]
	v_add_f64 v[152:153], v[12:13], v[56:57]
	v_cvt_f32_f64_e32 v152, v[152:153]
	v_cvt_f32_f64_e32 v150, v[150:151]
	v_min3_f32 v129, v152, v150, v129
	v_add_f64 v[150:151], v[10:11], v[58:59]
	v_add_f64 v[152:153], v[8:9], v[56:57]
	v_cvt_f32_f64_e32 v152, v[152:153]
	v_cvt_f32_f64_e32 v150, v[150:151]
	v_min3_f32 v128, v152, v150, v128
	v_add_f64 v[150:151], v[6:7], v[58:59]
	v_add_f64 v[152:153], v[4:5], v[56:57]
	v_add_f64 v[58:59], v[2:3], v[58:59]
	v_add_f64 v[56:57], v[0:1], v[56:57]
	v_cvt_f32_f64_e32 v56, v[56:57]
	v_cvt_f32_f64_e32 v57, v[58:59]
	v_min3_f32 v126, v56, v57, v126
	;; [unrolled: 37-line block ×6, first 2 shown]
	v_add_f64 v[40:41], v[34:35], v[38:39]
	v_add_f64 v[42:43], v[32:33], v[36:37]
	v_cvt_f32_f64_e32 v42, v[42:43]
	v_cvt_f32_f64_e32 v40, v[40:41]
	v_min3_f32 v93, v42, v40, v93
	v_add_f64 v[40:41], v[30:31], v[38:39]
	v_add_f64 v[42:43], v[28:29], v[36:37]
	v_cvt_f32_f64_e32 v42, v[42:43]
	v_cvt_f32_f64_e32 v40, v[40:41]
	v_min3_f32 v92, v42, v40, v92
	;; [unrolled: 5-line block ×6, first 2 shown]
	v_add_f64 v[40:41], v[6:7], v[38:39]
	v_add_f64 v[42:43], v[4:5], v[36:37]
	;; [unrolled: 1-line block ×20, first 2 shown]
	v_cvt_f32_f64_e32 v156, v[156:157]
	v_cvt_f32_f64_e32 v154, v[154:155]
	;; [unrolled: 1-line block ×32, first 2 shown]
	v_min3_f32 v137, v156, v154, v137
	v_min3_f32 v127, v152, v150, v127
	;; [unrolled: 1-line block ×16, first 2 shown]
	s_mov_b32 s39, 2
	s_mov_b64 s[34:35], 0
	s_cbranch_vccz .LBB160_43
; %bb.44:                               ;   in Loop: Header=BB160_32 Depth=1
	v_add3_u32 v3, v144, s36, 4
	v_mad_u64_u32 v[0:1], s[34:35], v3, s27, 0
	v_mov_b32_e32 v2, v1
	v_cmp_le_i32_e32 vcc, s26, v3
	v_mad_u64_u32 v[2:3], s[34:35], v3, s33, v[2:3]
	v_mov_b32_e32 v1, v2
	v_lshl_add_u64 v[0:1], v[0:1], 3, s[18:19]
	s_or_b64 s[34:35], s[10:11], vcc
	s_waitcnt vmcnt(0)
	ds_write2st64_b64 v146, v[68:69], v[70:71] offset1:4
	ds_write2st64_b64 v146, v[72:73], v[74:75] offset0:8 offset1:12
	ds_write_b64 v147, v[76:77]
	s_xor_b64 s[40:41], s[34:35], -1
	v_mov_b64_e32 v[68:69], s[30:31]
	v_lshl_add_u64 v[0:1], v[60:61], 3, v[0:1]
	s_waitcnt lgkmcnt(0)
	s_barrier
	s_and_saveexec_b64 s[34:35], s[40:41]
	s_cbranch_execz .LBB160_46
; %bb.45:                               ;   in Loop: Header=BB160_32 Depth=1
	flat_load_dwordx2 v[68:69], v[0:1]
.LBB160_46:                             ;   in Loop: Header=BB160_32 Depth=1
	s_or_b64 exec, exec, s[34:35]
	s_or_b64 s[34:35], s[4:5], vcc
	s_xor_b64 s[40:41], s[34:35], -1
	v_mov_b64_e32 v[70:71], s[30:31]
	s_and_saveexec_b64 s[34:35], s[40:41]
	s_cbranch_execz .LBB160_48
; %bb.47:                               ;   in Loop: Header=BB160_32 Depth=1
	flat_load_dwordx2 v[70:71], v[0:1] offset:512
.LBB160_48:                             ;   in Loop: Header=BB160_32 Depth=1
	s_or_b64 exec, exec, s[34:35]
	s_or_b64 s[34:35], s[6:7], vcc
	s_xor_b64 s[40:41], s[34:35], -1
	v_mov_b64_e32 v[72:73], s[30:31]
	s_and_saveexec_b64 s[34:35], s[40:41]
	s_cbranch_execz .LBB160_50
; %bb.49:                               ;   in Loop: Header=BB160_32 Depth=1
	flat_load_dwordx2 v[72:73], v[0:1] offset:1024
.LBB160_50:                             ;   in Loop: Header=BB160_32 Depth=1
	;; [unrolled: 9-line block ×3, first 2 shown]
	s_or_b64 exec, exec, s[34:35]
	v_or_b32_e32 v0, 4, v66
	v_cmp_gt_i32_e32 vcc, s26, v0
	s_and_b64 s[40:41], vcc, s[12:13]
	v_mov_b64_e32 v[76:77], s[30:31]
	s_and_saveexec_b64 s[34:35], s[40:41]
	s_cbranch_execz .LBB160_54
; %bb.53:                               ;   in Loop: Header=BB160_32 Depth=1
	v_lshl_add_u64 v[0:1], v[66:67], 3, v[64:65]
	flat_load_dwordx2 v[76:77], v[0:1]
.LBB160_54:                             ;   in Loop: Header=BB160_32 Depth=1
	s_or_b64 exec, exec, s[34:35]
	s_mov_b32 s39, 0
	s_mov_b64 s[34:35], -1
.LBB160_55:                             ;   Parent Loop BB160_32 Depth=1
                                        ; =>  This Inner Loop Header: Depth=2
	v_cndmask_b32_e64 v0, 0, 1, s[34:35]
	s_lshl_b32 s34, s39, 3
	v_cmp_ne_u32_e32 vcc, 1, v0
	v_lshl_add_u32 v0, v133, 5, s34
	v_lshl_add_u32 v20, v134, 5, s34
	ds_read_b128 v[32:35], v0
	ds_read_b128 v[28:31], v0 offset:1024
	ds_read_b128 v[24:27], v0 offset:2048
	;; [unrolled: 1-line block ×15, first 2 shown]
	s_waitcnt lgkmcnt(0)
	v_add_f64 v[154:155], v[34:35], v[152:153]
	v_add_f64 v[156:157], v[32:33], v[150:151]
	v_cvt_f32_f64_e32 v66, v[156:157]
	v_cvt_f32_f64_e32 v154, v[154:155]
	v_min3_f32 v143, v66, v154, v143
	v_add_f64 v[154:155], v[30:31], v[152:153]
	v_add_f64 v[156:157], v[28:29], v[150:151]
	v_cvt_f32_f64_e32 v66, v[156:157]
	v_cvt_f32_f64_e32 v154, v[154:155]
	v_min3_f32 v142, v66, v154, v142
	;; [unrolled: 5-line block ×6, first 2 shown]
	v_add_f64 v[154:155], v[6:7], v[152:153]
	v_add_f64 v[156:157], v[4:5], v[150:151]
	v_cvt_f32_f64_e32 v66, v[156:157]
	v_cvt_f32_f64_e32 v154, v[154:155]
	v_add_f64 v[152:153], v[2:3], v[152:153]
	v_add_f64 v[150:151], v[0:1], v[150:151]
	v_min3_f32 v137, v66, v154, v137
	v_cvt_f32_f64_e32 v66, v[150:151]
	v_cvt_f32_f64_e32 v150, v[152:153]
	v_min3_f32 v136, v66, v150, v136
	v_add_f64 v[150:151], v[34:35], v[58:59]
	v_add_f64 v[152:153], v[32:33], v[56:57]
	v_cvt_f32_f64_e32 v66, v[152:153]
	v_cvt_f32_f64_e32 v150, v[150:151]
	v_min3_f32 v135, v66, v150, v135
	v_add_f64 v[150:151], v[30:31], v[58:59]
	v_add_f64 v[152:153], v[28:29], v[56:57]
	v_cvt_f32_f64_e32 v66, v[152:153]
	v_cvt_f32_f64_e32 v150, v[150:151]
	v_min3_f32 v132, v66, v150, v132
	v_add_f64 v[150:151], v[26:27], v[58:59]
	v_add_f64 v[152:153], v[24:25], v[56:57]
	v_cvt_f32_f64_e32 v66, v[152:153]
	v_cvt_f32_f64_e32 v150, v[150:151]
	v_min3_f32 v131, v66, v150, v131
	v_add_f64 v[150:151], v[18:19], v[58:59]
	v_add_f64 v[152:153], v[16:17], v[56:57]
	v_cvt_f32_f64_e32 v66, v[152:153]
	v_cvt_f32_f64_e32 v150, v[150:151]
	v_min3_f32 v130, v66, v150, v130
	v_add_f64 v[150:151], v[14:15], v[58:59]
	v_add_f64 v[152:153], v[12:13], v[56:57]
	v_cvt_f32_f64_e32 v66, v[152:153]
	v_cvt_f32_f64_e32 v150, v[150:151]
	v_min3_f32 v129, v66, v150, v129
	v_add_f64 v[150:151], v[10:11], v[58:59]
	v_add_f64 v[152:153], v[8:9], v[56:57]
	v_cvt_f32_f64_e32 v66, v[152:153]
	v_cvt_f32_f64_e32 v150, v[150:151]
	v_min3_f32 v128, v66, v150, v128
	v_add_f64 v[150:151], v[6:7], v[58:59]
	v_add_f64 v[152:153], v[4:5], v[56:57]
	v_add_f64 v[58:59], v[2:3], v[58:59]
	v_add_f64 v[56:57], v[0:1], v[56:57]
	v_cvt_f32_f64_e32 v56, v[56:57]
	v_cvt_f32_f64_e32 v57, v[58:59]
	v_min3_f32 v126, v56, v57, v126
	v_add_f64 v[56:57], v[34:35], v[54:55]
	v_add_f64 v[58:59], v[32:33], v[52:53]
	v_cvt_f32_f64_e32 v58, v[58:59]
	v_cvt_f32_f64_e32 v56, v[56:57]
	v_min3_f32 v125, v58, v56, v125
	v_add_f64 v[56:57], v[30:31], v[54:55]
	v_add_f64 v[58:59], v[28:29], v[52:53]
	v_cvt_f32_f64_e32 v58, v[58:59]
	v_cvt_f32_f64_e32 v56, v[56:57]
	v_min3_f32 v124, v58, v56, v124
	v_add_f64 v[56:57], v[26:27], v[54:55]
	v_add_f64 v[58:59], v[24:25], v[52:53]
	v_cvt_f32_f64_e32 v58, v[58:59]
	v_cvt_f32_f64_e32 v56, v[56:57]
	v_min3_f32 v123, v58, v56, v123
	v_add_f64 v[56:57], v[18:19], v[54:55]
	v_add_f64 v[58:59], v[16:17], v[52:53]
	v_cvt_f32_f64_e32 v58, v[58:59]
	v_cvt_f32_f64_e32 v56, v[56:57]
	v_min3_f32 v122, v58, v56, v122
	v_add_f64 v[56:57], v[14:15], v[54:55]
	v_add_f64 v[58:59], v[12:13], v[52:53]
	v_cvt_f32_f64_e32 v58, v[58:59]
	v_cvt_f32_f64_e32 v56, v[56:57]
	v_min3_f32 v121, v58, v56, v121
	v_add_f64 v[56:57], v[10:11], v[54:55]
	v_add_f64 v[58:59], v[8:9], v[52:53]
	v_cvt_f32_f64_e32 v58, v[58:59]
	v_cvt_f32_f64_e32 v56, v[56:57]
	v_min3_f32 v120, v58, v56, v120
	v_add_f64 v[56:57], v[6:7], v[54:55]
	v_add_f64 v[58:59], v[4:5], v[52:53]
	v_add_f64 v[54:55], v[2:3], v[54:55]
	v_add_f64 v[52:53], v[0:1], v[52:53]
	;; [unrolled: 37-line block ×6, first 2 shown]
	v_add_f64 v[34:35], v[34:35], v[22:23]
	v_add_f64 v[32:33], v[32:33], v[20:21]
	;; [unrolled: 1-line block ×16, first 2 shown]
	v_cvt_f32_f64_e32 v66, v[152:153]
	v_cvt_f32_f64_e32 v150, v[150:151]
	;; [unrolled: 1-line block ×30, first 2 shown]
	v_min3_f32 v127, v66, v150, v127
	v_min3_f32 v119, v58, v56, v119
	;; [unrolled: 1-line block ×15, first 2 shown]
	s_mov_b32 s39, 2
	s_mov_b64 s[34:35], 0
	s_cbranch_vccz .LBB160_55
; %bb.56:                               ;   in Loop: Header=BB160_32 Depth=1
	s_add_i32 s36, s36, 8
	s_add_i32 s38, s38, 8
	s_cmp_ge_i32 s38, s37
	s_waitcnt vmcnt(0)
	ds_write2st64_b64 v148, v[68:69], v[70:71] offset1:4
	ds_write2st64_b64 v148, v[72:73], v[74:75] offset0:8 offset1:12
	ds_write_b64 v149, v[76:77]
	s_waitcnt lgkmcnt(0)
	s_barrier
	s_cbranch_scc0 .LBB160_32
.LBB160_57:
	s_mov_b32 s6, 0
	s_mov_b64 s[4:5], -1
.LBB160_58:                             ; =>This Inner Loop Header: Depth=1
	v_cndmask_b32_e64 v0, 0, 1, s[4:5]
	s_lshl_b32 s4, s6, 3
	v_cmp_ne_u32_e32 vcc, 1, v0
	v_lshl_add_u32 v0, v133, 5, s4
	v_lshl_add_u32 v20, v134, 5, s4
	ds_read_b128 v[32:35], v0 offset:8192
	ds_read_b128 v[28:31], v0 offset:9216
	;; [unrolled: 1-line block ×16, first 2 shown]
	s_waitcnt lgkmcnt(7)
	v_add_f64 v[64:65], v[34:35], v[62:63]
	v_add_f64 v[66:67], v[32:33], v[60:61]
	v_cvt_f32_f64_e32 v66, v[66:67]
	v_cvt_f32_f64_e32 v64, v[64:65]
	v_min3_f32 v143, v66, v64, v143
	v_add_f64 v[64:65], v[30:31], v[62:63]
	v_add_f64 v[66:67], v[28:29], v[60:61]
	v_cvt_f32_f64_e32 v66, v[66:67]
	v_cvt_f32_f64_e32 v64, v[64:65]
	v_min3_f32 v142, v66, v64, v142
	v_add_f64 v[64:65], v[26:27], v[62:63]
	v_add_f64 v[66:67], v[24:25], v[60:61]
	v_cvt_f32_f64_e32 v66, v[66:67]
	v_cvt_f32_f64_e32 v64, v[64:65]
	v_min3_f32 v141, v66, v64, v141
	v_add_f64 v[64:65], v[18:19], v[62:63]
	v_add_f64 v[66:67], v[16:17], v[60:61]
	v_cvt_f32_f64_e32 v66, v[66:67]
	v_cvt_f32_f64_e32 v64, v[64:65]
	v_min3_f32 v140, v66, v64, v140
	v_add_f64 v[64:65], v[14:15], v[62:63]
	v_add_f64 v[66:67], v[12:13], v[60:61]
	v_cvt_f32_f64_e32 v66, v[66:67]
	v_cvt_f32_f64_e32 v64, v[64:65]
	v_min3_f32 v139, v66, v64, v139
	v_add_f64 v[64:65], v[10:11], v[62:63]
	v_add_f64 v[66:67], v[8:9], v[60:61]
	v_cvt_f32_f64_e32 v66, v[66:67]
	v_cvt_f32_f64_e32 v64, v[64:65]
	v_min3_f32 v138, v66, v64, v138
	v_add_f64 v[64:65], v[6:7], v[62:63]
	v_add_f64 v[66:67], v[4:5], v[60:61]
	v_add_f64 v[62:63], v[2:3], v[62:63]
	v_add_f64 v[60:61], v[0:1], v[60:61]
	v_cvt_f32_f64_e32 v60, v[60:61]
	v_cvt_f32_f64_e32 v61, v[62:63]
	v_min3_f32 v136, v60, v61, v136
	s_waitcnt lgkmcnt(6)
	v_add_f64 v[60:61], v[34:35], v[58:59]
	v_add_f64 v[62:63], v[32:33], v[56:57]
	v_cvt_f32_f64_e32 v62, v[62:63]
	v_cvt_f32_f64_e32 v60, v[60:61]
	v_min3_f32 v135, v62, v60, v135
	v_add_f64 v[60:61], v[30:31], v[58:59]
	v_add_f64 v[62:63], v[28:29], v[56:57]
	v_cvt_f32_f64_e32 v62, v[62:63]
	v_cvt_f32_f64_e32 v60, v[60:61]
	v_min3_f32 v132, v62, v60, v132
	v_add_f64 v[60:61], v[26:27], v[58:59]
	v_add_f64 v[62:63], v[24:25], v[56:57]
	v_cvt_f32_f64_e32 v62, v[62:63]
	v_cvt_f32_f64_e32 v60, v[60:61]
	v_min3_f32 v131, v62, v60, v131
	v_add_f64 v[60:61], v[18:19], v[58:59]
	v_add_f64 v[62:63], v[16:17], v[56:57]
	v_cvt_f32_f64_e32 v62, v[62:63]
	v_cvt_f32_f64_e32 v60, v[60:61]
	v_min3_f32 v130, v62, v60, v130
	v_add_f64 v[60:61], v[14:15], v[58:59]
	v_add_f64 v[62:63], v[12:13], v[56:57]
	v_cvt_f32_f64_e32 v62, v[62:63]
	v_cvt_f32_f64_e32 v60, v[60:61]
	v_min3_f32 v129, v62, v60, v129
	v_add_f64 v[60:61], v[10:11], v[58:59]
	v_add_f64 v[62:63], v[8:9], v[56:57]
	v_cvt_f32_f64_e32 v62, v[62:63]
	v_cvt_f32_f64_e32 v60, v[60:61]
	v_min3_f32 v128, v62, v60, v128
	v_add_f64 v[60:61], v[6:7], v[58:59]
	v_add_f64 v[62:63], v[4:5], v[56:57]
	v_add_f64 v[58:59], v[2:3], v[58:59]
	v_add_f64 v[56:57], v[0:1], v[56:57]
	v_cvt_f32_f64_e32 v56, v[56:57]
	v_cvt_f32_f64_e32 v57, v[58:59]
	v_min3_f32 v126, v56, v57, v126
	;; [unrolled: 38-line block ×6, first 2 shown]
	s_waitcnt lgkmcnt(1)
	v_add_f64 v[40:41], v[34:35], v[38:39]
	v_add_f64 v[42:43], v[32:33], v[36:37]
	v_cvt_f32_f64_e32 v42, v[42:43]
	v_cvt_f32_f64_e32 v40, v[40:41]
	v_min3_f32 v93, v42, v40, v93
	v_add_f64 v[40:41], v[30:31], v[38:39]
	v_add_f64 v[42:43], v[28:29], v[36:37]
	v_cvt_f32_f64_e32 v42, v[42:43]
	v_cvt_f32_f64_e32 v40, v[40:41]
	v_min3_f32 v92, v42, v40, v92
	;; [unrolled: 5-line block ×6, first 2 shown]
	v_add_f64 v[40:41], v[6:7], v[38:39]
	v_add_f64 v[42:43], v[4:5], v[36:37]
	;; [unrolled: 1-line block ×4, first 2 shown]
	s_waitcnt lgkmcnt(0)
	v_add_f64 v[34:35], v[34:35], v[22:23]
	v_add_f64 v[32:33], v[32:33], v[20:21]
	;; [unrolled: 1-line block ×16, first 2 shown]
	v_cvt_f32_f64_e32 v66, v[66:67]
	v_cvt_f32_f64_e32 v64, v[64:65]
	;; [unrolled: 1-line block ×32, first 2 shown]
	v_min3_f32 v137, v66, v64, v137
	v_min3_f32 v127, v62, v60, v127
	;; [unrolled: 1-line block ×16, first 2 shown]
	s_mov_b32 s6, 2
	s_mov_b64 s[4:5], 0
	s_cbranch_vccz .LBB160_58
; %bb.59:
	s_load_dwordx2 s[4:5], s[0:1], 0x78
	s_load_dword s31, s[0:1], 0x58
	s_load_dword s30, s[0:1], 0x70
	v_add_u32_e32 v22, s16, v134
	v_add_u32_e32 v0, s2, v133
	s_waitcnt lgkmcnt(0)
	s_mul_i32 s0, s3, s5
	s_mul_hi_u32 s1, s3, s4
	s_mul_i32 s5, s17, s4
	s_add_i32 s0, s1, s0
	s_add_i32 s1, s0, s5
	s_mul_i32 s0, s3, s4
	s_lshl_b64 s[0:1], s[0:1], 3
	s_add_u32 s26, s14, s0
	s_addc_u32 s27, s15, s1
	v_mad_i64_i32 v[2:3], s[0:1], v22, s31, 0
	v_lshl_add_u64 v[18:19], v[2:3], 3, s[20:21]
	v_mad_i64_i32 v[2:3], s[0:1], v22, s30, 0
	v_cmp_gt_i32_e64 s[2:3], s24, v0
	v_cmp_gt_i32_e64 s[18:19], s25, v22
	v_lshl_add_u64 v[16:17], v[2:3], 3, s[26:27]
	v_cndmask_b32_e64 v2, 0, 1, s[28:29]
	v_ashrrev_i32_e32 v1, 31, v0
	s_and_b64 s[6:7], s[2:3], s[18:19]
	v_cmp_ne_u32_e64 s[0:1], 1, v2
	s_and_saveexec_b64 s[4:5], s[6:7]
	s_cbranch_execz .LBB160_64
; %bb.60:
	s_and_b64 vcc, exec, s[0:1]
	s_cbranch_vccnz .LBB160_62
; %bb.61:
	v_lshl_add_u64 v[2:3], v[0:1], 3, v[18:19]
	flat_load_dwordx2 v[2:3], v[2:3]
	s_waitcnt vmcnt(0) lgkmcnt(0)
	v_mul_f64 v[2:3], v[2:3], s[22:23]
	s_branch .LBB160_63
.LBB160_62:
	v_mov_b64_e32 v[2:3], 0
.LBB160_63:
	v_cvt_f32_f64_e32 v2, v[2:3]
	v_max_f32_e32 v3, v143, v143
	v_min_f32_e32 v2, v2, v3
	v_cvt_f64_f32_e32 v[2:3], v2
	v_lshl_add_u64 v[4:5], v[0:1], 3, v[16:17]
	global_store_dwordx2 v[4:5], v[2:3], off
.LBB160_64:
	s_or_b64 exec, exec, s[4:5]
	v_add_u32_e32 v2, 32, v0
	v_cmp_gt_i32_e64 s[4:5], s24, v2
	v_ashrrev_i32_e32 v3, 31, v2
	s_and_b64 s[8:9], s[4:5], s[18:19]
	s_and_saveexec_b64 s[6:7], s[8:9]
	s_cbranch_execz .LBB160_69
; %bb.65:
	s_and_b64 vcc, exec, s[0:1]
	s_cbranch_vccnz .LBB160_67
; %bb.66:
	v_lshl_add_u64 v[4:5], v[2:3], 3, v[18:19]
	flat_load_dwordx2 v[4:5], v[4:5]
	s_waitcnt vmcnt(0) lgkmcnt(0)
	v_mul_f64 v[4:5], v[4:5], s[22:23]
	s_branch .LBB160_68
.LBB160_67:
	v_mov_b64_e32 v[4:5], 0
.LBB160_68:
	v_cvt_f32_f64_e32 v4, v[4:5]
	v_max_f32_e32 v5, v142, v142
	v_min_f32_e32 v4, v4, v5
	v_cvt_f64_f32_e32 v[4:5], v4
	v_lshl_add_u64 v[6:7], v[2:3], 3, v[16:17]
	global_store_dwordx2 v[6:7], v[4:5], off
.LBB160_69:
	s_or_b64 exec, exec, s[6:7]
	v_add_u32_e32 v4, 64, v0
	v_cmp_gt_i32_e64 s[6:7], s24, v4
	v_ashrrev_i32_e32 v5, 31, v4
	s_and_b64 s[10:11], s[6:7], s[18:19]
	;; [unrolled: 26-line block ×7, first 2 shown]
	s_and_saveexec_b64 s[18:19], s[28:29]
	s_cbranch_execz .LBB160_99
; %bb.95:
	s_and_b64 vcc, exec, s[0:1]
	s_cbranch_vccnz .LBB160_97
; %bb.96:
	v_lshl_add_u64 v[18:19], v[14:15], 3, v[18:19]
	flat_load_dwordx2 v[18:19], v[18:19]
	s_waitcnt vmcnt(0) lgkmcnt(0)
	v_mul_f64 v[18:19], v[18:19], s[22:23]
	s_branch .LBB160_98
.LBB160_97:
	v_mov_b64_e32 v[18:19], 0
.LBB160_98:
	v_cvt_f32_f64_e32 v18, v[18:19]
	v_max_f32_e32 v19, v136, v136
	v_min_f32_e32 v18, v18, v19
	v_cvt_f64_f32_e32 v[18:19], v18
	v_lshl_add_u64 v[16:17], v[14:15], 3, v[16:17]
	global_store_dwordx2 v[16:17], v[18:19], off
.LBB160_99:
	s_or_b64 exec, exec, s[18:19]
	v_add_u32_e32 v20, 8, v22
	v_mad_i64_i32 v[16:17], s[28:29], v20, s31, 0
	v_cmp_gt_i32_e64 s[18:19], s25, v20
	v_lshl_add_u64 v[18:19], v[16:17], 3, s[20:21]
	v_mad_i64_i32 v[16:17], s[28:29], v20, s30, 0
	v_lshl_add_u64 v[16:17], v[16:17], 3, s[26:27]
	s_and_b64 s[34:35], s[2:3], s[18:19]
	s_and_saveexec_b64 s[28:29], s[34:35]
	s_cbranch_execnz .LBB160_107
; %bb.100:
	s_or_b64 exec, exec, s[28:29]
	s_and_b64 s[34:35], s[4:5], s[18:19]
	s_and_saveexec_b64 s[28:29], s[34:35]
	s_cbranch_execnz .LBB160_111
.LBB160_101:
	s_or_b64 exec, exec, s[28:29]
	s_and_b64 s[34:35], s[6:7], s[18:19]
	s_and_saveexec_b64 s[28:29], s[34:35]
	s_cbranch_execnz .LBB160_115
.LBB160_102:
	s_or_b64 exec, exec, s[28:29]
	s_and_b64 s[34:35], s[8:9], s[18:19]
	s_and_saveexec_b64 s[28:29], s[34:35]
	s_cbranch_execnz .LBB160_119
.LBB160_103:
	s_or_b64 exec, exec, s[28:29]
	s_and_b64 s[34:35], s[10:11], s[18:19]
	s_and_saveexec_b64 s[28:29], s[34:35]
	s_cbranch_execnz .LBB160_123
.LBB160_104:
	s_or_b64 exec, exec, s[28:29]
	s_and_b64 s[34:35], s[12:13], s[18:19]
	s_and_saveexec_b64 s[28:29], s[34:35]
	s_cbranch_execnz .LBB160_127
.LBB160_105:
	s_or_b64 exec, exec, s[28:29]
	s_and_b64 s[34:35], s[14:15], s[18:19]
	s_and_saveexec_b64 s[28:29], s[34:35]
	s_cbranch_execnz .LBB160_131
.LBB160_106:
	s_or_b64 exec, exec, s[28:29]
	s_and_b64 s[28:29], s[16:17], s[18:19]
	s_and_saveexec_b64 s[18:19], s[28:29]
	s_cbranch_execnz .LBB160_135
	s_branch .LBB160_139
.LBB160_107:
	s_and_b64 vcc, exec, s[0:1]
	s_cbranch_vccnz .LBB160_109
; %bb.108:
	v_lshl_add_u64 v[20:21], v[0:1], 3, v[18:19]
	flat_load_dwordx2 v[20:21], v[20:21]
	s_waitcnt vmcnt(0) lgkmcnt(0)
	v_mul_f64 v[20:21], v[20:21], s[22:23]
	s_branch .LBB160_110
.LBB160_109:
	v_mov_b64_e32 v[20:21], 0
.LBB160_110:
	v_cvt_f32_f64_e32 v20, v[20:21]
	v_max_f32_e32 v21, v135, v135
	v_min_f32_e32 v20, v20, v21
	v_cvt_f64_f32_e32 v[20:21], v20
	v_lshl_add_u64 v[24:25], v[0:1], 3, v[16:17]
	global_store_dwordx2 v[24:25], v[20:21], off
	s_or_b64 exec, exec, s[28:29]
	s_and_b64 s[34:35], s[4:5], s[18:19]
	s_and_saveexec_b64 s[28:29], s[34:35]
	s_cbranch_execz .LBB160_101
.LBB160_111:
	s_and_b64 vcc, exec, s[0:1]
	s_cbranch_vccnz .LBB160_113
; %bb.112:
	v_lshl_add_u64 v[20:21], v[2:3], 3, v[18:19]
	flat_load_dwordx2 v[20:21], v[20:21]
	s_waitcnt vmcnt(0) lgkmcnt(0)
	v_mul_f64 v[20:21], v[20:21], s[22:23]
	s_branch .LBB160_114
.LBB160_113:
	v_mov_b64_e32 v[20:21], 0
.LBB160_114:
	v_cvt_f32_f64_e32 v20, v[20:21]
	v_max_f32_e32 v21, v132, v132
	v_min_f32_e32 v20, v20, v21
	v_cvt_f64_f32_e32 v[20:21], v20
	v_lshl_add_u64 v[24:25], v[2:3], 3, v[16:17]
	global_store_dwordx2 v[24:25], v[20:21], off
	s_or_b64 exec, exec, s[28:29]
	s_and_b64 s[34:35], s[6:7], s[18:19]
	s_and_saveexec_b64 s[28:29], s[34:35]
	s_cbranch_execz .LBB160_102
.LBB160_115:
	s_and_b64 vcc, exec, s[0:1]
	s_cbranch_vccnz .LBB160_117
; %bb.116:
	v_lshl_add_u64 v[20:21], v[4:5], 3, v[18:19]
	flat_load_dwordx2 v[20:21], v[20:21]
	s_waitcnt vmcnt(0) lgkmcnt(0)
	v_mul_f64 v[20:21], v[20:21], s[22:23]
	s_branch .LBB160_118
.LBB160_117:
	v_mov_b64_e32 v[20:21], 0
.LBB160_118:
	v_cvt_f32_f64_e32 v20, v[20:21]
	v_max_f32_e32 v21, v131, v131
	v_min_f32_e32 v20, v20, v21
	v_cvt_f64_f32_e32 v[20:21], v20
	v_lshl_add_u64 v[24:25], v[4:5], 3, v[16:17]
	global_store_dwordx2 v[24:25], v[20:21], off
	s_or_b64 exec, exec, s[28:29]
	s_and_b64 s[34:35], s[8:9], s[18:19]
	s_and_saveexec_b64 s[28:29], s[34:35]
	s_cbranch_execz .LBB160_103
.LBB160_119:
	s_and_b64 vcc, exec, s[0:1]
	s_cbranch_vccnz .LBB160_121
; %bb.120:
	v_lshl_add_u64 v[20:21], v[6:7], 3, v[18:19]
	flat_load_dwordx2 v[20:21], v[20:21]
	s_waitcnt vmcnt(0) lgkmcnt(0)
	v_mul_f64 v[20:21], v[20:21], s[22:23]
	s_branch .LBB160_122
.LBB160_121:
	v_mov_b64_e32 v[20:21], 0
.LBB160_122:
	v_cvt_f32_f64_e32 v20, v[20:21]
	v_max_f32_e32 v21, v130, v130
	v_min_f32_e32 v20, v20, v21
	v_cvt_f64_f32_e32 v[20:21], v20
	v_lshl_add_u64 v[24:25], v[6:7], 3, v[16:17]
	global_store_dwordx2 v[24:25], v[20:21], off
	s_or_b64 exec, exec, s[28:29]
	s_and_b64 s[34:35], s[10:11], s[18:19]
	s_and_saveexec_b64 s[28:29], s[34:35]
	s_cbranch_execz .LBB160_104
.LBB160_123:
	s_and_b64 vcc, exec, s[0:1]
	s_cbranch_vccnz .LBB160_125
; %bb.124:
	v_lshl_add_u64 v[20:21], v[8:9], 3, v[18:19]
	flat_load_dwordx2 v[20:21], v[20:21]
	s_waitcnt vmcnt(0) lgkmcnt(0)
	v_mul_f64 v[20:21], v[20:21], s[22:23]
	s_branch .LBB160_126
.LBB160_125:
	v_mov_b64_e32 v[20:21], 0
.LBB160_126:
	v_cvt_f32_f64_e32 v20, v[20:21]
	v_max_f32_e32 v21, v129, v129
	v_min_f32_e32 v20, v20, v21
	v_cvt_f64_f32_e32 v[20:21], v20
	v_lshl_add_u64 v[24:25], v[8:9], 3, v[16:17]
	global_store_dwordx2 v[24:25], v[20:21], off
	s_or_b64 exec, exec, s[28:29]
	s_and_b64 s[34:35], s[12:13], s[18:19]
	s_and_saveexec_b64 s[28:29], s[34:35]
	s_cbranch_execz .LBB160_105
.LBB160_127:
	s_and_b64 vcc, exec, s[0:1]
	s_cbranch_vccnz .LBB160_129
; %bb.128:
	v_lshl_add_u64 v[20:21], v[10:11], 3, v[18:19]
	flat_load_dwordx2 v[20:21], v[20:21]
	s_waitcnt vmcnt(0) lgkmcnt(0)
	v_mul_f64 v[20:21], v[20:21], s[22:23]
	s_branch .LBB160_130
.LBB160_129:
	v_mov_b64_e32 v[20:21], 0
.LBB160_130:
	v_cvt_f32_f64_e32 v20, v[20:21]
	v_max_f32_e32 v21, v128, v128
	v_min_f32_e32 v20, v20, v21
	v_cvt_f64_f32_e32 v[20:21], v20
	v_lshl_add_u64 v[24:25], v[10:11], 3, v[16:17]
	global_store_dwordx2 v[24:25], v[20:21], off
	s_or_b64 exec, exec, s[28:29]
	s_and_b64 s[34:35], s[14:15], s[18:19]
	s_and_saveexec_b64 s[28:29], s[34:35]
	s_cbranch_execz .LBB160_106
.LBB160_131:
	s_and_b64 vcc, exec, s[0:1]
	s_cbranch_vccnz .LBB160_133
; %bb.132:
	v_lshl_add_u64 v[20:21], v[12:13], 3, v[18:19]
	flat_load_dwordx2 v[20:21], v[20:21]
	s_waitcnt vmcnt(0) lgkmcnt(0)
	v_mul_f64 v[20:21], v[20:21], s[22:23]
	s_branch .LBB160_134
.LBB160_133:
	v_mov_b64_e32 v[20:21], 0
.LBB160_134:
	v_cvt_f32_f64_e32 v20, v[20:21]
	v_max_f32_e32 v21, v127, v127
	v_min_f32_e32 v20, v20, v21
	v_cvt_f64_f32_e32 v[20:21], v20
	v_lshl_add_u64 v[24:25], v[12:13], 3, v[16:17]
	global_store_dwordx2 v[24:25], v[20:21], off
	s_or_b64 exec, exec, s[28:29]
	s_and_b64 s[28:29], s[16:17], s[18:19]
	s_and_saveexec_b64 s[18:19], s[28:29]
	s_cbranch_execz .LBB160_139
.LBB160_135:
	s_and_b64 vcc, exec, s[0:1]
	s_cbranch_vccnz .LBB160_137
; %bb.136:
	v_lshl_add_u64 v[18:19], v[14:15], 3, v[18:19]
	flat_load_dwordx2 v[18:19], v[18:19]
	s_waitcnt vmcnt(0) lgkmcnt(0)
	v_mul_f64 v[18:19], v[18:19], s[22:23]
	s_branch .LBB160_138
.LBB160_137:
	v_mov_b64_e32 v[18:19], 0
.LBB160_138:
	v_cvt_f32_f64_e32 v18, v[18:19]
	v_max_f32_e32 v19, v126, v126
	v_min_f32_e32 v18, v18, v19
	v_cvt_f64_f32_e32 v[18:19], v18
	v_lshl_add_u64 v[16:17], v[14:15], 3, v[16:17]
	global_store_dwordx2 v[16:17], v[18:19], off
.LBB160_139:
	s_or_b64 exec, exec, s[18:19]
	v_add_u32_e32 v20, 16, v22
	v_mad_i64_i32 v[16:17], s[28:29], v20, s31, 0
	v_cmp_gt_i32_e64 s[18:19], s25, v20
	v_lshl_add_u64 v[18:19], v[16:17], 3, s[20:21]
	v_mad_i64_i32 v[16:17], s[28:29], v20, s30, 0
	v_lshl_add_u64 v[16:17], v[16:17], 3, s[26:27]
	s_and_b64 s[34:35], s[2:3], s[18:19]
	s_and_saveexec_b64 s[28:29], s[34:35]
	s_cbranch_execnz .LBB160_147
; %bb.140:
	s_or_b64 exec, exec, s[28:29]
	s_and_b64 s[34:35], s[4:5], s[18:19]
	s_and_saveexec_b64 s[28:29], s[34:35]
	s_cbranch_execnz .LBB160_151
.LBB160_141:
	s_or_b64 exec, exec, s[28:29]
	s_and_b64 s[34:35], s[6:7], s[18:19]
	s_and_saveexec_b64 s[28:29], s[34:35]
	s_cbranch_execnz .LBB160_155
.LBB160_142:
	s_or_b64 exec, exec, s[28:29]
	s_and_b64 s[34:35], s[8:9], s[18:19]
	s_and_saveexec_b64 s[28:29], s[34:35]
	s_cbranch_execnz .LBB160_159
.LBB160_143:
	s_or_b64 exec, exec, s[28:29]
	s_and_b64 s[34:35], s[10:11], s[18:19]
	s_and_saveexec_b64 s[28:29], s[34:35]
	s_cbranch_execnz .LBB160_163
.LBB160_144:
	s_or_b64 exec, exec, s[28:29]
	s_and_b64 s[34:35], s[12:13], s[18:19]
	s_and_saveexec_b64 s[28:29], s[34:35]
	s_cbranch_execnz .LBB160_167
.LBB160_145:
	s_or_b64 exec, exec, s[28:29]
	s_and_b64 s[34:35], s[14:15], s[18:19]
	s_and_saveexec_b64 s[28:29], s[34:35]
	s_cbranch_execnz .LBB160_171
.LBB160_146:
	s_or_b64 exec, exec, s[28:29]
	s_and_b64 s[28:29], s[16:17], s[18:19]
	s_and_saveexec_b64 s[18:19], s[28:29]
	s_cbranch_execnz .LBB160_175
	s_branch .LBB160_179
.LBB160_147:
	s_and_b64 vcc, exec, s[0:1]
	s_cbranch_vccnz .LBB160_149
; %bb.148:
	v_lshl_add_u64 v[20:21], v[0:1], 3, v[18:19]
	flat_load_dwordx2 v[20:21], v[20:21]
	s_waitcnt vmcnt(0) lgkmcnt(0)
	v_mul_f64 v[20:21], v[20:21], s[22:23]
	s_branch .LBB160_150
.LBB160_149:
	v_mov_b64_e32 v[20:21], 0
.LBB160_150:
	v_cvt_f32_f64_e32 v20, v[20:21]
	v_max_f32_e32 v21, v125, v125
	v_min_f32_e32 v20, v20, v21
	v_cvt_f64_f32_e32 v[20:21], v20
	v_lshl_add_u64 v[24:25], v[0:1], 3, v[16:17]
	global_store_dwordx2 v[24:25], v[20:21], off
	s_or_b64 exec, exec, s[28:29]
	s_and_b64 s[34:35], s[4:5], s[18:19]
	s_and_saveexec_b64 s[28:29], s[34:35]
	s_cbranch_execz .LBB160_141
.LBB160_151:
	s_and_b64 vcc, exec, s[0:1]
	s_cbranch_vccnz .LBB160_153
; %bb.152:
	v_lshl_add_u64 v[20:21], v[2:3], 3, v[18:19]
	flat_load_dwordx2 v[20:21], v[20:21]
	s_waitcnt vmcnt(0) lgkmcnt(0)
	v_mul_f64 v[20:21], v[20:21], s[22:23]
	s_branch .LBB160_154
.LBB160_153:
	v_mov_b64_e32 v[20:21], 0
.LBB160_154:
	v_cvt_f32_f64_e32 v20, v[20:21]
	v_max_f32_e32 v21, v124, v124
	v_min_f32_e32 v20, v20, v21
	v_cvt_f64_f32_e32 v[20:21], v20
	v_lshl_add_u64 v[24:25], v[2:3], 3, v[16:17]
	global_store_dwordx2 v[24:25], v[20:21], off
	s_or_b64 exec, exec, s[28:29]
	s_and_b64 s[34:35], s[6:7], s[18:19]
	s_and_saveexec_b64 s[28:29], s[34:35]
	s_cbranch_execz .LBB160_142
.LBB160_155:
	s_and_b64 vcc, exec, s[0:1]
	s_cbranch_vccnz .LBB160_157
; %bb.156:
	v_lshl_add_u64 v[20:21], v[4:5], 3, v[18:19]
	flat_load_dwordx2 v[20:21], v[20:21]
	s_waitcnt vmcnt(0) lgkmcnt(0)
	v_mul_f64 v[20:21], v[20:21], s[22:23]
	s_branch .LBB160_158
.LBB160_157:
	v_mov_b64_e32 v[20:21], 0
.LBB160_158:
	v_cvt_f32_f64_e32 v20, v[20:21]
	v_max_f32_e32 v21, v123, v123
	v_min_f32_e32 v20, v20, v21
	v_cvt_f64_f32_e32 v[20:21], v20
	v_lshl_add_u64 v[24:25], v[4:5], 3, v[16:17]
	global_store_dwordx2 v[24:25], v[20:21], off
	s_or_b64 exec, exec, s[28:29]
	s_and_b64 s[34:35], s[8:9], s[18:19]
	s_and_saveexec_b64 s[28:29], s[34:35]
	s_cbranch_execz .LBB160_143
.LBB160_159:
	s_and_b64 vcc, exec, s[0:1]
	s_cbranch_vccnz .LBB160_161
; %bb.160:
	v_lshl_add_u64 v[20:21], v[6:7], 3, v[18:19]
	flat_load_dwordx2 v[20:21], v[20:21]
	s_waitcnt vmcnt(0) lgkmcnt(0)
	v_mul_f64 v[20:21], v[20:21], s[22:23]
	s_branch .LBB160_162
.LBB160_161:
	v_mov_b64_e32 v[20:21], 0
.LBB160_162:
	v_cvt_f32_f64_e32 v20, v[20:21]
	v_max_f32_e32 v21, v122, v122
	v_min_f32_e32 v20, v20, v21
	v_cvt_f64_f32_e32 v[20:21], v20
	v_lshl_add_u64 v[24:25], v[6:7], 3, v[16:17]
	global_store_dwordx2 v[24:25], v[20:21], off
	s_or_b64 exec, exec, s[28:29]
	s_and_b64 s[34:35], s[10:11], s[18:19]
	s_and_saveexec_b64 s[28:29], s[34:35]
	s_cbranch_execz .LBB160_144
.LBB160_163:
	s_and_b64 vcc, exec, s[0:1]
	s_cbranch_vccnz .LBB160_165
; %bb.164:
	v_lshl_add_u64 v[20:21], v[8:9], 3, v[18:19]
	flat_load_dwordx2 v[20:21], v[20:21]
	s_waitcnt vmcnt(0) lgkmcnt(0)
	v_mul_f64 v[20:21], v[20:21], s[22:23]
	s_branch .LBB160_166
.LBB160_165:
	v_mov_b64_e32 v[20:21], 0
.LBB160_166:
	v_cvt_f32_f64_e32 v20, v[20:21]
	v_max_f32_e32 v21, v121, v121
	v_min_f32_e32 v20, v20, v21
	v_cvt_f64_f32_e32 v[20:21], v20
	v_lshl_add_u64 v[24:25], v[8:9], 3, v[16:17]
	global_store_dwordx2 v[24:25], v[20:21], off
	s_or_b64 exec, exec, s[28:29]
	s_and_b64 s[34:35], s[12:13], s[18:19]
	s_and_saveexec_b64 s[28:29], s[34:35]
	s_cbranch_execz .LBB160_145
.LBB160_167:
	s_and_b64 vcc, exec, s[0:1]
	s_cbranch_vccnz .LBB160_169
; %bb.168:
	v_lshl_add_u64 v[20:21], v[10:11], 3, v[18:19]
	flat_load_dwordx2 v[20:21], v[20:21]
	s_waitcnt vmcnt(0) lgkmcnt(0)
	v_mul_f64 v[20:21], v[20:21], s[22:23]
	s_branch .LBB160_170
.LBB160_169:
	v_mov_b64_e32 v[20:21], 0
.LBB160_170:
	v_cvt_f32_f64_e32 v20, v[20:21]
	v_max_f32_e32 v21, v120, v120
	v_min_f32_e32 v20, v20, v21
	v_cvt_f64_f32_e32 v[20:21], v20
	v_lshl_add_u64 v[24:25], v[10:11], 3, v[16:17]
	global_store_dwordx2 v[24:25], v[20:21], off
	s_or_b64 exec, exec, s[28:29]
	s_and_b64 s[34:35], s[14:15], s[18:19]
	s_and_saveexec_b64 s[28:29], s[34:35]
	s_cbranch_execz .LBB160_146
.LBB160_171:
	s_and_b64 vcc, exec, s[0:1]
	s_cbranch_vccnz .LBB160_173
; %bb.172:
	v_lshl_add_u64 v[20:21], v[12:13], 3, v[18:19]
	flat_load_dwordx2 v[20:21], v[20:21]
	s_waitcnt vmcnt(0) lgkmcnt(0)
	v_mul_f64 v[20:21], v[20:21], s[22:23]
	s_branch .LBB160_174
.LBB160_173:
	v_mov_b64_e32 v[20:21], 0
.LBB160_174:
	v_cvt_f32_f64_e32 v20, v[20:21]
	v_max_f32_e32 v21, v119, v119
	v_min_f32_e32 v20, v20, v21
	v_cvt_f64_f32_e32 v[20:21], v20
	v_lshl_add_u64 v[24:25], v[12:13], 3, v[16:17]
	global_store_dwordx2 v[24:25], v[20:21], off
	s_or_b64 exec, exec, s[28:29]
	s_and_b64 s[28:29], s[16:17], s[18:19]
	s_and_saveexec_b64 s[18:19], s[28:29]
	s_cbranch_execz .LBB160_179
.LBB160_175:
	s_and_b64 vcc, exec, s[0:1]
	s_cbranch_vccnz .LBB160_177
; %bb.176:
	v_lshl_add_u64 v[18:19], v[14:15], 3, v[18:19]
	flat_load_dwordx2 v[18:19], v[18:19]
	s_waitcnt vmcnt(0) lgkmcnt(0)
	v_mul_f64 v[18:19], v[18:19], s[22:23]
	s_branch .LBB160_178
.LBB160_177:
	v_mov_b64_e32 v[18:19], 0
.LBB160_178:
	v_cvt_f32_f64_e32 v18, v[18:19]
	v_max_f32_e32 v19, v118, v118
	v_min_f32_e32 v18, v18, v19
	v_cvt_f64_f32_e32 v[18:19], v18
	v_lshl_add_u64 v[16:17], v[14:15], 3, v[16:17]
	global_store_dwordx2 v[16:17], v[18:19], off
.LBB160_179:
	s_or_b64 exec, exec, s[18:19]
	v_add_u32_e32 v20, 24, v22
	v_mad_i64_i32 v[16:17], s[28:29], v20, s31, 0
	v_cmp_gt_i32_e64 s[18:19], s25, v20
	v_lshl_add_u64 v[18:19], v[16:17], 3, s[20:21]
	v_mad_i64_i32 v[16:17], s[28:29], v20, s30, 0
	v_lshl_add_u64 v[16:17], v[16:17], 3, s[26:27]
	s_and_b64 s[34:35], s[2:3], s[18:19]
	s_and_saveexec_b64 s[28:29], s[34:35]
	s_cbranch_execnz .LBB160_187
; %bb.180:
	s_or_b64 exec, exec, s[28:29]
	s_and_b64 s[34:35], s[4:5], s[18:19]
	s_and_saveexec_b64 s[28:29], s[34:35]
	s_cbranch_execnz .LBB160_191
.LBB160_181:
	s_or_b64 exec, exec, s[28:29]
	s_and_b64 s[34:35], s[6:7], s[18:19]
	s_and_saveexec_b64 s[28:29], s[34:35]
	s_cbranch_execnz .LBB160_195
.LBB160_182:
	s_or_b64 exec, exec, s[28:29]
	s_and_b64 s[34:35], s[8:9], s[18:19]
	s_and_saveexec_b64 s[28:29], s[34:35]
	s_cbranch_execnz .LBB160_199
.LBB160_183:
	s_or_b64 exec, exec, s[28:29]
	s_and_b64 s[34:35], s[10:11], s[18:19]
	s_and_saveexec_b64 s[28:29], s[34:35]
	s_cbranch_execnz .LBB160_203
.LBB160_184:
	s_or_b64 exec, exec, s[28:29]
	s_and_b64 s[34:35], s[12:13], s[18:19]
	s_and_saveexec_b64 s[28:29], s[34:35]
	s_cbranch_execnz .LBB160_207
.LBB160_185:
	s_or_b64 exec, exec, s[28:29]
	s_and_b64 s[34:35], s[14:15], s[18:19]
	s_and_saveexec_b64 s[28:29], s[34:35]
	s_cbranch_execnz .LBB160_211
.LBB160_186:
	s_or_b64 exec, exec, s[28:29]
	s_and_b64 s[28:29], s[16:17], s[18:19]
	s_and_saveexec_b64 s[18:19], s[28:29]
	s_cbranch_execnz .LBB160_215
	s_branch .LBB160_219
.LBB160_187:
	s_and_b64 vcc, exec, s[0:1]
	s_cbranch_vccnz .LBB160_189
; %bb.188:
	v_lshl_add_u64 v[20:21], v[0:1], 3, v[18:19]
	flat_load_dwordx2 v[20:21], v[20:21]
	s_waitcnt vmcnt(0) lgkmcnt(0)
	v_mul_f64 v[20:21], v[20:21], s[22:23]
	s_branch .LBB160_190
.LBB160_189:
	v_mov_b64_e32 v[20:21], 0
.LBB160_190:
	v_cvt_f32_f64_e32 v20, v[20:21]
	v_max_f32_e32 v21, v117, v117
	v_min_f32_e32 v20, v20, v21
	v_cvt_f64_f32_e32 v[20:21], v20
	v_lshl_add_u64 v[24:25], v[0:1], 3, v[16:17]
	global_store_dwordx2 v[24:25], v[20:21], off
	s_or_b64 exec, exec, s[28:29]
	s_and_b64 s[34:35], s[4:5], s[18:19]
	s_and_saveexec_b64 s[28:29], s[34:35]
	s_cbranch_execz .LBB160_181
.LBB160_191:
	s_and_b64 vcc, exec, s[0:1]
	s_cbranch_vccnz .LBB160_193
; %bb.192:
	v_lshl_add_u64 v[20:21], v[2:3], 3, v[18:19]
	flat_load_dwordx2 v[20:21], v[20:21]
	s_waitcnt vmcnt(0) lgkmcnt(0)
	v_mul_f64 v[20:21], v[20:21], s[22:23]
	s_branch .LBB160_194
.LBB160_193:
	v_mov_b64_e32 v[20:21], 0
.LBB160_194:
	v_cvt_f32_f64_e32 v20, v[20:21]
	v_max_f32_e32 v21, v116, v116
	v_min_f32_e32 v20, v20, v21
	v_cvt_f64_f32_e32 v[20:21], v20
	v_lshl_add_u64 v[24:25], v[2:3], 3, v[16:17]
	global_store_dwordx2 v[24:25], v[20:21], off
	s_or_b64 exec, exec, s[28:29]
	s_and_b64 s[34:35], s[6:7], s[18:19]
	s_and_saveexec_b64 s[28:29], s[34:35]
	s_cbranch_execz .LBB160_182
.LBB160_195:
	s_and_b64 vcc, exec, s[0:1]
	s_cbranch_vccnz .LBB160_197
; %bb.196:
	v_lshl_add_u64 v[20:21], v[4:5], 3, v[18:19]
	flat_load_dwordx2 v[20:21], v[20:21]
	s_waitcnt vmcnt(0) lgkmcnt(0)
	v_mul_f64 v[20:21], v[20:21], s[22:23]
	s_branch .LBB160_198
.LBB160_197:
	v_mov_b64_e32 v[20:21], 0
.LBB160_198:
	v_cvt_f32_f64_e32 v20, v[20:21]
	v_max_f32_e32 v21, v115, v115
	v_min_f32_e32 v20, v20, v21
	v_cvt_f64_f32_e32 v[20:21], v20
	v_lshl_add_u64 v[24:25], v[4:5], 3, v[16:17]
	global_store_dwordx2 v[24:25], v[20:21], off
	s_or_b64 exec, exec, s[28:29]
	s_and_b64 s[34:35], s[8:9], s[18:19]
	s_and_saveexec_b64 s[28:29], s[34:35]
	s_cbranch_execz .LBB160_183
.LBB160_199:
	s_and_b64 vcc, exec, s[0:1]
	s_cbranch_vccnz .LBB160_201
; %bb.200:
	v_lshl_add_u64 v[20:21], v[6:7], 3, v[18:19]
	flat_load_dwordx2 v[20:21], v[20:21]
	s_waitcnt vmcnt(0) lgkmcnt(0)
	v_mul_f64 v[20:21], v[20:21], s[22:23]
	s_branch .LBB160_202
.LBB160_201:
	v_mov_b64_e32 v[20:21], 0
.LBB160_202:
	v_cvt_f32_f64_e32 v20, v[20:21]
	v_max_f32_e32 v21, v114, v114
	v_min_f32_e32 v20, v20, v21
	v_cvt_f64_f32_e32 v[20:21], v20
	v_lshl_add_u64 v[24:25], v[6:7], 3, v[16:17]
	global_store_dwordx2 v[24:25], v[20:21], off
	s_or_b64 exec, exec, s[28:29]
	s_and_b64 s[34:35], s[10:11], s[18:19]
	s_and_saveexec_b64 s[28:29], s[34:35]
	s_cbranch_execz .LBB160_184
.LBB160_203:
	s_and_b64 vcc, exec, s[0:1]
	s_cbranch_vccnz .LBB160_205
; %bb.204:
	v_lshl_add_u64 v[20:21], v[8:9], 3, v[18:19]
	flat_load_dwordx2 v[20:21], v[20:21]
	s_waitcnt vmcnt(0) lgkmcnt(0)
	v_mul_f64 v[20:21], v[20:21], s[22:23]
	s_branch .LBB160_206
.LBB160_205:
	v_mov_b64_e32 v[20:21], 0
.LBB160_206:
	v_cvt_f32_f64_e32 v20, v[20:21]
	v_max_f32_e32 v21, v113, v113
	v_min_f32_e32 v20, v20, v21
	v_cvt_f64_f32_e32 v[20:21], v20
	v_lshl_add_u64 v[24:25], v[8:9], 3, v[16:17]
	global_store_dwordx2 v[24:25], v[20:21], off
	s_or_b64 exec, exec, s[28:29]
	s_and_b64 s[34:35], s[12:13], s[18:19]
	s_and_saveexec_b64 s[28:29], s[34:35]
	s_cbranch_execz .LBB160_185
.LBB160_207:
	s_and_b64 vcc, exec, s[0:1]
	s_cbranch_vccnz .LBB160_209
; %bb.208:
	v_lshl_add_u64 v[20:21], v[10:11], 3, v[18:19]
	flat_load_dwordx2 v[20:21], v[20:21]
	s_waitcnt vmcnt(0) lgkmcnt(0)
	v_mul_f64 v[20:21], v[20:21], s[22:23]
	s_branch .LBB160_210
.LBB160_209:
	v_mov_b64_e32 v[20:21], 0
.LBB160_210:
	v_cvt_f32_f64_e32 v20, v[20:21]
	v_max_f32_e32 v21, v112, v112
	v_min_f32_e32 v20, v20, v21
	v_cvt_f64_f32_e32 v[20:21], v20
	v_lshl_add_u64 v[24:25], v[10:11], 3, v[16:17]
	global_store_dwordx2 v[24:25], v[20:21], off
	s_or_b64 exec, exec, s[28:29]
	s_and_b64 s[34:35], s[14:15], s[18:19]
	s_and_saveexec_b64 s[28:29], s[34:35]
	s_cbranch_execz .LBB160_186
.LBB160_211:
	s_and_b64 vcc, exec, s[0:1]
	s_cbranch_vccnz .LBB160_213
; %bb.212:
	v_lshl_add_u64 v[20:21], v[12:13], 3, v[18:19]
	flat_load_dwordx2 v[20:21], v[20:21]
	s_waitcnt vmcnt(0) lgkmcnt(0)
	v_mul_f64 v[20:21], v[20:21], s[22:23]
	s_branch .LBB160_214
.LBB160_213:
	v_mov_b64_e32 v[20:21], 0
.LBB160_214:
	v_cvt_f32_f64_e32 v20, v[20:21]
	v_max_f32_e32 v21, v111, v111
	v_min_f32_e32 v20, v20, v21
	v_cvt_f64_f32_e32 v[20:21], v20
	v_lshl_add_u64 v[24:25], v[12:13], 3, v[16:17]
	global_store_dwordx2 v[24:25], v[20:21], off
	s_or_b64 exec, exec, s[28:29]
	s_and_b64 s[28:29], s[16:17], s[18:19]
	s_and_saveexec_b64 s[18:19], s[28:29]
	s_cbranch_execz .LBB160_219
.LBB160_215:
	s_and_b64 vcc, exec, s[0:1]
	s_cbranch_vccnz .LBB160_217
; %bb.216:
	v_lshl_add_u64 v[18:19], v[14:15], 3, v[18:19]
	flat_load_dwordx2 v[18:19], v[18:19]
	s_waitcnt vmcnt(0) lgkmcnt(0)
	v_mul_f64 v[18:19], v[18:19], s[22:23]
	s_branch .LBB160_218
.LBB160_217:
	v_mov_b64_e32 v[18:19], 0
.LBB160_218:
	v_cvt_f32_f64_e32 v18, v[18:19]
	v_max_f32_e32 v19, v110, v110
	v_min_f32_e32 v18, v18, v19
	v_cvt_f64_f32_e32 v[18:19], v18
	v_lshl_add_u64 v[16:17], v[14:15], 3, v[16:17]
	global_store_dwordx2 v[16:17], v[18:19], off
.LBB160_219:
	s_or_b64 exec, exec, s[18:19]
	v_add_u32_e32 v20, 32, v22
	v_mad_i64_i32 v[16:17], s[28:29], v20, s31, 0
	v_cmp_gt_i32_e64 s[18:19], s25, v20
	v_lshl_add_u64 v[18:19], v[16:17], 3, s[20:21]
	v_mad_i64_i32 v[16:17], s[28:29], v20, s30, 0
	v_lshl_add_u64 v[16:17], v[16:17], 3, s[26:27]
	s_and_b64 s[34:35], s[2:3], s[18:19]
	s_and_saveexec_b64 s[28:29], s[34:35]
	s_cbranch_execnz .LBB160_227
; %bb.220:
	s_or_b64 exec, exec, s[28:29]
	s_and_b64 s[34:35], s[4:5], s[18:19]
	s_and_saveexec_b64 s[28:29], s[34:35]
	s_cbranch_execnz .LBB160_231
.LBB160_221:
	s_or_b64 exec, exec, s[28:29]
	s_and_b64 s[34:35], s[6:7], s[18:19]
	s_and_saveexec_b64 s[28:29], s[34:35]
	s_cbranch_execnz .LBB160_235
.LBB160_222:
	s_or_b64 exec, exec, s[28:29]
	s_and_b64 s[34:35], s[8:9], s[18:19]
	s_and_saveexec_b64 s[28:29], s[34:35]
	s_cbranch_execnz .LBB160_239
.LBB160_223:
	s_or_b64 exec, exec, s[28:29]
	s_and_b64 s[34:35], s[10:11], s[18:19]
	s_and_saveexec_b64 s[28:29], s[34:35]
	s_cbranch_execnz .LBB160_243
.LBB160_224:
	s_or_b64 exec, exec, s[28:29]
	s_and_b64 s[34:35], s[12:13], s[18:19]
	s_and_saveexec_b64 s[28:29], s[34:35]
	s_cbranch_execnz .LBB160_247
.LBB160_225:
	s_or_b64 exec, exec, s[28:29]
	s_and_b64 s[34:35], s[14:15], s[18:19]
	s_and_saveexec_b64 s[28:29], s[34:35]
	s_cbranch_execnz .LBB160_251
.LBB160_226:
	s_or_b64 exec, exec, s[28:29]
	s_and_b64 s[28:29], s[16:17], s[18:19]
	s_and_saveexec_b64 s[18:19], s[28:29]
	s_cbranch_execnz .LBB160_255
	s_branch .LBB160_259
.LBB160_227:
	s_and_b64 vcc, exec, s[0:1]
	s_cbranch_vccnz .LBB160_229
; %bb.228:
	v_lshl_add_u64 v[20:21], v[0:1], 3, v[18:19]
	flat_load_dwordx2 v[20:21], v[20:21]
	s_waitcnt vmcnt(0) lgkmcnt(0)
	v_mul_f64 v[20:21], v[20:21], s[22:23]
	s_branch .LBB160_230
.LBB160_229:
	v_mov_b64_e32 v[20:21], 0
.LBB160_230:
	v_cvt_f32_f64_e32 v20, v[20:21]
	v_max_f32_e32 v21, v109, v109
	v_min_f32_e32 v20, v20, v21
	v_cvt_f64_f32_e32 v[20:21], v20
	v_lshl_add_u64 v[24:25], v[0:1], 3, v[16:17]
	global_store_dwordx2 v[24:25], v[20:21], off
	s_or_b64 exec, exec, s[28:29]
	s_and_b64 s[34:35], s[4:5], s[18:19]
	s_and_saveexec_b64 s[28:29], s[34:35]
	s_cbranch_execz .LBB160_221
.LBB160_231:
	s_and_b64 vcc, exec, s[0:1]
	s_cbranch_vccnz .LBB160_233
; %bb.232:
	v_lshl_add_u64 v[20:21], v[2:3], 3, v[18:19]
	flat_load_dwordx2 v[20:21], v[20:21]
	s_waitcnt vmcnt(0) lgkmcnt(0)
	v_mul_f64 v[20:21], v[20:21], s[22:23]
	s_branch .LBB160_234
.LBB160_233:
	v_mov_b64_e32 v[20:21], 0
.LBB160_234:
	v_cvt_f32_f64_e32 v20, v[20:21]
	v_max_f32_e32 v21, v108, v108
	v_min_f32_e32 v20, v20, v21
	v_cvt_f64_f32_e32 v[20:21], v20
	v_lshl_add_u64 v[24:25], v[2:3], 3, v[16:17]
	global_store_dwordx2 v[24:25], v[20:21], off
	s_or_b64 exec, exec, s[28:29]
	s_and_b64 s[34:35], s[6:7], s[18:19]
	s_and_saveexec_b64 s[28:29], s[34:35]
	s_cbranch_execz .LBB160_222
.LBB160_235:
	s_and_b64 vcc, exec, s[0:1]
	s_cbranch_vccnz .LBB160_237
; %bb.236:
	v_lshl_add_u64 v[20:21], v[4:5], 3, v[18:19]
	flat_load_dwordx2 v[20:21], v[20:21]
	s_waitcnt vmcnt(0) lgkmcnt(0)
	v_mul_f64 v[20:21], v[20:21], s[22:23]
	s_branch .LBB160_238
.LBB160_237:
	v_mov_b64_e32 v[20:21], 0
.LBB160_238:
	v_cvt_f32_f64_e32 v20, v[20:21]
	v_max_f32_e32 v21, v107, v107
	v_min_f32_e32 v20, v20, v21
	v_cvt_f64_f32_e32 v[20:21], v20
	v_lshl_add_u64 v[24:25], v[4:5], 3, v[16:17]
	global_store_dwordx2 v[24:25], v[20:21], off
	s_or_b64 exec, exec, s[28:29]
	s_and_b64 s[34:35], s[8:9], s[18:19]
	s_and_saveexec_b64 s[28:29], s[34:35]
	s_cbranch_execz .LBB160_223
.LBB160_239:
	s_and_b64 vcc, exec, s[0:1]
	s_cbranch_vccnz .LBB160_241
; %bb.240:
	v_lshl_add_u64 v[20:21], v[6:7], 3, v[18:19]
	flat_load_dwordx2 v[20:21], v[20:21]
	s_waitcnt vmcnt(0) lgkmcnt(0)
	v_mul_f64 v[20:21], v[20:21], s[22:23]
	s_branch .LBB160_242
.LBB160_241:
	v_mov_b64_e32 v[20:21], 0
.LBB160_242:
	v_cvt_f32_f64_e32 v20, v[20:21]
	v_max_f32_e32 v21, v106, v106
	v_min_f32_e32 v20, v20, v21
	v_cvt_f64_f32_e32 v[20:21], v20
	v_lshl_add_u64 v[24:25], v[6:7], 3, v[16:17]
	global_store_dwordx2 v[24:25], v[20:21], off
	s_or_b64 exec, exec, s[28:29]
	s_and_b64 s[34:35], s[10:11], s[18:19]
	s_and_saveexec_b64 s[28:29], s[34:35]
	s_cbranch_execz .LBB160_224
.LBB160_243:
	s_and_b64 vcc, exec, s[0:1]
	s_cbranch_vccnz .LBB160_245
; %bb.244:
	v_lshl_add_u64 v[20:21], v[8:9], 3, v[18:19]
	flat_load_dwordx2 v[20:21], v[20:21]
	s_waitcnt vmcnt(0) lgkmcnt(0)
	v_mul_f64 v[20:21], v[20:21], s[22:23]
	s_branch .LBB160_246
.LBB160_245:
	v_mov_b64_e32 v[20:21], 0
.LBB160_246:
	v_cvt_f32_f64_e32 v20, v[20:21]
	v_max_f32_e32 v21, v105, v105
	v_min_f32_e32 v20, v20, v21
	v_cvt_f64_f32_e32 v[20:21], v20
	v_lshl_add_u64 v[24:25], v[8:9], 3, v[16:17]
	global_store_dwordx2 v[24:25], v[20:21], off
	s_or_b64 exec, exec, s[28:29]
	s_and_b64 s[34:35], s[12:13], s[18:19]
	s_and_saveexec_b64 s[28:29], s[34:35]
	s_cbranch_execz .LBB160_225
.LBB160_247:
	s_and_b64 vcc, exec, s[0:1]
	s_cbranch_vccnz .LBB160_249
; %bb.248:
	v_lshl_add_u64 v[20:21], v[10:11], 3, v[18:19]
	flat_load_dwordx2 v[20:21], v[20:21]
	s_waitcnt vmcnt(0) lgkmcnt(0)
	v_mul_f64 v[20:21], v[20:21], s[22:23]
	s_branch .LBB160_250
.LBB160_249:
	v_mov_b64_e32 v[20:21], 0
.LBB160_250:
	v_cvt_f32_f64_e32 v20, v[20:21]
	v_max_f32_e32 v21, v104, v104
	v_min_f32_e32 v20, v20, v21
	v_cvt_f64_f32_e32 v[20:21], v20
	v_lshl_add_u64 v[24:25], v[10:11], 3, v[16:17]
	global_store_dwordx2 v[24:25], v[20:21], off
	s_or_b64 exec, exec, s[28:29]
	s_and_b64 s[34:35], s[14:15], s[18:19]
	s_and_saveexec_b64 s[28:29], s[34:35]
	s_cbranch_execz .LBB160_226
.LBB160_251:
	s_and_b64 vcc, exec, s[0:1]
	s_cbranch_vccnz .LBB160_253
; %bb.252:
	v_lshl_add_u64 v[20:21], v[12:13], 3, v[18:19]
	flat_load_dwordx2 v[20:21], v[20:21]
	s_waitcnt vmcnt(0) lgkmcnt(0)
	v_mul_f64 v[20:21], v[20:21], s[22:23]
	s_branch .LBB160_254
.LBB160_253:
	v_mov_b64_e32 v[20:21], 0
.LBB160_254:
	v_cvt_f32_f64_e32 v20, v[20:21]
	v_max_f32_e32 v21, v103, v103
	v_min_f32_e32 v20, v20, v21
	v_cvt_f64_f32_e32 v[20:21], v20
	v_lshl_add_u64 v[24:25], v[12:13], 3, v[16:17]
	global_store_dwordx2 v[24:25], v[20:21], off
	s_or_b64 exec, exec, s[28:29]
	s_and_b64 s[28:29], s[16:17], s[18:19]
	s_and_saveexec_b64 s[18:19], s[28:29]
	s_cbranch_execz .LBB160_259
.LBB160_255:
	s_and_b64 vcc, exec, s[0:1]
	s_cbranch_vccnz .LBB160_257
; %bb.256:
	v_lshl_add_u64 v[18:19], v[14:15], 3, v[18:19]
	flat_load_dwordx2 v[18:19], v[18:19]
	s_waitcnt vmcnt(0) lgkmcnt(0)
	v_mul_f64 v[18:19], v[18:19], s[22:23]
	s_branch .LBB160_258
.LBB160_257:
	v_mov_b64_e32 v[18:19], 0
.LBB160_258:
	v_cvt_f32_f64_e32 v18, v[18:19]
	v_max_f32_e32 v19, v102, v102
	v_min_f32_e32 v18, v18, v19
	v_cvt_f64_f32_e32 v[18:19], v18
	v_lshl_add_u64 v[16:17], v[14:15], 3, v[16:17]
	global_store_dwordx2 v[16:17], v[18:19], off
.LBB160_259:
	s_or_b64 exec, exec, s[18:19]
	v_add_u32_e32 v20, 40, v22
	v_mad_i64_i32 v[16:17], s[28:29], v20, s31, 0
	v_cmp_gt_i32_e64 s[18:19], s25, v20
	v_lshl_add_u64 v[18:19], v[16:17], 3, s[20:21]
	v_mad_i64_i32 v[16:17], s[28:29], v20, s30, 0
	v_lshl_add_u64 v[16:17], v[16:17], 3, s[26:27]
	s_and_b64 s[34:35], s[2:3], s[18:19]
	s_and_saveexec_b64 s[28:29], s[34:35]
	s_cbranch_execnz .LBB160_267
; %bb.260:
	s_or_b64 exec, exec, s[28:29]
	s_and_b64 s[34:35], s[4:5], s[18:19]
	s_and_saveexec_b64 s[28:29], s[34:35]
	s_cbranch_execnz .LBB160_271
.LBB160_261:
	s_or_b64 exec, exec, s[28:29]
	s_and_b64 s[34:35], s[6:7], s[18:19]
	s_and_saveexec_b64 s[28:29], s[34:35]
	s_cbranch_execnz .LBB160_275
.LBB160_262:
	s_or_b64 exec, exec, s[28:29]
	s_and_b64 s[34:35], s[8:9], s[18:19]
	s_and_saveexec_b64 s[28:29], s[34:35]
	s_cbranch_execnz .LBB160_279
.LBB160_263:
	s_or_b64 exec, exec, s[28:29]
	s_and_b64 s[34:35], s[10:11], s[18:19]
	s_and_saveexec_b64 s[28:29], s[34:35]
	s_cbranch_execnz .LBB160_283
.LBB160_264:
	s_or_b64 exec, exec, s[28:29]
	s_and_b64 s[34:35], s[12:13], s[18:19]
	s_and_saveexec_b64 s[28:29], s[34:35]
	s_cbranch_execnz .LBB160_287
.LBB160_265:
	s_or_b64 exec, exec, s[28:29]
	s_and_b64 s[34:35], s[14:15], s[18:19]
	s_and_saveexec_b64 s[28:29], s[34:35]
	s_cbranch_execnz .LBB160_291
.LBB160_266:
	s_or_b64 exec, exec, s[28:29]
	s_and_b64 s[28:29], s[16:17], s[18:19]
	s_and_saveexec_b64 s[18:19], s[28:29]
	s_cbranch_execnz .LBB160_295
	s_branch .LBB160_299
.LBB160_267:
	s_and_b64 vcc, exec, s[0:1]
	s_cbranch_vccnz .LBB160_269
; %bb.268:
	v_lshl_add_u64 v[20:21], v[0:1], 3, v[18:19]
	flat_load_dwordx2 v[20:21], v[20:21]
	s_waitcnt vmcnt(0) lgkmcnt(0)
	v_mul_f64 v[20:21], v[20:21], s[22:23]
	s_branch .LBB160_270
.LBB160_269:
	v_mov_b64_e32 v[20:21], 0
.LBB160_270:
	v_cvt_f32_f64_e32 v20, v[20:21]
	v_max_f32_e32 v21, v101, v101
	v_min_f32_e32 v20, v20, v21
	v_cvt_f64_f32_e32 v[20:21], v20
	v_lshl_add_u64 v[24:25], v[0:1], 3, v[16:17]
	global_store_dwordx2 v[24:25], v[20:21], off
	s_or_b64 exec, exec, s[28:29]
	s_and_b64 s[34:35], s[4:5], s[18:19]
	s_and_saveexec_b64 s[28:29], s[34:35]
	s_cbranch_execz .LBB160_261
.LBB160_271:
	s_and_b64 vcc, exec, s[0:1]
	s_cbranch_vccnz .LBB160_273
; %bb.272:
	v_lshl_add_u64 v[20:21], v[2:3], 3, v[18:19]
	flat_load_dwordx2 v[20:21], v[20:21]
	s_waitcnt vmcnt(0) lgkmcnt(0)
	v_mul_f64 v[20:21], v[20:21], s[22:23]
	s_branch .LBB160_274
.LBB160_273:
	v_mov_b64_e32 v[20:21], 0
.LBB160_274:
	v_cvt_f32_f64_e32 v20, v[20:21]
	v_max_f32_e32 v21, v100, v100
	v_min_f32_e32 v20, v20, v21
	v_cvt_f64_f32_e32 v[20:21], v20
	v_lshl_add_u64 v[24:25], v[2:3], 3, v[16:17]
	global_store_dwordx2 v[24:25], v[20:21], off
	s_or_b64 exec, exec, s[28:29]
	s_and_b64 s[34:35], s[6:7], s[18:19]
	s_and_saveexec_b64 s[28:29], s[34:35]
	s_cbranch_execz .LBB160_262
.LBB160_275:
	s_and_b64 vcc, exec, s[0:1]
	s_cbranch_vccnz .LBB160_277
; %bb.276:
	v_lshl_add_u64 v[20:21], v[4:5], 3, v[18:19]
	flat_load_dwordx2 v[20:21], v[20:21]
	s_waitcnt vmcnt(0) lgkmcnt(0)
	v_mul_f64 v[20:21], v[20:21], s[22:23]
	s_branch .LBB160_278
.LBB160_277:
	v_mov_b64_e32 v[20:21], 0
.LBB160_278:
	v_cvt_f32_f64_e32 v20, v[20:21]
	v_max_f32_e32 v21, v99, v99
	v_min_f32_e32 v20, v20, v21
	v_cvt_f64_f32_e32 v[20:21], v20
	v_lshl_add_u64 v[24:25], v[4:5], 3, v[16:17]
	global_store_dwordx2 v[24:25], v[20:21], off
	s_or_b64 exec, exec, s[28:29]
	s_and_b64 s[34:35], s[8:9], s[18:19]
	s_and_saveexec_b64 s[28:29], s[34:35]
	s_cbranch_execz .LBB160_263
.LBB160_279:
	s_and_b64 vcc, exec, s[0:1]
	s_cbranch_vccnz .LBB160_281
; %bb.280:
	v_lshl_add_u64 v[20:21], v[6:7], 3, v[18:19]
	flat_load_dwordx2 v[20:21], v[20:21]
	s_waitcnt vmcnt(0) lgkmcnt(0)
	v_mul_f64 v[20:21], v[20:21], s[22:23]
	s_branch .LBB160_282
.LBB160_281:
	v_mov_b64_e32 v[20:21], 0
.LBB160_282:
	v_cvt_f32_f64_e32 v20, v[20:21]
	v_max_f32_e32 v21, v98, v98
	v_min_f32_e32 v20, v20, v21
	v_cvt_f64_f32_e32 v[20:21], v20
	v_lshl_add_u64 v[24:25], v[6:7], 3, v[16:17]
	global_store_dwordx2 v[24:25], v[20:21], off
	s_or_b64 exec, exec, s[28:29]
	s_and_b64 s[34:35], s[10:11], s[18:19]
	s_and_saveexec_b64 s[28:29], s[34:35]
	s_cbranch_execz .LBB160_264
.LBB160_283:
	s_and_b64 vcc, exec, s[0:1]
	s_cbranch_vccnz .LBB160_285
; %bb.284:
	v_lshl_add_u64 v[20:21], v[8:9], 3, v[18:19]
	flat_load_dwordx2 v[20:21], v[20:21]
	s_waitcnt vmcnt(0) lgkmcnt(0)
	v_mul_f64 v[20:21], v[20:21], s[22:23]
	s_branch .LBB160_286
.LBB160_285:
	v_mov_b64_e32 v[20:21], 0
.LBB160_286:
	v_cvt_f32_f64_e32 v20, v[20:21]
	v_max_f32_e32 v21, v97, v97
	v_min_f32_e32 v20, v20, v21
	v_cvt_f64_f32_e32 v[20:21], v20
	v_lshl_add_u64 v[24:25], v[8:9], 3, v[16:17]
	global_store_dwordx2 v[24:25], v[20:21], off
	s_or_b64 exec, exec, s[28:29]
	s_and_b64 s[34:35], s[12:13], s[18:19]
	s_and_saveexec_b64 s[28:29], s[34:35]
	s_cbranch_execz .LBB160_265
.LBB160_287:
	s_and_b64 vcc, exec, s[0:1]
	s_cbranch_vccnz .LBB160_289
; %bb.288:
	v_lshl_add_u64 v[20:21], v[10:11], 3, v[18:19]
	flat_load_dwordx2 v[20:21], v[20:21]
	s_waitcnt vmcnt(0) lgkmcnt(0)
	v_mul_f64 v[20:21], v[20:21], s[22:23]
	s_branch .LBB160_290
.LBB160_289:
	v_mov_b64_e32 v[20:21], 0
.LBB160_290:
	v_cvt_f32_f64_e32 v20, v[20:21]
	v_max_f32_e32 v21, v96, v96
	v_min_f32_e32 v20, v20, v21
	v_cvt_f64_f32_e32 v[20:21], v20
	v_lshl_add_u64 v[24:25], v[10:11], 3, v[16:17]
	global_store_dwordx2 v[24:25], v[20:21], off
	s_or_b64 exec, exec, s[28:29]
	s_and_b64 s[34:35], s[14:15], s[18:19]
	s_and_saveexec_b64 s[28:29], s[34:35]
	s_cbranch_execz .LBB160_266
.LBB160_291:
	s_and_b64 vcc, exec, s[0:1]
	s_cbranch_vccnz .LBB160_293
; %bb.292:
	v_lshl_add_u64 v[20:21], v[12:13], 3, v[18:19]
	flat_load_dwordx2 v[20:21], v[20:21]
	s_waitcnt vmcnt(0) lgkmcnt(0)
	v_mul_f64 v[20:21], v[20:21], s[22:23]
	s_branch .LBB160_294
.LBB160_293:
	v_mov_b64_e32 v[20:21], 0
.LBB160_294:
	v_cvt_f32_f64_e32 v20, v[20:21]
	v_max_f32_e32 v21, v95, v95
	v_min_f32_e32 v20, v20, v21
	v_cvt_f64_f32_e32 v[20:21], v20
	v_lshl_add_u64 v[24:25], v[12:13], 3, v[16:17]
	global_store_dwordx2 v[24:25], v[20:21], off
	s_or_b64 exec, exec, s[28:29]
	s_and_b64 s[28:29], s[16:17], s[18:19]
	s_and_saveexec_b64 s[18:19], s[28:29]
	s_cbranch_execz .LBB160_299
.LBB160_295:
	s_and_b64 vcc, exec, s[0:1]
	s_cbranch_vccnz .LBB160_297
; %bb.296:
	v_lshl_add_u64 v[18:19], v[14:15], 3, v[18:19]
	flat_load_dwordx2 v[18:19], v[18:19]
	s_waitcnt vmcnt(0) lgkmcnt(0)
	v_mul_f64 v[18:19], v[18:19], s[22:23]
	s_branch .LBB160_298
.LBB160_297:
	v_mov_b64_e32 v[18:19], 0
.LBB160_298:
	v_cvt_f32_f64_e32 v18, v[18:19]
	v_max_f32_e32 v19, v94, v94
	v_min_f32_e32 v18, v18, v19
	v_cvt_f64_f32_e32 v[18:19], v18
	v_lshl_add_u64 v[16:17], v[14:15], 3, v[16:17]
	global_store_dwordx2 v[16:17], v[18:19], off
.LBB160_299:
	s_or_b64 exec, exec, s[18:19]
	v_add_u32_e32 v20, 48, v22
	v_mad_i64_i32 v[16:17], s[28:29], v20, s31, 0
	v_cmp_gt_i32_e64 s[18:19], s25, v20
	v_lshl_add_u64 v[18:19], v[16:17], 3, s[20:21]
	v_mad_i64_i32 v[16:17], s[28:29], v20, s30, 0
	v_lshl_add_u64 v[16:17], v[16:17], 3, s[26:27]
	s_and_b64 s[34:35], s[2:3], s[18:19]
	s_and_saveexec_b64 s[28:29], s[34:35]
	s_cbranch_execnz .LBB160_307
; %bb.300:
	s_or_b64 exec, exec, s[28:29]
	s_and_b64 s[34:35], s[4:5], s[18:19]
	s_and_saveexec_b64 s[28:29], s[34:35]
	s_cbranch_execnz .LBB160_311
.LBB160_301:
	s_or_b64 exec, exec, s[28:29]
	s_and_b64 s[34:35], s[6:7], s[18:19]
	s_and_saveexec_b64 s[28:29], s[34:35]
	s_cbranch_execnz .LBB160_315
.LBB160_302:
	s_or_b64 exec, exec, s[28:29]
	s_and_b64 s[34:35], s[8:9], s[18:19]
	s_and_saveexec_b64 s[28:29], s[34:35]
	s_cbranch_execnz .LBB160_319
.LBB160_303:
	s_or_b64 exec, exec, s[28:29]
	s_and_b64 s[34:35], s[10:11], s[18:19]
	s_and_saveexec_b64 s[28:29], s[34:35]
	s_cbranch_execnz .LBB160_323
.LBB160_304:
	s_or_b64 exec, exec, s[28:29]
	s_and_b64 s[34:35], s[12:13], s[18:19]
	s_and_saveexec_b64 s[28:29], s[34:35]
	s_cbranch_execnz .LBB160_327
.LBB160_305:
	s_or_b64 exec, exec, s[28:29]
	s_and_b64 s[34:35], s[14:15], s[18:19]
	s_and_saveexec_b64 s[28:29], s[34:35]
	s_cbranch_execnz .LBB160_331
.LBB160_306:
	s_or_b64 exec, exec, s[28:29]
	s_and_b64 s[28:29], s[16:17], s[18:19]
	s_and_saveexec_b64 s[18:19], s[28:29]
	s_cbranch_execnz .LBB160_335
	s_branch .LBB160_339
.LBB160_307:
	s_and_b64 vcc, exec, s[0:1]
	s_cbranch_vccnz .LBB160_309
; %bb.308:
	v_lshl_add_u64 v[20:21], v[0:1], 3, v[18:19]
	flat_load_dwordx2 v[20:21], v[20:21]
	s_waitcnt vmcnt(0) lgkmcnt(0)
	v_mul_f64 v[20:21], v[20:21], s[22:23]
	s_branch .LBB160_310
.LBB160_309:
	v_mov_b64_e32 v[20:21], 0
.LBB160_310:
	v_cvt_f32_f64_e32 v20, v[20:21]
	v_max_f32_e32 v21, v93, v93
	v_min_f32_e32 v20, v20, v21
	v_cvt_f64_f32_e32 v[20:21], v20
	v_lshl_add_u64 v[24:25], v[0:1], 3, v[16:17]
	global_store_dwordx2 v[24:25], v[20:21], off
	s_or_b64 exec, exec, s[28:29]
	s_and_b64 s[34:35], s[4:5], s[18:19]
	s_and_saveexec_b64 s[28:29], s[34:35]
	s_cbranch_execz .LBB160_301
.LBB160_311:
	s_and_b64 vcc, exec, s[0:1]
	s_cbranch_vccnz .LBB160_313
; %bb.312:
	v_lshl_add_u64 v[20:21], v[2:3], 3, v[18:19]
	flat_load_dwordx2 v[20:21], v[20:21]
	s_waitcnt vmcnt(0) lgkmcnt(0)
	v_mul_f64 v[20:21], v[20:21], s[22:23]
	s_branch .LBB160_314
.LBB160_313:
	v_mov_b64_e32 v[20:21], 0
.LBB160_314:
	v_cvt_f32_f64_e32 v20, v[20:21]
	v_max_f32_e32 v21, v92, v92
	v_min_f32_e32 v20, v20, v21
	v_cvt_f64_f32_e32 v[20:21], v20
	v_lshl_add_u64 v[24:25], v[2:3], 3, v[16:17]
	global_store_dwordx2 v[24:25], v[20:21], off
	s_or_b64 exec, exec, s[28:29]
	s_and_b64 s[34:35], s[6:7], s[18:19]
	s_and_saveexec_b64 s[28:29], s[34:35]
	s_cbranch_execz .LBB160_302
.LBB160_315:
	s_and_b64 vcc, exec, s[0:1]
	s_cbranch_vccnz .LBB160_317
; %bb.316:
	v_lshl_add_u64 v[20:21], v[4:5], 3, v[18:19]
	flat_load_dwordx2 v[20:21], v[20:21]
	s_waitcnt vmcnt(0) lgkmcnt(0)
	v_mul_f64 v[20:21], v[20:21], s[22:23]
	s_branch .LBB160_318
.LBB160_317:
	v_mov_b64_e32 v[20:21], 0
.LBB160_318:
	v_cvt_f32_f64_e32 v20, v[20:21]
	v_max_f32_e32 v21, v91, v91
	v_min_f32_e32 v20, v20, v21
	v_cvt_f64_f32_e32 v[20:21], v20
	v_lshl_add_u64 v[24:25], v[4:5], 3, v[16:17]
	global_store_dwordx2 v[24:25], v[20:21], off
	s_or_b64 exec, exec, s[28:29]
	s_and_b64 s[34:35], s[8:9], s[18:19]
	s_and_saveexec_b64 s[28:29], s[34:35]
	s_cbranch_execz .LBB160_303
.LBB160_319:
	s_and_b64 vcc, exec, s[0:1]
	s_cbranch_vccnz .LBB160_321
; %bb.320:
	v_lshl_add_u64 v[20:21], v[6:7], 3, v[18:19]
	flat_load_dwordx2 v[20:21], v[20:21]
	s_waitcnt vmcnt(0) lgkmcnt(0)
	v_mul_f64 v[20:21], v[20:21], s[22:23]
	s_branch .LBB160_322
.LBB160_321:
	v_mov_b64_e32 v[20:21], 0
.LBB160_322:
	v_cvt_f32_f64_e32 v20, v[20:21]
	v_max_f32_e32 v21, v90, v90
	v_min_f32_e32 v20, v20, v21
	v_cvt_f64_f32_e32 v[20:21], v20
	v_lshl_add_u64 v[24:25], v[6:7], 3, v[16:17]
	global_store_dwordx2 v[24:25], v[20:21], off
	s_or_b64 exec, exec, s[28:29]
	s_and_b64 s[34:35], s[10:11], s[18:19]
	s_and_saveexec_b64 s[28:29], s[34:35]
	s_cbranch_execz .LBB160_304
.LBB160_323:
	s_and_b64 vcc, exec, s[0:1]
	s_cbranch_vccnz .LBB160_325
; %bb.324:
	v_lshl_add_u64 v[20:21], v[8:9], 3, v[18:19]
	flat_load_dwordx2 v[20:21], v[20:21]
	s_waitcnt vmcnt(0) lgkmcnt(0)
	v_mul_f64 v[20:21], v[20:21], s[22:23]
	s_branch .LBB160_326
.LBB160_325:
	v_mov_b64_e32 v[20:21], 0
.LBB160_326:
	v_cvt_f32_f64_e32 v20, v[20:21]
	v_max_f32_e32 v21, v89, v89
	v_min_f32_e32 v20, v20, v21
	v_cvt_f64_f32_e32 v[20:21], v20
	v_lshl_add_u64 v[24:25], v[8:9], 3, v[16:17]
	global_store_dwordx2 v[24:25], v[20:21], off
	s_or_b64 exec, exec, s[28:29]
	s_and_b64 s[34:35], s[12:13], s[18:19]
	s_and_saveexec_b64 s[28:29], s[34:35]
	s_cbranch_execz .LBB160_305
.LBB160_327:
	s_and_b64 vcc, exec, s[0:1]
	s_cbranch_vccnz .LBB160_329
; %bb.328:
	v_lshl_add_u64 v[20:21], v[10:11], 3, v[18:19]
	flat_load_dwordx2 v[20:21], v[20:21]
	s_waitcnt vmcnt(0) lgkmcnt(0)
	v_mul_f64 v[20:21], v[20:21], s[22:23]
	s_branch .LBB160_330
.LBB160_329:
	v_mov_b64_e32 v[20:21], 0
.LBB160_330:
	v_cvt_f32_f64_e32 v20, v[20:21]
	v_max_f32_e32 v21, v88, v88
	v_min_f32_e32 v20, v20, v21
	v_cvt_f64_f32_e32 v[20:21], v20
	v_lshl_add_u64 v[24:25], v[10:11], 3, v[16:17]
	global_store_dwordx2 v[24:25], v[20:21], off
	s_or_b64 exec, exec, s[28:29]
	s_and_b64 s[34:35], s[14:15], s[18:19]
	s_and_saveexec_b64 s[28:29], s[34:35]
	s_cbranch_execz .LBB160_306
.LBB160_331:
	s_and_b64 vcc, exec, s[0:1]
	s_cbranch_vccnz .LBB160_333
; %bb.332:
	v_lshl_add_u64 v[20:21], v[12:13], 3, v[18:19]
	flat_load_dwordx2 v[20:21], v[20:21]
	s_waitcnt vmcnt(0) lgkmcnt(0)
	v_mul_f64 v[20:21], v[20:21], s[22:23]
	s_branch .LBB160_334
.LBB160_333:
	v_mov_b64_e32 v[20:21], 0
.LBB160_334:
	v_cvt_f32_f64_e32 v20, v[20:21]
	v_max_f32_e32 v21, v87, v87
	v_min_f32_e32 v20, v20, v21
	v_cvt_f64_f32_e32 v[20:21], v20
	v_lshl_add_u64 v[24:25], v[12:13], 3, v[16:17]
	global_store_dwordx2 v[24:25], v[20:21], off
	s_or_b64 exec, exec, s[28:29]
	s_and_b64 s[28:29], s[16:17], s[18:19]
	s_and_saveexec_b64 s[18:19], s[28:29]
	s_cbranch_execz .LBB160_339
.LBB160_335:
	s_and_b64 vcc, exec, s[0:1]
	s_cbranch_vccnz .LBB160_337
; %bb.336:
	v_lshl_add_u64 v[18:19], v[14:15], 3, v[18:19]
	flat_load_dwordx2 v[18:19], v[18:19]
	s_waitcnt vmcnt(0) lgkmcnt(0)
	v_mul_f64 v[18:19], v[18:19], s[22:23]
	s_branch .LBB160_338
.LBB160_337:
	v_mov_b64_e32 v[18:19], 0
.LBB160_338:
	v_cvt_f32_f64_e32 v18, v[18:19]
	v_max_f32_e32 v19, v86, v86
	v_min_f32_e32 v18, v18, v19
	v_cvt_f64_f32_e32 v[18:19], v18
	v_lshl_add_u64 v[16:17], v[14:15], 3, v[16:17]
	global_store_dwordx2 v[16:17], v[18:19], off
.LBB160_339:
	s_or_b64 exec, exec, s[18:19]
	v_add_u32_e32 v20, 56, v22
	v_cmp_gt_i32_e64 s[18:19], s25, v20
	v_mad_i64_i32 v[16:17], s[24:25], v20, s31, 0
	v_lshl_add_u64 v[18:19], v[16:17], 3, s[20:21]
	v_mad_i64_i32 v[16:17], s[20:21], v20, s30, 0
	v_lshl_add_u64 v[16:17], v[16:17], 3, s[26:27]
	s_and_b64 s[20:21], s[2:3], s[18:19]
	s_and_saveexec_b64 s[2:3], s[20:21]
	s_cbranch_execnz .LBB160_348
; %bb.340:
	s_or_b64 exec, exec, s[2:3]
	s_and_b64 s[4:5], s[4:5], s[18:19]
	s_and_saveexec_b64 s[2:3], s[4:5]
	s_cbranch_execnz .LBB160_352
.LBB160_341:
	s_or_b64 exec, exec, s[2:3]
	s_and_b64 s[4:5], s[6:7], s[18:19]
	s_and_saveexec_b64 s[2:3], s[4:5]
	s_cbranch_execnz .LBB160_356
.LBB160_342:
	s_or_b64 exec, exec, s[2:3]
	s_and_b64 s[4:5], s[8:9], s[18:19]
	s_and_saveexec_b64 s[2:3], s[4:5]
	s_cbranch_execnz .LBB160_360
.LBB160_343:
	s_or_b64 exec, exec, s[2:3]
	s_and_b64 s[4:5], s[10:11], s[18:19]
	s_and_saveexec_b64 s[2:3], s[4:5]
	s_cbranch_execnz .LBB160_364
.LBB160_344:
	s_or_b64 exec, exec, s[2:3]
	s_and_b64 s[4:5], s[12:13], s[18:19]
	s_and_saveexec_b64 s[2:3], s[4:5]
	s_cbranch_execnz .LBB160_368
.LBB160_345:
	s_or_b64 exec, exec, s[2:3]
	s_and_b64 s[4:5], s[14:15], s[18:19]
	s_and_saveexec_b64 s[2:3], s[4:5]
	s_cbranch_execnz .LBB160_372
.LBB160_346:
	s_or_b64 exec, exec, s[2:3]
	s_and_b64 s[2:3], s[16:17], s[18:19]
	s_and_saveexec_b64 s[4:5], s[2:3]
	s_cbranch_execnz .LBB160_376
.LBB160_347:
	s_endpgm
.LBB160_348:
	s_and_b64 vcc, exec, s[0:1]
	s_cbranch_vccnz .LBB160_350
; %bb.349:
	v_lshl_add_u64 v[20:21], v[0:1], 3, v[18:19]
	flat_load_dwordx2 v[20:21], v[20:21]
	s_waitcnt vmcnt(0) lgkmcnt(0)
	v_mul_f64 v[20:21], v[20:21], s[22:23]
	v_cvt_f32_f64_e32 v20, v[20:21]
	s_branch .LBB160_351
.LBB160_350:
	v_mov_b32_e32 v20, 0
.LBB160_351:
	v_max_f32_e32 v21, v85, v85
	v_max_f32_e32 v20, v20, v20
	v_min_f32_e32 v20, v20, v21
	v_cvt_f64_f32_e32 v[20:21], v20
	v_lshl_add_u64 v[0:1], v[0:1], 3, v[16:17]
	global_store_dwordx2 v[0:1], v[20:21], off
	s_or_b64 exec, exec, s[2:3]
	s_and_b64 s[4:5], s[4:5], s[18:19]
	s_and_saveexec_b64 s[2:3], s[4:5]
	s_cbranch_execz .LBB160_341
.LBB160_352:
	s_and_b64 vcc, exec, s[0:1]
	s_cbranch_vccnz .LBB160_354
; %bb.353:
	v_lshl_add_u64 v[0:1], v[2:3], 3, v[18:19]
	flat_load_dwordx2 v[0:1], v[0:1]
	s_waitcnt vmcnt(0) lgkmcnt(0)
	v_mul_f64 v[0:1], v[0:1], s[22:23]
	v_cvt_f32_f64_e32 v0, v[0:1]
	s_branch .LBB160_355
.LBB160_354:
	v_mov_b32_e32 v0, 0
.LBB160_355:
	v_max_f32_e32 v1, v84, v84
	v_max_f32_e32 v0, v0, v0
	v_min_f32_e32 v0, v0, v1
	v_cvt_f64_f32_e32 v[0:1], v0
	v_lshl_add_u64 v[2:3], v[2:3], 3, v[16:17]
	global_store_dwordx2 v[2:3], v[0:1], off
	s_or_b64 exec, exec, s[2:3]
	s_and_b64 s[4:5], s[6:7], s[18:19]
	s_and_saveexec_b64 s[2:3], s[4:5]
	s_cbranch_execz .LBB160_342
.LBB160_356:
	s_and_b64 vcc, exec, s[0:1]
	s_cbranch_vccnz .LBB160_358
; %bb.357:
	v_lshl_add_u64 v[0:1], v[4:5], 3, v[18:19]
	flat_load_dwordx2 v[0:1], v[0:1]
	s_waitcnt vmcnt(0) lgkmcnt(0)
	v_mul_f64 v[0:1], v[0:1], s[22:23]
	v_cvt_f32_f64_e32 v0, v[0:1]
	s_branch .LBB160_359
.LBB160_358:
	v_mov_b32_e32 v0, 0
.LBB160_359:
	v_max_f32_e32 v1, v83, v83
	v_max_f32_e32 v0, v0, v0
	v_min_f32_e32 v0, v0, v1
	v_cvt_f64_f32_e32 v[0:1], v0
	v_lshl_add_u64 v[2:3], v[4:5], 3, v[16:17]
	global_store_dwordx2 v[2:3], v[0:1], off
	s_or_b64 exec, exec, s[2:3]
	s_and_b64 s[4:5], s[8:9], s[18:19]
	s_and_saveexec_b64 s[2:3], s[4:5]
	s_cbranch_execz .LBB160_343
.LBB160_360:
	s_and_b64 vcc, exec, s[0:1]
	s_cbranch_vccnz .LBB160_362
; %bb.361:
	v_lshl_add_u64 v[0:1], v[6:7], 3, v[18:19]
	flat_load_dwordx2 v[0:1], v[0:1]
	s_waitcnt vmcnt(0) lgkmcnt(0)
	v_mul_f64 v[0:1], v[0:1], s[22:23]
	v_cvt_f32_f64_e32 v0, v[0:1]
	s_branch .LBB160_363
.LBB160_362:
	v_mov_b32_e32 v0, 0
.LBB160_363:
	v_max_f32_e32 v1, v82, v82
	v_max_f32_e32 v0, v0, v0
	v_min_f32_e32 v0, v0, v1
	v_cvt_f64_f32_e32 v[0:1], v0
	v_lshl_add_u64 v[2:3], v[6:7], 3, v[16:17]
	global_store_dwordx2 v[2:3], v[0:1], off
	s_or_b64 exec, exec, s[2:3]
	s_and_b64 s[4:5], s[10:11], s[18:19]
	s_and_saveexec_b64 s[2:3], s[4:5]
	s_cbranch_execz .LBB160_344
.LBB160_364:
	s_and_b64 vcc, exec, s[0:1]
	s_cbranch_vccnz .LBB160_366
; %bb.365:
	v_lshl_add_u64 v[0:1], v[8:9], 3, v[18:19]
	flat_load_dwordx2 v[0:1], v[0:1]
	s_waitcnt vmcnt(0) lgkmcnt(0)
	v_mul_f64 v[0:1], v[0:1], s[22:23]
	v_cvt_f32_f64_e32 v0, v[0:1]
	s_branch .LBB160_367
.LBB160_366:
	v_mov_b32_e32 v0, 0
.LBB160_367:
	v_max_f32_e32 v1, v81, v81
	v_max_f32_e32 v0, v0, v0
	v_min_f32_e32 v0, v0, v1
	v_cvt_f64_f32_e32 v[0:1], v0
	v_lshl_add_u64 v[2:3], v[8:9], 3, v[16:17]
	global_store_dwordx2 v[2:3], v[0:1], off
	s_or_b64 exec, exec, s[2:3]
	s_and_b64 s[4:5], s[12:13], s[18:19]
	s_and_saveexec_b64 s[2:3], s[4:5]
	s_cbranch_execz .LBB160_345
.LBB160_368:
	s_and_b64 vcc, exec, s[0:1]
	s_cbranch_vccnz .LBB160_370
; %bb.369:
	v_lshl_add_u64 v[0:1], v[10:11], 3, v[18:19]
	flat_load_dwordx2 v[0:1], v[0:1]
	s_waitcnt vmcnt(0) lgkmcnt(0)
	v_mul_f64 v[0:1], v[0:1], s[22:23]
	v_cvt_f32_f64_e32 v0, v[0:1]
	s_branch .LBB160_371
.LBB160_370:
	v_mov_b32_e32 v0, 0
.LBB160_371:
	v_max_f32_e32 v1, v80, v80
	v_max_f32_e32 v0, v0, v0
	v_min_f32_e32 v0, v0, v1
	v_cvt_f64_f32_e32 v[0:1], v0
	v_lshl_add_u64 v[2:3], v[10:11], 3, v[16:17]
	global_store_dwordx2 v[2:3], v[0:1], off
	s_or_b64 exec, exec, s[2:3]
	s_and_b64 s[4:5], s[14:15], s[18:19]
	s_and_saveexec_b64 s[2:3], s[4:5]
	s_cbranch_execz .LBB160_346
.LBB160_372:
	s_and_b64 vcc, exec, s[0:1]
	s_cbranch_vccnz .LBB160_374
; %bb.373:
	v_lshl_add_u64 v[0:1], v[12:13], 3, v[18:19]
	flat_load_dwordx2 v[0:1], v[0:1]
	s_waitcnt vmcnt(0) lgkmcnt(0)
	v_mul_f64 v[0:1], v[0:1], s[22:23]
	v_cvt_f32_f64_e32 v0, v[0:1]
	s_branch .LBB160_375
.LBB160_374:
	v_mov_b32_e32 v0, 0
.LBB160_375:
	v_max_f32_e32 v1, v79, v79
	v_max_f32_e32 v0, v0, v0
	v_min_f32_e32 v0, v0, v1
	v_cvt_f64_f32_e32 v[0:1], v0
	v_lshl_add_u64 v[2:3], v[12:13], 3, v[16:17]
	global_store_dwordx2 v[2:3], v[0:1], off
	s_or_b64 exec, exec, s[2:3]
	s_and_b64 s[2:3], s[16:17], s[18:19]
	s_and_saveexec_b64 s[4:5], s[2:3]
	s_cbranch_execz .LBB160_347
.LBB160_376:
	s_and_b64 vcc, exec, s[0:1]
	s_cbranch_vccnz .LBB160_378
; %bb.377:
	v_lshl_add_u64 v[0:1], v[14:15], 3, v[18:19]
	flat_load_dwordx2 v[0:1], v[0:1]
	s_waitcnt vmcnt(0) lgkmcnt(0)
	v_mul_f64 v[0:1], v[0:1], s[22:23]
	v_cvt_f32_f64_e32 v0, v[0:1]
	s_branch .LBB160_379
.LBB160_378:
	v_mov_b32_e32 v0, 0
.LBB160_379:
	v_max_f32_e32 v1, v78, v78
	v_max_f32_e32 v0, v0, v0
	v_min_f32_e32 v0, v0, v1
	v_cvt_f64_f32_e32 v[0:1], v0
	v_lshl_add_u64 v[2:3], v[14:15], 3, v[16:17]
	global_store_dwordx2 v[2:3], v[0:1], off
	s_endpgm
	.section	.rodata,"a",@progbits
	.p2align	6, 0x0
	.amdhsa_kernel _ZN12_GLOBAL__N_120geam_min_plus_kernelId15HIP_vector_typeIdLj2EEdLi32ELi8ELi256ELi64ELi4ELi64ELi4ELi4ELi64ELc78ELc78ELb1ELb1ELb1EdKddEEviiiT16_PT17_ilS6_ilS4_S6_ilPT18_ili26rocblas_geam_ex_operation_
		.amdhsa_group_segment_fixed_size 20480
		.amdhsa_private_segment_fixed_size 0
		.amdhsa_kernarg_size 136
		.amdhsa_user_sgpr_count 2
		.amdhsa_user_sgpr_dispatch_ptr 0
		.amdhsa_user_sgpr_queue_ptr 0
		.amdhsa_user_sgpr_kernarg_segment_ptr 1
		.amdhsa_user_sgpr_dispatch_id 0
		.amdhsa_user_sgpr_kernarg_preload_length 0
		.amdhsa_user_sgpr_kernarg_preload_offset 0
		.amdhsa_user_sgpr_private_segment_size 0
		.amdhsa_uses_dynamic_stack 0
		.amdhsa_enable_private_segment 0
		.amdhsa_system_sgpr_workgroup_id_x 1
		.amdhsa_system_sgpr_workgroup_id_y 0
		.amdhsa_system_sgpr_workgroup_id_z 1
		.amdhsa_system_sgpr_workgroup_info 0
		.amdhsa_system_vgpr_workitem_id 1
		.amdhsa_next_free_vgpr 158
		.amdhsa_next_free_sgpr 42
		.amdhsa_accum_offset 160
		.amdhsa_reserve_vcc 1
		.amdhsa_float_round_mode_32 0
		.amdhsa_float_round_mode_16_64 0
		.amdhsa_float_denorm_mode_32 3
		.amdhsa_float_denorm_mode_16_64 3
		.amdhsa_dx10_clamp 1
		.amdhsa_ieee_mode 1
		.amdhsa_fp16_overflow 0
		.amdhsa_tg_split 0
		.amdhsa_exception_fp_ieee_invalid_op 0
		.amdhsa_exception_fp_denorm_src 0
		.amdhsa_exception_fp_ieee_div_zero 0
		.amdhsa_exception_fp_ieee_overflow 0
		.amdhsa_exception_fp_ieee_underflow 0
		.amdhsa_exception_fp_ieee_inexact 0
		.amdhsa_exception_int_div_zero 0
	.end_amdhsa_kernel
	.section	.text._ZN12_GLOBAL__N_120geam_min_plus_kernelId15HIP_vector_typeIdLj2EEdLi32ELi8ELi256ELi64ELi4ELi64ELi4ELi4ELi64ELc78ELc78ELb1ELb1ELb1EdKddEEviiiT16_PT17_ilS6_ilS4_S6_ilPT18_ili26rocblas_geam_ex_operation_,"axG",@progbits,_ZN12_GLOBAL__N_120geam_min_plus_kernelId15HIP_vector_typeIdLj2EEdLi32ELi8ELi256ELi64ELi4ELi64ELi4ELi4ELi64ELc78ELc78ELb1ELb1ELb1EdKddEEviiiT16_PT17_ilS6_ilS4_S6_ilPT18_ili26rocblas_geam_ex_operation_,comdat
.Lfunc_end160:
	.size	_ZN12_GLOBAL__N_120geam_min_plus_kernelId15HIP_vector_typeIdLj2EEdLi32ELi8ELi256ELi64ELi4ELi64ELi4ELi4ELi64ELc78ELc78ELb1ELb1ELb1EdKddEEviiiT16_PT17_ilS6_ilS4_S6_ilPT18_ili26rocblas_geam_ex_operation_, .Lfunc_end160-_ZN12_GLOBAL__N_120geam_min_plus_kernelId15HIP_vector_typeIdLj2EEdLi32ELi8ELi256ELi64ELi4ELi64ELi4ELi4ELi64ELc78ELc78ELb1ELb1ELb1EdKddEEviiiT16_PT17_ilS6_ilS4_S6_ilPT18_ili26rocblas_geam_ex_operation_
                                        ; -- End function
	.section	.AMDGPU.csdata,"",@progbits
; Kernel info:
; codeLenInByte = 18584
; NumSgprs: 48
; NumVgprs: 158
; NumAgprs: 0
; TotalNumVgprs: 158
; ScratchSize: 0
; MemoryBound: 0
; FloatMode: 240
; IeeeMode: 1
; LDSByteSize: 20480 bytes/workgroup (compile time only)
; SGPRBlocks: 5
; VGPRBlocks: 19
; NumSGPRsForWavesPerEU: 48
; NumVGPRsForWavesPerEU: 158
; AccumOffset: 160
; Occupancy: 3
; WaveLimiterHint : 0
; COMPUTE_PGM_RSRC2:SCRATCH_EN: 0
; COMPUTE_PGM_RSRC2:USER_SGPR: 2
; COMPUTE_PGM_RSRC2:TRAP_HANDLER: 0
; COMPUTE_PGM_RSRC2:TGID_X_EN: 1
; COMPUTE_PGM_RSRC2:TGID_Y_EN: 0
; COMPUTE_PGM_RSRC2:TGID_Z_EN: 1
; COMPUTE_PGM_RSRC2:TIDIG_COMP_CNT: 1
; COMPUTE_PGM_RSRC3_GFX90A:ACCUM_OFFSET: 39
; COMPUTE_PGM_RSRC3_GFX90A:TG_SPLIT: 0
	.section	.text._ZN12_GLOBAL__N_120geam_min_plus_kernelId15HIP_vector_typeIdLj2EEdLi32ELi8ELi256ELi64ELi4ELi64ELi4ELi4ELi64ELc78ELc78ELb0ELb1ELb1EdKddEEviiiT16_PT17_ilS6_ilS4_S6_ilPT18_ili26rocblas_geam_ex_operation_,"axG",@progbits,_ZN12_GLOBAL__N_120geam_min_plus_kernelId15HIP_vector_typeIdLj2EEdLi32ELi8ELi256ELi64ELi4ELi64ELi4ELi4ELi64ELc78ELc78ELb0ELb1ELb1EdKddEEviiiT16_PT17_ilS6_ilS4_S6_ilPT18_ili26rocblas_geam_ex_operation_,comdat
	.globl	_ZN12_GLOBAL__N_120geam_min_plus_kernelId15HIP_vector_typeIdLj2EEdLi32ELi8ELi256ELi64ELi4ELi64ELi4ELi4ELi64ELc78ELc78ELb0ELb1ELb1EdKddEEviiiT16_PT17_ilS6_ilS4_S6_ilPT18_ili26rocblas_geam_ex_operation_ ; -- Begin function _ZN12_GLOBAL__N_120geam_min_plus_kernelId15HIP_vector_typeIdLj2EEdLi32ELi8ELi256ELi64ELi4ELi64ELi4ELi4ELi64ELc78ELc78ELb0ELb1ELb1EdKddEEviiiT16_PT17_ilS6_ilS4_S6_ilPT18_ili26rocblas_geam_ex_operation_
	.p2align	8
	.type	_ZN12_GLOBAL__N_120geam_min_plus_kernelId15HIP_vector_typeIdLj2EEdLi32ELi8ELi256ELi64ELi4ELi64ELi4ELi4ELi64ELc78ELc78ELb0ELb1ELb1EdKddEEviiiT16_PT17_ilS6_ilS4_S6_ilPT18_ili26rocblas_geam_ex_operation_,@function
_ZN12_GLOBAL__N_120geam_min_plus_kernelId15HIP_vector_typeIdLj2EEdLi32ELi8ELi256ELi64ELi4ELi64ELi4ELi4ELi64ELc78ELc78ELb0ELb1ELb1EdKddEEviiiT16_PT17_ilS6_ilS4_S6_ilPT18_ili26rocblas_geam_ex_operation_: ; @_ZN12_GLOBAL__N_120geam_min_plus_kernelId15HIP_vector_typeIdLj2EEdLi32ELi8ELi256ELi64ELi4ELi64ELi4ELi4ELi64ELc78ELc78ELb0ELb1ELb1EdKddEEviiiT16_PT17_ilS6_ilS4_S6_ilPT18_ili26rocblas_geam_ex_operation_
; %bb.0:
	s_load_dwordx4 s[28:31], s[0:1], 0x10
	s_load_dwordx4 s[4:7], s[0:1], 0x28
	s_mov_b64 s[36:37], 0
	s_waitcnt lgkmcnt(0)
	v_cmp_eq_f64_e64 s[8:9], s[28:29], 0
	s_and_b64 vcc, exec, s[8:9]
	s_cbranch_vccnz .LBB161_2
; %bb.1:
	s_mul_i32 s5, s3, s5
	s_mul_hi_u32 s10, s3, s4
	s_add_i32 s5, s10, s5
	s_mul_i32 s4, s3, s4
	s_lshl_b64 s[4:5], s[4:5], 3
	s_add_u32 s36, s30, s4
	s_addc_u32 s37, s31, s5
.LBB161_2:
	s_load_dwordx4 s[20:23], s[0:1], 0x40
	s_load_dwordx2 s[4:5], s[0:1], 0x50
	s_andn2_b64 vcc, exec, s[8:9]
	s_cbranch_vccnz .LBB161_4
; %bb.3:
	s_mov_b32 s31, 0
	s_mov_b64 s[38:39], 0
	s_cbranch_execz .LBB161_5
	s_branch .LBB161_6
.LBB161_4:
                                        ; implicit-def: $sgpr38_sgpr39
                                        ; implicit-def: $sgpr30_sgpr31
.LBB161_5:
	s_waitcnt lgkmcnt(0)
	s_mul_i32 s8, s3, s21
	s_mul_hi_u32 s9, s3, s20
	s_add_i32 s9, s9, s8
	s_mul_i32 s8, s3, s20
	s_lshl_b64 s[8:9], s[8:9], 3
	s_add_u32 s38, s6, s8
	s_mov_b32 s31, 0
	s_addc_u32 s39, s7, s9
.LBB161_6:
	s_load_dwordx4 s[16:19], s[0:1], 0x60
	s_waitcnt lgkmcnt(0)
	v_cmp_eq_f64_e64 s[6:7], s[22:23], 0
	s_mov_b64 s[20:21], 0
	v_cmp_neq_f64_e64 s[34:35], s[22:23], 0
	s_and_b64 vcc, exec, s[6:7]
	s_cbranch_vccnz .LBB161_8
; %bb.7:
	s_mul_i32 s6, s3, s17
	s_mul_hi_u32 s7, s3, s16
	s_add_i32 s6, s7, s6
	s_mul_i32 s7, s31, s16
	s_add_i32 s7, s6, s7
	s_mul_i32 s6, s3, s16
	s_lshl_b64 s[6:7], s[6:7], 3
	s_add_u32 s20, s4, s6
	s_addc_u32 s21, s5, s7
.LBB161_8:
	s_load_dwordx4 s[24:27], s[0:1], 0x0
	v_and_b32_e32 v131, 0x3ff, v0
	v_bfe_u32 v132, v0, 10, 10
	s_waitcnt lgkmcnt(0)
	s_load_dword s27, s[0:1], 0x20
	v_lshl_add_u32 v10, v132, 5, v131
	s_add_i32 s4, s24, -1
	s_ashr_i32 s5, s4, 31
	s_lshr_b32 s5, s5, 24
	s_add_i32 s4, s4, s5
	s_ashr_i32 s4, s4, 8
	s_add_i32 s5, s4, 1
	v_cvt_f32_u32_e32 v1, s5
	s_not_b32 s4, s4
	v_and_b32_e32 v72, 63, v10
	v_lshrrev_b32_e32 v144, 6, v10
	v_rcp_iflag_f32_e32 v0, v1
	v_cmp_le_i32_e32 vcc, s26, v144
	v_cmp_eq_f64_e64 s[16:17], s[28:29], 0
	v_mov_b32_e32 v2, 0x7fefffff
	v_mul_f32_e32 v0, 0x4f7ffffe, v0
	v_cvt_u32_f32_e32 v0, v0
	s_nop 0
	v_readfirstlane_b32 s6, v0
	s_mul_i32 s4, s4, s6
	s_mul_hi_u32 s4, s6, s4
	s_add_i32 s6, s6, s4
	s_mul_hi_u32 s4, s2, s6
	s_mul_i32 s6, s4, s5
	s_sub_i32 s6, s2, s6
	s_add_i32 s7, s4, 1
	s_sub_i32 s8, s6, s5
	s_cmp_ge_u32 s6, s5
	s_cselect_b32 s4, s7, s4
	s_cselect_b32 s6, s8, s6
	s_add_i32 s7, s4, 1
	s_cmp_ge_u32 s6, s5
	s_cselect_b32 s14, s7, s4
	s_mul_i32 s4, s14, s5
	s_sub_i32 s2, s2, s4
	s_add_i32 s33, s26, -1
	s_lshl_b32 s2, s2, 8
	v_min_i32_e32 v0, s33, v144
	v_or_b32_e32 v60, s2, v72
	s_waitcnt lgkmcnt(0)
	v_mad_i64_i32 v[0:1], s[4:5], s27, v0, 0
	v_cmp_le_i32_e64 s[12:13], s24, v60
	s_or_b64 s[4:5], s[12:13], vcc
	s_or_b64 s[6:7], s[16:17], s[4:5]
	v_lshl_add_u64 v[8:9], v[0:1], 3, s[36:37]
	v_cndmask_b32_e64 v1, 0, v2, s[4:5]
	s_xor_b64 s[6:7], s[6:7], -1
	v_cndmask_b32_e64 v0, 0, -1, s[4:5]
	v_ashrrev_i32_e32 v61, 31, v60
	s_and_saveexec_b64 s[4:5], s[6:7]
	s_cbranch_execz .LBB161_10
; %bb.9:
	v_lshl_add_u64 v[0:1], v[60:61], 3, v[8:9]
	flat_load_dwordx2 v[0:1], v[0:1]
	s_waitcnt vmcnt(0) lgkmcnt(0)
	v_mul_f64 v[0:1], v[0:1], s[28:29]
.LBB161_10:
	s_or_b64 exec, exec, s[4:5]
	v_or_b32_e32 v3, 64, v60
	v_cmp_le_i32_e64 s[4:5], s24, v3
	s_or_b64 s[6:7], s[4:5], vcc
	s_or_b64 s[8:9], s[16:17], s[6:7]
	v_cndmask_b32_e64 v3, 0, v2, s[6:7]
	s_xor_b64 s[8:9], s[8:9], -1
	v_cndmask_b32_e64 v2, 0, -1, s[6:7]
	s_and_saveexec_b64 s[6:7], s[8:9]
	s_cbranch_execz .LBB161_12
; %bb.11:
	v_lshl_add_u64 v[2:3], v[60:61], 3, v[8:9]
	flat_load_dwordx2 v[2:3], v[2:3] offset:512
	s_waitcnt vmcnt(0) lgkmcnt(0)
	v_mul_f64 v[2:3], v[2:3], s[28:29]
.LBB161_12:
	s_or_b64 exec, exec, s[6:7]
	v_or_b32_e32 v4, 0x80, v60
	v_cmp_le_i32_e64 s[6:7], s24, v4
	s_or_b64 s[8:9], s[6:7], vcc
	v_mov_b32_e32 v6, 0x7fefffff
	s_or_b64 s[10:11], s[16:17], s[8:9]
	v_cndmask_b32_e64 v5, 0, v6, s[8:9]
	s_xor_b64 s[10:11], s[10:11], -1
	v_cndmask_b32_e64 v4, 0, -1, s[8:9]
	s_and_saveexec_b64 s[8:9], s[10:11]
	s_cbranch_execz .LBB161_14
; %bb.13:
	v_lshl_add_u64 v[4:5], v[60:61], 3, v[8:9]
	flat_load_dwordx2 v[4:5], v[4:5] offset:1024
	s_waitcnt vmcnt(0) lgkmcnt(0)
	v_mul_f64 v[4:5], v[4:5], s[28:29]
.LBB161_14:
	s_or_b64 exec, exec, s[8:9]
	v_or_b32_e32 v7, 0xc0, v60
	v_cmp_le_i32_e64 s[8:9], s24, v7
	s_or_b64 vcc, s[8:9], vcc
	s_or_b64 s[10:11], s[16:17], vcc
	v_cndmask_b32_e32 v7, 0, v6, vcc
	s_xor_b64 s[40:41], s[10:11], -1
	v_cndmask_b32_e64 v6, 0, -1, vcc
	s_and_saveexec_b64 s[10:11], s[40:41]
	s_cbranch_execz .LBB161_16
; %bb.15:
	v_lshl_add_u64 v[6:7], v[60:61], 3, v[8:9]
	flat_load_dwordx2 v[6:7], v[6:7] offset:1536
	s_waitcnt vmcnt(0) lgkmcnt(0)
	v_mul_f64 v[6:7], v[6:7], s[28:29]
.LBB161_16:
	s_or_b64 exec, exec, s[10:11]
	v_lshrrev_b32_e32 v12, 2, v10
	s_lshl_b32 s30, s14, 6
	s_load_dword s42, s[0:1], 0x38
	v_and_b32_e32 v145, 3, v131
	v_add_u32_e32 v73, s30, v12
	v_cmp_le_i32_e32 vcc, s26, v145
	v_cmp_le_i32_e64 s[10:11], s25, v73
	s_or_b64 vcc, vcc, s[10:11]
	v_mov_b32_e32 v13, 0x7fefffff
	s_or_b64 s[14:15], s[16:17], vcc
	v_cndmask_b32_e32 v9, 0, v13, vcc
	s_xor_b64 s[40:41], s[14:15], -1
	v_cndmask_b32_e64 v8, 0, -1, vcc
	s_and_saveexec_b64 s[14:15], s[40:41]
	s_cbranch_execz .LBB161_18
; %bb.17:
	v_min_u32_e32 v10, s33, v145
	s_waitcnt lgkmcnt(0)
	v_mad_i64_i32 v[8:9], s[40:41], v73, s42, 0
	v_lshl_add_u64 v[8:9], v[8:9], 3, s[38:39]
	v_lshlrev_b32_e32 v10, 3, v10
	v_mov_b32_e32 v11, 0
	v_lshl_add_u64 v[8:9], v[8:9], 0, v[10:11]
	flat_load_dwordx2 v[8:9], v[8:9]
	s_waitcnt vmcnt(0) lgkmcnt(0)
	v_mul_f64 v[8:9], v[8:9], s[28:29]
.LBB161_18:
	s_or_b64 exec, exec, s[14:15]
	v_add_u32_e32 v10, 4, v144
	v_cmp_le_i32_e32 vcc, s26, v10
	v_min_i32_e32 v10, s33, v10
	v_mad_i64_i32 v[10:11], s[14:15], s27, v10, 0
	s_or_b64 s[14:15], s[12:13], vcc
	s_or_b64 s[40:41], s[16:17], s[14:15]
	v_lshl_add_u64 v[10:11], v[10:11], 3, s[36:37]
	v_cndmask_b32_e64 v63, 0, v13, s[14:15]
	s_xor_b64 s[40:41], s[40:41], -1
	v_cndmask_b32_e64 v62, 0, -1, s[14:15]
	s_and_saveexec_b64 s[14:15], s[40:41]
	s_cbranch_execz .LBB161_20
; %bb.19:
	v_lshl_add_u64 v[14:15], v[60:61], 3, v[10:11]
	flat_load_dwordx2 v[14:15], v[14:15]
	s_waitcnt vmcnt(0) lgkmcnt(0)
	v_mul_f64 v[62:63], v[14:15], s[28:29]
.LBB161_20:
	s_or_b64 exec, exec, s[14:15]
	s_or_b64 s[14:15], s[4:5], vcc
	v_mov_b32_e32 v13, 0x7fefffff
	s_or_b64 s[40:41], s[16:17], s[14:15]
	v_cndmask_b32_e64 v65, 0, v13, s[14:15]
	s_xor_b64 s[40:41], s[40:41], -1
	v_cndmask_b32_e64 v64, 0, -1, s[14:15]
	s_and_saveexec_b64 s[14:15], s[40:41]
	s_cbranch_execz .LBB161_22
; %bb.21:
	v_lshl_add_u64 v[14:15], v[60:61], 3, v[10:11]
	flat_load_dwordx2 v[14:15], v[14:15] offset:512
	s_waitcnt vmcnt(0) lgkmcnt(0)
	v_mul_f64 v[64:65], v[14:15], s[28:29]
.LBB161_22:
	s_or_b64 exec, exec, s[14:15]
	s_or_b64 s[14:15], s[6:7], vcc
	s_or_b64 s[40:41], s[16:17], s[14:15]
	v_cndmask_b32_e64 v67, 0, v13, s[14:15]
	s_xor_b64 s[40:41], s[40:41], -1
	v_cndmask_b32_e64 v66, 0, -1, s[14:15]
	s_and_saveexec_b64 s[14:15], s[40:41]
	s_cbranch_execz .LBB161_24
; %bb.23:
	v_lshl_add_u64 v[14:15], v[60:61], 3, v[10:11]
	flat_load_dwordx2 v[14:15], v[14:15] offset:1024
	s_waitcnt vmcnt(0) lgkmcnt(0)
	v_mul_f64 v[66:67], v[14:15], s[28:29]
.LBB161_24:
	s_or_b64 exec, exec, s[14:15]
	s_or_b64 vcc, s[8:9], vcc
	v_mov_b32_e32 v13, 0x7fefffff
	s_or_b64 s[14:15], s[16:17], vcc
	v_cndmask_b32_e32 v69, 0, v13, vcc
	s_xor_b64 s[40:41], s[14:15], -1
	v_cndmask_b32_e64 v68, 0, -1, vcc
	s_and_saveexec_b64 s[14:15], s[40:41]
	s_cbranch_execz .LBB161_26
; %bb.25:
	v_lshl_add_u64 v[10:11], v[60:61], 3, v[10:11]
	flat_load_dwordx2 v[10:11], v[10:11] offset:1536
	s_waitcnt vmcnt(0) lgkmcnt(0)
	v_mul_f64 v[68:69], v[10:11], s[28:29]
.LBB161_26:
	s_or_b64 exec, exec, s[14:15]
	v_or_b32_e32 v10, 4, v145
	v_cmp_le_i32_e32 vcc, s26, v10
	s_or_b64 vcc, vcc, s[10:11]
	s_or_b64 s[14:15], s[16:17], vcc
	v_cndmask_b32_e32 v71, 0, v13, vcc
	s_xor_b64 s[44:45], s[14:15], -1
	s_mov_b32 s40, 0
	v_cndmask_b32_e64 v70, 0, -1, vcc
	s_and_saveexec_b64 s[14:15], s[44:45]
	s_cbranch_execz .LBB161_28
; %bb.27:
	v_min_u32_e32 v13, s33, v10
	s_waitcnt lgkmcnt(0)
	v_mad_i64_i32 v[10:11], s[44:45], v73, s42, 0
	v_lshl_add_u64 v[10:11], v[10:11], 3, s[38:39]
	v_lshlrev_b32_e32 v14, 3, v13
	v_mov_b32_e32 v15, 0
	v_lshl_add_u64 v[10:11], v[10:11], 0, v[14:15]
	flat_load_dwordx2 v[10:11], v[10:11]
	s_waitcnt vmcnt(0) lgkmcnt(0)
	v_mul_f64 v[70:71], v[10:11], s[28:29]
.LBB161_28:
	s_or_b64 exec, exec, s[14:15]
	v_lshlrev_b32_e32 v10, 3, v144
	v_lshl_add_u32 v146, v72, 5, v10
	ds_write2st64_b64 v146, v[0:1], v[2:3] offset1:4
	ds_write2st64_b64 v146, v[4:5], v[6:7] offset0:8 offset1:12
	v_lshlrev_b32_e32 v0, 3, v145
	v_lshl_or_b32 v74, v12, 5, v0
	v_add_u32_e32 v147, 0x4000, v74
	s_mov_b64 s[14:15], -1
	v_mov_b32_e32 v78, 0x7f800000
	v_mov_b32_e32 v79, 0x7f800000
	;; [unrolled: 1-line block ×64, first 2 shown]
	ds_write_b64 v74, v[8:9] offset:16384
	s_waitcnt lgkmcnt(0)
	s_barrier
.LBB161_29:                             ; =>This Inner Loop Header: Depth=1
	v_cndmask_b32_e64 v0, 0, 1, s[14:15]
	s_lshl_b32 s14, s40, 3
	v_cmp_ne_u32_e32 vcc, 1, v0
	v_lshl_add_u32 v0, v131, 5, s14
	v_lshl_add_u32 v20, v132, 5, s14
	ds_read_b128 v[32:35], v0
	ds_read_b128 v[28:31], v0 offset:1024
	ds_read_b128 v[24:27], v0 offset:2048
	;; [unrolled: 1-line block ×15, first 2 shown]
	s_waitcnt lgkmcnt(7)
	v_add_f64 v[76:77], v[34:35], v[150:151]
	v_add_f64 v[152:153], v[32:33], v[148:149]
	v_cvt_f32_f64_e32 v75, v[152:153]
	v_cvt_f32_f64_e32 v76, v[76:77]
	v_min3_f32 v143, v75, v76, v143
	v_add_f64 v[76:77], v[30:31], v[150:151]
	v_add_f64 v[152:153], v[28:29], v[148:149]
	v_cvt_f32_f64_e32 v75, v[152:153]
	v_cvt_f32_f64_e32 v76, v[76:77]
	v_min3_f32 v142, v75, v76, v142
	;; [unrolled: 5-line block ×8, first 2 shown]
	s_waitcnt lgkmcnt(6)
	v_add_f64 v[76:77], v[34:35], v[58:59]
	v_add_f64 v[148:149], v[32:33], v[56:57]
	v_cvt_f32_f64_e32 v75, v[148:149]
	v_cvt_f32_f64_e32 v76, v[76:77]
	v_min3_f32 v135, v75, v76, v135
	v_add_f64 v[76:77], v[30:31], v[58:59]
	v_add_f64 v[148:149], v[28:29], v[56:57]
	v_cvt_f32_f64_e32 v75, v[148:149]
	v_cvt_f32_f64_e32 v76, v[76:77]
	v_min3_f32 v134, v75, v76, v134
	v_add_f64 v[76:77], v[26:27], v[58:59]
	v_add_f64 v[148:149], v[24:25], v[56:57]
	v_cvt_f32_f64_e32 v75, v[148:149]
	v_cvt_f32_f64_e32 v76, v[76:77]
	v_min3_f32 v133, v75, v76, v133
	v_add_f64 v[76:77], v[18:19], v[58:59]
	v_add_f64 v[148:149], v[16:17], v[56:57]
	v_cvt_f32_f64_e32 v75, v[148:149]
	v_cvt_f32_f64_e32 v76, v[76:77]
	v_min3_f32 v130, v75, v76, v130
	v_add_f64 v[76:77], v[14:15], v[58:59]
	v_add_f64 v[148:149], v[12:13], v[56:57]
	v_cvt_f32_f64_e32 v75, v[148:149]
	v_cvt_f32_f64_e32 v76, v[76:77]
	v_min3_f32 v129, v75, v76, v129
	v_add_f64 v[76:77], v[10:11], v[58:59]
	v_add_f64 v[148:149], v[8:9], v[56:57]
	v_cvt_f32_f64_e32 v75, v[148:149]
	v_cvt_f32_f64_e32 v76, v[76:77]
	v_min3_f32 v128, v75, v76, v128
	v_add_f64 v[76:77], v[6:7], v[58:59]
	v_add_f64 v[148:149], v[4:5], v[56:57]
	v_add_f64 v[58:59], v[2:3], v[58:59]
	v_add_f64 v[56:57], v[0:1], v[56:57]
	v_cvt_f32_f64_e32 v56, v[56:57]
	v_cvt_f32_f64_e32 v57, v[58:59]
	v_min3_f32 v126, v56, v57, v126
	s_waitcnt lgkmcnt(5)
	v_add_f64 v[56:57], v[34:35], v[54:55]
	v_add_f64 v[58:59], v[32:33], v[52:53]
	v_cvt_f32_f64_e32 v58, v[58:59]
	v_cvt_f32_f64_e32 v56, v[56:57]
	v_min3_f32 v125, v58, v56, v125
	v_add_f64 v[56:57], v[30:31], v[54:55]
	v_add_f64 v[58:59], v[28:29], v[52:53]
	v_cvt_f32_f64_e32 v58, v[58:59]
	v_cvt_f32_f64_e32 v56, v[56:57]
	v_min3_f32 v124, v58, v56, v124
	v_add_f64 v[56:57], v[26:27], v[54:55]
	v_add_f64 v[58:59], v[24:25], v[52:53]
	v_cvt_f32_f64_e32 v58, v[58:59]
	v_cvt_f32_f64_e32 v56, v[56:57]
	v_min3_f32 v123, v58, v56, v123
	v_add_f64 v[56:57], v[18:19], v[54:55]
	v_add_f64 v[58:59], v[16:17], v[52:53]
	v_cvt_f32_f64_e32 v58, v[58:59]
	v_cvt_f32_f64_e32 v56, v[56:57]
	v_min3_f32 v122, v58, v56, v122
	v_add_f64 v[56:57], v[14:15], v[54:55]
	v_add_f64 v[58:59], v[12:13], v[52:53]
	v_cvt_f32_f64_e32 v58, v[58:59]
	v_cvt_f32_f64_e32 v56, v[56:57]
	v_min3_f32 v121, v58, v56, v121
	v_add_f64 v[56:57], v[10:11], v[54:55]
	v_add_f64 v[58:59], v[8:9], v[52:53]
	v_cvt_f32_f64_e32 v58, v[58:59]
	v_cvt_f32_f64_e32 v56, v[56:57]
	v_min3_f32 v120, v58, v56, v120
	v_add_f64 v[56:57], v[6:7], v[54:55]
	v_add_f64 v[58:59], v[4:5], v[52:53]
	v_add_f64 v[54:55], v[2:3], v[54:55]
	v_add_f64 v[52:53], v[0:1], v[52:53]
	v_cvt_f32_f64_e32 v52, v[52:53]
	v_cvt_f32_f64_e32 v53, v[54:55]
	v_min3_f32 v118, v52, v53, v118
	s_waitcnt lgkmcnt(4)
	v_add_f64 v[52:53], v[34:35], v[50:51]
	v_add_f64 v[54:55], v[32:33], v[48:49]
	v_cvt_f32_f64_e32 v54, v[54:55]
	v_cvt_f32_f64_e32 v52, v[52:53]
	v_min3_f32 v117, v54, v52, v117
	v_add_f64 v[52:53], v[30:31], v[50:51]
	v_add_f64 v[54:55], v[28:29], v[48:49]
	v_cvt_f32_f64_e32 v54, v[54:55]
	v_cvt_f32_f64_e32 v52, v[52:53]
	v_min3_f32 v116, v54, v52, v116
	v_add_f64 v[52:53], v[26:27], v[50:51]
	v_add_f64 v[54:55], v[24:25], v[48:49]
	v_cvt_f32_f64_e32 v54, v[54:55]
	v_cvt_f32_f64_e32 v52, v[52:53]
	v_min3_f32 v115, v54, v52, v115
	v_add_f64 v[52:53], v[18:19], v[50:51]
	v_add_f64 v[54:55], v[16:17], v[48:49]
	v_cvt_f32_f64_e32 v54, v[54:55]
	v_cvt_f32_f64_e32 v52, v[52:53]
	v_min3_f32 v114, v54, v52, v114
	v_add_f64 v[52:53], v[14:15], v[50:51]
	v_add_f64 v[54:55], v[12:13], v[48:49]
	v_cvt_f32_f64_e32 v54, v[54:55]
	v_cvt_f32_f64_e32 v52, v[52:53]
	v_min3_f32 v113, v54, v52, v113
	v_add_f64 v[52:53], v[10:11], v[50:51]
	v_add_f64 v[54:55], v[8:9], v[48:49]
	v_cvt_f32_f64_e32 v54, v[54:55]
	v_cvt_f32_f64_e32 v52, v[52:53]
	v_min3_f32 v112, v54, v52, v112
	v_add_f64 v[52:53], v[6:7], v[50:51]
	v_add_f64 v[54:55], v[4:5], v[48:49]
	v_add_f64 v[50:51], v[2:3], v[50:51]
	v_add_f64 v[48:49], v[0:1], v[48:49]
	v_cvt_f32_f64_e32 v48, v[48:49]
	v_cvt_f32_f64_e32 v49, v[50:51]
	v_min3_f32 v110, v48, v49, v110
	s_waitcnt lgkmcnt(3)
	v_add_f64 v[48:49], v[34:35], v[46:47]
	v_add_f64 v[50:51], v[32:33], v[44:45]
	v_cvt_f32_f64_e32 v50, v[50:51]
	v_cvt_f32_f64_e32 v48, v[48:49]
	v_min3_f32 v109, v50, v48, v109
	v_add_f64 v[48:49], v[30:31], v[46:47]
	v_add_f64 v[50:51], v[28:29], v[44:45]
	v_cvt_f32_f64_e32 v50, v[50:51]
	v_cvt_f32_f64_e32 v48, v[48:49]
	v_min3_f32 v108, v50, v48, v108
	v_add_f64 v[48:49], v[26:27], v[46:47]
	v_add_f64 v[50:51], v[24:25], v[44:45]
	v_cvt_f32_f64_e32 v50, v[50:51]
	v_cvt_f32_f64_e32 v48, v[48:49]
	v_min3_f32 v107, v50, v48, v107
	v_add_f64 v[48:49], v[18:19], v[46:47]
	v_add_f64 v[50:51], v[16:17], v[44:45]
	v_cvt_f32_f64_e32 v50, v[50:51]
	v_cvt_f32_f64_e32 v48, v[48:49]
	v_min3_f32 v106, v50, v48, v106
	v_add_f64 v[48:49], v[14:15], v[46:47]
	v_add_f64 v[50:51], v[12:13], v[44:45]
	v_cvt_f32_f64_e32 v50, v[50:51]
	v_cvt_f32_f64_e32 v48, v[48:49]
	v_min3_f32 v105, v50, v48, v105
	v_add_f64 v[48:49], v[10:11], v[46:47]
	v_add_f64 v[50:51], v[8:9], v[44:45]
	v_cvt_f32_f64_e32 v50, v[50:51]
	v_cvt_f32_f64_e32 v48, v[48:49]
	v_min3_f32 v104, v50, v48, v104
	v_add_f64 v[48:49], v[6:7], v[46:47]
	v_add_f64 v[50:51], v[4:5], v[44:45]
	v_add_f64 v[46:47], v[2:3], v[46:47]
	v_add_f64 v[44:45], v[0:1], v[44:45]
	v_cvt_f32_f64_e32 v44, v[44:45]
	v_cvt_f32_f64_e32 v45, v[46:47]
	v_min3_f32 v102, v44, v45, v102
	s_waitcnt lgkmcnt(2)
	v_add_f64 v[44:45], v[34:35], v[42:43]
	v_add_f64 v[46:47], v[32:33], v[40:41]
	v_cvt_f32_f64_e32 v46, v[46:47]
	v_cvt_f32_f64_e32 v44, v[44:45]
	v_min3_f32 v101, v46, v44, v101
	v_add_f64 v[44:45], v[30:31], v[42:43]
	v_add_f64 v[46:47], v[28:29], v[40:41]
	v_cvt_f32_f64_e32 v46, v[46:47]
	v_cvt_f32_f64_e32 v44, v[44:45]
	v_min3_f32 v100, v46, v44, v100
	v_add_f64 v[44:45], v[26:27], v[42:43]
	v_add_f64 v[46:47], v[24:25], v[40:41]
	v_cvt_f32_f64_e32 v46, v[46:47]
	v_cvt_f32_f64_e32 v44, v[44:45]
	v_min3_f32 v99, v46, v44, v99
	v_add_f64 v[44:45], v[18:19], v[42:43]
	v_add_f64 v[46:47], v[16:17], v[40:41]
	v_cvt_f32_f64_e32 v46, v[46:47]
	v_cvt_f32_f64_e32 v44, v[44:45]
	v_min3_f32 v98, v46, v44, v98
	v_add_f64 v[44:45], v[14:15], v[42:43]
	v_add_f64 v[46:47], v[12:13], v[40:41]
	v_cvt_f32_f64_e32 v46, v[46:47]
	v_cvt_f32_f64_e32 v44, v[44:45]
	v_min3_f32 v97, v46, v44, v97
	v_add_f64 v[44:45], v[10:11], v[42:43]
	v_add_f64 v[46:47], v[8:9], v[40:41]
	v_cvt_f32_f64_e32 v46, v[46:47]
	v_cvt_f32_f64_e32 v44, v[44:45]
	v_min3_f32 v96, v46, v44, v96
	v_add_f64 v[44:45], v[6:7], v[42:43]
	v_add_f64 v[46:47], v[4:5], v[40:41]
	v_add_f64 v[42:43], v[2:3], v[42:43]
	v_add_f64 v[40:41], v[0:1], v[40:41]
	v_cvt_f32_f64_e32 v40, v[40:41]
	v_cvt_f32_f64_e32 v41, v[42:43]
	v_min3_f32 v94, v40, v41, v94
	s_waitcnt lgkmcnt(1)
	v_add_f64 v[40:41], v[34:35], v[38:39]
	v_add_f64 v[42:43], v[32:33], v[36:37]
	v_cvt_f32_f64_e32 v42, v[42:43]
	v_cvt_f32_f64_e32 v40, v[40:41]
	v_min3_f32 v93, v42, v40, v93
	v_add_f64 v[40:41], v[30:31], v[38:39]
	v_add_f64 v[42:43], v[28:29], v[36:37]
	v_cvt_f32_f64_e32 v42, v[42:43]
	v_cvt_f32_f64_e32 v40, v[40:41]
	v_min3_f32 v92, v42, v40, v92
	v_add_f64 v[40:41], v[26:27], v[38:39]
	v_add_f64 v[42:43], v[24:25], v[36:37]
	v_cvt_f32_f64_e32 v42, v[42:43]
	v_cvt_f32_f64_e32 v40, v[40:41]
	v_min3_f32 v91, v42, v40, v91
	v_add_f64 v[40:41], v[18:19], v[38:39]
	v_add_f64 v[42:43], v[16:17], v[36:37]
	v_cvt_f32_f64_e32 v42, v[42:43]
	v_cvt_f32_f64_e32 v40, v[40:41]
	v_min3_f32 v90, v42, v40, v90
	v_add_f64 v[40:41], v[14:15], v[38:39]
	v_add_f64 v[42:43], v[12:13], v[36:37]
	v_cvt_f32_f64_e32 v42, v[42:43]
	v_cvt_f32_f64_e32 v40, v[40:41]
	v_min3_f32 v89, v42, v40, v89
	v_add_f64 v[40:41], v[10:11], v[38:39]
	v_add_f64 v[42:43], v[8:9], v[36:37]
	v_cvt_f32_f64_e32 v42, v[42:43]
	v_cvt_f32_f64_e32 v40, v[40:41]
	v_min3_f32 v88, v42, v40, v88
	v_add_f64 v[40:41], v[6:7], v[38:39]
	v_add_f64 v[42:43], v[4:5], v[36:37]
	;; [unrolled: 1-line block ×4, first 2 shown]
	s_waitcnt lgkmcnt(0)
	v_add_f64 v[34:35], v[34:35], v[22:23]
	v_add_f64 v[32:33], v[32:33], v[20:21]
	;; [unrolled: 1-line block ×16, first 2 shown]
	v_cvt_f32_f64_e32 v75, v[148:149]
	v_cvt_f32_f64_e32 v76, v[76:77]
	;; [unrolled: 1-line block ×30, first 2 shown]
	v_min3_f32 v127, v75, v76, v127
	v_min3_f32 v119, v58, v56, v119
	;; [unrolled: 1-line block ×15, first 2 shown]
	s_mov_b32 s40, 2
	s_mov_b64 s[14:15], 0
	s_cbranch_vccz .LBB161_29
; %bb.30:
	v_lshlrev_b32_e32 v0, 5, v72
	v_lshl_add_u32 v0, v144, 3, v0
	s_cmp_gt_i32 s26, 8
	s_mov_b32 s40, 8
	ds_write2st64_b64 v0, v[62:63], v[64:65] offset0:16 offset1:20
	ds_write2st64_b64 v0, v[66:67], v[68:69] offset0:24 offset1:28
	ds_write_b64 v74, v[70:71] offset:18432
	s_waitcnt lgkmcnt(0)
	s_barrier
	s_cbranch_scc0 .LBB161_57
; %bb.31:
	v_add_u32_e32 v148, 0x2000, v0
	v_mad_i64_i32 v[0:1], s[14:15], v73, s42, 0
	v_lshl_add_u64 v[62:63], v[0:1], 3, s[38:39]
	v_add_u32_e32 v149, 0x4800, v74
	s_add_i32 s41, s26, -8
	v_lshl_add_u64 v[64:65], v[62:63], 0, 32
	s_mov_b32 s38, 0
	v_mov_b32_e32 v150, 0x7fefffff
	v_mov_b32_e32 v67, 0
.LBB161_32:                             ; =>This Loop Header: Depth=1
                                        ;     Child Loop BB161_43 Depth 2
                                        ;     Child Loop BB161_55 Depth 2
	v_add_u32_e32 v0, s40, v144
	v_cmp_le_i32_e32 vcc, s26, v0
	v_min_i32_e32 v0, s33, v0
	v_mad_i64_i32 v[0:1], s[14:15], v0, s27, 0
	s_or_b64 s[14:15], s[12:13], vcc
	v_lshl_add_u64 v[0:1], v[0:1], 3, s[36:37]
	s_or_b64 s[42:43], s[16:17], s[14:15]
	v_cndmask_b32_e64 v69, 0, v150, s[14:15]
	s_xor_b64 s[42:43], s[42:43], -1
	v_cndmask_b32_e64 v68, 0, -1, s[14:15]
	v_lshl_add_u64 v[0:1], v[60:61], 3, v[0:1]
	s_and_saveexec_b64 s[14:15], s[42:43]
	s_cbranch_execz .LBB161_34
; %bb.33:                               ;   in Loop: Header=BB161_32 Depth=1
	flat_load_dwordx2 v[2:3], v[0:1]
	s_waitcnt vmcnt(0) lgkmcnt(0)
	v_mul_f64 v[68:69], v[2:3], s[28:29]
.LBB161_34:                             ;   in Loop: Header=BB161_32 Depth=1
	s_or_b64 exec, exec, s[14:15]
	s_or_b64 s[14:15], s[4:5], vcc
	s_or_b64 s[42:43], s[16:17], s[14:15]
	v_cndmask_b32_e64 v71, 0, v150, s[14:15]
	s_xor_b64 s[42:43], s[42:43], -1
	v_cndmask_b32_e64 v70, 0, -1, s[14:15]
	s_and_saveexec_b64 s[14:15], s[42:43]
	s_cbranch_execz .LBB161_36
; %bb.35:                               ;   in Loop: Header=BB161_32 Depth=1
	flat_load_dwordx2 v[2:3], v[0:1] offset:512
	s_waitcnt vmcnt(0) lgkmcnt(0)
	v_mul_f64 v[70:71], v[2:3], s[28:29]
.LBB161_36:                             ;   in Loop: Header=BB161_32 Depth=1
	s_or_b64 exec, exec, s[14:15]
	s_or_b64 s[14:15], s[6:7], vcc
	s_or_b64 s[42:43], s[16:17], s[14:15]
	v_cndmask_b32_e64 v73, 0, v150, s[14:15]
	s_xor_b64 s[42:43], s[42:43], -1
	v_cndmask_b32_e64 v72, 0, -1, s[14:15]
	s_and_saveexec_b64 s[14:15], s[42:43]
	s_cbranch_execz .LBB161_38
; %bb.37:                               ;   in Loop: Header=BB161_32 Depth=1
	flat_load_dwordx2 v[2:3], v[0:1] offset:1024
	s_waitcnt vmcnt(0) lgkmcnt(0)
	v_mul_f64 v[72:73], v[2:3], s[28:29]
.LBB161_38:                             ;   in Loop: Header=BB161_32 Depth=1
	s_or_b64 exec, exec, s[14:15]
	s_or_b64 vcc, s[8:9], vcc
	s_or_b64 s[14:15], s[16:17], vcc
	v_cndmask_b32_e32 v75, 0, v150, vcc
	s_xor_b64 s[42:43], s[14:15], -1
	v_cndmask_b32_e64 v74, 0, -1, vcc
	s_and_saveexec_b64 s[14:15], s[42:43]
	s_cbranch_execz .LBB161_40
; %bb.39:                               ;   in Loop: Header=BB161_32 Depth=1
	flat_load_dwordx2 v[0:1], v[0:1] offset:1536
	s_waitcnt vmcnt(0) lgkmcnt(0)
	v_mul_f64 v[74:75], v[0:1], s[28:29]
.LBB161_40:                             ;   in Loop: Header=BB161_32 Depth=1
	s_or_b64 exec, exec, s[14:15]
	v_or_b32_e32 v66, s40, v145
	v_cmp_le_i32_e32 vcc, s26, v66
	s_or_b64 vcc, vcc, s[10:11]
	s_or_b64 s[14:15], s[16:17], vcc
	v_cndmask_b32_e32 v77, 0, v150, vcc
	s_xor_b64 s[42:43], s[14:15], -1
	v_cndmask_b32_e64 v76, 0, -1, vcc
	s_and_saveexec_b64 s[14:15], s[42:43]
	s_cbranch_execz .LBB161_42
; %bb.41:                               ;   in Loop: Header=BB161_32 Depth=1
	v_lshl_add_u64 v[0:1], v[66:67], 3, v[62:63]
	flat_load_dwordx2 v[0:1], v[0:1]
	s_waitcnt vmcnt(0) lgkmcnt(0)
	v_mul_f64 v[76:77], v[0:1], s[28:29]
.LBB161_42:                             ;   in Loop: Header=BB161_32 Depth=1
	s_or_b64 exec, exec, s[14:15]
	s_mov_b32 s39, 0
	s_mov_b64 s[14:15], -1
.LBB161_43:                             ;   Parent Loop BB161_32 Depth=1
                                        ; =>  This Inner Loop Header: Depth=2
	v_cndmask_b32_e64 v0, 0, 1, s[14:15]
	s_lshl_b32 s14, s39, 3
	v_cmp_ne_u32_e32 vcc, 1, v0
	v_lshl_add_u32 v0, v131, 5, s14
	v_lshl_add_u32 v20, v132, 5, s14
	ds_read_b128 v[32:35], v0 offset:8192
	ds_read_b128 v[28:31], v0 offset:9216
	;; [unrolled: 1-line block ×16, first 2 shown]
	s_waitcnt lgkmcnt(7)
	v_add_f64 v[156:157], v[34:35], v[154:155]
	v_add_f64 v[158:159], v[32:33], v[152:153]
	v_cvt_f32_f64_e32 v151, v[158:159]
	v_cvt_f32_f64_e32 v156, v[156:157]
	v_min3_f32 v143, v151, v156, v143
	v_add_f64 v[156:157], v[30:31], v[154:155]
	v_add_f64 v[158:159], v[28:29], v[152:153]
	v_cvt_f32_f64_e32 v151, v[158:159]
	v_cvt_f32_f64_e32 v156, v[156:157]
	v_min3_f32 v142, v151, v156, v142
	v_add_f64 v[156:157], v[26:27], v[154:155]
	v_add_f64 v[158:159], v[24:25], v[152:153]
	v_cvt_f32_f64_e32 v151, v[158:159]
	v_cvt_f32_f64_e32 v156, v[156:157]
	v_min3_f32 v141, v151, v156, v141
	v_add_f64 v[156:157], v[18:19], v[154:155]
	v_add_f64 v[158:159], v[16:17], v[152:153]
	v_cvt_f32_f64_e32 v151, v[158:159]
	v_cvt_f32_f64_e32 v156, v[156:157]
	v_min3_f32 v140, v151, v156, v140
	v_add_f64 v[156:157], v[14:15], v[154:155]
	v_add_f64 v[158:159], v[12:13], v[152:153]
	v_cvt_f32_f64_e32 v151, v[158:159]
	v_cvt_f32_f64_e32 v156, v[156:157]
	v_min3_f32 v139, v151, v156, v139
	v_add_f64 v[156:157], v[10:11], v[154:155]
	v_add_f64 v[158:159], v[8:9], v[152:153]
	v_cvt_f32_f64_e32 v151, v[158:159]
	v_cvt_f32_f64_e32 v156, v[156:157]
	v_min3_f32 v138, v151, v156, v138
	v_add_f64 v[156:157], v[6:7], v[154:155]
	v_add_f64 v[158:159], v[4:5], v[152:153]
	v_cvt_f32_f64_e32 v151, v[158:159]
	v_cvt_f32_f64_e32 v156, v[156:157]
	v_add_f64 v[154:155], v[2:3], v[154:155]
	v_add_f64 v[152:153], v[0:1], v[152:153]
	v_min3_f32 v137, v151, v156, v137
	v_cvt_f32_f64_e32 v151, v[152:153]
	v_cvt_f32_f64_e32 v152, v[154:155]
	v_min3_f32 v136, v151, v152, v136
	s_waitcnt lgkmcnt(6)
	v_add_f64 v[152:153], v[34:35], v[58:59]
	v_add_f64 v[154:155], v[32:33], v[56:57]
	v_cvt_f32_f64_e32 v151, v[154:155]
	v_cvt_f32_f64_e32 v152, v[152:153]
	v_min3_f32 v135, v151, v152, v135
	v_add_f64 v[152:153], v[30:31], v[58:59]
	v_add_f64 v[154:155], v[28:29], v[56:57]
	v_cvt_f32_f64_e32 v151, v[154:155]
	v_cvt_f32_f64_e32 v152, v[152:153]
	v_min3_f32 v134, v151, v152, v134
	v_add_f64 v[152:153], v[26:27], v[58:59]
	v_add_f64 v[154:155], v[24:25], v[56:57]
	v_cvt_f32_f64_e32 v151, v[154:155]
	v_cvt_f32_f64_e32 v152, v[152:153]
	v_min3_f32 v133, v151, v152, v133
	v_add_f64 v[152:153], v[18:19], v[58:59]
	v_add_f64 v[154:155], v[16:17], v[56:57]
	v_cvt_f32_f64_e32 v151, v[154:155]
	v_cvt_f32_f64_e32 v152, v[152:153]
	v_min3_f32 v130, v151, v152, v130
	v_add_f64 v[152:153], v[14:15], v[58:59]
	v_add_f64 v[154:155], v[12:13], v[56:57]
	v_cvt_f32_f64_e32 v151, v[154:155]
	v_cvt_f32_f64_e32 v152, v[152:153]
	v_min3_f32 v129, v151, v152, v129
	v_add_f64 v[152:153], v[10:11], v[58:59]
	v_add_f64 v[154:155], v[8:9], v[56:57]
	v_cvt_f32_f64_e32 v151, v[154:155]
	v_cvt_f32_f64_e32 v152, v[152:153]
	v_min3_f32 v128, v151, v152, v128
	v_add_f64 v[152:153], v[6:7], v[58:59]
	v_add_f64 v[154:155], v[4:5], v[56:57]
	v_add_f64 v[58:59], v[2:3], v[58:59]
	v_add_f64 v[56:57], v[0:1], v[56:57]
	v_cvt_f32_f64_e32 v56, v[56:57]
	v_cvt_f32_f64_e32 v57, v[58:59]
	v_min3_f32 v126, v56, v57, v126
	s_waitcnt lgkmcnt(5)
	v_add_f64 v[56:57], v[34:35], v[54:55]
	v_add_f64 v[58:59], v[32:33], v[52:53]
	v_cvt_f32_f64_e32 v58, v[58:59]
	v_cvt_f32_f64_e32 v56, v[56:57]
	v_min3_f32 v125, v58, v56, v125
	v_add_f64 v[56:57], v[30:31], v[54:55]
	v_add_f64 v[58:59], v[28:29], v[52:53]
	v_cvt_f32_f64_e32 v58, v[58:59]
	v_cvt_f32_f64_e32 v56, v[56:57]
	v_min3_f32 v124, v58, v56, v124
	v_add_f64 v[56:57], v[26:27], v[54:55]
	v_add_f64 v[58:59], v[24:25], v[52:53]
	v_cvt_f32_f64_e32 v58, v[58:59]
	v_cvt_f32_f64_e32 v56, v[56:57]
	v_min3_f32 v123, v58, v56, v123
	v_add_f64 v[56:57], v[18:19], v[54:55]
	v_add_f64 v[58:59], v[16:17], v[52:53]
	v_cvt_f32_f64_e32 v58, v[58:59]
	v_cvt_f32_f64_e32 v56, v[56:57]
	v_min3_f32 v122, v58, v56, v122
	v_add_f64 v[56:57], v[14:15], v[54:55]
	v_add_f64 v[58:59], v[12:13], v[52:53]
	v_cvt_f32_f64_e32 v58, v[58:59]
	v_cvt_f32_f64_e32 v56, v[56:57]
	v_min3_f32 v121, v58, v56, v121
	v_add_f64 v[56:57], v[10:11], v[54:55]
	v_add_f64 v[58:59], v[8:9], v[52:53]
	v_cvt_f32_f64_e32 v58, v[58:59]
	v_cvt_f32_f64_e32 v56, v[56:57]
	v_min3_f32 v120, v58, v56, v120
	v_add_f64 v[56:57], v[6:7], v[54:55]
	v_add_f64 v[58:59], v[4:5], v[52:53]
	v_add_f64 v[54:55], v[2:3], v[54:55]
	v_add_f64 v[52:53], v[0:1], v[52:53]
	;; [unrolled: 38-line block ×6, first 2 shown]
	s_waitcnt lgkmcnt(0)
	v_add_f64 v[34:35], v[34:35], v[22:23]
	v_add_f64 v[32:33], v[32:33], v[20:21]
	;; [unrolled: 1-line block ×16, first 2 shown]
	v_cvt_f32_f64_e32 v151, v[154:155]
	v_cvt_f32_f64_e32 v152, v[152:153]
	;; [unrolled: 1-line block ×30, first 2 shown]
	v_min3_f32 v127, v151, v152, v127
	v_min3_f32 v119, v58, v56, v119
	;; [unrolled: 1-line block ×15, first 2 shown]
	s_mov_b32 s39, 2
	s_mov_b64 s[14:15], 0
	s_cbranch_vccz .LBB161_43
; %bb.44:                               ;   in Loop: Header=BB161_32 Depth=1
	v_add3_u32 v0, v144, s40, 4
	v_cmp_le_i32_e32 vcc, s26, v0
	v_min_i32_e32 v0, s33, v0
	v_mad_i64_i32 v[0:1], s[14:15], v0, s27, 0
	s_or_b64 s[14:15], s[12:13], vcc
	v_lshl_add_u64 v[0:1], v[0:1], 3, s[36:37]
	s_or_b64 s[42:43], s[16:17], s[14:15]
	ds_write2st64_b64 v146, v[68:69], v[70:71] offset1:4
	ds_write2st64_b64 v146, v[72:73], v[74:75] offset0:8 offset1:12
	ds_write_b64 v147, v[76:77]
	v_cndmask_b32_e64 v69, 0, v150, s[14:15]
	s_xor_b64 s[42:43], s[42:43], -1
	v_cndmask_b32_e64 v68, 0, -1, s[14:15]
	v_lshl_add_u64 v[0:1], v[60:61], 3, v[0:1]
	s_waitcnt lgkmcnt(0)
	s_barrier
	s_and_saveexec_b64 s[14:15], s[42:43]
	s_cbranch_execz .LBB161_46
; %bb.45:                               ;   in Loop: Header=BB161_32 Depth=1
	flat_load_dwordx2 v[2:3], v[0:1]
	s_waitcnt vmcnt(0) lgkmcnt(0)
	v_mul_f64 v[68:69], v[2:3], s[28:29]
.LBB161_46:                             ;   in Loop: Header=BB161_32 Depth=1
	s_or_b64 exec, exec, s[14:15]
	s_or_b64 s[14:15], s[4:5], vcc
	s_or_b64 s[42:43], s[16:17], s[14:15]
	v_cndmask_b32_e64 v71, 0, v150, s[14:15]
	s_xor_b64 s[42:43], s[42:43], -1
	v_cndmask_b32_e64 v70, 0, -1, s[14:15]
	s_and_saveexec_b64 s[14:15], s[42:43]
	s_cbranch_execz .LBB161_48
; %bb.47:                               ;   in Loop: Header=BB161_32 Depth=1
	flat_load_dwordx2 v[2:3], v[0:1] offset:512
	s_waitcnt vmcnt(0) lgkmcnt(0)
	v_mul_f64 v[70:71], v[2:3], s[28:29]
.LBB161_48:                             ;   in Loop: Header=BB161_32 Depth=1
	s_or_b64 exec, exec, s[14:15]
	s_or_b64 s[14:15], s[6:7], vcc
	s_or_b64 s[42:43], s[16:17], s[14:15]
	v_cndmask_b32_e64 v73, 0, v150, s[14:15]
	s_xor_b64 s[42:43], s[42:43], -1
	v_cndmask_b32_e64 v72, 0, -1, s[14:15]
	s_and_saveexec_b64 s[14:15], s[42:43]
	s_cbranch_execz .LBB161_50
; %bb.49:                               ;   in Loop: Header=BB161_32 Depth=1
	flat_load_dwordx2 v[2:3], v[0:1] offset:1024
	s_waitcnt vmcnt(0) lgkmcnt(0)
	v_mul_f64 v[72:73], v[2:3], s[28:29]
.LBB161_50:                             ;   in Loop: Header=BB161_32 Depth=1
	s_or_b64 exec, exec, s[14:15]
	s_or_b64 vcc, s[8:9], vcc
	s_or_b64 s[14:15], s[16:17], vcc
	v_cndmask_b32_e32 v75, 0, v150, vcc
	s_xor_b64 s[42:43], s[14:15], -1
	v_cndmask_b32_e64 v74, 0, -1, vcc
	s_and_saveexec_b64 s[14:15], s[42:43]
	s_cbranch_execz .LBB161_52
; %bb.51:                               ;   in Loop: Header=BB161_32 Depth=1
	flat_load_dwordx2 v[0:1], v[0:1] offset:1536
	s_waitcnt vmcnt(0) lgkmcnt(0)
	v_mul_f64 v[74:75], v[0:1], s[28:29]
.LBB161_52:                             ;   in Loop: Header=BB161_32 Depth=1
	s_or_b64 exec, exec, s[14:15]
	v_or_b32_e32 v0, 4, v66
	v_cmp_le_i32_e32 vcc, s26, v0
	s_or_b64 vcc, vcc, s[10:11]
	s_or_b64 s[14:15], s[16:17], vcc
	v_cndmask_b32_e32 v77, 0, v150, vcc
	s_xor_b64 s[42:43], s[14:15], -1
	v_cndmask_b32_e64 v76, 0, -1, vcc
	s_and_saveexec_b64 s[14:15], s[42:43]
	s_cbranch_execz .LBB161_54
; %bb.53:                               ;   in Loop: Header=BB161_32 Depth=1
	v_lshl_add_u64 v[0:1], v[66:67], 3, v[64:65]
	flat_load_dwordx2 v[0:1], v[0:1]
	s_waitcnt vmcnt(0) lgkmcnt(0)
	v_mul_f64 v[76:77], v[0:1], s[28:29]
.LBB161_54:                             ;   in Loop: Header=BB161_32 Depth=1
	s_or_b64 exec, exec, s[14:15]
	s_mov_b32 s39, 0
	s_mov_b64 s[14:15], -1
.LBB161_55:                             ;   Parent Loop BB161_32 Depth=1
                                        ; =>  This Inner Loop Header: Depth=2
	v_cndmask_b32_e64 v0, 0, 1, s[14:15]
	s_lshl_b32 s14, s39, 3
	v_cmp_ne_u32_e32 vcc, 1, v0
	v_lshl_add_u32 v0, v131, 5, s14
	v_lshl_add_u32 v20, v132, 5, s14
	ds_read_b128 v[32:35], v0
	ds_read_b128 v[28:31], v0 offset:1024
	ds_read_b128 v[24:27], v0 offset:2048
	;; [unrolled: 1-line block ×15, first 2 shown]
	s_waitcnt lgkmcnt(7)
	v_add_f64 v[156:157], v[34:35], v[154:155]
	v_add_f64 v[158:159], v[32:33], v[152:153]
	v_cvt_f32_f64_e32 v66, v[158:159]
	v_cvt_f32_f64_e32 v151, v[156:157]
	v_add_f64 v[156:157], v[30:31], v[154:155]
	v_add_f64 v[158:159], v[28:29], v[152:153]
	v_min3_f32 v143, v66, v151, v143
	v_cvt_f32_f64_e32 v66, v[158:159]
	v_cvt_f32_f64_e32 v151, v[156:157]
	v_add_f64 v[156:157], v[26:27], v[154:155]
	v_add_f64 v[158:159], v[24:25], v[152:153]
	v_min3_f32 v142, v66, v151, v142
	;; [unrolled: 5-line block ×7, first 2 shown]
	v_cvt_f32_f64_e32 v66, v[152:153]
	v_cvt_f32_f64_e32 v151, v[154:155]
	s_waitcnt lgkmcnt(6)
	v_add_f64 v[152:153], v[34:35], v[58:59]
	v_add_f64 v[154:155], v[32:33], v[56:57]
	v_min3_f32 v136, v66, v151, v136
	v_cvt_f32_f64_e32 v66, v[154:155]
	v_cvt_f32_f64_e32 v151, v[152:153]
	v_add_f64 v[152:153], v[30:31], v[58:59]
	v_add_f64 v[154:155], v[28:29], v[56:57]
	v_min3_f32 v135, v66, v151, v135
	v_cvt_f32_f64_e32 v66, v[154:155]
	v_cvt_f32_f64_e32 v151, v[152:153]
	;; [unrolled: 5-line block ×6, first 2 shown]
	v_add_f64 v[152:153], v[6:7], v[58:59]
	v_add_f64 v[154:155], v[4:5], v[56:57]
	v_add_f64 v[58:59], v[2:3], v[58:59]
	v_add_f64 v[56:57], v[0:1], v[56:57]
	v_cvt_f32_f64_e32 v56, v[56:57]
	v_cvt_f32_f64_e32 v57, v[58:59]
	v_min3_f32 v126, v56, v57, v126
	s_waitcnt lgkmcnt(5)
	v_add_f64 v[56:57], v[34:35], v[54:55]
	v_add_f64 v[58:59], v[32:33], v[52:53]
	v_cvt_f32_f64_e32 v58, v[58:59]
	v_cvt_f32_f64_e32 v56, v[56:57]
	v_min3_f32 v125, v58, v56, v125
	v_add_f64 v[56:57], v[30:31], v[54:55]
	v_add_f64 v[58:59], v[28:29], v[52:53]
	v_cvt_f32_f64_e32 v58, v[58:59]
	v_cvt_f32_f64_e32 v56, v[56:57]
	v_min3_f32 v124, v58, v56, v124
	v_add_f64 v[56:57], v[26:27], v[54:55]
	v_add_f64 v[58:59], v[24:25], v[52:53]
	v_cvt_f32_f64_e32 v58, v[58:59]
	v_cvt_f32_f64_e32 v56, v[56:57]
	v_min3_f32 v123, v58, v56, v123
	v_add_f64 v[56:57], v[18:19], v[54:55]
	v_add_f64 v[58:59], v[16:17], v[52:53]
	v_cvt_f32_f64_e32 v58, v[58:59]
	v_cvt_f32_f64_e32 v56, v[56:57]
	v_min3_f32 v122, v58, v56, v122
	v_add_f64 v[56:57], v[14:15], v[54:55]
	v_add_f64 v[58:59], v[12:13], v[52:53]
	v_cvt_f32_f64_e32 v58, v[58:59]
	v_cvt_f32_f64_e32 v56, v[56:57]
	v_min3_f32 v121, v58, v56, v121
	v_add_f64 v[56:57], v[10:11], v[54:55]
	v_add_f64 v[58:59], v[8:9], v[52:53]
	v_cvt_f32_f64_e32 v58, v[58:59]
	v_cvt_f32_f64_e32 v56, v[56:57]
	v_min3_f32 v120, v58, v56, v120
	v_add_f64 v[56:57], v[6:7], v[54:55]
	v_add_f64 v[58:59], v[4:5], v[52:53]
	v_add_f64 v[54:55], v[2:3], v[54:55]
	v_add_f64 v[52:53], v[0:1], v[52:53]
	v_cvt_f32_f64_e32 v52, v[52:53]
	v_cvt_f32_f64_e32 v53, v[54:55]
	v_min3_f32 v118, v52, v53, v118
	s_waitcnt lgkmcnt(4)
	v_add_f64 v[52:53], v[34:35], v[50:51]
	v_add_f64 v[54:55], v[32:33], v[48:49]
	v_cvt_f32_f64_e32 v54, v[54:55]
	v_cvt_f32_f64_e32 v52, v[52:53]
	v_min3_f32 v117, v54, v52, v117
	v_add_f64 v[52:53], v[30:31], v[50:51]
	v_add_f64 v[54:55], v[28:29], v[48:49]
	v_cvt_f32_f64_e32 v54, v[54:55]
	v_cvt_f32_f64_e32 v52, v[52:53]
	v_min3_f32 v116, v54, v52, v116
	v_add_f64 v[52:53], v[26:27], v[50:51]
	v_add_f64 v[54:55], v[24:25], v[48:49]
	v_cvt_f32_f64_e32 v54, v[54:55]
	v_cvt_f32_f64_e32 v52, v[52:53]
	v_min3_f32 v115, v54, v52, v115
	v_add_f64 v[52:53], v[18:19], v[50:51]
	v_add_f64 v[54:55], v[16:17], v[48:49]
	v_cvt_f32_f64_e32 v54, v[54:55]
	v_cvt_f32_f64_e32 v52, v[52:53]
	v_min3_f32 v114, v54, v52, v114
	v_add_f64 v[52:53], v[14:15], v[50:51]
	v_add_f64 v[54:55], v[12:13], v[48:49]
	v_cvt_f32_f64_e32 v54, v[54:55]
	v_cvt_f32_f64_e32 v52, v[52:53]
	v_min3_f32 v113, v54, v52, v113
	v_add_f64 v[52:53], v[10:11], v[50:51]
	v_add_f64 v[54:55], v[8:9], v[48:49]
	v_cvt_f32_f64_e32 v54, v[54:55]
	v_cvt_f32_f64_e32 v52, v[52:53]
	v_min3_f32 v112, v54, v52, v112
	;; [unrolled: 38-line block ×5, first 2 shown]
	v_add_f64 v[40:41], v[6:7], v[38:39]
	v_add_f64 v[42:43], v[4:5], v[36:37]
	;; [unrolled: 1-line block ×4, first 2 shown]
	s_waitcnt lgkmcnt(0)
	v_add_f64 v[34:35], v[34:35], v[22:23]
	v_add_f64 v[32:33], v[32:33], v[20:21]
	;; [unrolled: 1-line block ×16, first 2 shown]
	v_min3_f32 v128, v66, v151, v128
	v_cvt_f32_f64_e32 v66, v[154:155]
	v_cvt_f32_f64_e32 v151, v[152:153]
	;; [unrolled: 1-line block ×30, first 2 shown]
	v_min3_f32 v127, v66, v151, v127
	v_min3_f32 v119, v58, v56, v119
	;; [unrolled: 1-line block ×15, first 2 shown]
	s_mov_b32 s39, 2
	s_mov_b64 s[14:15], 0
	s_cbranch_vccz .LBB161_55
; %bb.56:                               ;   in Loop: Header=BB161_32 Depth=1
	s_add_i32 s40, s40, 8
	s_add_i32 s38, s38, 8
	s_cmp_ge_i32 s38, s41
	ds_write2st64_b64 v148, v[68:69], v[70:71] offset1:4
	ds_write2st64_b64 v148, v[72:73], v[74:75] offset0:8 offset1:12
	ds_write_b64 v149, v[76:77]
	s_waitcnt lgkmcnt(0)
	s_barrier
	s_cbranch_scc0 .LBB161_32
.LBB161_57:
	s_mov_b32 s6, 0
	s_mov_b64 s[4:5], -1
.LBB161_58:                             ; =>This Inner Loop Header: Depth=1
	v_cndmask_b32_e64 v0, 0, 1, s[4:5]
	s_lshl_b32 s4, s6, 3
	v_cmp_ne_u32_e32 vcc, 1, v0
	v_lshl_add_u32 v0, v131, 5, s4
	v_lshl_add_u32 v20, v132, 5, s4
	ds_read_b128 v[32:35], v0 offset:8192
	ds_read_b128 v[28:31], v0 offset:9216
	;; [unrolled: 1-line block ×16, first 2 shown]
	s_waitcnt lgkmcnt(7)
	v_add_f64 v[64:65], v[34:35], v[62:63]
	v_add_f64 v[66:67], v[32:33], v[60:61]
	v_cvt_f32_f64_e32 v66, v[66:67]
	v_cvt_f32_f64_e32 v64, v[64:65]
	v_min3_f32 v143, v66, v64, v143
	v_add_f64 v[64:65], v[30:31], v[62:63]
	v_add_f64 v[66:67], v[28:29], v[60:61]
	v_cvt_f32_f64_e32 v66, v[66:67]
	v_cvt_f32_f64_e32 v64, v[64:65]
	v_min3_f32 v142, v66, v64, v142
	v_add_f64 v[64:65], v[26:27], v[62:63]
	v_add_f64 v[66:67], v[24:25], v[60:61]
	v_cvt_f32_f64_e32 v66, v[66:67]
	v_cvt_f32_f64_e32 v64, v[64:65]
	v_min3_f32 v141, v66, v64, v141
	v_add_f64 v[64:65], v[18:19], v[62:63]
	v_add_f64 v[66:67], v[16:17], v[60:61]
	v_cvt_f32_f64_e32 v66, v[66:67]
	v_cvt_f32_f64_e32 v64, v[64:65]
	v_min3_f32 v140, v66, v64, v140
	v_add_f64 v[64:65], v[14:15], v[62:63]
	v_add_f64 v[66:67], v[12:13], v[60:61]
	v_cvt_f32_f64_e32 v66, v[66:67]
	v_cvt_f32_f64_e32 v64, v[64:65]
	v_min3_f32 v139, v66, v64, v139
	v_add_f64 v[64:65], v[10:11], v[62:63]
	v_add_f64 v[66:67], v[8:9], v[60:61]
	v_cvt_f32_f64_e32 v66, v[66:67]
	v_cvt_f32_f64_e32 v64, v[64:65]
	v_min3_f32 v138, v66, v64, v138
	v_add_f64 v[64:65], v[6:7], v[62:63]
	v_add_f64 v[66:67], v[4:5], v[60:61]
	v_add_f64 v[62:63], v[2:3], v[62:63]
	v_add_f64 v[60:61], v[0:1], v[60:61]
	v_cvt_f32_f64_e32 v60, v[60:61]
	v_cvt_f32_f64_e32 v61, v[62:63]
	v_min3_f32 v136, v60, v61, v136
	s_waitcnt lgkmcnt(6)
	v_add_f64 v[60:61], v[34:35], v[58:59]
	v_add_f64 v[62:63], v[32:33], v[56:57]
	v_cvt_f32_f64_e32 v62, v[62:63]
	v_cvt_f32_f64_e32 v60, v[60:61]
	v_min3_f32 v135, v62, v60, v135
	v_add_f64 v[60:61], v[30:31], v[58:59]
	v_add_f64 v[62:63], v[28:29], v[56:57]
	v_cvt_f32_f64_e32 v62, v[62:63]
	v_cvt_f32_f64_e32 v60, v[60:61]
	v_min3_f32 v134, v62, v60, v134
	v_add_f64 v[60:61], v[26:27], v[58:59]
	v_add_f64 v[62:63], v[24:25], v[56:57]
	v_cvt_f32_f64_e32 v62, v[62:63]
	v_cvt_f32_f64_e32 v60, v[60:61]
	v_min3_f32 v133, v62, v60, v133
	v_add_f64 v[60:61], v[18:19], v[58:59]
	v_add_f64 v[62:63], v[16:17], v[56:57]
	v_cvt_f32_f64_e32 v62, v[62:63]
	v_cvt_f32_f64_e32 v60, v[60:61]
	v_min3_f32 v130, v62, v60, v130
	v_add_f64 v[60:61], v[14:15], v[58:59]
	v_add_f64 v[62:63], v[12:13], v[56:57]
	v_cvt_f32_f64_e32 v62, v[62:63]
	v_cvt_f32_f64_e32 v60, v[60:61]
	v_min3_f32 v129, v62, v60, v129
	v_add_f64 v[60:61], v[10:11], v[58:59]
	v_add_f64 v[62:63], v[8:9], v[56:57]
	v_cvt_f32_f64_e32 v62, v[62:63]
	v_cvt_f32_f64_e32 v60, v[60:61]
	v_min3_f32 v128, v62, v60, v128
	v_add_f64 v[60:61], v[6:7], v[58:59]
	v_add_f64 v[62:63], v[4:5], v[56:57]
	v_add_f64 v[58:59], v[2:3], v[58:59]
	v_add_f64 v[56:57], v[0:1], v[56:57]
	v_cvt_f32_f64_e32 v56, v[56:57]
	v_cvt_f32_f64_e32 v57, v[58:59]
	v_min3_f32 v126, v56, v57, v126
	;; [unrolled: 38-line block ×6, first 2 shown]
	s_waitcnt lgkmcnt(1)
	v_add_f64 v[40:41], v[34:35], v[38:39]
	v_add_f64 v[42:43], v[32:33], v[36:37]
	v_cvt_f32_f64_e32 v42, v[42:43]
	v_cvt_f32_f64_e32 v40, v[40:41]
	v_min3_f32 v93, v42, v40, v93
	v_add_f64 v[40:41], v[30:31], v[38:39]
	v_add_f64 v[42:43], v[28:29], v[36:37]
	v_cvt_f32_f64_e32 v42, v[42:43]
	v_cvt_f32_f64_e32 v40, v[40:41]
	v_min3_f32 v92, v42, v40, v92
	;; [unrolled: 5-line block ×6, first 2 shown]
	v_add_f64 v[40:41], v[6:7], v[38:39]
	v_add_f64 v[42:43], v[4:5], v[36:37]
	;; [unrolled: 1-line block ×4, first 2 shown]
	s_waitcnt lgkmcnt(0)
	v_add_f64 v[34:35], v[34:35], v[22:23]
	v_add_f64 v[32:33], v[32:33], v[20:21]
	;; [unrolled: 1-line block ×16, first 2 shown]
	v_cvt_f32_f64_e32 v66, v[66:67]
	v_cvt_f32_f64_e32 v64, v[64:65]
	v_cvt_f32_f64_e32 v62, v[62:63]
	v_cvt_f32_f64_e32 v60, v[60:61]
	v_cvt_f32_f64_e32 v58, v[58:59]
	v_cvt_f32_f64_e32 v56, v[56:57]
	v_cvt_f32_f64_e32 v54, v[54:55]
	v_cvt_f32_f64_e32 v52, v[52:53]
	v_cvt_f32_f64_e32 v50, v[50:51]
	v_cvt_f32_f64_e32 v48, v[48:49]
	v_cvt_f32_f64_e32 v46, v[46:47]
	v_cvt_f32_f64_e32 v44, v[44:45]
	v_cvt_f32_f64_e32 v42, v[42:43]
	v_cvt_f32_f64_e32 v40, v[40:41]
	v_cvt_f32_f64_e32 v36, v[36:37]
	v_cvt_f32_f64_e32 v37, v[38:39]
	v_cvt_f32_f64_e32 v32, v[32:33]
	v_cvt_f32_f64_e32 v33, v[34:35]
	v_cvt_f32_f64_e32 v28, v[28:29]
	v_cvt_f32_f64_e32 v29, v[30:31]
	v_cvt_f32_f64_e32 v24, v[24:25]
	v_cvt_f32_f64_e32 v25, v[26:27]
	v_cvt_f32_f64_e32 v16, v[16:17]
	v_cvt_f32_f64_e32 v17, v[18:19]
	v_cvt_f32_f64_e32 v12, v[12:13]
	v_cvt_f32_f64_e32 v13, v[14:15]
	v_cvt_f32_f64_e32 v8, v[8:9]
	v_cvt_f32_f64_e32 v9, v[10:11]
	v_cvt_f32_f64_e32 v4, v[4:5]
	v_cvt_f32_f64_e32 v5, v[6:7]
	v_cvt_f32_f64_e32 v0, v[0:1]
	v_cvt_f32_f64_e32 v1, v[2:3]
	v_min3_f32 v137, v66, v64, v137
	v_min3_f32 v127, v62, v60, v127
	;; [unrolled: 1-line block ×16, first 2 shown]
	s_mov_b32 s6, 2
	s_mov_b64 s[4:5], 0
	s_cbranch_vccz .LBB161_58
; %bb.59:
	s_load_dwordx2 s[4:5], s[0:1], 0x78
	s_load_dword s36, s[0:1], 0x58
	s_load_dword s33, s[0:1], 0x70
	v_add_u32_e32 v22, s30, v132
	v_add_u32_e32 v0, s2, v131
	s_waitcnt lgkmcnt(0)
	s_mul_i32 s0, s3, s5
	s_mul_hi_u32 s1, s3, s4
	s_mul_i32 s5, s31, s4
	s_add_i32 s0, s1, s0
	s_add_i32 s1, s0, s5
	s_mul_i32 s0, s3, s4
	s_lshl_b64 s[0:1], s[0:1], 3
	s_add_u32 s26, s18, s0
	s_addc_u32 s27, s19, s1
	v_mad_i64_i32 v[2:3], s[0:1], v22, s36, 0
	v_lshl_add_u64 v[18:19], v[2:3], 3, s[20:21]
	v_mad_i64_i32 v[2:3], s[0:1], v22, s33, 0
	v_cmp_gt_i32_e64 s[2:3], s24, v0
	v_cmp_gt_i32_e64 s[18:19], s25, v22
	v_lshl_add_u64 v[16:17], v[2:3], 3, s[26:27]
	v_cndmask_b32_e64 v2, 0, 1, s[34:35]
	v_ashrrev_i32_e32 v1, 31, v0
	s_and_b64 s[6:7], s[2:3], s[18:19]
	v_cmp_ne_u32_e64 s[0:1], 1, v2
	s_and_saveexec_b64 s[4:5], s[6:7]
	s_cbranch_execz .LBB161_64
; %bb.60:
	s_and_b64 vcc, exec, s[0:1]
	s_cbranch_vccnz .LBB161_62
; %bb.61:
	v_lshl_add_u64 v[2:3], v[0:1], 3, v[18:19]
	flat_load_dwordx2 v[2:3], v[2:3]
	s_waitcnt vmcnt(0) lgkmcnt(0)
	v_mul_f64 v[2:3], v[2:3], s[22:23]
	s_branch .LBB161_63
.LBB161_62:
	v_mov_b64_e32 v[2:3], 0
.LBB161_63:
	v_cvt_f32_f64_e32 v2, v[2:3]
	v_max_f32_e32 v3, v143, v143
	v_min_f32_e32 v2, v2, v3
	v_cvt_f64_f32_e32 v[2:3], v2
	v_lshl_add_u64 v[4:5], v[0:1], 3, v[16:17]
	global_store_dwordx2 v[4:5], v[2:3], off
.LBB161_64:
	s_or_b64 exec, exec, s[4:5]
	v_add_u32_e32 v2, 32, v0
	v_cmp_gt_i32_e64 s[4:5], s24, v2
	v_ashrrev_i32_e32 v3, 31, v2
	s_and_b64 s[8:9], s[4:5], s[18:19]
	s_and_saveexec_b64 s[6:7], s[8:9]
	s_cbranch_execz .LBB161_69
; %bb.65:
	s_and_b64 vcc, exec, s[0:1]
	s_cbranch_vccnz .LBB161_67
; %bb.66:
	v_lshl_add_u64 v[4:5], v[2:3], 3, v[18:19]
	flat_load_dwordx2 v[4:5], v[4:5]
	s_waitcnt vmcnt(0) lgkmcnt(0)
	v_mul_f64 v[4:5], v[4:5], s[22:23]
	s_branch .LBB161_68
.LBB161_67:
	v_mov_b64_e32 v[4:5], 0
.LBB161_68:
	v_cvt_f32_f64_e32 v4, v[4:5]
	v_max_f32_e32 v5, v142, v142
	v_min_f32_e32 v4, v4, v5
	v_cvt_f64_f32_e32 v[4:5], v4
	v_lshl_add_u64 v[6:7], v[2:3], 3, v[16:17]
	global_store_dwordx2 v[6:7], v[4:5], off
.LBB161_69:
	s_or_b64 exec, exec, s[6:7]
	v_add_u32_e32 v4, 64, v0
	v_cmp_gt_i32_e64 s[6:7], s24, v4
	v_ashrrev_i32_e32 v5, 31, v4
	s_and_b64 s[10:11], s[6:7], s[18:19]
	s_and_saveexec_b64 s[8:9], s[10:11]
	s_cbranch_execz .LBB161_74
; %bb.70:
	s_and_b64 vcc, exec, s[0:1]
	s_cbranch_vccnz .LBB161_72
; %bb.71:
	v_lshl_add_u64 v[6:7], v[4:5], 3, v[18:19]
	flat_load_dwordx2 v[6:7], v[6:7]
	s_waitcnt vmcnt(0) lgkmcnt(0)
	v_mul_f64 v[6:7], v[6:7], s[22:23]
	s_branch .LBB161_73
.LBB161_72:
	v_mov_b64_e32 v[6:7], 0
.LBB161_73:
	v_cvt_f32_f64_e32 v6, v[6:7]
	v_max_f32_e32 v7, v141, v141
	v_min_f32_e32 v6, v6, v7
	v_cvt_f64_f32_e32 v[6:7], v6
	v_lshl_add_u64 v[8:9], v[4:5], 3, v[16:17]
	global_store_dwordx2 v[8:9], v[6:7], off
.LBB161_74:
	s_or_b64 exec, exec, s[8:9]
	v_add_u32_e32 v6, 0x60, v0
	v_cmp_gt_i32_e64 s[8:9], s24, v6
	v_ashrrev_i32_e32 v7, 31, v6
	s_and_b64 s[12:13], s[8:9], s[18:19]
	s_and_saveexec_b64 s[10:11], s[12:13]
	s_cbranch_execz .LBB161_79
; %bb.75:
	s_and_b64 vcc, exec, s[0:1]
	s_cbranch_vccnz .LBB161_77
; %bb.76:
	v_lshl_add_u64 v[8:9], v[6:7], 3, v[18:19]
	flat_load_dwordx2 v[8:9], v[8:9]
	s_waitcnt vmcnt(0) lgkmcnt(0)
	v_mul_f64 v[8:9], v[8:9], s[22:23]
	s_branch .LBB161_78
.LBB161_77:
	v_mov_b64_e32 v[8:9], 0
.LBB161_78:
	v_cvt_f32_f64_e32 v8, v[8:9]
	v_max_f32_e32 v9, v140, v140
	v_min_f32_e32 v8, v8, v9
	v_cvt_f64_f32_e32 v[8:9], v8
	v_lshl_add_u64 v[10:11], v[6:7], 3, v[16:17]
	global_store_dwordx2 v[10:11], v[8:9], off
.LBB161_79:
	s_or_b64 exec, exec, s[10:11]
	v_add_u32_e32 v8, 0x80, v0
	v_cmp_gt_i32_e64 s[10:11], s24, v8
	v_ashrrev_i32_e32 v9, 31, v8
	s_and_b64 s[14:15], s[10:11], s[18:19]
	s_and_saveexec_b64 s[12:13], s[14:15]
	s_cbranch_execz .LBB161_84
; %bb.80:
	s_and_b64 vcc, exec, s[0:1]
	s_cbranch_vccnz .LBB161_82
; %bb.81:
	v_lshl_add_u64 v[10:11], v[8:9], 3, v[18:19]
	flat_load_dwordx2 v[10:11], v[10:11]
	s_waitcnt vmcnt(0) lgkmcnt(0)
	v_mul_f64 v[10:11], v[10:11], s[22:23]
	s_branch .LBB161_83
.LBB161_82:
	v_mov_b64_e32 v[10:11], 0
.LBB161_83:
	v_cvt_f32_f64_e32 v10, v[10:11]
	v_max_f32_e32 v11, v139, v139
	v_min_f32_e32 v10, v10, v11
	v_cvt_f64_f32_e32 v[10:11], v10
	v_lshl_add_u64 v[12:13], v[8:9], 3, v[16:17]
	global_store_dwordx2 v[12:13], v[10:11], off
.LBB161_84:
	s_or_b64 exec, exec, s[12:13]
	v_add_u32_e32 v10, 0xa0, v0
	v_cmp_gt_i32_e64 s[12:13], s24, v10
	v_ashrrev_i32_e32 v11, 31, v10
	s_and_b64 s[16:17], s[12:13], s[18:19]
	s_and_saveexec_b64 s[14:15], s[16:17]
	s_cbranch_execz .LBB161_89
; %bb.85:
	s_and_b64 vcc, exec, s[0:1]
	s_cbranch_vccnz .LBB161_87
; %bb.86:
	v_lshl_add_u64 v[12:13], v[10:11], 3, v[18:19]
	flat_load_dwordx2 v[12:13], v[12:13]
	s_waitcnt vmcnt(0) lgkmcnt(0)
	v_mul_f64 v[12:13], v[12:13], s[22:23]
	s_branch .LBB161_88
.LBB161_87:
	v_mov_b64_e32 v[12:13], 0
.LBB161_88:
	v_cvt_f32_f64_e32 v12, v[12:13]
	v_max_f32_e32 v13, v138, v138
	v_min_f32_e32 v12, v12, v13
	v_cvt_f64_f32_e32 v[12:13], v12
	v_lshl_add_u64 v[14:15], v[10:11], 3, v[16:17]
	global_store_dwordx2 v[14:15], v[12:13], off
.LBB161_89:
	s_or_b64 exec, exec, s[14:15]
	v_add_u32_e32 v12, 0xc0, v0
	v_cmp_gt_i32_e64 s[14:15], s24, v12
	v_ashrrev_i32_e32 v13, 31, v12
	s_and_b64 s[28:29], s[14:15], s[18:19]
	s_and_saveexec_b64 s[16:17], s[28:29]
	s_cbranch_execz .LBB161_94
; %bb.90:
	s_and_b64 vcc, exec, s[0:1]
	s_cbranch_vccnz .LBB161_92
; %bb.91:
	v_lshl_add_u64 v[14:15], v[12:13], 3, v[18:19]
	flat_load_dwordx2 v[14:15], v[14:15]
	s_waitcnt vmcnt(0) lgkmcnt(0)
	v_mul_f64 v[14:15], v[14:15], s[22:23]
	s_branch .LBB161_93
.LBB161_92:
	v_mov_b64_e32 v[14:15], 0
.LBB161_93:
	v_cvt_f32_f64_e32 v14, v[14:15]
	v_max_f32_e32 v15, v137, v137
	v_min_f32_e32 v14, v14, v15
	v_cvt_f64_f32_e32 v[14:15], v14
	v_lshl_add_u64 v[20:21], v[12:13], 3, v[16:17]
	global_store_dwordx2 v[20:21], v[14:15], off
.LBB161_94:
	s_or_b64 exec, exec, s[16:17]
	v_add_u32_e32 v14, 0xe0, v0
	v_cmp_gt_i32_e64 s[16:17], s24, v14
	v_ashrrev_i32_e32 v15, 31, v14
	s_and_b64 s[28:29], s[16:17], s[18:19]
	s_and_saveexec_b64 s[18:19], s[28:29]
	s_cbranch_execz .LBB161_99
; %bb.95:
	s_and_b64 vcc, exec, s[0:1]
	s_cbranch_vccnz .LBB161_97
; %bb.96:
	v_lshl_add_u64 v[18:19], v[14:15], 3, v[18:19]
	flat_load_dwordx2 v[18:19], v[18:19]
	s_waitcnt vmcnt(0) lgkmcnt(0)
	v_mul_f64 v[18:19], v[18:19], s[22:23]
	s_branch .LBB161_98
.LBB161_97:
	v_mov_b64_e32 v[18:19], 0
.LBB161_98:
	v_cvt_f32_f64_e32 v18, v[18:19]
	v_max_f32_e32 v19, v136, v136
	v_min_f32_e32 v18, v18, v19
	v_cvt_f64_f32_e32 v[18:19], v18
	v_lshl_add_u64 v[16:17], v[14:15], 3, v[16:17]
	global_store_dwordx2 v[16:17], v[18:19], off
.LBB161_99:
	s_or_b64 exec, exec, s[18:19]
	v_add_u32_e32 v20, 8, v22
	v_mad_i64_i32 v[16:17], s[28:29], v20, s36, 0
	v_cmp_gt_i32_e64 s[18:19], s25, v20
	v_lshl_add_u64 v[18:19], v[16:17], 3, s[20:21]
	v_mad_i64_i32 v[16:17], s[28:29], v20, s33, 0
	v_lshl_add_u64 v[16:17], v[16:17], 3, s[26:27]
	s_and_b64 s[30:31], s[2:3], s[18:19]
	s_and_saveexec_b64 s[28:29], s[30:31]
	s_cbranch_execnz .LBB161_107
; %bb.100:
	s_or_b64 exec, exec, s[28:29]
	s_and_b64 s[30:31], s[4:5], s[18:19]
	s_and_saveexec_b64 s[28:29], s[30:31]
	s_cbranch_execnz .LBB161_111
.LBB161_101:
	s_or_b64 exec, exec, s[28:29]
	s_and_b64 s[30:31], s[6:7], s[18:19]
	s_and_saveexec_b64 s[28:29], s[30:31]
	s_cbranch_execnz .LBB161_115
.LBB161_102:
	s_or_b64 exec, exec, s[28:29]
	s_and_b64 s[30:31], s[8:9], s[18:19]
	s_and_saveexec_b64 s[28:29], s[30:31]
	s_cbranch_execnz .LBB161_119
.LBB161_103:
	s_or_b64 exec, exec, s[28:29]
	s_and_b64 s[30:31], s[10:11], s[18:19]
	s_and_saveexec_b64 s[28:29], s[30:31]
	s_cbranch_execnz .LBB161_123
.LBB161_104:
	s_or_b64 exec, exec, s[28:29]
	s_and_b64 s[30:31], s[12:13], s[18:19]
	s_and_saveexec_b64 s[28:29], s[30:31]
	s_cbranch_execnz .LBB161_127
.LBB161_105:
	s_or_b64 exec, exec, s[28:29]
	s_and_b64 s[30:31], s[14:15], s[18:19]
	s_and_saveexec_b64 s[28:29], s[30:31]
	s_cbranch_execnz .LBB161_131
.LBB161_106:
	s_or_b64 exec, exec, s[28:29]
	s_and_b64 s[28:29], s[16:17], s[18:19]
	s_and_saveexec_b64 s[18:19], s[28:29]
	s_cbranch_execnz .LBB161_135
	s_branch .LBB161_139
.LBB161_107:
	s_and_b64 vcc, exec, s[0:1]
	s_cbranch_vccnz .LBB161_109
; %bb.108:
	v_lshl_add_u64 v[20:21], v[0:1], 3, v[18:19]
	flat_load_dwordx2 v[20:21], v[20:21]
	s_waitcnt vmcnt(0) lgkmcnt(0)
	v_mul_f64 v[20:21], v[20:21], s[22:23]
	s_branch .LBB161_110
.LBB161_109:
	v_mov_b64_e32 v[20:21], 0
.LBB161_110:
	v_cvt_f32_f64_e32 v20, v[20:21]
	v_max_f32_e32 v21, v135, v135
	v_min_f32_e32 v20, v20, v21
	v_cvt_f64_f32_e32 v[20:21], v20
	v_lshl_add_u64 v[24:25], v[0:1], 3, v[16:17]
	global_store_dwordx2 v[24:25], v[20:21], off
	s_or_b64 exec, exec, s[28:29]
	s_and_b64 s[30:31], s[4:5], s[18:19]
	s_and_saveexec_b64 s[28:29], s[30:31]
	s_cbranch_execz .LBB161_101
.LBB161_111:
	s_and_b64 vcc, exec, s[0:1]
	s_cbranch_vccnz .LBB161_113
; %bb.112:
	v_lshl_add_u64 v[20:21], v[2:3], 3, v[18:19]
	flat_load_dwordx2 v[20:21], v[20:21]
	s_waitcnt vmcnt(0) lgkmcnt(0)
	v_mul_f64 v[20:21], v[20:21], s[22:23]
	s_branch .LBB161_114
.LBB161_113:
	v_mov_b64_e32 v[20:21], 0
.LBB161_114:
	v_cvt_f32_f64_e32 v20, v[20:21]
	v_max_f32_e32 v21, v134, v134
	v_min_f32_e32 v20, v20, v21
	v_cvt_f64_f32_e32 v[20:21], v20
	v_lshl_add_u64 v[24:25], v[2:3], 3, v[16:17]
	global_store_dwordx2 v[24:25], v[20:21], off
	s_or_b64 exec, exec, s[28:29]
	s_and_b64 s[30:31], s[6:7], s[18:19]
	s_and_saveexec_b64 s[28:29], s[30:31]
	s_cbranch_execz .LBB161_102
.LBB161_115:
	s_and_b64 vcc, exec, s[0:1]
	s_cbranch_vccnz .LBB161_117
; %bb.116:
	v_lshl_add_u64 v[20:21], v[4:5], 3, v[18:19]
	flat_load_dwordx2 v[20:21], v[20:21]
	s_waitcnt vmcnt(0) lgkmcnt(0)
	v_mul_f64 v[20:21], v[20:21], s[22:23]
	s_branch .LBB161_118
.LBB161_117:
	v_mov_b64_e32 v[20:21], 0
.LBB161_118:
	v_cvt_f32_f64_e32 v20, v[20:21]
	v_max_f32_e32 v21, v133, v133
	v_min_f32_e32 v20, v20, v21
	v_cvt_f64_f32_e32 v[20:21], v20
	v_lshl_add_u64 v[24:25], v[4:5], 3, v[16:17]
	global_store_dwordx2 v[24:25], v[20:21], off
	s_or_b64 exec, exec, s[28:29]
	s_and_b64 s[30:31], s[8:9], s[18:19]
	s_and_saveexec_b64 s[28:29], s[30:31]
	s_cbranch_execz .LBB161_103
.LBB161_119:
	s_and_b64 vcc, exec, s[0:1]
	s_cbranch_vccnz .LBB161_121
; %bb.120:
	v_lshl_add_u64 v[20:21], v[6:7], 3, v[18:19]
	flat_load_dwordx2 v[20:21], v[20:21]
	s_waitcnt vmcnt(0) lgkmcnt(0)
	v_mul_f64 v[20:21], v[20:21], s[22:23]
	s_branch .LBB161_122
.LBB161_121:
	v_mov_b64_e32 v[20:21], 0
.LBB161_122:
	v_cvt_f32_f64_e32 v20, v[20:21]
	v_max_f32_e32 v21, v130, v130
	v_min_f32_e32 v20, v20, v21
	v_cvt_f64_f32_e32 v[20:21], v20
	v_lshl_add_u64 v[24:25], v[6:7], 3, v[16:17]
	global_store_dwordx2 v[24:25], v[20:21], off
	s_or_b64 exec, exec, s[28:29]
	s_and_b64 s[30:31], s[10:11], s[18:19]
	s_and_saveexec_b64 s[28:29], s[30:31]
	s_cbranch_execz .LBB161_104
.LBB161_123:
	s_and_b64 vcc, exec, s[0:1]
	s_cbranch_vccnz .LBB161_125
; %bb.124:
	v_lshl_add_u64 v[20:21], v[8:9], 3, v[18:19]
	flat_load_dwordx2 v[20:21], v[20:21]
	s_waitcnt vmcnt(0) lgkmcnt(0)
	v_mul_f64 v[20:21], v[20:21], s[22:23]
	s_branch .LBB161_126
.LBB161_125:
	v_mov_b64_e32 v[20:21], 0
.LBB161_126:
	v_cvt_f32_f64_e32 v20, v[20:21]
	v_max_f32_e32 v21, v129, v129
	v_min_f32_e32 v20, v20, v21
	v_cvt_f64_f32_e32 v[20:21], v20
	v_lshl_add_u64 v[24:25], v[8:9], 3, v[16:17]
	global_store_dwordx2 v[24:25], v[20:21], off
	s_or_b64 exec, exec, s[28:29]
	s_and_b64 s[30:31], s[12:13], s[18:19]
	s_and_saveexec_b64 s[28:29], s[30:31]
	s_cbranch_execz .LBB161_105
.LBB161_127:
	s_and_b64 vcc, exec, s[0:1]
	s_cbranch_vccnz .LBB161_129
; %bb.128:
	v_lshl_add_u64 v[20:21], v[10:11], 3, v[18:19]
	flat_load_dwordx2 v[20:21], v[20:21]
	s_waitcnt vmcnt(0) lgkmcnt(0)
	v_mul_f64 v[20:21], v[20:21], s[22:23]
	s_branch .LBB161_130
.LBB161_129:
	v_mov_b64_e32 v[20:21], 0
.LBB161_130:
	v_cvt_f32_f64_e32 v20, v[20:21]
	v_max_f32_e32 v21, v128, v128
	v_min_f32_e32 v20, v20, v21
	v_cvt_f64_f32_e32 v[20:21], v20
	v_lshl_add_u64 v[24:25], v[10:11], 3, v[16:17]
	global_store_dwordx2 v[24:25], v[20:21], off
	s_or_b64 exec, exec, s[28:29]
	s_and_b64 s[30:31], s[14:15], s[18:19]
	s_and_saveexec_b64 s[28:29], s[30:31]
	s_cbranch_execz .LBB161_106
.LBB161_131:
	s_and_b64 vcc, exec, s[0:1]
	s_cbranch_vccnz .LBB161_133
; %bb.132:
	v_lshl_add_u64 v[20:21], v[12:13], 3, v[18:19]
	flat_load_dwordx2 v[20:21], v[20:21]
	s_waitcnt vmcnt(0) lgkmcnt(0)
	v_mul_f64 v[20:21], v[20:21], s[22:23]
	s_branch .LBB161_134
.LBB161_133:
	v_mov_b64_e32 v[20:21], 0
.LBB161_134:
	v_cvt_f32_f64_e32 v20, v[20:21]
	v_max_f32_e32 v21, v127, v127
	v_min_f32_e32 v20, v20, v21
	v_cvt_f64_f32_e32 v[20:21], v20
	v_lshl_add_u64 v[24:25], v[12:13], 3, v[16:17]
	global_store_dwordx2 v[24:25], v[20:21], off
	s_or_b64 exec, exec, s[28:29]
	s_and_b64 s[28:29], s[16:17], s[18:19]
	s_and_saveexec_b64 s[18:19], s[28:29]
	s_cbranch_execz .LBB161_139
.LBB161_135:
	s_and_b64 vcc, exec, s[0:1]
	s_cbranch_vccnz .LBB161_137
; %bb.136:
	v_lshl_add_u64 v[18:19], v[14:15], 3, v[18:19]
	flat_load_dwordx2 v[18:19], v[18:19]
	s_waitcnt vmcnt(0) lgkmcnt(0)
	v_mul_f64 v[18:19], v[18:19], s[22:23]
	s_branch .LBB161_138
.LBB161_137:
	v_mov_b64_e32 v[18:19], 0
.LBB161_138:
	v_cvt_f32_f64_e32 v18, v[18:19]
	v_max_f32_e32 v19, v126, v126
	v_min_f32_e32 v18, v18, v19
	v_cvt_f64_f32_e32 v[18:19], v18
	v_lshl_add_u64 v[16:17], v[14:15], 3, v[16:17]
	global_store_dwordx2 v[16:17], v[18:19], off
.LBB161_139:
	s_or_b64 exec, exec, s[18:19]
	v_add_u32_e32 v20, 16, v22
	v_mad_i64_i32 v[16:17], s[28:29], v20, s36, 0
	v_cmp_gt_i32_e64 s[18:19], s25, v20
	v_lshl_add_u64 v[18:19], v[16:17], 3, s[20:21]
	v_mad_i64_i32 v[16:17], s[28:29], v20, s33, 0
	v_lshl_add_u64 v[16:17], v[16:17], 3, s[26:27]
	s_and_b64 s[30:31], s[2:3], s[18:19]
	s_and_saveexec_b64 s[28:29], s[30:31]
	s_cbranch_execnz .LBB161_147
; %bb.140:
	s_or_b64 exec, exec, s[28:29]
	s_and_b64 s[30:31], s[4:5], s[18:19]
	s_and_saveexec_b64 s[28:29], s[30:31]
	s_cbranch_execnz .LBB161_151
.LBB161_141:
	s_or_b64 exec, exec, s[28:29]
	s_and_b64 s[30:31], s[6:7], s[18:19]
	s_and_saveexec_b64 s[28:29], s[30:31]
	s_cbranch_execnz .LBB161_155
.LBB161_142:
	s_or_b64 exec, exec, s[28:29]
	s_and_b64 s[30:31], s[8:9], s[18:19]
	s_and_saveexec_b64 s[28:29], s[30:31]
	s_cbranch_execnz .LBB161_159
.LBB161_143:
	s_or_b64 exec, exec, s[28:29]
	s_and_b64 s[30:31], s[10:11], s[18:19]
	s_and_saveexec_b64 s[28:29], s[30:31]
	s_cbranch_execnz .LBB161_163
.LBB161_144:
	s_or_b64 exec, exec, s[28:29]
	s_and_b64 s[30:31], s[12:13], s[18:19]
	s_and_saveexec_b64 s[28:29], s[30:31]
	s_cbranch_execnz .LBB161_167
.LBB161_145:
	s_or_b64 exec, exec, s[28:29]
	s_and_b64 s[30:31], s[14:15], s[18:19]
	s_and_saveexec_b64 s[28:29], s[30:31]
	s_cbranch_execnz .LBB161_171
.LBB161_146:
	s_or_b64 exec, exec, s[28:29]
	s_and_b64 s[28:29], s[16:17], s[18:19]
	s_and_saveexec_b64 s[18:19], s[28:29]
	s_cbranch_execnz .LBB161_175
	s_branch .LBB161_179
.LBB161_147:
	s_and_b64 vcc, exec, s[0:1]
	s_cbranch_vccnz .LBB161_149
; %bb.148:
	v_lshl_add_u64 v[20:21], v[0:1], 3, v[18:19]
	flat_load_dwordx2 v[20:21], v[20:21]
	s_waitcnt vmcnt(0) lgkmcnt(0)
	v_mul_f64 v[20:21], v[20:21], s[22:23]
	s_branch .LBB161_150
.LBB161_149:
	v_mov_b64_e32 v[20:21], 0
.LBB161_150:
	v_cvt_f32_f64_e32 v20, v[20:21]
	v_max_f32_e32 v21, v125, v125
	v_min_f32_e32 v20, v20, v21
	v_cvt_f64_f32_e32 v[20:21], v20
	v_lshl_add_u64 v[24:25], v[0:1], 3, v[16:17]
	global_store_dwordx2 v[24:25], v[20:21], off
	s_or_b64 exec, exec, s[28:29]
	s_and_b64 s[30:31], s[4:5], s[18:19]
	s_and_saveexec_b64 s[28:29], s[30:31]
	s_cbranch_execz .LBB161_141
.LBB161_151:
	s_and_b64 vcc, exec, s[0:1]
	s_cbranch_vccnz .LBB161_153
; %bb.152:
	v_lshl_add_u64 v[20:21], v[2:3], 3, v[18:19]
	flat_load_dwordx2 v[20:21], v[20:21]
	s_waitcnt vmcnt(0) lgkmcnt(0)
	v_mul_f64 v[20:21], v[20:21], s[22:23]
	s_branch .LBB161_154
.LBB161_153:
	v_mov_b64_e32 v[20:21], 0
.LBB161_154:
	v_cvt_f32_f64_e32 v20, v[20:21]
	v_max_f32_e32 v21, v124, v124
	v_min_f32_e32 v20, v20, v21
	v_cvt_f64_f32_e32 v[20:21], v20
	v_lshl_add_u64 v[24:25], v[2:3], 3, v[16:17]
	global_store_dwordx2 v[24:25], v[20:21], off
	s_or_b64 exec, exec, s[28:29]
	s_and_b64 s[30:31], s[6:7], s[18:19]
	s_and_saveexec_b64 s[28:29], s[30:31]
	s_cbranch_execz .LBB161_142
.LBB161_155:
	s_and_b64 vcc, exec, s[0:1]
	s_cbranch_vccnz .LBB161_157
; %bb.156:
	v_lshl_add_u64 v[20:21], v[4:5], 3, v[18:19]
	flat_load_dwordx2 v[20:21], v[20:21]
	s_waitcnt vmcnt(0) lgkmcnt(0)
	v_mul_f64 v[20:21], v[20:21], s[22:23]
	s_branch .LBB161_158
.LBB161_157:
	v_mov_b64_e32 v[20:21], 0
.LBB161_158:
	v_cvt_f32_f64_e32 v20, v[20:21]
	v_max_f32_e32 v21, v123, v123
	v_min_f32_e32 v20, v20, v21
	v_cvt_f64_f32_e32 v[20:21], v20
	v_lshl_add_u64 v[24:25], v[4:5], 3, v[16:17]
	global_store_dwordx2 v[24:25], v[20:21], off
	s_or_b64 exec, exec, s[28:29]
	s_and_b64 s[30:31], s[8:9], s[18:19]
	s_and_saveexec_b64 s[28:29], s[30:31]
	s_cbranch_execz .LBB161_143
.LBB161_159:
	s_and_b64 vcc, exec, s[0:1]
	s_cbranch_vccnz .LBB161_161
; %bb.160:
	v_lshl_add_u64 v[20:21], v[6:7], 3, v[18:19]
	flat_load_dwordx2 v[20:21], v[20:21]
	s_waitcnt vmcnt(0) lgkmcnt(0)
	v_mul_f64 v[20:21], v[20:21], s[22:23]
	s_branch .LBB161_162
.LBB161_161:
	v_mov_b64_e32 v[20:21], 0
.LBB161_162:
	v_cvt_f32_f64_e32 v20, v[20:21]
	v_max_f32_e32 v21, v122, v122
	v_min_f32_e32 v20, v20, v21
	v_cvt_f64_f32_e32 v[20:21], v20
	v_lshl_add_u64 v[24:25], v[6:7], 3, v[16:17]
	global_store_dwordx2 v[24:25], v[20:21], off
	s_or_b64 exec, exec, s[28:29]
	s_and_b64 s[30:31], s[10:11], s[18:19]
	s_and_saveexec_b64 s[28:29], s[30:31]
	s_cbranch_execz .LBB161_144
.LBB161_163:
	s_and_b64 vcc, exec, s[0:1]
	s_cbranch_vccnz .LBB161_165
; %bb.164:
	v_lshl_add_u64 v[20:21], v[8:9], 3, v[18:19]
	flat_load_dwordx2 v[20:21], v[20:21]
	s_waitcnt vmcnt(0) lgkmcnt(0)
	v_mul_f64 v[20:21], v[20:21], s[22:23]
	s_branch .LBB161_166
.LBB161_165:
	v_mov_b64_e32 v[20:21], 0
.LBB161_166:
	v_cvt_f32_f64_e32 v20, v[20:21]
	v_max_f32_e32 v21, v121, v121
	v_min_f32_e32 v20, v20, v21
	v_cvt_f64_f32_e32 v[20:21], v20
	v_lshl_add_u64 v[24:25], v[8:9], 3, v[16:17]
	global_store_dwordx2 v[24:25], v[20:21], off
	s_or_b64 exec, exec, s[28:29]
	s_and_b64 s[30:31], s[12:13], s[18:19]
	s_and_saveexec_b64 s[28:29], s[30:31]
	s_cbranch_execz .LBB161_145
.LBB161_167:
	s_and_b64 vcc, exec, s[0:1]
	s_cbranch_vccnz .LBB161_169
; %bb.168:
	v_lshl_add_u64 v[20:21], v[10:11], 3, v[18:19]
	flat_load_dwordx2 v[20:21], v[20:21]
	s_waitcnt vmcnt(0) lgkmcnt(0)
	v_mul_f64 v[20:21], v[20:21], s[22:23]
	s_branch .LBB161_170
.LBB161_169:
	v_mov_b64_e32 v[20:21], 0
.LBB161_170:
	v_cvt_f32_f64_e32 v20, v[20:21]
	v_max_f32_e32 v21, v120, v120
	v_min_f32_e32 v20, v20, v21
	v_cvt_f64_f32_e32 v[20:21], v20
	v_lshl_add_u64 v[24:25], v[10:11], 3, v[16:17]
	global_store_dwordx2 v[24:25], v[20:21], off
	s_or_b64 exec, exec, s[28:29]
	s_and_b64 s[30:31], s[14:15], s[18:19]
	s_and_saveexec_b64 s[28:29], s[30:31]
	s_cbranch_execz .LBB161_146
.LBB161_171:
	s_and_b64 vcc, exec, s[0:1]
	s_cbranch_vccnz .LBB161_173
; %bb.172:
	v_lshl_add_u64 v[20:21], v[12:13], 3, v[18:19]
	flat_load_dwordx2 v[20:21], v[20:21]
	s_waitcnt vmcnt(0) lgkmcnt(0)
	v_mul_f64 v[20:21], v[20:21], s[22:23]
	s_branch .LBB161_174
.LBB161_173:
	v_mov_b64_e32 v[20:21], 0
.LBB161_174:
	v_cvt_f32_f64_e32 v20, v[20:21]
	v_max_f32_e32 v21, v119, v119
	v_min_f32_e32 v20, v20, v21
	v_cvt_f64_f32_e32 v[20:21], v20
	v_lshl_add_u64 v[24:25], v[12:13], 3, v[16:17]
	global_store_dwordx2 v[24:25], v[20:21], off
	s_or_b64 exec, exec, s[28:29]
	s_and_b64 s[28:29], s[16:17], s[18:19]
	s_and_saveexec_b64 s[18:19], s[28:29]
	s_cbranch_execz .LBB161_179
.LBB161_175:
	s_and_b64 vcc, exec, s[0:1]
	s_cbranch_vccnz .LBB161_177
; %bb.176:
	v_lshl_add_u64 v[18:19], v[14:15], 3, v[18:19]
	flat_load_dwordx2 v[18:19], v[18:19]
	s_waitcnt vmcnt(0) lgkmcnt(0)
	v_mul_f64 v[18:19], v[18:19], s[22:23]
	s_branch .LBB161_178
.LBB161_177:
	v_mov_b64_e32 v[18:19], 0
.LBB161_178:
	v_cvt_f32_f64_e32 v18, v[18:19]
	v_max_f32_e32 v19, v118, v118
	v_min_f32_e32 v18, v18, v19
	v_cvt_f64_f32_e32 v[18:19], v18
	v_lshl_add_u64 v[16:17], v[14:15], 3, v[16:17]
	global_store_dwordx2 v[16:17], v[18:19], off
.LBB161_179:
	s_or_b64 exec, exec, s[18:19]
	v_add_u32_e32 v20, 24, v22
	v_mad_i64_i32 v[16:17], s[28:29], v20, s36, 0
	v_cmp_gt_i32_e64 s[18:19], s25, v20
	v_lshl_add_u64 v[18:19], v[16:17], 3, s[20:21]
	v_mad_i64_i32 v[16:17], s[28:29], v20, s33, 0
	v_lshl_add_u64 v[16:17], v[16:17], 3, s[26:27]
	s_and_b64 s[30:31], s[2:3], s[18:19]
	s_and_saveexec_b64 s[28:29], s[30:31]
	s_cbranch_execnz .LBB161_187
; %bb.180:
	s_or_b64 exec, exec, s[28:29]
	s_and_b64 s[30:31], s[4:5], s[18:19]
	s_and_saveexec_b64 s[28:29], s[30:31]
	s_cbranch_execnz .LBB161_191
.LBB161_181:
	s_or_b64 exec, exec, s[28:29]
	s_and_b64 s[30:31], s[6:7], s[18:19]
	s_and_saveexec_b64 s[28:29], s[30:31]
	s_cbranch_execnz .LBB161_195
.LBB161_182:
	s_or_b64 exec, exec, s[28:29]
	s_and_b64 s[30:31], s[8:9], s[18:19]
	s_and_saveexec_b64 s[28:29], s[30:31]
	s_cbranch_execnz .LBB161_199
.LBB161_183:
	s_or_b64 exec, exec, s[28:29]
	s_and_b64 s[30:31], s[10:11], s[18:19]
	s_and_saveexec_b64 s[28:29], s[30:31]
	s_cbranch_execnz .LBB161_203
.LBB161_184:
	s_or_b64 exec, exec, s[28:29]
	s_and_b64 s[30:31], s[12:13], s[18:19]
	s_and_saveexec_b64 s[28:29], s[30:31]
	s_cbranch_execnz .LBB161_207
.LBB161_185:
	s_or_b64 exec, exec, s[28:29]
	s_and_b64 s[30:31], s[14:15], s[18:19]
	s_and_saveexec_b64 s[28:29], s[30:31]
	s_cbranch_execnz .LBB161_211
.LBB161_186:
	s_or_b64 exec, exec, s[28:29]
	s_and_b64 s[28:29], s[16:17], s[18:19]
	s_and_saveexec_b64 s[18:19], s[28:29]
	s_cbranch_execnz .LBB161_215
	s_branch .LBB161_219
.LBB161_187:
	s_and_b64 vcc, exec, s[0:1]
	s_cbranch_vccnz .LBB161_189
; %bb.188:
	v_lshl_add_u64 v[20:21], v[0:1], 3, v[18:19]
	flat_load_dwordx2 v[20:21], v[20:21]
	s_waitcnt vmcnt(0) lgkmcnt(0)
	v_mul_f64 v[20:21], v[20:21], s[22:23]
	s_branch .LBB161_190
.LBB161_189:
	v_mov_b64_e32 v[20:21], 0
.LBB161_190:
	v_cvt_f32_f64_e32 v20, v[20:21]
	v_max_f32_e32 v21, v117, v117
	v_min_f32_e32 v20, v20, v21
	v_cvt_f64_f32_e32 v[20:21], v20
	v_lshl_add_u64 v[24:25], v[0:1], 3, v[16:17]
	global_store_dwordx2 v[24:25], v[20:21], off
	s_or_b64 exec, exec, s[28:29]
	s_and_b64 s[30:31], s[4:5], s[18:19]
	s_and_saveexec_b64 s[28:29], s[30:31]
	s_cbranch_execz .LBB161_181
.LBB161_191:
	s_and_b64 vcc, exec, s[0:1]
	s_cbranch_vccnz .LBB161_193
; %bb.192:
	v_lshl_add_u64 v[20:21], v[2:3], 3, v[18:19]
	flat_load_dwordx2 v[20:21], v[20:21]
	s_waitcnt vmcnt(0) lgkmcnt(0)
	v_mul_f64 v[20:21], v[20:21], s[22:23]
	s_branch .LBB161_194
.LBB161_193:
	v_mov_b64_e32 v[20:21], 0
.LBB161_194:
	v_cvt_f32_f64_e32 v20, v[20:21]
	v_max_f32_e32 v21, v116, v116
	v_min_f32_e32 v20, v20, v21
	v_cvt_f64_f32_e32 v[20:21], v20
	v_lshl_add_u64 v[24:25], v[2:3], 3, v[16:17]
	global_store_dwordx2 v[24:25], v[20:21], off
	s_or_b64 exec, exec, s[28:29]
	s_and_b64 s[30:31], s[6:7], s[18:19]
	s_and_saveexec_b64 s[28:29], s[30:31]
	s_cbranch_execz .LBB161_182
.LBB161_195:
	s_and_b64 vcc, exec, s[0:1]
	s_cbranch_vccnz .LBB161_197
; %bb.196:
	v_lshl_add_u64 v[20:21], v[4:5], 3, v[18:19]
	flat_load_dwordx2 v[20:21], v[20:21]
	s_waitcnt vmcnt(0) lgkmcnt(0)
	v_mul_f64 v[20:21], v[20:21], s[22:23]
	s_branch .LBB161_198
.LBB161_197:
	v_mov_b64_e32 v[20:21], 0
.LBB161_198:
	v_cvt_f32_f64_e32 v20, v[20:21]
	v_max_f32_e32 v21, v115, v115
	v_min_f32_e32 v20, v20, v21
	v_cvt_f64_f32_e32 v[20:21], v20
	v_lshl_add_u64 v[24:25], v[4:5], 3, v[16:17]
	global_store_dwordx2 v[24:25], v[20:21], off
	s_or_b64 exec, exec, s[28:29]
	s_and_b64 s[30:31], s[8:9], s[18:19]
	s_and_saveexec_b64 s[28:29], s[30:31]
	s_cbranch_execz .LBB161_183
.LBB161_199:
	s_and_b64 vcc, exec, s[0:1]
	s_cbranch_vccnz .LBB161_201
; %bb.200:
	v_lshl_add_u64 v[20:21], v[6:7], 3, v[18:19]
	flat_load_dwordx2 v[20:21], v[20:21]
	s_waitcnt vmcnt(0) lgkmcnt(0)
	v_mul_f64 v[20:21], v[20:21], s[22:23]
	s_branch .LBB161_202
.LBB161_201:
	v_mov_b64_e32 v[20:21], 0
.LBB161_202:
	v_cvt_f32_f64_e32 v20, v[20:21]
	v_max_f32_e32 v21, v114, v114
	v_min_f32_e32 v20, v20, v21
	v_cvt_f64_f32_e32 v[20:21], v20
	v_lshl_add_u64 v[24:25], v[6:7], 3, v[16:17]
	global_store_dwordx2 v[24:25], v[20:21], off
	s_or_b64 exec, exec, s[28:29]
	s_and_b64 s[30:31], s[10:11], s[18:19]
	s_and_saveexec_b64 s[28:29], s[30:31]
	s_cbranch_execz .LBB161_184
.LBB161_203:
	s_and_b64 vcc, exec, s[0:1]
	s_cbranch_vccnz .LBB161_205
; %bb.204:
	v_lshl_add_u64 v[20:21], v[8:9], 3, v[18:19]
	flat_load_dwordx2 v[20:21], v[20:21]
	s_waitcnt vmcnt(0) lgkmcnt(0)
	v_mul_f64 v[20:21], v[20:21], s[22:23]
	s_branch .LBB161_206
.LBB161_205:
	v_mov_b64_e32 v[20:21], 0
.LBB161_206:
	v_cvt_f32_f64_e32 v20, v[20:21]
	v_max_f32_e32 v21, v113, v113
	v_min_f32_e32 v20, v20, v21
	v_cvt_f64_f32_e32 v[20:21], v20
	v_lshl_add_u64 v[24:25], v[8:9], 3, v[16:17]
	global_store_dwordx2 v[24:25], v[20:21], off
	s_or_b64 exec, exec, s[28:29]
	s_and_b64 s[30:31], s[12:13], s[18:19]
	s_and_saveexec_b64 s[28:29], s[30:31]
	s_cbranch_execz .LBB161_185
.LBB161_207:
	s_and_b64 vcc, exec, s[0:1]
	s_cbranch_vccnz .LBB161_209
; %bb.208:
	v_lshl_add_u64 v[20:21], v[10:11], 3, v[18:19]
	flat_load_dwordx2 v[20:21], v[20:21]
	s_waitcnt vmcnt(0) lgkmcnt(0)
	v_mul_f64 v[20:21], v[20:21], s[22:23]
	s_branch .LBB161_210
.LBB161_209:
	v_mov_b64_e32 v[20:21], 0
.LBB161_210:
	v_cvt_f32_f64_e32 v20, v[20:21]
	v_max_f32_e32 v21, v112, v112
	v_min_f32_e32 v20, v20, v21
	v_cvt_f64_f32_e32 v[20:21], v20
	v_lshl_add_u64 v[24:25], v[10:11], 3, v[16:17]
	global_store_dwordx2 v[24:25], v[20:21], off
	s_or_b64 exec, exec, s[28:29]
	s_and_b64 s[30:31], s[14:15], s[18:19]
	s_and_saveexec_b64 s[28:29], s[30:31]
	s_cbranch_execz .LBB161_186
.LBB161_211:
	s_and_b64 vcc, exec, s[0:1]
	s_cbranch_vccnz .LBB161_213
; %bb.212:
	v_lshl_add_u64 v[20:21], v[12:13], 3, v[18:19]
	flat_load_dwordx2 v[20:21], v[20:21]
	s_waitcnt vmcnt(0) lgkmcnt(0)
	v_mul_f64 v[20:21], v[20:21], s[22:23]
	s_branch .LBB161_214
.LBB161_213:
	v_mov_b64_e32 v[20:21], 0
.LBB161_214:
	v_cvt_f32_f64_e32 v20, v[20:21]
	v_max_f32_e32 v21, v111, v111
	v_min_f32_e32 v20, v20, v21
	v_cvt_f64_f32_e32 v[20:21], v20
	v_lshl_add_u64 v[24:25], v[12:13], 3, v[16:17]
	global_store_dwordx2 v[24:25], v[20:21], off
	s_or_b64 exec, exec, s[28:29]
	s_and_b64 s[28:29], s[16:17], s[18:19]
	s_and_saveexec_b64 s[18:19], s[28:29]
	s_cbranch_execz .LBB161_219
.LBB161_215:
	s_and_b64 vcc, exec, s[0:1]
	s_cbranch_vccnz .LBB161_217
; %bb.216:
	v_lshl_add_u64 v[18:19], v[14:15], 3, v[18:19]
	flat_load_dwordx2 v[18:19], v[18:19]
	s_waitcnt vmcnt(0) lgkmcnt(0)
	v_mul_f64 v[18:19], v[18:19], s[22:23]
	s_branch .LBB161_218
.LBB161_217:
	v_mov_b64_e32 v[18:19], 0
.LBB161_218:
	v_cvt_f32_f64_e32 v18, v[18:19]
	v_max_f32_e32 v19, v110, v110
	v_min_f32_e32 v18, v18, v19
	v_cvt_f64_f32_e32 v[18:19], v18
	v_lshl_add_u64 v[16:17], v[14:15], 3, v[16:17]
	global_store_dwordx2 v[16:17], v[18:19], off
.LBB161_219:
	s_or_b64 exec, exec, s[18:19]
	v_add_u32_e32 v20, 32, v22
	v_mad_i64_i32 v[16:17], s[28:29], v20, s36, 0
	v_cmp_gt_i32_e64 s[18:19], s25, v20
	v_lshl_add_u64 v[18:19], v[16:17], 3, s[20:21]
	v_mad_i64_i32 v[16:17], s[28:29], v20, s33, 0
	v_lshl_add_u64 v[16:17], v[16:17], 3, s[26:27]
	s_and_b64 s[30:31], s[2:3], s[18:19]
	s_and_saveexec_b64 s[28:29], s[30:31]
	s_cbranch_execnz .LBB161_227
; %bb.220:
	s_or_b64 exec, exec, s[28:29]
	s_and_b64 s[30:31], s[4:5], s[18:19]
	s_and_saveexec_b64 s[28:29], s[30:31]
	s_cbranch_execnz .LBB161_231
.LBB161_221:
	s_or_b64 exec, exec, s[28:29]
	s_and_b64 s[30:31], s[6:7], s[18:19]
	s_and_saveexec_b64 s[28:29], s[30:31]
	s_cbranch_execnz .LBB161_235
.LBB161_222:
	s_or_b64 exec, exec, s[28:29]
	s_and_b64 s[30:31], s[8:9], s[18:19]
	s_and_saveexec_b64 s[28:29], s[30:31]
	s_cbranch_execnz .LBB161_239
.LBB161_223:
	s_or_b64 exec, exec, s[28:29]
	s_and_b64 s[30:31], s[10:11], s[18:19]
	s_and_saveexec_b64 s[28:29], s[30:31]
	s_cbranch_execnz .LBB161_243
.LBB161_224:
	s_or_b64 exec, exec, s[28:29]
	s_and_b64 s[30:31], s[12:13], s[18:19]
	s_and_saveexec_b64 s[28:29], s[30:31]
	s_cbranch_execnz .LBB161_247
.LBB161_225:
	s_or_b64 exec, exec, s[28:29]
	s_and_b64 s[30:31], s[14:15], s[18:19]
	s_and_saveexec_b64 s[28:29], s[30:31]
	s_cbranch_execnz .LBB161_251
.LBB161_226:
	s_or_b64 exec, exec, s[28:29]
	s_and_b64 s[28:29], s[16:17], s[18:19]
	s_and_saveexec_b64 s[18:19], s[28:29]
	s_cbranch_execnz .LBB161_255
	s_branch .LBB161_259
.LBB161_227:
	s_and_b64 vcc, exec, s[0:1]
	s_cbranch_vccnz .LBB161_229
; %bb.228:
	v_lshl_add_u64 v[20:21], v[0:1], 3, v[18:19]
	flat_load_dwordx2 v[20:21], v[20:21]
	s_waitcnt vmcnt(0) lgkmcnt(0)
	v_mul_f64 v[20:21], v[20:21], s[22:23]
	s_branch .LBB161_230
.LBB161_229:
	v_mov_b64_e32 v[20:21], 0
.LBB161_230:
	v_cvt_f32_f64_e32 v20, v[20:21]
	v_max_f32_e32 v21, v109, v109
	v_min_f32_e32 v20, v20, v21
	v_cvt_f64_f32_e32 v[20:21], v20
	v_lshl_add_u64 v[24:25], v[0:1], 3, v[16:17]
	global_store_dwordx2 v[24:25], v[20:21], off
	s_or_b64 exec, exec, s[28:29]
	s_and_b64 s[30:31], s[4:5], s[18:19]
	s_and_saveexec_b64 s[28:29], s[30:31]
	s_cbranch_execz .LBB161_221
.LBB161_231:
	s_and_b64 vcc, exec, s[0:1]
	s_cbranch_vccnz .LBB161_233
; %bb.232:
	v_lshl_add_u64 v[20:21], v[2:3], 3, v[18:19]
	flat_load_dwordx2 v[20:21], v[20:21]
	s_waitcnt vmcnt(0) lgkmcnt(0)
	v_mul_f64 v[20:21], v[20:21], s[22:23]
	s_branch .LBB161_234
.LBB161_233:
	v_mov_b64_e32 v[20:21], 0
.LBB161_234:
	v_cvt_f32_f64_e32 v20, v[20:21]
	v_max_f32_e32 v21, v108, v108
	v_min_f32_e32 v20, v20, v21
	v_cvt_f64_f32_e32 v[20:21], v20
	v_lshl_add_u64 v[24:25], v[2:3], 3, v[16:17]
	global_store_dwordx2 v[24:25], v[20:21], off
	s_or_b64 exec, exec, s[28:29]
	s_and_b64 s[30:31], s[6:7], s[18:19]
	s_and_saveexec_b64 s[28:29], s[30:31]
	s_cbranch_execz .LBB161_222
.LBB161_235:
	s_and_b64 vcc, exec, s[0:1]
	s_cbranch_vccnz .LBB161_237
; %bb.236:
	v_lshl_add_u64 v[20:21], v[4:5], 3, v[18:19]
	flat_load_dwordx2 v[20:21], v[20:21]
	s_waitcnt vmcnt(0) lgkmcnt(0)
	v_mul_f64 v[20:21], v[20:21], s[22:23]
	s_branch .LBB161_238
.LBB161_237:
	v_mov_b64_e32 v[20:21], 0
.LBB161_238:
	v_cvt_f32_f64_e32 v20, v[20:21]
	v_max_f32_e32 v21, v107, v107
	v_min_f32_e32 v20, v20, v21
	v_cvt_f64_f32_e32 v[20:21], v20
	v_lshl_add_u64 v[24:25], v[4:5], 3, v[16:17]
	global_store_dwordx2 v[24:25], v[20:21], off
	s_or_b64 exec, exec, s[28:29]
	s_and_b64 s[30:31], s[8:9], s[18:19]
	s_and_saveexec_b64 s[28:29], s[30:31]
	s_cbranch_execz .LBB161_223
.LBB161_239:
	s_and_b64 vcc, exec, s[0:1]
	s_cbranch_vccnz .LBB161_241
; %bb.240:
	v_lshl_add_u64 v[20:21], v[6:7], 3, v[18:19]
	flat_load_dwordx2 v[20:21], v[20:21]
	s_waitcnt vmcnt(0) lgkmcnt(0)
	v_mul_f64 v[20:21], v[20:21], s[22:23]
	s_branch .LBB161_242
.LBB161_241:
	v_mov_b64_e32 v[20:21], 0
.LBB161_242:
	v_cvt_f32_f64_e32 v20, v[20:21]
	v_max_f32_e32 v21, v106, v106
	v_min_f32_e32 v20, v20, v21
	v_cvt_f64_f32_e32 v[20:21], v20
	v_lshl_add_u64 v[24:25], v[6:7], 3, v[16:17]
	global_store_dwordx2 v[24:25], v[20:21], off
	s_or_b64 exec, exec, s[28:29]
	s_and_b64 s[30:31], s[10:11], s[18:19]
	s_and_saveexec_b64 s[28:29], s[30:31]
	s_cbranch_execz .LBB161_224
.LBB161_243:
	s_and_b64 vcc, exec, s[0:1]
	s_cbranch_vccnz .LBB161_245
; %bb.244:
	v_lshl_add_u64 v[20:21], v[8:9], 3, v[18:19]
	flat_load_dwordx2 v[20:21], v[20:21]
	s_waitcnt vmcnt(0) lgkmcnt(0)
	v_mul_f64 v[20:21], v[20:21], s[22:23]
	s_branch .LBB161_246
.LBB161_245:
	v_mov_b64_e32 v[20:21], 0
.LBB161_246:
	v_cvt_f32_f64_e32 v20, v[20:21]
	v_max_f32_e32 v21, v105, v105
	v_min_f32_e32 v20, v20, v21
	v_cvt_f64_f32_e32 v[20:21], v20
	v_lshl_add_u64 v[24:25], v[8:9], 3, v[16:17]
	global_store_dwordx2 v[24:25], v[20:21], off
	s_or_b64 exec, exec, s[28:29]
	s_and_b64 s[30:31], s[12:13], s[18:19]
	s_and_saveexec_b64 s[28:29], s[30:31]
	s_cbranch_execz .LBB161_225
.LBB161_247:
	s_and_b64 vcc, exec, s[0:1]
	s_cbranch_vccnz .LBB161_249
; %bb.248:
	v_lshl_add_u64 v[20:21], v[10:11], 3, v[18:19]
	flat_load_dwordx2 v[20:21], v[20:21]
	s_waitcnt vmcnt(0) lgkmcnt(0)
	v_mul_f64 v[20:21], v[20:21], s[22:23]
	s_branch .LBB161_250
.LBB161_249:
	v_mov_b64_e32 v[20:21], 0
.LBB161_250:
	v_cvt_f32_f64_e32 v20, v[20:21]
	v_max_f32_e32 v21, v104, v104
	v_min_f32_e32 v20, v20, v21
	v_cvt_f64_f32_e32 v[20:21], v20
	v_lshl_add_u64 v[24:25], v[10:11], 3, v[16:17]
	global_store_dwordx2 v[24:25], v[20:21], off
	s_or_b64 exec, exec, s[28:29]
	s_and_b64 s[30:31], s[14:15], s[18:19]
	s_and_saveexec_b64 s[28:29], s[30:31]
	s_cbranch_execz .LBB161_226
.LBB161_251:
	s_and_b64 vcc, exec, s[0:1]
	s_cbranch_vccnz .LBB161_253
; %bb.252:
	v_lshl_add_u64 v[20:21], v[12:13], 3, v[18:19]
	flat_load_dwordx2 v[20:21], v[20:21]
	s_waitcnt vmcnt(0) lgkmcnt(0)
	v_mul_f64 v[20:21], v[20:21], s[22:23]
	s_branch .LBB161_254
.LBB161_253:
	v_mov_b64_e32 v[20:21], 0
.LBB161_254:
	v_cvt_f32_f64_e32 v20, v[20:21]
	v_max_f32_e32 v21, v103, v103
	v_min_f32_e32 v20, v20, v21
	v_cvt_f64_f32_e32 v[20:21], v20
	v_lshl_add_u64 v[24:25], v[12:13], 3, v[16:17]
	global_store_dwordx2 v[24:25], v[20:21], off
	s_or_b64 exec, exec, s[28:29]
	s_and_b64 s[28:29], s[16:17], s[18:19]
	s_and_saveexec_b64 s[18:19], s[28:29]
	s_cbranch_execz .LBB161_259
.LBB161_255:
	s_and_b64 vcc, exec, s[0:1]
	s_cbranch_vccnz .LBB161_257
; %bb.256:
	v_lshl_add_u64 v[18:19], v[14:15], 3, v[18:19]
	flat_load_dwordx2 v[18:19], v[18:19]
	s_waitcnt vmcnt(0) lgkmcnt(0)
	v_mul_f64 v[18:19], v[18:19], s[22:23]
	s_branch .LBB161_258
.LBB161_257:
	v_mov_b64_e32 v[18:19], 0
.LBB161_258:
	v_cvt_f32_f64_e32 v18, v[18:19]
	v_max_f32_e32 v19, v102, v102
	v_min_f32_e32 v18, v18, v19
	v_cvt_f64_f32_e32 v[18:19], v18
	v_lshl_add_u64 v[16:17], v[14:15], 3, v[16:17]
	global_store_dwordx2 v[16:17], v[18:19], off
.LBB161_259:
	s_or_b64 exec, exec, s[18:19]
	v_add_u32_e32 v20, 40, v22
	v_mad_i64_i32 v[16:17], s[28:29], v20, s36, 0
	v_cmp_gt_i32_e64 s[18:19], s25, v20
	v_lshl_add_u64 v[18:19], v[16:17], 3, s[20:21]
	v_mad_i64_i32 v[16:17], s[28:29], v20, s33, 0
	v_lshl_add_u64 v[16:17], v[16:17], 3, s[26:27]
	s_and_b64 s[30:31], s[2:3], s[18:19]
	s_and_saveexec_b64 s[28:29], s[30:31]
	s_cbranch_execnz .LBB161_267
; %bb.260:
	s_or_b64 exec, exec, s[28:29]
	s_and_b64 s[30:31], s[4:5], s[18:19]
	s_and_saveexec_b64 s[28:29], s[30:31]
	s_cbranch_execnz .LBB161_271
.LBB161_261:
	s_or_b64 exec, exec, s[28:29]
	s_and_b64 s[30:31], s[6:7], s[18:19]
	s_and_saveexec_b64 s[28:29], s[30:31]
	s_cbranch_execnz .LBB161_275
.LBB161_262:
	s_or_b64 exec, exec, s[28:29]
	s_and_b64 s[30:31], s[8:9], s[18:19]
	s_and_saveexec_b64 s[28:29], s[30:31]
	s_cbranch_execnz .LBB161_279
.LBB161_263:
	s_or_b64 exec, exec, s[28:29]
	s_and_b64 s[30:31], s[10:11], s[18:19]
	s_and_saveexec_b64 s[28:29], s[30:31]
	s_cbranch_execnz .LBB161_283
.LBB161_264:
	s_or_b64 exec, exec, s[28:29]
	s_and_b64 s[30:31], s[12:13], s[18:19]
	s_and_saveexec_b64 s[28:29], s[30:31]
	s_cbranch_execnz .LBB161_287
.LBB161_265:
	s_or_b64 exec, exec, s[28:29]
	s_and_b64 s[30:31], s[14:15], s[18:19]
	s_and_saveexec_b64 s[28:29], s[30:31]
	s_cbranch_execnz .LBB161_291
.LBB161_266:
	s_or_b64 exec, exec, s[28:29]
	s_and_b64 s[28:29], s[16:17], s[18:19]
	s_and_saveexec_b64 s[18:19], s[28:29]
	s_cbranch_execnz .LBB161_295
	s_branch .LBB161_299
.LBB161_267:
	s_and_b64 vcc, exec, s[0:1]
	s_cbranch_vccnz .LBB161_269
; %bb.268:
	v_lshl_add_u64 v[20:21], v[0:1], 3, v[18:19]
	flat_load_dwordx2 v[20:21], v[20:21]
	s_waitcnt vmcnt(0) lgkmcnt(0)
	v_mul_f64 v[20:21], v[20:21], s[22:23]
	s_branch .LBB161_270
.LBB161_269:
	v_mov_b64_e32 v[20:21], 0
.LBB161_270:
	v_cvt_f32_f64_e32 v20, v[20:21]
	v_max_f32_e32 v21, v101, v101
	v_min_f32_e32 v20, v20, v21
	v_cvt_f64_f32_e32 v[20:21], v20
	v_lshl_add_u64 v[24:25], v[0:1], 3, v[16:17]
	global_store_dwordx2 v[24:25], v[20:21], off
	s_or_b64 exec, exec, s[28:29]
	s_and_b64 s[30:31], s[4:5], s[18:19]
	s_and_saveexec_b64 s[28:29], s[30:31]
	s_cbranch_execz .LBB161_261
.LBB161_271:
	s_and_b64 vcc, exec, s[0:1]
	s_cbranch_vccnz .LBB161_273
; %bb.272:
	v_lshl_add_u64 v[20:21], v[2:3], 3, v[18:19]
	flat_load_dwordx2 v[20:21], v[20:21]
	s_waitcnt vmcnt(0) lgkmcnt(0)
	v_mul_f64 v[20:21], v[20:21], s[22:23]
	s_branch .LBB161_274
.LBB161_273:
	v_mov_b64_e32 v[20:21], 0
.LBB161_274:
	v_cvt_f32_f64_e32 v20, v[20:21]
	v_max_f32_e32 v21, v100, v100
	v_min_f32_e32 v20, v20, v21
	v_cvt_f64_f32_e32 v[20:21], v20
	v_lshl_add_u64 v[24:25], v[2:3], 3, v[16:17]
	global_store_dwordx2 v[24:25], v[20:21], off
	s_or_b64 exec, exec, s[28:29]
	s_and_b64 s[30:31], s[6:7], s[18:19]
	s_and_saveexec_b64 s[28:29], s[30:31]
	s_cbranch_execz .LBB161_262
.LBB161_275:
	s_and_b64 vcc, exec, s[0:1]
	s_cbranch_vccnz .LBB161_277
; %bb.276:
	v_lshl_add_u64 v[20:21], v[4:5], 3, v[18:19]
	flat_load_dwordx2 v[20:21], v[20:21]
	s_waitcnt vmcnt(0) lgkmcnt(0)
	v_mul_f64 v[20:21], v[20:21], s[22:23]
	s_branch .LBB161_278
.LBB161_277:
	v_mov_b64_e32 v[20:21], 0
.LBB161_278:
	v_cvt_f32_f64_e32 v20, v[20:21]
	v_max_f32_e32 v21, v99, v99
	v_min_f32_e32 v20, v20, v21
	v_cvt_f64_f32_e32 v[20:21], v20
	v_lshl_add_u64 v[24:25], v[4:5], 3, v[16:17]
	global_store_dwordx2 v[24:25], v[20:21], off
	s_or_b64 exec, exec, s[28:29]
	s_and_b64 s[30:31], s[8:9], s[18:19]
	s_and_saveexec_b64 s[28:29], s[30:31]
	s_cbranch_execz .LBB161_263
.LBB161_279:
	s_and_b64 vcc, exec, s[0:1]
	s_cbranch_vccnz .LBB161_281
; %bb.280:
	v_lshl_add_u64 v[20:21], v[6:7], 3, v[18:19]
	flat_load_dwordx2 v[20:21], v[20:21]
	s_waitcnt vmcnt(0) lgkmcnt(0)
	v_mul_f64 v[20:21], v[20:21], s[22:23]
	s_branch .LBB161_282
.LBB161_281:
	v_mov_b64_e32 v[20:21], 0
.LBB161_282:
	v_cvt_f32_f64_e32 v20, v[20:21]
	v_max_f32_e32 v21, v98, v98
	v_min_f32_e32 v20, v20, v21
	v_cvt_f64_f32_e32 v[20:21], v20
	v_lshl_add_u64 v[24:25], v[6:7], 3, v[16:17]
	global_store_dwordx2 v[24:25], v[20:21], off
	s_or_b64 exec, exec, s[28:29]
	s_and_b64 s[30:31], s[10:11], s[18:19]
	s_and_saveexec_b64 s[28:29], s[30:31]
	s_cbranch_execz .LBB161_264
.LBB161_283:
	s_and_b64 vcc, exec, s[0:1]
	s_cbranch_vccnz .LBB161_285
; %bb.284:
	v_lshl_add_u64 v[20:21], v[8:9], 3, v[18:19]
	flat_load_dwordx2 v[20:21], v[20:21]
	s_waitcnt vmcnt(0) lgkmcnt(0)
	v_mul_f64 v[20:21], v[20:21], s[22:23]
	s_branch .LBB161_286
.LBB161_285:
	v_mov_b64_e32 v[20:21], 0
.LBB161_286:
	v_cvt_f32_f64_e32 v20, v[20:21]
	v_max_f32_e32 v21, v97, v97
	v_min_f32_e32 v20, v20, v21
	v_cvt_f64_f32_e32 v[20:21], v20
	v_lshl_add_u64 v[24:25], v[8:9], 3, v[16:17]
	global_store_dwordx2 v[24:25], v[20:21], off
	s_or_b64 exec, exec, s[28:29]
	s_and_b64 s[30:31], s[12:13], s[18:19]
	s_and_saveexec_b64 s[28:29], s[30:31]
	s_cbranch_execz .LBB161_265
.LBB161_287:
	s_and_b64 vcc, exec, s[0:1]
	s_cbranch_vccnz .LBB161_289
; %bb.288:
	v_lshl_add_u64 v[20:21], v[10:11], 3, v[18:19]
	flat_load_dwordx2 v[20:21], v[20:21]
	s_waitcnt vmcnt(0) lgkmcnt(0)
	v_mul_f64 v[20:21], v[20:21], s[22:23]
	s_branch .LBB161_290
.LBB161_289:
	v_mov_b64_e32 v[20:21], 0
.LBB161_290:
	v_cvt_f32_f64_e32 v20, v[20:21]
	v_max_f32_e32 v21, v96, v96
	v_min_f32_e32 v20, v20, v21
	v_cvt_f64_f32_e32 v[20:21], v20
	v_lshl_add_u64 v[24:25], v[10:11], 3, v[16:17]
	global_store_dwordx2 v[24:25], v[20:21], off
	s_or_b64 exec, exec, s[28:29]
	s_and_b64 s[30:31], s[14:15], s[18:19]
	s_and_saveexec_b64 s[28:29], s[30:31]
	s_cbranch_execz .LBB161_266
.LBB161_291:
	s_and_b64 vcc, exec, s[0:1]
	s_cbranch_vccnz .LBB161_293
; %bb.292:
	v_lshl_add_u64 v[20:21], v[12:13], 3, v[18:19]
	flat_load_dwordx2 v[20:21], v[20:21]
	s_waitcnt vmcnt(0) lgkmcnt(0)
	v_mul_f64 v[20:21], v[20:21], s[22:23]
	s_branch .LBB161_294
.LBB161_293:
	v_mov_b64_e32 v[20:21], 0
.LBB161_294:
	v_cvt_f32_f64_e32 v20, v[20:21]
	v_max_f32_e32 v21, v95, v95
	v_min_f32_e32 v20, v20, v21
	v_cvt_f64_f32_e32 v[20:21], v20
	v_lshl_add_u64 v[24:25], v[12:13], 3, v[16:17]
	global_store_dwordx2 v[24:25], v[20:21], off
	s_or_b64 exec, exec, s[28:29]
	s_and_b64 s[28:29], s[16:17], s[18:19]
	s_and_saveexec_b64 s[18:19], s[28:29]
	s_cbranch_execz .LBB161_299
.LBB161_295:
	s_and_b64 vcc, exec, s[0:1]
	s_cbranch_vccnz .LBB161_297
; %bb.296:
	v_lshl_add_u64 v[18:19], v[14:15], 3, v[18:19]
	flat_load_dwordx2 v[18:19], v[18:19]
	s_waitcnt vmcnt(0) lgkmcnt(0)
	v_mul_f64 v[18:19], v[18:19], s[22:23]
	s_branch .LBB161_298
.LBB161_297:
	v_mov_b64_e32 v[18:19], 0
.LBB161_298:
	v_cvt_f32_f64_e32 v18, v[18:19]
	v_max_f32_e32 v19, v94, v94
	v_min_f32_e32 v18, v18, v19
	v_cvt_f64_f32_e32 v[18:19], v18
	v_lshl_add_u64 v[16:17], v[14:15], 3, v[16:17]
	global_store_dwordx2 v[16:17], v[18:19], off
.LBB161_299:
	s_or_b64 exec, exec, s[18:19]
	v_add_u32_e32 v20, 48, v22
	v_mad_i64_i32 v[16:17], s[28:29], v20, s36, 0
	v_cmp_gt_i32_e64 s[18:19], s25, v20
	v_lshl_add_u64 v[18:19], v[16:17], 3, s[20:21]
	v_mad_i64_i32 v[16:17], s[28:29], v20, s33, 0
	v_lshl_add_u64 v[16:17], v[16:17], 3, s[26:27]
	s_and_b64 s[30:31], s[2:3], s[18:19]
	s_and_saveexec_b64 s[28:29], s[30:31]
	s_cbranch_execnz .LBB161_307
; %bb.300:
	s_or_b64 exec, exec, s[28:29]
	s_and_b64 s[30:31], s[4:5], s[18:19]
	s_and_saveexec_b64 s[28:29], s[30:31]
	s_cbranch_execnz .LBB161_311
.LBB161_301:
	s_or_b64 exec, exec, s[28:29]
	s_and_b64 s[30:31], s[6:7], s[18:19]
	s_and_saveexec_b64 s[28:29], s[30:31]
	s_cbranch_execnz .LBB161_315
.LBB161_302:
	s_or_b64 exec, exec, s[28:29]
	s_and_b64 s[30:31], s[8:9], s[18:19]
	s_and_saveexec_b64 s[28:29], s[30:31]
	s_cbranch_execnz .LBB161_319
.LBB161_303:
	s_or_b64 exec, exec, s[28:29]
	s_and_b64 s[30:31], s[10:11], s[18:19]
	s_and_saveexec_b64 s[28:29], s[30:31]
	s_cbranch_execnz .LBB161_323
.LBB161_304:
	s_or_b64 exec, exec, s[28:29]
	s_and_b64 s[30:31], s[12:13], s[18:19]
	s_and_saveexec_b64 s[28:29], s[30:31]
	s_cbranch_execnz .LBB161_327
.LBB161_305:
	s_or_b64 exec, exec, s[28:29]
	s_and_b64 s[30:31], s[14:15], s[18:19]
	s_and_saveexec_b64 s[28:29], s[30:31]
	s_cbranch_execnz .LBB161_331
.LBB161_306:
	s_or_b64 exec, exec, s[28:29]
	s_and_b64 s[28:29], s[16:17], s[18:19]
	s_and_saveexec_b64 s[18:19], s[28:29]
	s_cbranch_execnz .LBB161_335
	s_branch .LBB161_339
.LBB161_307:
	s_and_b64 vcc, exec, s[0:1]
	s_cbranch_vccnz .LBB161_309
; %bb.308:
	v_lshl_add_u64 v[20:21], v[0:1], 3, v[18:19]
	flat_load_dwordx2 v[20:21], v[20:21]
	s_waitcnt vmcnt(0) lgkmcnt(0)
	v_mul_f64 v[20:21], v[20:21], s[22:23]
	s_branch .LBB161_310
.LBB161_309:
	v_mov_b64_e32 v[20:21], 0
.LBB161_310:
	v_cvt_f32_f64_e32 v20, v[20:21]
	v_max_f32_e32 v21, v93, v93
	v_min_f32_e32 v20, v20, v21
	v_cvt_f64_f32_e32 v[20:21], v20
	v_lshl_add_u64 v[24:25], v[0:1], 3, v[16:17]
	global_store_dwordx2 v[24:25], v[20:21], off
	s_or_b64 exec, exec, s[28:29]
	s_and_b64 s[30:31], s[4:5], s[18:19]
	s_and_saveexec_b64 s[28:29], s[30:31]
	s_cbranch_execz .LBB161_301
.LBB161_311:
	s_and_b64 vcc, exec, s[0:1]
	s_cbranch_vccnz .LBB161_313
; %bb.312:
	v_lshl_add_u64 v[20:21], v[2:3], 3, v[18:19]
	flat_load_dwordx2 v[20:21], v[20:21]
	s_waitcnt vmcnt(0) lgkmcnt(0)
	v_mul_f64 v[20:21], v[20:21], s[22:23]
	s_branch .LBB161_314
.LBB161_313:
	v_mov_b64_e32 v[20:21], 0
.LBB161_314:
	v_cvt_f32_f64_e32 v20, v[20:21]
	v_max_f32_e32 v21, v92, v92
	v_min_f32_e32 v20, v20, v21
	v_cvt_f64_f32_e32 v[20:21], v20
	v_lshl_add_u64 v[24:25], v[2:3], 3, v[16:17]
	global_store_dwordx2 v[24:25], v[20:21], off
	s_or_b64 exec, exec, s[28:29]
	s_and_b64 s[30:31], s[6:7], s[18:19]
	s_and_saveexec_b64 s[28:29], s[30:31]
	s_cbranch_execz .LBB161_302
.LBB161_315:
	s_and_b64 vcc, exec, s[0:1]
	s_cbranch_vccnz .LBB161_317
; %bb.316:
	v_lshl_add_u64 v[20:21], v[4:5], 3, v[18:19]
	flat_load_dwordx2 v[20:21], v[20:21]
	s_waitcnt vmcnt(0) lgkmcnt(0)
	v_mul_f64 v[20:21], v[20:21], s[22:23]
	s_branch .LBB161_318
.LBB161_317:
	v_mov_b64_e32 v[20:21], 0
.LBB161_318:
	v_cvt_f32_f64_e32 v20, v[20:21]
	v_max_f32_e32 v21, v91, v91
	v_min_f32_e32 v20, v20, v21
	v_cvt_f64_f32_e32 v[20:21], v20
	v_lshl_add_u64 v[24:25], v[4:5], 3, v[16:17]
	global_store_dwordx2 v[24:25], v[20:21], off
	s_or_b64 exec, exec, s[28:29]
	s_and_b64 s[30:31], s[8:9], s[18:19]
	s_and_saveexec_b64 s[28:29], s[30:31]
	s_cbranch_execz .LBB161_303
.LBB161_319:
	s_and_b64 vcc, exec, s[0:1]
	s_cbranch_vccnz .LBB161_321
; %bb.320:
	v_lshl_add_u64 v[20:21], v[6:7], 3, v[18:19]
	flat_load_dwordx2 v[20:21], v[20:21]
	s_waitcnt vmcnt(0) lgkmcnt(0)
	v_mul_f64 v[20:21], v[20:21], s[22:23]
	s_branch .LBB161_322
.LBB161_321:
	v_mov_b64_e32 v[20:21], 0
.LBB161_322:
	v_cvt_f32_f64_e32 v20, v[20:21]
	v_max_f32_e32 v21, v90, v90
	v_min_f32_e32 v20, v20, v21
	v_cvt_f64_f32_e32 v[20:21], v20
	v_lshl_add_u64 v[24:25], v[6:7], 3, v[16:17]
	global_store_dwordx2 v[24:25], v[20:21], off
	s_or_b64 exec, exec, s[28:29]
	s_and_b64 s[30:31], s[10:11], s[18:19]
	s_and_saveexec_b64 s[28:29], s[30:31]
	s_cbranch_execz .LBB161_304
.LBB161_323:
	s_and_b64 vcc, exec, s[0:1]
	s_cbranch_vccnz .LBB161_325
; %bb.324:
	v_lshl_add_u64 v[20:21], v[8:9], 3, v[18:19]
	flat_load_dwordx2 v[20:21], v[20:21]
	s_waitcnt vmcnt(0) lgkmcnt(0)
	v_mul_f64 v[20:21], v[20:21], s[22:23]
	s_branch .LBB161_326
.LBB161_325:
	v_mov_b64_e32 v[20:21], 0
.LBB161_326:
	v_cvt_f32_f64_e32 v20, v[20:21]
	v_max_f32_e32 v21, v89, v89
	v_min_f32_e32 v20, v20, v21
	v_cvt_f64_f32_e32 v[20:21], v20
	v_lshl_add_u64 v[24:25], v[8:9], 3, v[16:17]
	global_store_dwordx2 v[24:25], v[20:21], off
	s_or_b64 exec, exec, s[28:29]
	s_and_b64 s[30:31], s[12:13], s[18:19]
	s_and_saveexec_b64 s[28:29], s[30:31]
	s_cbranch_execz .LBB161_305
.LBB161_327:
	s_and_b64 vcc, exec, s[0:1]
	s_cbranch_vccnz .LBB161_329
; %bb.328:
	v_lshl_add_u64 v[20:21], v[10:11], 3, v[18:19]
	flat_load_dwordx2 v[20:21], v[20:21]
	s_waitcnt vmcnt(0) lgkmcnt(0)
	v_mul_f64 v[20:21], v[20:21], s[22:23]
	s_branch .LBB161_330
.LBB161_329:
	v_mov_b64_e32 v[20:21], 0
.LBB161_330:
	v_cvt_f32_f64_e32 v20, v[20:21]
	v_max_f32_e32 v21, v88, v88
	v_min_f32_e32 v20, v20, v21
	v_cvt_f64_f32_e32 v[20:21], v20
	v_lshl_add_u64 v[24:25], v[10:11], 3, v[16:17]
	global_store_dwordx2 v[24:25], v[20:21], off
	s_or_b64 exec, exec, s[28:29]
	s_and_b64 s[30:31], s[14:15], s[18:19]
	s_and_saveexec_b64 s[28:29], s[30:31]
	s_cbranch_execz .LBB161_306
.LBB161_331:
	s_and_b64 vcc, exec, s[0:1]
	s_cbranch_vccnz .LBB161_333
; %bb.332:
	v_lshl_add_u64 v[20:21], v[12:13], 3, v[18:19]
	flat_load_dwordx2 v[20:21], v[20:21]
	s_waitcnt vmcnt(0) lgkmcnt(0)
	v_mul_f64 v[20:21], v[20:21], s[22:23]
	s_branch .LBB161_334
.LBB161_333:
	v_mov_b64_e32 v[20:21], 0
.LBB161_334:
	v_cvt_f32_f64_e32 v20, v[20:21]
	v_max_f32_e32 v21, v87, v87
	v_min_f32_e32 v20, v20, v21
	v_cvt_f64_f32_e32 v[20:21], v20
	v_lshl_add_u64 v[24:25], v[12:13], 3, v[16:17]
	global_store_dwordx2 v[24:25], v[20:21], off
	s_or_b64 exec, exec, s[28:29]
	s_and_b64 s[28:29], s[16:17], s[18:19]
	s_and_saveexec_b64 s[18:19], s[28:29]
	s_cbranch_execz .LBB161_339
.LBB161_335:
	s_and_b64 vcc, exec, s[0:1]
	s_cbranch_vccnz .LBB161_337
; %bb.336:
	v_lshl_add_u64 v[18:19], v[14:15], 3, v[18:19]
	flat_load_dwordx2 v[18:19], v[18:19]
	s_waitcnt vmcnt(0) lgkmcnt(0)
	v_mul_f64 v[18:19], v[18:19], s[22:23]
	s_branch .LBB161_338
.LBB161_337:
	v_mov_b64_e32 v[18:19], 0
.LBB161_338:
	v_cvt_f32_f64_e32 v18, v[18:19]
	v_max_f32_e32 v19, v86, v86
	v_min_f32_e32 v18, v18, v19
	v_cvt_f64_f32_e32 v[18:19], v18
	v_lshl_add_u64 v[16:17], v[14:15], 3, v[16:17]
	global_store_dwordx2 v[16:17], v[18:19], off
.LBB161_339:
	s_or_b64 exec, exec, s[18:19]
	v_add_u32_e32 v20, 56, v22
	v_cmp_gt_i32_e64 s[18:19], s25, v20
	v_mad_i64_i32 v[16:17], s[24:25], v20, s36, 0
	v_lshl_add_u64 v[18:19], v[16:17], 3, s[20:21]
	v_mad_i64_i32 v[16:17], s[20:21], v20, s33, 0
	v_lshl_add_u64 v[16:17], v[16:17], 3, s[26:27]
	s_and_b64 s[20:21], s[2:3], s[18:19]
	s_and_saveexec_b64 s[2:3], s[20:21]
	s_cbranch_execnz .LBB161_348
; %bb.340:
	s_or_b64 exec, exec, s[2:3]
	s_and_b64 s[4:5], s[4:5], s[18:19]
	s_and_saveexec_b64 s[2:3], s[4:5]
	s_cbranch_execnz .LBB161_352
.LBB161_341:
	s_or_b64 exec, exec, s[2:3]
	s_and_b64 s[4:5], s[6:7], s[18:19]
	s_and_saveexec_b64 s[2:3], s[4:5]
	s_cbranch_execnz .LBB161_356
.LBB161_342:
	s_or_b64 exec, exec, s[2:3]
	s_and_b64 s[4:5], s[8:9], s[18:19]
	s_and_saveexec_b64 s[2:3], s[4:5]
	s_cbranch_execnz .LBB161_360
.LBB161_343:
	s_or_b64 exec, exec, s[2:3]
	s_and_b64 s[4:5], s[10:11], s[18:19]
	s_and_saveexec_b64 s[2:3], s[4:5]
	s_cbranch_execnz .LBB161_364
.LBB161_344:
	s_or_b64 exec, exec, s[2:3]
	s_and_b64 s[4:5], s[12:13], s[18:19]
	s_and_saveexec_b64 s[2:3], s[4:5]
	s_cbranch_execnz .LBB161_368
.LBB161_345:
	s_or_b64 exec, exec, s[2:3]
	s_and_b64 s[4:5], s[14:15], s[18:19]
	s_and_saveexec_b64 s[2:3], s[4:5]
	s_cbranch_execnz .LBB161_372
.LBB161_346:
	s_or_b64 exec, exec, s[2:3]
	s_and_b64 s[2:3], s[16:17], s[18:19]
	s_and_saveexec_b64 s[4:5], s[2:3]
	s_cbranch_execnz .LBB161_376
.LBB161_347:
	s_endpgm
.LBB161_348:
	s_and_b64 vcc, exec, s[0:1]
	s_cbranch_vccnz .LBB161_350
; %bb.349:
	v_lshl_add_u64 v[20:21], v[0:1], 3, v[18:19]
	flat_load_dwordx2 v[20:21], v[20:21]
	s_waitcnt vmcnt(0) lgkmcnt(0)
	v_mul_f64 v[20:21], v[20:21], s[22:23]
	v_cvt_f32_f64_e32 v20, v[20:21]
	s_branch .LBB161_351
.LBB161_350:
	v_mov_b32_e32 v20, 0
.LBB161_351:
	v_max_f32_e32 v21, v85, v85
	v_max_f32_e32 v20, v20, v20
	v_min_f32_e32 v20, v20, v21
	v_cvt_f64_f32_e32 v[20:21], v20
	v_lshl_add_u64 v[0:1], v[0:1], 3, v[16:17]
	global_store_dwordx2 v[0:1], v[20:21], off
	s_or_b64 exec, exec, s[2:3]
	s_and_b64 s[4:5], s[4:5], s[18:19]
	s_and_saveexec_b64 s[2:3], s[4:5]
	s_cbranch_execz .LBB161_341
.LBB161_352:
	s_and_b64 vcc, exec, s[0:1]
	s_cbranch_vccnz .LBB161_354
; %bb.353:
	v_lshl_add_u64 v[0:1], v[2:3], 3, v[18:19]
	flat_load_dwordx2 v[0:1], v[0:1]
	s_waitcnt vmcnt(0) lgkmcnt(0)
	v_mul_f64 v[0:1], v[0:1], s[22:23]
	v_cvt_f32_f64_e32 v0, v[0:1]
	s_branch .LBB161_355
.LBB161_354:
	v_mov_b32_e32 v0, 0
.LBB161_355:
	v_max_f32_e32 v1, v84, v84
	v_max_f32_e32 v0, v0, v0
	v_min_f32_e32 v0, v0, v1
	v_cvt_f64_f32_e32 v[0:1], v0
	v_lshl_add_u64 v[2:3], v[2:3], 3, v[16:17]
	global_store_dwordx2 v[2:3], v[0:1], off
	s_or_b64 exec, exec, s[2:3]
	s_and_b64 s[4:5], s[6:7], s[18:19]
	s_and_saveexec_b64 s[2:3], s[4:5]
	s_cbranch_execz .LBB161_342
.LBB161_356:
	s_and_b64 vcc, exec, s[0:1]
	s_cbranch_vccnz .LBB161_358
; %bb.357:
	v_lshl_add_u64 v[0:1], v[4:5], 3, v[18:19]
	flat_load_dwordx2 v[0:1], v[0:1]
	s_waitcnt vmcnt(0) lgkmcnt(0)
	v_mul_f64 v[0:1], v[0:1], s[22:23]
	v_cvt_f32_f64_e32 v0, v[0:1]
	s_branch .LBB161_359
.LBB161_358:
	v_mov_b32_e32 v0, 0
.LBB161_359:
	v_max_f32_e32 v1, v83, v83
	v_max_f32_e32 v0, v0, v0
	v_min_f32_e32 v0, v0, v1
	v_cvt_f64_f32_e32 v[0:1], v0
	v_lshl_add_u64 v[2:3], v[4:5], 3, v[16:17]
	global_store_dwordx2 v[2:3], v[0:1], off
	s_or_b64 exec, exec, s[2:3]
	s_and_b64 s[4:5], s[8:9], s[18:19]
	s_and_saveexec_b64 s[2:3], s[4:5]
	s_cbranch_execz .LBB161_343
.LBB161_360:
	s_and_b64 vcc, exec, s[0:1]
	s_cbranch_vccnz .LBB161_362
; %bb.361:
	v_lshl_add_u64 v[0:1], v[6:7], 3, v[18:19]
	flat_load_dwordx2 v[0:1], v[0:1]
	s_waitcnt vmcnt(0) lgkmcnt(0)
	v_mul_f64 v[0:1], v[0:1], s[22:23]
	v_cvt_f32_f64_e32 v0, v[0:1]
	s_branch .LBB161_363
.LBB161_362:
	v_mov_b32_e32 v0, 0
.LBB161_363:
	v_max_f32_e32 v1, v82, v82
	v_max_f32_e32 v0, v0, v0
	v_min_f32_e32 v0, v0, v1
	v_cvt_f64_f32_e32 v[0:1], v0
	v_lshl_add_u64 v[2:3], v[6:7], 3, v[16:17]
	global_store_dwordx2 v[2:3], v[0:1], off
	s_or_b64 exec, exec, s[2:3]
	s_and_b64 s[4:5], s[10:11], s[18:19]
	s_and_saveexec_b64 s[2:3], s[4:5]
	s_cbranch_execz .LBB161_344
.LBB161_364:
	s_and_b64 vcc, exec, s[0:1]
	s_cbranch_vccnz .LBB161_366
; %bb.365:
	v_lshl_add_u64 v[0:1], v[8:9], 3, v[18:19]
	flat_load_dwordx2 v[0:1], v[0:1]
	s_waitcnt vmcnt(0) lgkmcnt(0)
	v_mul_f64 v[0:1], v[0:1], s[22:23]
	v_cvt_f32_f64_e32 v0, v[0:1]
	s_branch .LBB161_367
.LBB161_366:
	v_mov_b32_e32 v0, 0
.LBB161_367:
	v_max_f32_e32 v1, v81, v81
	v_max_f32_e32 v0, v0, v0
	v_min_f32_e32 v0, v0, v1
	v_cvt_f64_f32_e32 v[0:1], v0
	v_lshl_add_u64 v[2:3], v[8:9], 3, v[16:17]
	global_store_dwordx2 v[2:3], v[0:1], off
	s_or_b64 exec, exec, s[2:3]
	s_and_b64 s[4:5], s[12:13], s[18:19]
	s_and_saveexec_b64 s[2:3], s[4:5]
	s_cbranch_execz .LBB161_345
.LBB161_368:
	s_and_b64 vcc, exec, s[0:1]
	s_cbranch_vccnz .LBB161_370
; %bb.369:
	v_lshl_add_u64 v[0:1], v[10:11], 3, v[18:19]
	flat_load_dwordx2 v[0:1], v[0:1]
	s_waitcnt vmcnt(0) lgkmcnt(0)
	v_mul_f64 v[0:1], v[0:1], s[22:23]
	v_cvt_f32_f64_e32 v0, v[0:1]
	s_branch .LBB161_371
.LBB161_370:
	v_mov_b32_e32 v0, 0
.LBB161_371:
	v_max_f32_e32 v1, v80, v80
	v_max_f32_e32 v0, v0, v0
	v_min_f32_e32 v0, v0, v1
	v_cvt_f64_f32_e32 v[0:1], v0
	v_lshl_add_u64 v[2:3], v[10:11], 3, v[16:17]
	global_store_dwordx2 v[2:3], v[0:1], off
	s_or_b64 exec, exec, s[2:3]
	s_and_b64 s[4:5], s[14:15], s[18:19]
	s_and_saveexec_b64 s[2:3], s[4:5]
	s_cbranch_execz .LBB161_346
.LBB161_372:
	s_and_b64 vcc, exec, s[0:1]
	s_cbranch_vccnz .LBB161_374
; %bb.373:
	v_lshl_add_u64 v[0:1], v[12:13], 3, v[18:19]
	flat_load_dwordx2 v[0:1], v[0:1]
	s_waitcnt vmcnt(0) lgkmcnt(0)
	v_mul_f64 v[0:1], v[0:1], s[22:23]
	v_cvt_f32_f64_e32 v0, v[0:1]
	s_branch .LBB161_375
.LBB161_374:
	v_mov_b32_e32 v0, 0
.LBB161_375:
	v_max_f32_e32 v1, v79, v79
	v_max_f32_e32 v0, v0, v0
	v_min_f32_e32 v0, v0, v1
	v_cvt_f64_f32_e32 v[0:1], v0
	v_lshl_add_u64 v[2:3], v[12:13], 3, v[16:17]
	global_store_dwordx2 v[2:3], v[0:1], off
	s_or_b64 exec, exec, s[2:3]
	s_and_b64 s[2:3], s[16:17], s[18:19]
	s_and_saveexec_b64 s[4:5], s[2:3]
	s_cbranch_execz .LBB161_347
.LBB161_376:
	s_and_b64 vcc, exec, s[0:1]
	s_cbranch_vccnz .LBB161_378
; %bb.377:
	v_lshl_add_u64 v[0:1], v[14:15], 3, v[18:19]
	flat_load_dwordx2 v[0:1], v[0:1]
	s_waitcnt vmcnt(0) lgkmcnt(0)
	v_mul_f64 v[0:1], v[0:1], s[22:23]
	v_cvt_f32_f64_e32 v0, v[0:1]
	s_branch .LBB161_379
.LBB161_378:
	v_mov_b32_e32 v0, 0
.LBB161_379:
	v_max_f32_e32 v1, v78, v78
	v_max_f32_e32 v0, v0, v0
	v_min_f32_e32 v0, v0, v1
	v_cvt_f64_f32_e32 v[0:1], v0
	v_lshl_add_u64 v[2:3], v[14:15], 3, v[16:17]
	global_store_dwordx2 v[2:3], v[0:1], off
	s_endpgm
	.section	.rodata,"a",@progbits
	.p2align	6, 0x0
	.amdhsa_kernel _ZN12_GLOBAL__N_120geam_min_plus_kernelId15HIP_vector_typeIdLj2EEdLi32ELi8ELi256ELi64ELi4ELi64ELi4ELi4ELi64ELc78ELc78ELb0ELb1ELb1EdKddEEviiiT16_PT17_ilS6_ilS4_S6_ilPT18_ili26rocblas_geam_ex_operation_
		.amdhsa_group_segment_fixed_size 20480
		.amdhsa_private_segment_fixed_size 0
		.amdhsa_kernarg_size 136
		.amdhsa_user_sgpr_count 2
		.amdhsa_user_sgpr_dispatch_ptr 0
		.amdhsa_user_sgpr_queue_ptr 0
		.amdhsa_user_sgpr_kernarg_segment_ptr 1
		.amdhsa_user_sgpr_dispatch_id 0
		.amdhsa_user_sgpr_kernarg_preload_length 0
		.amdhsa_user_sgpr_kernarg_preload_offset 0
		.amdhsa_user_sgpr_private_segment_size 0
		.amdhsa_uses_dynamic_stack 0
		.amdhsa_enable_private_segment 0
		.amdhsa_system_sgpr_workgroup_id_x 1
		.amdhsa_system_sgpr_workgroup_id_y 0
		.amdhsa_system_sgpr_workgroup_id_z 1
		.amdhsa_system_sgpr_workgroup_info 0
		.amdhsa_system_vgpr_workitem_id 1
		.amdhsa_next_free_vgpr 160
		.amdhsa_next_free_sgpr 46
		.amdhsa_accum_offset 160
		.amdhsa_reserve_vcc 1
		.amdhsa_float_round_mode_32 0
		.amdhsa_float_round_mode_16_64 0
		.amdhsa_float_denorm_mode_32 3
		.amdhsa_float_denorm_mode_16_64 3
		.amdhsa_dx10_clamp 1
		.amdhsa_ieee_mode 1
		.amdhsa_fp16_overflow 0
		.amdhsa_tg_split 0
		.amdhsa_exception_fp_ieee_invalid_op 0
		.amdhsa_exception_fp_denorm_src 0
		.amdhsa_exception_fp_ieee_div_zero 0
		.amdhsa_exception_fp_ieee_overflow 0
		.amdhsa_exception_fp_ieee_underflow 0
		.amdhsa_exception_fp_ieee_inexact 0
		.amdhsa_exception_int_div_zero 0
	.end_amdhsa_kernel
	.section	.text._ZN12_GLOBAL__N_120geam_min_plus_kernelId15HIP_vector_typeIdLj2EEdLi32ELi8ELi256ELi64ELi4ELi64ELi4ELi4ELi64ELc78ELc78ELb0ELb1ELb1EdKddEEviiiT16_PT17_ilS6_ilS4_S6_ilPT18_ili26rocblas_geam_ex_operation_,"axG",@progbits,_ZN12_GLOBAL__N_120geam_min_plus_kernelId15HIP_vector_typeIdLj2EEdLi32ELi8ELi256ELi64ELi4ELi64ELi4ELi4ELi64ELc78ELc78ELb0ELb1ELb1EdKddEEviiiT16_PT17_ilS6_ilS4_S6_ilPT18_ili26rocblas_geam_ex_operation_,comdat
.Lfunc_end161:
	.size	_ZN12_GLOBAL__N_120geam_min_plus_kernelId15HIP_vector_typeIdLj2EEdLi32ELi8ELi256ELi64ELi4ELi64ELi4ELi4ELi64ELc78ELc78ELb0ELb1ELb1EdKddEEviiiT16_PT17_ilS6_ilS4_S6_ilPT18_ili26rocblas_geam_ex_operation_, .Lfunc_end161-_ZN12_GLOBAL__N_120geam_min_plus_kernelId15HIP_vector_typeIdLj2EEdLi32ELi8ELi256ELi64ELi4ELi64ELi4ELi4ELi64ELc78ELc78ELb0ELb1ELb1EdKddEEviiiT16_PT17_ilS6_ilS4_S6_ilPT18_ili26rocblas_geam_ex_operation_
                                        ; -- End function
	.section	.AMDGPU.csdata,"",@progbits
; Kernel info:
; codeLenInByte = 19152
; NumSgprs: 52
; NumVgprs: 160
; NumAgprs: 0
; TotalNumVgprs: 160
; ScratchSize: 0
; MemoryBound: 0
; FloatMode: 240
; IeeeMode: 1
; LDSByteSize: 20480 bytes/workgroup (compile time only)
; SGPRBlocks: 6
; VGPRBlocks: 19
; NumSGPRsForWavesPerEU: 52
; NumVGPRsForWavesPerEU: 160
; AccumOffset: 160
; Occupancy: 3
; WaveLimiterHint : 0
; COMPUTE_PGM_RSRC2:SCRATCH_EN: 0
; COMPUTE_PGM_RSRC2:USER_SGPR: 2
; COMPUTE_PGM_RSRC2:TRAP_HANDLER: 0
; COMPUTE_PGM_RSRC2:TGID_X_EN: 1
; COMPUTE_PGM_RSRC2:TGID_Y_EN: 0
; COMPUTE_PGM_RSRC2:TGID_Z_EN: 1
; COMPUTE_PGM_RSRC2:TIDIG_COMP_CNT: 1
; COMPUTE_PGM_RSRC3_GFX90A:ACCUM_OFFSET: 39
; COMPUTE_PGM_RSRC3_GFX90A:TG_SPLIT: 0
	.section	.text._ZN12_GLOBAL__N_120geam_min_plus_kernelId15HIP_vector_typeIdLj2EEdLi32ELi8ELi128ELi128ELi4ELi4ELi64ELi4ELi64ELc84ELc78ELb0ELb0ELb1EPKdS3_dEEviiiT16_PT17_ilS7_ilS5_S7_ilPT18_ili26rocblas_geam_ex_operation_,"axG",@progbits,_ZN12_GLOBAL__N_120geam_min_plus_kernelId15HIP_vector_typeIdLj2EEdLi32ELi8ELi128ELi128ELi4ELi4ELi64ELi4ELi64ELc84ELc78ELb0ELb0ELb1EPKdS3_dEEviiiT16_PT17_ilS7_ilS5_S7_ilPT18_ili26rocblas_geam_ex_operation_,comdat
	.globl	_ZN12_GLOBAL__N_120geam_min_plus_kernelId15HIP_vector_typeIdLj2EEdLi32ELi8ELi128ELi128ELi4ELi4ELi64ELi4ELi64ELc84ELc78ELb0ELb0ELb1EPKdS3_dEEviiiT16_PT17_ilS7_ilS5_S7_ilPT18_ili26rocblas_geam_ex_operation_ ; -- Begin function _ZN12_GLOBAL__N_120geam_min_plus_kernelId15HIP_vector_typeIdLj2EEdLi32ELi8ELi128ELi128ELi4ELi4ELi64ELi4ELi64ELc84ELc78ELb0ELb0ELb1EPKdS3_dEEviiiT16_PT17_ilS7_ilS5_S7_ilPT18_ili26rocblas_geam_ex_operation_
	.p2align	8
	.type	_ZN12_GLOBAL__N_120geam_min_plus_kernelId15HIP_vector_typeIdLj2EEdLi32ELi8ELi128ELi128ELi4ELi4ELi64ELi4ELi64ELc84ELc78ELb0ELb0ELb1EPKdS3_dEEviiiT16_PT17_ilS7_ilS5_S7_ilPT18_ili26rocblas_geam_ex_operation_,@function
_ZN12_GLOBAL__N_120geam_min_plus_kernelId15HIP_vector_typeIdLj2EEdLi32ELi8ELi128ELi128ELi4ELi4ELi64ELi4ELi64ELc84ELc78ELb0ELb0ELb1EPKdS3_dEEviiiT16_PT17_ilS7_ilS5_S7_ilPT18_ili26rocblas_geam_ex_operation_: ; @_ZN12_GLOBAL__N_120geam_min_plus_kernelId15HIP_vector_typeIdLj2EEdLi32ELi8ELi128ELi128ELi4ELi4ELi64ELi4ELi64ELc84ELc78ELb0ELb0ELb1EPKdS3_dEEviiiT16_PT17_ilS7_ilS5_S7_ilPT18_ili26rocblas_geam_ex_operation_
; %bb.0:
	s_load_dwordx4 s[12:15], s[0:1], 0x10
	s_load_dwordx4 s[4:7], s[0:1], 0x28
	s_mov_b32 s16, s3
	s_mov_b32 s17, 0
	s_lshl_b64 s[20:21], s[16:17], 3
	s_waitcnt lgkmcnt(0)
	s_add_u32 s12, s12, s20
	s_load_dwordx4 s[8:11], s[0:1], 0x40
	s_addc_u32 s13, s13, s21
	s_load_dwordx2 s[18:19], s[12:13], 0x0
	s_load_dwordx2 s[24:25], s[0:1], 0x50
	s_mov_b64 s[22:23], 0
	s_waitcnt lgkmcnt(0)
	s_add_u32 s10, s10, s20
	v_cmp_eq_f64_e64 s[12:13], s[18:19], 0
	s_addc_u32 s11, s11, s21
	s_mov_b64 s[20:21], 0
	v_cmp_neq_f64_e64 s[26:27], s[18:19], 0
	s_and_b64 vcc, exec, s[12:13]
	s_cbranch_vccnz .LBB162_2
; %bb.1:
	s_mul_i32 s3, s16, s5
	s_mul_hi_u32 s5, s16, s4
	s_add_i32 s5, s5, s3
	s_mul_i32 s4, s16, s4
	s_lshl_b64 s[4:5], s[4:5], 3
	s_add_u32 s22, s14, s4
	s_addc_u32 s23, s15, s5
.LBB162_2:
	s_load_dwordx2 s[12:13], s[10:11], 0x0
	v_cndmask_b32_e64 v1, 0, 1, s[26:27]
	v_cmp_ne_u32_e64 s[4:5], 1, v1
	s_andn2_b64 vcc, exec, s[26:27]
	s_cbranch_vccnz .LBB162_4
; %bb.3:
	s_mul_i32 s3, s16, s9
	s_mul_hi_u32 s9, s16, s8
	s_add_i32 s9, s9, s3
	s_mul_i32 s8, s16, s8
	s_lshl_b64 s[8:9], s[8:9], 3
	s_add_u32 s20, s6, s8
	s_addc_u32 s21, s7, s9
.LBB162_4:
	s_load_dwordx4 s[8:11], s[0:1], 0x60
	s_waitcnt lgkmcnt(0)
	v_cmp_eq_f64_e64 s[6:7], s[12:13], 0
	s_and_b64 s[6:7], exec, s[6:7]
	s_mov_b64 s[14:15], 0
	s_mov_b64 vcc, s[6:7]
	s_cbranch_vccnz .LBB162_6
; %bb.5:
	s_mul_i32 s3, s16, s9
	s_mul_hi_u32 s9, s16, s8
	s_add_i32 s9, s9, s3
	s_mul_i32 s8, s16, s8
	s_lshl_b64 s[8:9], s[8:9], 3
	s_add_u32 s14, s24, s8
	s_addc_u32 s15, s25, s9
.LBB162_6:
	s_load_dword s3, s[0:1], 0x0
	s_load_dword s25, s[0:1], 0x20
	v_and_b32_e32 v143, 0x3ff, v0
	v_bfe_u32 v144, v0, 10, 10
	v_lshl_add_u32 v0, v144, 5, v143
	s_waitcnt lgkmcnt(0)
	s_add_i32 s3, s3, -1
	s_ashr_i32 s8, s3, 31
	s_lshr_b32 s8, s8, 25
	s_add_i32 s3, s3, s8
	s_ashr_i32 s3, s3, 7
	s_add_i32 s8, s3, 1
	v_cvt_f32_u32_e32 v1, s8
	s_not_b32 s3, s3
	v_lshrrev_b32_e32 v10, 2, v0
	v_and_b32_e32 v152, 3, v143
	v_rcp_iflag_f32_e32 v1, v1
	v_lshlrev_b32_e32 v0, 3, v152
	v_mul_f32_e32 v1, 0x4f7ffffe, v1
	v_cvt_u32_f32_e32 v1, v1
	s_nop 0
	v_readfirstlane_b32 s9, v1
	s_mul_i32 s3, s3, s9
	s_mul_hi_u32 s3, s9, s3
	s_add_i32 s9, s9, s3
	s_mul_hi_u32 s3, s2, s9
	s_mul_i32 s9, s3, s8
	s_sub_i32 s9, s2, s9
	s_add_i32 s17, s3, 1
	s_sub_i32 s24, s9, s8
	s_cmp_ge_u32 s9, s8
	s_cselect_b32 s3, s17, s3
	s_cselect_b32 s9, s24, s9
	s_add_i32 s17, s3, 1
	s_cmp_ge_u32 s9, s8
	s_cselect_b32 s3, s17, s3
	s_mul_i32 s8, s3, s8
	s_sub_i32 s2, s2, s8
	s_lshl_b32 s8, s2, 7
	v_add_u32_e32 v81, s8, v10
	s_and_b64 vcc, exec, s[4:5]
	v_add_u32_e32 v80, 64, v81
	s_cbranch_vccnz .LBB162_8
; %bb.7:
	v_mov_b32_e32 v1, 0
	v_lshl_add_u64 v[2:3], s[22:23], 0, v[0:1]
	v_mad_i64_i32 v[4:5], s[26:27], v81, s25, 0
	v_lshl_add_u64 v[4:5], v[4:5], 3, v[2:3]
	v_mad_i64_i32 v[6:7], s[26:27], v80, s25, 0
	v_lshl_add_u64 v[2:3], v[6:7], 3, v[2:3]
	flat_load_dwordx2 v[6:7], v[4:5]
	flat_load_dwordx2 v[8:9], v[2:3]
	s_waitcnt vmcnt(0) lgkmcnt(0)
	v_mul_f64 v[2:3], s[18:19], v[6:7]
	v_mul_f64 v[4:5], s[18:19], v[8:9]
	s_branch .LBB162_9
.LBB162_8:
	v_mov_b64_e32 v[2:3], 0
	v_mov_b64_e32 v[4:5], 0
.LBB162_9:
	s_load_dword s26, s[0:1], 0x38
	s_lshl_b32 s9, s3, 7
	v_add_u32_e32 v83, s9, v10
	s_and_b64 vcc, exec, s[4:5]
	v_add_u32_e32 v82, 64, v83
	s_cbranch_vccnz .LBB162_13
; %bb.10:
	v_mov_b32_e32 v1, 0
	v_lshl_add_u64 v[6:7], s[20:21], 0, v[0:1]
	s_waitcnt lgkmcnt(0)
	v_mad_i64_i32 v[8:9], s[2:3], v83, s26, 0
	v_lshl_add_u64 v[8:9], v[8:9], 3, v[6:7]
	v_mad_i64_i32 v[12:13], s[2:3], v82, s26, 0
	v_lshl_add_u64 v[6:7], v[12:13], 3, v[6:7]
	flat_load_dwordx2 v[12:13], v[8:9]
	flat_load_dwordx2 v[14:15], v[6:7]
	s_waitcnt vmcnt(0) lgkmcnt(0)
	v_mul_f64 v[6:7], s[18:19], v[12:13]
	v_mul_f64 v[8:9], s[18:19], v[14:15]
	s_and_b64 vcc, exec, s[4:5]
	s_cbranch_vccnz .LBB162_14
.LBB162_11:
	v_mov_b32_e32 v1, 0
	v_lshl_add_u64 v[12:13], s[22:23], 0, v[0:1]
	v_mad_i64_i32 v[14:15], s[2:3], v81, s25, 0
	v_lshl_add_u64 v[14:15], v[14:15], 3, v[12:13]
	v_mad_i64_i32 v[16:17], s[2:3], v80, s25, 0
	v_lshl_add_u64 v[12:13], v[16:17], 3, v[12:13]
	flat_load_dwordx2 v[16:17], v[14:15] offset:32
	flat_load_dwordx2 v[18:19], v[12:13] offset:32
	s_waitcnt vmcnt(0) lgkmcnt(0)
	v_mul_f64 v[72:73], s[18:19], v[16:17]
	v_mul_f64 v[74:75], s[18:19], v[18:19]
	s_and_b64 vcc, exec, s[4:5]
	s_cbranch_vccnz .LBB162_15
.LBB162_12:
	v_mov_b32_e32 v1, 0
	v_lshl_add_u64 v[12:13], s[20:21], 0, v[0:1]
	s_waitcnt lgkmcnt(0)
	v_mad_i64_i32 v[14:15], s[2:3], v83, s26, 0
	v_lshl_add_u64 v[14:15], v[14:15], 3, v[12:13]
	v_mad_i64_i32 v[16:17], s[2:3], v82, s26, 0
	v_lshl_add_u64 v[12:13], v[16:17], 3, v[12:13]
	flat_load_dwordx2 v[16:17], v[14:15] offset:32
	flat_load_dwordx2 v[18:19], v[12:13] offset:32
	s_waitcnt vmcnt(0) lgkmcnt(0)
	v_mul_f64 v[76:77], s[18:19], v[16:17]
	v_mul_f64 v[78:79], s[18:19], v[18:19]
	s_branch .LBB162_16
.LBB162_13:
	v_mov_b64_e32 v[6:7], 0
	v_mov_b64_e32 v[8:9], 0
	s_and_b64 vcc, exec, s[4:5]
	s_cbranch_vccz .LBB162_11
.LBB162_14:
	v_mov_b64_e32 v[72:73], 0
	v_mov_b64_e32 v[74:75], 0
	s_and_b64 vcc, exec, s[4:5]
	s_cbranch_vccz .LBB162_12
.LBB162_15:
	v_mov_b64_e32 v[76:77], 0
	v_mov_b64_e32 v[78:79], 0
.LBB162_16:
	v_lshl_or_b32 v153, v10, 5, v0
	v_add_u32_e32 v154, 0x2000, v153
	s_mov_b32 s17, 0
	s_mov_b64 s[2:3], -1
	v_mov_b32_e32 v86, 0x7f800000
	v_mov_b32_e32 v87, 0x7f800000
	;; [unrolled: 1-line block ×64, first 2 shown]
	ds_write2st64_b64 v153, v[2:3], v[4:5] offset1:4
	ds_write2st64_b64 v153, v[6:7], v[8:9] offset0:16 offset1:20
	s_waitcnt lgkmcnt(0)
	s_barrier
.LBB162_17:                             ; =>This Inner Loop Header: Depth=1
	v_cndmask_b32_e64 v0, 0, 1, s[2:3]
	s_lshl_b32 s2, s17, 3
	v_cmp_ne_u32_e32 vcc, 1, v0
	v_lshl_add_u32 v0, v143, 5, s2
	ds_read_b128 v[12:15], v0
	ds_read_b128 v[8:11], v0 offset:1024
	ds_read_b128 v[4:7], v0 offset:2048
	;; [unrolled: 1-line block ×3, first 2 shown]
	v_lshl_add_u32 v16, v144, 5, s2
	ds_read_b128 v[156:159], v16 offset:8192
	ds_read_b128 v[160:163], v16 offset:8448
	;; [unrolled: 1-line block ×16, first 2 shown]
	s_waitcnt lgkmcnt(14)
	v_add_f64 v[84:85], v[14:15], v[158:159]
	v_add_f64 v[164:165], v[12:13], v[156:157]
	v_cvt_f32_f64_e32 v155, v[164:165]
	v_cvt_f32_f64_e32 v84, v[84:85]
	v_min3_f32 v151, v155, v84, v151
	v_add_f64 v[84:85], v[10:11], v[158:159]
	v_add_f64 v[164:165], v[8:9], v[156:157]
	v_cvt_f32_f64_e32 v155, v[164:165]
	v_cvt_f32_f64_e32 v84, v[84:85]
	v_min3_f32 v150, v155, v84, v150
	;; [unrolled: 5-line block ×8, first 2 shown]
	s_waitcnt lgkmcnt(13)
	v_add_f64 v[84:85], v[14:15], v[70:71]
	v_add_f64 v[156:157], v[12:13], v[68:69]
	v_cvt_f32_f64_e32 v155, v[156:157]
	v_cvt_f32_f64_e32 v84, v[84:85]
	v_min3_f32 v141, v155, v84, v141
	v_add_f64 v[84:85], v[10:11], v[70:71]
	v_add_f64 v[156:157], v[8:9], v[68:69]
	v_cvt_f32_f64_e32 v155, v[156:157]
	v_cvt_f32_f64_e32 v84, v[84:85]
	v_min3_f32 v140, v155, v84, v140
	v_add_f64 v[84:85], v[6:7], v[70:71]
	v_add_f64 v[156:157], v[4:5], v[68:69]
	v_add_f64 v[70:71], v[2:3], v[70:71]
	v_add_f64 v[68:69], v[0:1], v[68:69]
	v_cvt_f32_f64_e32 v68, v[68:69]
	v_cvt_f32_f64_e32 v69, v[70:71]
	v_min3_f32 v138, v68, v69, v138
	s_waitcnt lgkmcnt(12)
	v_add_f64 v[68:69], v[14:15], v[66:67]
	v_add_f64 v[70:71], v[12:13], v[64:65]
	v_cvt_f32_f64_e32 v70, v[70:71]
	v_cvt_f32_f64_e32 v68, v[68:69]
	v_min3_f32 v137, v70, v68, v137
	v_add_f64 v[68:69], v[10:11], v[66:67]
	v_add_f64 v[70:71], v[8:9], v[64:65]
	v_cvt_f32_f64_e32 v70, v[70:71]
	v_cvt_f32_f64_e32 v68, v[68:69]
	v_min3_f32 v136, v70, v68, v136
	v_add_f64 v[68:69], v[6:7], v[66:67]
	v_add_f64 v[70:71], v[4:5], v[64:65]
	v_add_f64 v[66:67], v[2:3], v[66:67]
	v_add_f64 v[64:65], v[0:1], v[64:65]
	v_cvt_f32_f64_e32 v64, v[64:65]
	v_cvt_f32_f64_e32 v65, v[66:67]
	v_min3_f32 v134, v64, v65, v134
	;; [unrolled: 18-line block ×12, first 2 shown]
	s_waitcnt lgkmcnt(1)
	v_add_f64 v[24:25], v[14:15], v[22:23]
	v_add_f64 v[26:27], v[12:13], v[20:21]
	v_cvt_f32_f64_e32 v26, v[26:27]
	v_cvt_f32_f64_e32 v24, v[24:25]
	v_min3_f32 v93, v26, v24, v93
	v_add_f64 v[24:25], v[10:11], v[22:23]
	v_add_f64 v[26:27], v[8:9], v[20:21]
	v_cvt_f32_f64_e32 v26, v[26:27]
	v_cvt_f32_f64_e32 v24, v[24:25]
	v_min3_f32 v92, v26, v24, v92
	v_add_f64 v[24:25], v[6:7], v[22:23]
	v_add_f64 v[26:27], v[4:5], v[20:21]
	;; [unrolled: 1-line block ×4, first 2 shown]
	s_waitcnt lgkmcnt(0)
	v_add_f64 v[14:15], v[14:15], v[18:19]
	v_add_f64 v[12:13], v[12:13], v[16:17]
	;; [unrolled: 1-line block ×8, first 2 shown]
	v_cvt_f32_f64_e32 v155, v[156:157]
	v_cvt_f32_f64_e32 v84, v[84:85]
	;; [unrolled: 1-line block ×36, first 2 shown]
	v_min3_f32 v139, v155, v84, v139
	v_min3_f32 v135, v70, v68, v135
	;; [unrolled: 1-line block ×18, first 2 shown]
	s_mov_b32 s17, 2
	s_mov_b64 s[2:3], 0
	s_cbranch_vccz .LBB162_17
; %bb.18:
	s_load_dword s24, s[0:1], 0x8
	s_mov_b32 s17, 8
	ds_write2st64_b64 v153, v[72:73], v[74:75] offset0:8 offset1:12
	ds_write2st64_b64 v153, v[76:77], v[78:79] offset0:24 offset1:28
	s_waitcnt lgkmcnt(0)
	s_barrier
	s_cmp_gt_i32 s24, 8
	s_cbranch_scc0 .LBB162_35
; %bb.19:
	v_add_u32_e32 v155, 0x1000, v153
	v_add_u32_e32 v156, 0x3000, v153
	s_add_i32 s24, s24, -8
	v_mad_i64_i32 v[68:69], s[2:3], v81, s25, 0
	v_mad_i64_i32 v[70:71], s[2:3], v80, s25, 0
	v_mad_i64_i32 v[72:73], s[2:3], v83, s26, 0
	v_mad_i64_i32 v[74:75], s[2:3], v82, s26, 0
	s_mov_b32 s25, 0
	v_mov_b32_e32 v77, 0
.LBB162_20:                             ; =>This Loop Header: Depth=1
                                        ;     Child Loop BB162_26 Depth 2
                                        ;     Child Loop BB162_33 Depth 2
	s_and_b64 vcc, exec, s[4:5]
	v_or_b32_e32 v76, s17, v152
	s_cbranch_vccnz .LBB162_23
; %bb.21:                               ;   in Loop: Header=BB162_20 Depth=1
	v_lshl_add_u64 v[0:1], v[76:77], 3, s[22:23]
	v_lshl_add_u64 v[2:3], v[68:69], 3, v[0:1]
	;; [unrolled: 1-line block ×3, first 2 shown]
	flat_load_dwordx2 v[4:5], v[2:3]
	flat_load_dwordx2 v[6:7], v[0:1]
	s_waitcnt vmcnt(0) lgkmcnt(0)
	v_mul_f64 v[78:79], s[18:19], v[4:5]
	v_mul_f64 v[80:81], s[18:19], v[6:7]
	s_and_b64 vcc, exec, s[4:5]
	s_cbranch_vccnz .LBB162_24
.LBB162_22:                             ;   in Loop: Header=BB162_20 Depth=1
	v_lshl_add_u64 v[0:1], v[76:77], 3, s[20:21]
	v_lshl_add_u64 v[2:3], v[72:73], 3, v[0:1]
	;; [unrolled: 1-line block ×3, first 2 shown]
	flat_load_dwordx2 v[4:5], v[2:3]
	flat_load_dwordx2 v[6:7], v[0:1]
	s_waitcnt vmcnt(0) lgkmcnt(0)
	v_mul_f64 v[82:83], s[18:19], v[4:5]
	v_mul_f64 v[84:85], s[18:19], v[6:7]
	s_branch .LBB162_25
.LBB162_23:                             ;   in Loop: Header=BB162_20 Depth=1
	v_mov_b64_e32 v[78:79], 0
	v_mov_b64_e32 v[80:81], 0
	s_and_b64 vcc, exec, s[4:5]
	s_cbranch_vccz .LBB162_22
.LBB162_24:                             ;   in Loop: Header=BB162_20 Depth=1
	v_mov_b64_e32 v[82:83], 0
	v_mov_b64_e32 v[84:85], 0
.LBB162_25:                             ;   in Loop: Header=BB162_20 Depth=1
	s_mov_b32 s26, 0
	s_mov_b64 s[2:3], -1
.LBB162_26:                             ;   Parent Loop BB162_20 Depth=1
                                        ; =>  This Inner Loop Header: Depth=2
	v_cndmask_b32_e64 v0, 0, 1, s[2:3]
	s_lshl_b32 s2, s26, 3
	v_cmp_ne_u32_e32 vcc, 1, v0
	v_lshl_add_u32 v0, v143, 5, s2
	ds_read_b128 v[12:15], v0 offset:4096
	ds_read_b128 v[8:11], v0 offset:5120
	;; [unrolled: 1-line block ×4, first 2 shown]
	v_lshl_add_u32 v16, v144, 5, s2
	ds_read_b128 v[158:161], v16 offset:12288
	ds_read_b128 v[162:165], v16 offset:12544
	ds_read_b128 v[166:169], v16 offset:12800
	ds_read_b128 v[64:67], v16 offset:13056
	ds_read_b128 v[60:63], v16 offset:13312
	ds_read_b128 v[56:59], v16 offset:13568
	ds_read_b128 v[52:55], v16 offset:13824
	ds_read_b128 v[48:51], v16 offset:14080
	ds_read_b128 v[44:47], v16 offset:14336
	ds_read_b128 v[40:43], v16 offset:14592
	ds_read_b128 v[36:39], v16 offset:14848
	ds_read_b128 v[32:35], v16 offset:15104
	ds_read_b128 v[28:31], v16 offset:15360
	ds_read_b128 v[24:27], v16 offset:15616
	ds_read_b128 v[20:23], v16 offset:15872
	ds_read_b128 v[16:19], v16 offset:16128
	s_waitcnt lgkmcnt(14)
	v_add_f64 v[170:171], v[14:15], v[160:161]
	v_add_f64 v[172:173], v[12:13], v[158:159]
	v_cvt_f32_f64_e32 v157, v[172:173]
	v_cvt_f32_f64_e32 v170, v[170:171]
	v_min3_f32 v151, v157, v170, v151
	v_add_f64 v[170:171], v[10:11], v[160:161]
	v_add_f64 v[172:173], v[8:9], v[158:159]
	v_cvt_f32_f64_e32 v157, v[172:173]
	v_cvt_f32_f64_e32 v170, v[170:171]
	v_min3_f32 v150, v157, v170, v150
	v_add_f64 v[170:171], v[6:7], v[160:161]
	v_add_f64 v[172:173], v[4:5], v[158:159]
	v_cvt_f32_f64_e32 v157, v[172:173]
	v_cvt_f32_f64_e32 v170, v[170:171]
	v_add_f64 v[160:161], v[2:3], v[160:161]
	v_add_f64 v[158:159], v[0:1], v[158:159]
	v_min3_f32 v149, v157, v170, v149
	v_cvt_f32_f64_e32 v157, v[158:159]
	v_cvt_f32_f64_e32 v158, v[160:161]
	v_min3_f32 v148, v157, v158, v148
	v_add_f64 v[158:159], v[14:15], v[164:165]
	v_add_f64 v[160:161], v[12:13], v[162:163]
	v_cvt_f32_f64_e32 v157, v[160:161]
	v_cvt_f32_f64_e32 v158, v[158:159]
	v_min3_f32 v147, v157, v158, v147
	v_add_f64 v[158:159], v[10:11], v[164:165]
	v_add_f64 v[160:161], v[8:9], v[162:163]
	;; [unrolled: 5-line block ×4, first 2 shown]
	v_cvt_f32_f64_e32 v157, v[160:161]
	v_cvt_f32_f64_e32 v158, v[158:159]
	v_min3_f32 v142, v157, v158, v142
	s_waitcnt lgkmcnt(13)
	v_add_f64 v[158:159], v[14:15], v[168:169]
	v_add_f64 v[160:161], v[12:13], v[166:167]
	v_cvt_f32_f64_e32 v157, v[160:161]
	v_cvt_f32_f64_e32 v158, v[158:159]
	v_min3_f32 v141, v157, v158, v141
	v_add_f64 v[158:159], v[10:11], v[168:169]
	v_add_f64 v[160:161], v[8:9], v[166:167]
	v_cvt_f32_f64_e32 v157, v[160:161]
	v_cvt_f32_f64_e32 v158, v[158:159]
	v_min3_f32 v140, v157, v158, v140
	;; [unrolled: 5-line block ×4, first 2 shown]
	s_waitcnt lgkmcnt(12)
	v_add_f64 v[158:159], v[14:15], v[66:67]
	v_add_f64 v[160:161], v[12:13], v[64:65]
	v_cvt_f32_f64_e32 v157, v[160:161]
	v_cvt_f32_f64_e32 v158, v[158:159]
	v_min3_f32 v137, v157, v158, v137
	v_add_f64 v[158:159], v[10:11], v[66:67]
	v_add_f64 v[160:161], v[8:9], v[64:65]
	v_cvt_f32_f64_e32 v157, v[160:161]
	v_cvt_f32_f64_e32 v158, v[158:159]
	v_min3_f32 v136, v157, v158, v136
	v_add_f64 v[158:159], v[6:7], v[66:67]
	v_add_f64 v[160:161], v[4:5], v[64:65]
	v_add_f64 v[66:67], v[2:3], v[66:67]
	v_add_f64 v[64:65], v[0:1], v[64:65]
	v_cvt_f32_f64_e32 v64, v[64:65]
	v_cvt_f32_f64_e32 v65, v[66:67]
	v_min3_f32 v134, v64, v65, v134
	s_waitcnt lgkmcnt(11)
	v_add_f64 v[64:65], v[14:15], v[62:63]
	v_add_f64 v[66:67], v[12:13], v[60:61]
	v_cvt_f32_f64_e32 v66, v[66:67]
	v_cvt_f32_f64_e32 v64, v[64:65]
	v_min3_f32 v133, v66, v64, v133
	v_add_f64 v[64:65], v[10:11], v[62:63]
	v_add_f64 v[66:67], v[8:9], v[60:61]
	v_cvt_f32_f64_e32 v66, v[66:67]
	v_cvt_f32_f64_e32 v64, v[64:65]
	v_min3_f32 v132, v66, v64, v132
	v_add_f64 v[64:65], v[6:7], v[62:63]
	v_add_f64 v[66:67], v[4:5], v[60:61]
	v_add_f64 v[62:63], v[2:3], v[62:63]
	v_add_f64 v[60:61], v[0:1], v[60:61]
	v_cvt_f32_f64_e32 v60, v[60:61]
	v_cvt_f32_f64_e32 v61, v[62:63]
	v_min3_f32 v130, v60, v61, v130
	;; [unrolled: 18-line block ×11, first 2 shown]
	s_waitcnt lgkmcnt(1)
	v_add_f64 v[24:25], v[14:15], v[22:23]
	v_add_f64 v[26:27], v[12:13], v[20:21]
	v_cvt_f32_f64_e32 v26, v[26:27]
	v_cvt_f32_f64_e32 v24, v[24:25]
	v_min3_f32 v93, v26, v24, v93
	v_add_f64 v[24:25], v[10:11], v[22:23]
	v_add_f64 v[26:27], v[8:9], v[20:21]
	v_cvt_f32_f64_e32 v26, v[26:27]
	v_cvt_f32_f64_e32 v24, v[24:25]
	v_min3_f32 v92, v26, v24, v92
	v_add_f64 v[24:25], v[6:7], v[22:23]
	v_add_f64 v[26:27], v[4:5], v[20:21]
	;; [unrolled: 1-line block ×4, first 2 shown]
	s_waitcnt lgkmcnt(0)
	v_add_f64 v[14:15], v[14:15], v[18:19]
	v_add_f64 v[12:13], v[12:13], v[16:17]
	;; [unrolled: 1-line block ×8, first 2 shown]
	v_cvt_f32_f64_e32 v157, v[160:161]
	v_cvt_f32_f64_e32 v158, v[158:159]
	v_cvt_f32_f64_e32 v66, v[66:67]
	v_cvt_f32_f64_e32 v64, v[64:65]
	v_cvt_f32_f64_e32 v62, v[62:63]
	v_cvt_f32_f64_e32 v60, v[60:61]
	v_cvt_f32_f64_e32 v58, v[58:59]
	v_cvt_f32_f64_e32 v56, v[56:57]
	v_cvt_f32_f64_e32 v54, v[54:55]
	v_cvt_f32_f64_e32 v52, v[52:53]
	v_cvt_f32_f64_e32 v50, v[50:51]
	v_cvt_f32_f64_e32 v48, v[48:49]
	v_cvt_f32_f64_e32 v46, v[46:47]
	v_cvt_f32_f64_e32 v44, v[44:45]
	v_cvt_f32_f64_e32 v42, v[42:43]
	v_cvt_f32_f64_e32 v40, v[40:41]
	v_cvt_f32_f64_e32 v38, v[38:39]
	v_cvt_f32_f64_e32 v36, v[36:37]
	v_cvt_f32_f64_e32 v34, v[34:35]
	v_cvt_f32_f64_e32 v32, v[32:33]
	v_cvt_f32_f64_e32 v30, v[30:31]
	v_cvt_f32_f64_e32 v28, v[28:29]
	v_cvt_f32_f64_e32 v26, v[26:27]
	v_cvt_f32_f64_e32 v24, v[24:25]
	v_cvt_f32_f64_e32 v20, v[20:21]
	v_cvt_f32_f64_e32 v21, v[22:23]
	v_cvt_f32_f64_e32 v12, v[12:13]
	v_cvt_f32_f64_e32 v13, v[14:15]
	v_cvt_f32_f64_e32 v8, v[8:9]
	v_cvt_f32_f64_e32 v9, v[10:11]
	v_cvt_f32_f64_e32 v4, v[4:5]
	v_cvt_f32_f64_e32 v5, v[6:7]
	v_cvt_f32_f64_e32 v0, v[0:1]
	v_cvt_f32_f64_e32 v1, v[2:3]
	v_min3_f32 v135, v157, v158, v135
	v_min3_f32 v131, v66, v64, v131
	;; [unrolled: 1-line block ×17, first 2 shown]
	s_mov_b32 s26, 2
	s_mov_b64 s[2:3], 0
	s_cbranch_vccz .LBB162_26
; %bb.27:                               ;   in Loop: Header=BB162_20 Depth=1
	s_and_b64 vcc, exec, s[4:5]
	ds_write2st64_b64 v153, v[78:79], v[80:81] offset1:4
	ds_write2st64_b64 v154, v[82:83], v[84:85] offset1:4
	s_waitcnt lgkmcnt(0)
	s_barrier
	s_cbranch_vccnz .LBB162_30
; %bb.28:                               ;   in Loop: Header=BB162_20 Depth=1
	v_lshl_add_u64 v[0:1], v[76:77], 3, s[22:23]
	v_lshl_add_u64 v[2:3], v[68:69], 3, v[0:1]
	;; [unrolled: 1-line block ×3, first 2 shown]
	flat_load_dwordx2 v[4:5], v[2:3] offset:32
	flat_load_dwordx2 v[6:7], v[0:1] offset:32
	s_waitcnt vmcnt(0) lgkmcnt(0)
	v_mul_f64 v[78:79], s[18:19], v[4:5]
	v_mul_f64 v[80:81], s[18:19], v[6:7]
	s_and_b64 vcc, exec, s[4:5]
	s_cbranch_vccnz .LBB162_31
.LBB162_29:                             ;   in Loop: Header=BB162_20 Depth=1
	v_lshl_add_u64 v[0:1], v[76:77], 3, s[20:21]
	v_lshl_add_u64 v[2:3], v[72:73], 3, v[0:1]
	;; [unrolled: 1-line block ×3, first 2 shown]
	flat_load_dwordx2 v[4:5], v[2:3] offset:32
	flat_load_dwordx2 v[6:7], v[0:1] offset:32
	s_waitcnt vmcnt(0) lgkmcnt(0)
	v_mul_f64 v[82:83], s[18:19], v[4:5]
	v_mul_f64 v[84:85], s[18:19], v[6:7]
	s_branch .LBB162_32
.LBB162_30:                             ;   in Loop: Header=BB162_20 Depth=1
	v_mov_b64_e32 v[78:79], 0
	v_mov_b64_e32 v[80:81], 0
	s_and_b64 vcc, exec, s[4:5]
	s_cbranch_vccz .LBB162_29
.LBB162_31:                             ;   in Loop: Header=BB162_20 Depth=1
	v_mov_b64_e32 v[82:83], 0
	v_mov_b64_e32 v[84:85], 0
.LBB162_32:                             ;   in Loop: Header=BB162_20 Depth=1
	s_mov_b32 s26, 0
	s_mov_b64 s[2:3], -1
.LBB162_33:                             ;   Parent Loop BB162_20 Depth=1
                                        ; =>  This Inner Loop Header: Depth=2
	v_cndmask_b32_e64 v0, 0, 1, s[2:3]
	s_lshl_b32 s2, s26, 3
	v_cmp_ne_u32_e32 vcc, 1, v0
	v_lshl_add_u32 v0, v143, 5, s2
	ds_read_b128 v[12:15], v0
	ds_read_b128 v[8:11], v0 offset:1024
	ds_read_b128 v[4:7], v0 offset:2048
	;; [unrolled: 1-line block ×3, first 2 shown]
	v_lshl_add_u32 v16, v144, 5, s2
	ds_read_b128 v[158:161], v16 offset:8192
	ds_read_b128 v[162:165], v16 offset:8448
	;; [unrolled: 1-line block ×16, first 2 shown]
	s_waitcnt lgkmcnt(14)
	v_add_f64 v[170:171], v[14:15], v[160:161]
	v_add_f64 v[172:173], v[12:13], v[158:159]
	v_cvt_f32_f64_e32 v76, v[172:173]
	v_cvt_f32_f64_e32 v157, v[170:171]
	v_add_f64 v[170:171], v[10:11], v[160:161]
	v_add_f64 v[172:173], v[8:9], v[158:159]
	v_min3_f32 v151, v76, v157, v151
	v_cvt_f32_f64_e32 v76, v[172:173]
	v_cvt_f32_f64_e32 v157, v[170:171]
	v_add_f64 v[170:171], v[6:7], v[160:161]
	v_add_f64 v[172:173], v[4:5], v[158:159]
	v_min3_f32 v150, v76, v157, v150
	;; [unrolled: 5-line block ×7, first 2 shown]
	v_cvt_f32_f64_e32 v76, v[160:161]
	v_cvt_f32_f64_e32 v157, v[158:159]
	s_waitcnt lgkmcnt(13)
	v_add_f64 v[158:159], v[14:15], v[168:169]
	v_add_f64 v[160:161], v[12:13], v[166:167]
	v_min3_f32 v142, v76, v157, v142
	v_cvt_f32_f64_e32 v76, v[160:161]
	v_cvt_f32_f64_e32 v157, v[158:159]
	v_add_f64 v[158:159], v[10:11], v[168:169]
	v_add_f64 v[160:161], v[8:9], v[166:167]
	v_min3_f32 v141, v76, v157, v141
	v_cvt_f32_f64_e32 v76, v[160:161]
	v_cvt_f32_f64_e32 v157, v[158:159]
	;; [unrolled: 5-line block ×4, first 2 shown]
	s_waitcnt lgkmcnt(12)
	v_add_f64 v[158:159], v[14:15], v[66:67]
	v_add_f64 v[160:161], v[12:13], v[64:65]
	v_min3_f32 v138, v76, v157, v138
	v_cvt_f32_f64_e32 v76, v[160:161]
	v_cvt_f32_f64_e32 v157, v[158:159]
	v_add_f64 v[158:159], v[10:11], v[66:67]
	v_add_f64 v[160:161], v[8:9], v[64:65]
	v_min3_f32 v137, v76, v157, v137
	v_cvt_f32_f64_e32 v76, v[160:161]
	v_cvt_f32_f64_e32 v157, v[158:159]
	v_add_f64 v[158:159], v[6:7], v[66:67]
	v_add_f64 v[160:161], v[4:5], v[64:65]
	v_add_f64 v[66:67], v[2:3], v[66:67]
	v_add_f64 v[64:65], v[0:1], v[64:65]
	v_cvt_f32_f64_e32 v64, v[64:65]
	v_cvt_f32_f64_e32 v65, v[66:67]
	v_min3_f32 v134, v64, v65, v134
	s_waitcnt lgkmcnt(11)
	v_add_f64 v[64:65], v[14:15], v[62:63]
	v_add_f64 v[66:67], v[12:13], v[60:61]
	v_cvt_f32_f64_e32 v66, v[66:67]
	v_cvt_f32_f64_e32 v64, v[64:65]
	v_min3_f32 v133, v66, v64, v133
	v_add_f64 v[64:65], v[10:11], v[62:63]
	v_add_f64 v[66:67], v[8:9], v[60:61]
	v_cvt_f32_f64_e32 v66, v[66:67]
	v_cvt_f32_f64_e32 v64, v[64:65]
	v_min3_f32 v132, v66, v64, v132
	v_add_f64 v[64:65], v[6:7], v[62:63]
	v_add_f64 v[66:67], v[4:5], v[60:61]
	v_add_f64 v[62:63], v[2:3], v[62:63]
	v_add_f64 v[60:61], v[0:1], v[60:61]
	v_cvt_f32_f64_e32 v60, v[60:61]
	v_cvt_f32_f64_e32 v61, v[62:63]
	v_min3_f32 v130, v60, v61, v130
	s_waitcnt lgkmcnt(10)
	v_add_f64 v[60:61], v[14:15], v[58:59]
	v_add_f64 v[62:63], v[12:13], v[56:57]
	v_cvt_f32_f64_e32 v62, v[62:63]
	v_cvt_f32_f64_e32 v60, v[60:61]
	v_min3_f32 v129, v62, v60, v129
	v_add_f64 v[60:61], v[10:11], v[58:59]
	v_add_f64 v[62:63], v[8:9], v[56:57]
	v_cvt_f32_f64_e32 v62, v[62:63]
	v_cvt_f32_f64_e32 v60, v[60:61]
	v_min3_f32 v128, v62, v60, v128
	;; [unrolled: 18-line block ×11, first 2 shown]
	v_add_f64 v[24:25], v[6:7], v[22:23]
	v_add_f64 v[26:27], v[4:5], v[20:21]
	;; [unrolled: 1-line block ×4, first 2 shown]
	s_waitcnt lgkmcnt(0)
	v_add_f64 v[14:15], v[14:15], v[18:19]
	v_add_f64 v[12:13], v[12:13], v[16:17]
	v_add_f64 v[10:11], v[10:11], v[18:19]
	v_add_f64 v[8:9], v[8:9], v[16:17]
	v_add_f64 v[6:7], v[6:7], v[18:19]
	v_add_f64 v[4:5], v[4:5], v[16:17]
	v_add_f64 v[2:3], v[2:3], v[18:19]
	v_add_f64 v[0:1], v[0:1], v[16:17]
	v_min3_f32 v136, v76, v157, v136
	v_cvt_f32_f64_e32 v76, v[160:161]
	v_cvt_f32_f64_e32 v157, v[158:159]
	;; [unrolled: 1-line block ×34, first 2 shown]
	v_min3_f32 v135, v76, v157, v135
	v_min3_f32 v131, v66, v64, v131
	;; [unrolled: 1-line block ×17, first 2 shown]
	s_mov_b32 s26, 2
	s_mov_b64 s[2:3], 0
	s_cbranch_vccz .LBB162_33
; %bb.34:                               ;   in Loop: Header=BB162_20 Depth=1
	s_add_i32 s17, s17, 8
	s_add_i32 s25, s25, 8
	s_cmp_ge_i32 s25, s24
	ds_write2st64_b64 v155, v[78:79], v[80:81] offset1:4
	ds_write2st64_b64 v156, v[82:83], v[84:85] offset1:4
	s_waitcnt lgkmcnt(0)
	s_barrier
	s_cbranch_scc0 .LBB162_20
.LBB162_35:
	s_mov_b32 s4, 0
	s_mov_b64 s[2:3], -1
.LBB162_36:                             ; =>This Inner Loop Header: Depth=1
	v_cndmask_b32_e64 v0, 0, 1, s[2:3]
	s_lshl_b32 s2, s4, 3
	v_cmp_ne_u32_e32 vcc, 1, v0
	v_lshl_add_u32 v0, v143, 5, s2
	ds_read_b128 v[12:15], v0 offset:4096
	ds_read_b128 v[8:11], v0 offset:5120
	;; [unrolled: 1-line block ×4, first 2 shown]
	v_lshl_add_u32 v16, v144, 5, s2
	ds_read_b128 v[68:71], v16 offset:12288
	ds_read_b128 v[72:75], v16 offset:12544
	;; [unrolled: 1-line block ×16, first 2 shown]
	s_waitcnt lgkmcnt(14)
	v_add_f64 v[80:81], v[14:15], v[70:71]
	v_add_f64 v[82:83], v[12:13], v[68:69]
	v_cvt_f32_f64_e32 v82, v[82:83]
	v_cvt_f32_f64_e32 v80, v[80:81]
	v_min3_f32 v151, v82, v80, v151
	v_add_f64 v[80:81], v[10:11], v[70:71]
	v_add_f64 v[82:83], v[8:9], v[68:69]
	v_cvt_f32_f64_e32 v82, v[82:83]
	v_cvt_f32_f64_e32 v80, v[80:81]
	v_min3_f32 v150, v82, v80, v150
	v_add_f64 v[80:81], v[6:7], v[70:71]
	v_add_f64 v[82:83], v[4:5], v[68:69]
	;; [unrolled: 1-line block ×4, first 2 shown]
	v_cvt_f32_f64_e32 v68, v[68:69]
	v_cvt_f32_f64_e32 v69, v[70:71]
	v_min3_f32 v148, v68, v69, v148
	v_add_f64 v[68:69], v[14:15], v[74:75]
	v_add_f64 v[70:71], v[12:13], v[72:73]
	v_cvt_f32_f64_e32 v70, v[70:71]
	v_cvt_f32_f64_e32 v68, v[68:69]
	v_min3_f32 v147, v70, v68, v147
	v_add_f64 v[68:69], v[10:11], v[74:75]
	v_add_f64 v[70:71], v[8:9], v[72:73]
	;; [unrolled: 5-line block ×4, first 2 shown]
	v_cvt_f32_f64_e32 v70, v[70:71]
	v_cvt_f32_f64_e32 v68, v[68:69]
	v_min3_f32 v142, v70, v68, v142
	s_waitcnt lgkmcnt(13)
	v_add_f64 v[68:69], v[14:15], v[78:79]
	v_add_f64 v[70:71], v[12:13], v[76:77]
	v_cvt_f32_f64_e32 v70, v[70:71]
	v_cvt_f32_f64_e32 v68, v[68:69]
	v_min3_f32 v141, v70, v68, v141
	v_add_f64 v[68:69], v[10:11], v[78:79]
	v_add_f64 v[70:71], v[8:9], v[76:77]
	v_cvt_f32_f64_e32 v70, v[70:71]
	v_cvt_f32_f64_e32 v68, v[68:69]
	v_min3_f32 v140, v70, v68, v140
	;; [unrolled: 5-line block ×4, first 2 shown]
	s_waitcnt lgkmcnt(12)
	v_add_f64 v[68:69], v[14:15], v[66:67]
	v_add_f64 v[70:71], v[12:13], v[64:65]
	v_cvt_f32_f64_e32 v70, v[70:71]
	v_cvt_f32_f64_e32 v68, v[68:69]
	v_min3_f32 v137, v70, v68, v137
	v_add_f64 v[68:69], v[10:11], v[66:67]
	v_add_f64 v[70:71], v[8:9], v[64:65]
	v_cvt_f32_f64_e32 v70, v[70:71]
	v_cvt_f32_f64_e32 v68, v[68:69]
	v_min3_f32 v136, v70, v68, v136
	v_add_f64 v[68:69], v[6:7], v[66:67]
	v_add_f64 v[70:71], v[4:5], v[64:65]
	v_add_f64 v[66:67], v[2:3], v[66:67]
	v_add_f64 v[64:65], v[0:1], v[64:65]
	v_cvt_f32_f64_e32 v64, v[64:65]
	v_cvt_f32_f64_e32 v65, v[66:67]
	v_min3_f32 v134, v64, v65, v134
	s_waitcnt lgkmcnt(11)
	v_add_f64 v[64:65], v[14:15], v[62:63]
	v_add_f64 v[66:67], v[12:13], v[60:61]
	v_cvt_f32_f64_e32 v66, v[66:67]
	v_cvt_f32_f64_e32 v64, v[64:65]
	v_min3_f32 v133, v66, v64, v133
	v_add_f64 v[64:65], v[10:11], v[62:63]
	v_add_f64 v[66:67], v[8:9], v[60:61]
	v_cvt_f32_f64_e32 v66, v[66:67]
	v_cvt_f32_f64_e32 v64, v[64:65]
	v_min3_f32 v132, v66, v64, v132
	v_add_f64 v[64:65], v[6:7], v[62:63]
	v_add_f64 v[66:67], v[4:5], v[60:61]
	v_add_f64 v[62:63], v[2:3], v[62:63]
	v_add_f64 v[60:61], v[0:1], v[60:61]
	v_cvt_f32_f64_e32 v60, v[60:61]
	v_cvt_f32_f64_e32 v61, v[62:63]
	v_min3_f32 v130, v60, v61, v130
	;; [unrolled: 18-line block ×11, first 2 shown]
	s_waitcnt lgkmcnt(1)
	v_add_f64 v[24:25], v[14:15], v[22:23]
	v_add_f64 v[26:27], v[12:13], v[20:21]
	v_cvt_f32_f64_e32 v26, v[26:27]
	v_cvt_f32_f64_e32 v24, v[24:25]
	v_min3_f32 v93, v26, v24, v93
	v_add_f64 v[24:25], v[10:11], v[22:23]
	v_add_f64 v[26:27], v[8:9], v[20:21]
	v_cvt_f32_f64_e32 v26, v[26:27]
	v_cvt_f32_f64_e32 v24, v[24:25]
	v_min3_f32 v92, v26, v24, v92
	v_add_f64 v[24:25], v[6:7], v[22:23]
	v_add_f64 v[26:27], v[4:5], v[20:21]
	;; [unrolled: 1-line block ×4, first 2 shown]
	s_waitcnt lgkmcnt(0)
	v_add_f64 v[14:15], v[14:15], v[18:19]
	v_add_f64 v[12:13], v[12:13], v[16:17]
	;; [unrolled: 1-line block ×8, first 2 shown]
	v_cvt_f32_f64_e32 v82, v[82:83]
	v_cvt_f32_f64_e32 v80, v[80:81]
	;; [unrolled: 1-line block ×36, first 2 shown]
	v_min3_f32 v149, v82, v80, v149
	v_min3_f32 v135, v70, v68, v135
	;; [unrolled: 1-line block ×18, first 2 shown]
	s_mov_b32 s4, 2
	s_mov_b64 s[2:3], 0
	s_cbranch_vccz .LBB162_36
; %bb.37:
	s_load_dwordx2 s[2:3], s[0:1], 0x78
	s_load_dword s17, s[0:1], 0x58
	s_load_dword s18, s[0:1], 0x70
	v_add_u32_e32 v4, s8, v143
	v_add_u32_e32 v18, s9, v144
	s_waitcnt lgkmcnt(0)
	s_mul_i32 s1, s16, s3
	s_mul_hi_u32 s3, s16, s2
	s_mul_i32 s0, s16, s2
	s_add_i32 s1, s3, s1
	s_lshl_b64 s[0:1], s[0:1], 3
	s_add_u32 s0, s10, s0
	s_addc_u32 s1, s11, s1
	v_add_u32_e32 v0, 32, v4
	v_mad_i64_i32 v[2:3], s[2:3], v18, s18, 0
	v_ashrrev_i32_e32 v5, 31, v4
	v_ashrrev_i32_e32 v1, 31, v0
	v_lshl_add_u64 v[12:13], v[2:3], 3, s[0:1]
	v_mad_i64_i32 v[2:3], s[2:3], v18, s17, 0
	v_max_f32_e32 v6, v151, v151
	s_mov_b64 vcc, s[6:7]
	s_cbranch_vccz .LBB162_40
; %bb.38:
	v_min_f32_e32 v7, 0, v6
	v_cvt_f64_f32_e32 v[8:9], v7
	v_lshl_add_u64 v[10:11], v[4:5], 3, v[12:13]
	global_store_dwordx2 v[10:11], v[8:9], off
	s_mov_b64 s[2:3], 0
	v_lshl_add_u64 v[14:15], v[2:3], 3, s[14:15]
	v_lshlrev_b64 v[8:9], 3, v[4:5]
	s_cbranch_execz .LBB162_41
; %bb.39:
	v_mov_b64_e32 v[10:11], s[2:3]
	s_branch .LBB162_42
.LBB162_40:
                                        ; implicit-def: $sgpr2_sgpr3
	v_lshl_add_u64 v[14:15], v[2:3], 3, s[14:15]
	v_lshlrev_b64 v[8:9], 3, v[4:5]
.LBB162_41:
	v_lshl_add_u64 v[2:3], v[14:15], 0, v[8:9]
	flat_load_dwordx2 v[2:3], v[2:3]
	v_lshl_add_u64 v[10:11], v[12:13], 0, v[8:9]
	s_waitcnt vmcnt(0) lgkmcnt(0)
	v_mul_f64 v[2:3], s[12:13], v[2:3]
	v_cvt_f32_f64_e32 v2, v[2:3]
	v_min_f32_e32 v2, v2, v6
	v_cvt_f64_f32_e32 v[2:3], v2
	global_store_dwordx2 v[10:11], v[2:3], off
	v_lshl_add_u64 v[2:3], v[0:1], 3, v[14:15]
	flat_load_dwordx2 v[2:3], v[2:3]
	s_waitcnt vmcnt(0) lgkmcnt(0)
	v_mul_f64 v[10:11], s[12:13], v[2:3]
.LBB162_42:
	v_cvt_f32_f64_e32 v10, v[10:11]
	v_max_f32_e32 v11, v150, v150
	v_min_f32_e32 v10, v10, v11
	v_add_u32_e32 v6, 64, v4
	v_add_u32_e32 v2, 0x60, v4
	v_cvt_f64_f32_e32 v[10:11], v10
	v_lshl_add_u64 v[16:17], v[0:1], 3, v[12:13]
	v_ashrrev_i32_e32 v7, 31, v6
	v_ashrrev_i32_e32 v3, 31, v2
	global_store_dwordx2 v[16:17], v[10:11], off
	v_max_f32_e32 v16, v149, v149
	s_mov_b64 vcc, s[6:7]
	s_cbranch_vccz .LBB162_45
; %bb.43:
	v_min_f32_e32 v10, 0, v16
	v_cvt_f64_f32_e32 v[10:11], v10
	v_lshl_add_u64 v[20:21], v[6:7], 3, v[12:13]
	global_store_dwordx2 v[20:21], v[10:11], off
	s_mov_b64 s[2:3], 0
	v_lshlrev_b64 v[10:11], 3, v[6:7]
	s_cbranch_execz .LBB162_46
; %bb.44:
	v_mov_b64_e32 v[14:15], s[2:3]
	s_branch .LBB162_47
.LBB162_45:
                                        ; implicit-def: $sgpr2_sgpr3
	v_lshlrev_b64 v[10:11], 3, v[6:7]
.LBB162_46:
	v_lshl_add_u64 v[20:21], v[14:15], 0, v[10:11]
	flat_load_dwordx2 v[20:21], v[20:21]
	v_lshl_add_u64 v[22:23], v[12:13], 0, v[10:11]
	v_lshl_add_u64 v[14:15], v[2:3], 3, v[14:15]
	s_waitcnt vmcnt(0) lgkmcnt(0)
	v_mul_f64 v[20:21], s[12:13], v[20:21]
	v_cvt_f32_f64_e32 v17, v[20:21]
	v_min_f32_e32 v16, v17, v16
	v_cvt_f64_f32_e32 v[16:17], v16
	global_store_dwordx2 v[22:23], v[16:17], off
	flat_load_dwordx2 v[14:15], v[14:15]
	s_waitcnt vmcnt(0) lgkmcnt(0)
	v_mul_f64 v[14:15], s[12:13], v[14:15]
.LBB162_47:
	v_cvt_f32_f64_e32 v14, v[14:15]
	v_max_f32_e32 v15, v148, v148
	v_min_f32_e32 v14, v14, v15
	v_cvt_f64_f32_e32 v[14:15], v14
	v_lshl_add_u64 v[12:13], v[2:3], 3, v[12:13]
	global_store_dwordx2 v[12:13], v[14:15], off
	v_add_u32_e32 v14, 8, v18
	v_mad_i64_i32 v[12:13], s[2:3], v14, s18, 0
	v_lshl_add_u64 v[12:13], v[12:13], 3, s[0:1]
	v_mad_i64_i32 v[14:15], s[2:3], v14, s17, 0
	v_max_f32_e32 v16, v147, v147
	s_mov_b64 vcc, s[6:7]
	s_cbranch_vccz .LBB162_50
; %bb.48:
	v_min_f32_e32 v17, 0, v16
	v_cvt_f64_f32_e32 v[20:21], v17
	v_lshl_add_u64 v[22:23], v[4:5], 3, v[12:13]
	global_store_dwordx2 v[22:23], v[20:21], off
	s_mov_b64 s[2:3], 0
	v_lshl_add_u64 v[14:15], v[14:15], 3, s[14:15]
	s_cbranch_execz .LBB162_51
; %bb.49:
	v_mov_b64_e32 v[16:17], s[2:3]
	s_branch .LBB162_52
.LBB162_50:
                                        ; implicit-def: $sgpr2_sgpr3
	v_lshl_add_u64 v[14:15], v[14:15], 3, s[14:15]
.LBB162_51:
	v_lshl_add_u64 v[20:21], v[14:15], 0, v[8:9]
	flat_load_dwordx2 v[20:21], v[20:21]
	v_lshl_add_u64 v[22:23], v[12:13], 0, v[8:9]
	s_waitcnt vmcnt(0) lgkmcnt(0)
	v_mul_f64 v[20:21], s[12:13], v[20:21]
	v_cvt_f32_f64_e32 v17, v[20:21]
	v_min_f32_e32 v16, v17, v16
	v_cvt_f64_f32_e32 v[16:17], v16
	global_store_dwordx2 v[22:23], v[16:17], off
	v_lshl_add_u64 v[16:17], v[0:1], 3, v[14:15]
	flat_load_dwordx2 v[16:17], v[16:17]
	s_waitcnt vmcnt(0) lgkmcnt(0)
	v_mul_f64 v[16:17], s[12:13], v[16:17]
.LBB162_52:
	v_cvt_f32_f64_e32 v16, v[16:17]
	v_max_f32_e32 v17, v146, v146
	v_min_f32_e32 v16, v16, v17
	v_cvt_f64_f32_e32 v[16:17], v16
	v_lshl_add_u64 v[20:21], v[0:1], 3, v[12:13]
	global_store_dwordx2 v[20:21], v[16:17], off
	v_max_f32_e32 v16, v145, v145
	s_mov_b64 vcc, s[6:7]
	s_cbranch_vccz .LBB162_55
; %bb.53:
	v_min_f32_e32 v17, 0, v16
	v_cvt_f64_f32_e32 v[20:21], v17
	v_lshl_add_u64 v[22:23], v[6:7], 3, v[12:13]
	global_store_dwordx2 v[22:23], v[20:21], off
	s_mov_b64 s[2:3], 0
	s_cbranch_execz .LBB162_56
; %bb.54:
	v_mov_b64_e32 v[14:15], s[2:3]
	s_branch .LBB162_57
.LBB162_55:
                                        ; implicit-def: $sgpr2_sgpr3
.LBB162_56:
	v_lshl_add_u64 v[20:21], v[14:15], 0, v[10:11]
	flat_load_dwordx2 v[20:21], v[20:21]
	v_lshl_add_u64 v[22:23], v[12:13], 0, v[10:11]
	v_lshl_add_u64 v[14:15], v[2:3], 3, v[14:15]
	s_waitcnt vmcnt(0) lgkmcnt(0)
	v_mul_f64 v[20:21], s[12:13], v[20:21]
	v_cvt_f32_f64_e32 v17, v[20:21]
	v_min_f32_e32 v16, v17, v16
	v_cvt_f64_f32_e32 v[16:17], v16
	global_store_dwordx2 v[22:23], v[16:17], off
	flat_load_dwordx2 v[14:15], v[14:15]
	s_waitcnt vmcnt(0) lgkmcnt(0)
	v_mul_f64 v[14:15], s[12:13], v[14:15]
.LBB162_57:
	v_cvt_f32_f64_e32 v14, v[14:15]
	v_max_f32_e32 v15, v142, v142
	v_min_f32_e32 v14, v14, v15
	v_cvt_f64_f32_e32 v[14:15], v14
	v_lshl_add_u64 v[12:13], v[2:3], 3, v[12:13]
	global_store_dwordx2 v[12:13], v[14:15], off
	v_add_u32_e32 v14, 16, v18
	v_mad_i64_i32 v[12:13], s[2:3], v14, s18, 0
	v_lshl_add_u64 v[12:13], v[12:13], 3, s[0:1]
	v_mad_i64_i32 v[14:15], s[2:3], v14, s17, 0
	v_max_f32_e32 v16, v141, v141
	s_mov_b64 vcc, s[6:7]
	s_cbranch_vccz .LBB162_60
; %bb.58:
	v_min_f32_e32 v17, 0, v16
	v_cvt_f64_f32_e32 v[20:21], v17
	v_lshl_add_u64 v[22:23], v[4:5], 3, v[12:13]
	global_store_dwordx2 v[22:23], v[20:21], off
	s_mov_b64 s[2:3], 0
	v_lshl_add_u64 v[14:15], v[14:15], 3, s[14:15]
	s_cbranch_execz .LBB162_61
; %bb.59:
	v_mov_b64_e32 v[16:17], s[2:3]
	s_branch .LBB162_62
.LBB162_60:
                                        ; implicit-def: $sgpr2_sgpr3
	v_lshl_add_u64 v[14:15], v[14:15], 3, s[14:15]
.LBB162_61:
	v_lshl_add_u64 v[20:21], v[14:15], 0, v[8:9]
	flat_load_dwordx2 v[20:21], v[20:21]
	v_lshl_add_u64 v[22:23], v[12:13], 0, v[8:9]
	s_waitcnt vmcnt(0) lgkmcnt(0)
	v_mul_f64 v[20:21], s[12:13], v[20:21]
	v_cvt_f32_f64_e32 v17, v[20:21]
	v_min_f32_e32 v16, v17, v16
	v_cvt_f64_f32_e32 v[16:17], v16
	global_store_dwordx2 v[22:23], v[16:17], off
	v_lshl_add_u64 v[16:17], v[0:1], 3, v[14:15]
	flat_load_dwordx2 v[16:17], v[16:17]
	s_waitcnt vmcnt(0) lgkmcnt(0)
	v_mul_f64 v[16:17], s[12:13], v[16:17]
.LBB162_62:
	v_cvt_f32_f64_e32 v16, v[16:17]
	v_max_f32_e32 v17, v140, v140
	v_min_f32_e32 v16, v16, v17
	v_cvt_f64_f32_e32 v[16:17], v16
	v_lshl_add_u64 v[20:21], v[0:1], 3, v[12:13]
	global_store_dwordx2 v[20:21], v[16:17], off
	v_max_f32_e32 v16, v139, v139
	s_mov_b64 vcc, s[6:7]
	s_cbranch_vccz .LBB162_65
; %bb.63:
	v_min_f32_e32 v17, 0, v16
	v_cvt_f64_f32_e32 v[20:21], v17
	v_lshl_add_u64 v[22:23], v[6:7], 3, v[12:13]
	global_store_dwordx2 v[22:23], v[20:21], off
	s_mov_b64 s[2:3], 0
	s_cbranch_execz .LBB162_66
; %bb.64:
	v_mov_b64_e32 v[14:15], s[2:3]
	s_branch .LBB162_67
.LBB162_65:
                                        ; implicit-def: $sgpr2_sgpr3
.LBB162_66:
	v_lshl_add_u64 v[20:21], v[14:15], 0, v[10:11]
	flat_load_dwordx2 v[20:21], v[20:21]
	v_lshl_add_u64 v[22:23], v[12:13], 0, v[10:11]
	v_lshl_add_u64 v[14:15], v[2:3], 3, v[14:15]
	s_waitcnt vmcnt(0) lgkmcnt(0)
	v_mul_f64 v[20:21], s[12:13], v[20:21]
	v_cvt_f32_f64_e32 v17, v[20:21]
	v_min_f32_e32 v16, v17, v16
	v_cvt_f64_f32_e32 v[16:17], v16
	global_store_dwordx2 v[22:23], v[16:17], off
	flat_load_dwordx2 v[14:15], v[14:15]
	s_waitcnt vmcnt(0) lgkmcnt(0)
	v_mul_f64 v[14:15], s[12:13], v[14:15]
.LBB162_67:
	v_cvt_f32_f64_e32 v14, v[14:15]
	v_max_f32_e32 v15, v138, v138
	v_min_f32_e32 v14, v14, v15
	v_cvt_f64_f32_e32 v[14:15], v14
	v_lshl_add_u64 v[12:13], v[2:3], 3, v[12:13]
	global_store_dwordx2 v[12:13], v[14:15], off
	v_add_u32_e32 v14, 24, v18
	v_mad_i64_i32 v[12:13], s[2:3], v14, s18, 0
	v_lshl_add_u64 v[12:13], v[12:13], 3, s[0:1]
	v_mad_i64_i32 v[14:15], s[2:3], v14, s17, 0
	v_max_f32_e32 v16, v137, v137
	s_mov_b64 vcc, s[6:7]
	s_cbranch_vccz .LBB162_70
; %bb.68:
	v_min_f32_e32 v17, 0, v16
	v_cvt_f64_f32_e32 v[20:21], v17
	v_lshl_add_u64 v[22:23], v[4:5], 3, v[12:13]
	global_store_dwordx2 v[22:23], v[20:21], off
	s_mov_b64 s[2:3], 0
	v_lshl_add_u64 v[14:15], v[14:15], 3, s[14:15]
	s_cbranch_execz .LBB162_71
; %bb.69:
	v_mov_b64_e32 v[16:17], s[2:3]
	s_branch .LBB162_72
.LBB162_70:
                                        ; implicit-def: $sgpr2_sgpr3
	v_lshl_add_u64 v[14:15], v[14:15], 3, s[14:15]
.LBB162_71:
	v_lshl_add_u64 v[20:21], v[14:15], 0, v[8:9]
	flat_load_dwordx2 v[20:21], v[20:21]
	v_lshl_add_u64 v[22:23], v[12:13], 0, v[8:9]
	s_waitcnt vmcnt(0) lgkmcnt(0)
	v_mul_f64 v[20:21], s[12:13], v[20:21]
	v_cvt_f32_f64_e32 v17, v[20:21]
	v_min_f32_e32 v16, v17, v16
	v_cvt_f64_f32_e32 v[16:17], v16
	global_store_dwordx2 v[22:23], v[16:17], off
	v_lshl_add_u64 v[16:17], v[0:1], 3, v[14:15]
	flat_load_dwordx2 v[16:17], v[16:17]
	s_waitcnt vmcnt(0) lgkmcnt(0)
	v_mul_f64 v[16:17], s[12:13], v[16:17]
.LBB162_72:
	v_cvt_f32_f64_e32 v16, v[16:17]
	v_max_f32_e32 v17, v136, v136
	v_min_f32_e32 v16, v16, v17
	v_cvt_f64_f32_e32 v[16:17], v16
	v_lshl_add_u64 v[20:21], v[0:1], 3, v[12:13]
	global_store_dwordx2 v[20:21], v[16:17], off
	v_max_f32_e32 v16, v135, v135
	s_mov_b64 vcc, s[6:7]
	s_cbranch_vccz .LBB162_75
; %bb.73:
	v_min_f32_e32 v17, 0, v16
	v_cvt_f64_f32_e32 v[20:21], v17
	v_lshl_add_u64 v[22:23], v[6:7], 3, v[12:13]
	global_store_dwordx2 v[22:23], v[20:21], off
	s_mov_b64 s[2:3], 0
	s_cbranch_execz .LBB162_76
; %bb.74:
	v_mov_b64_e32 v[14:15], s[2:3]
	s_branch .LBB162_77
.LBB162_75:
                                        ; implicit-def: $sgpr2_sgpr3
.LBB162_76:
	v_lshl_add_u64 v[20:21], v[14:15], 0, v[10:11]
	flat_load_dwordx2 v[20:21], v[20:21]
	v_lshl_add_u64 v[22:23], v[12:13], 0, v[10:11]
	v_lshl_add_u64 v[14:15], v[2:3], 3, v[14:15]
	s_waitcnt vmcnt(0) lgkmcnt(0)
	v_mul_f64 v[20:21], s[12:13], v[20:21]
	v_cvt_f32_f64_e32 v17, v[20:21]
	v_min_f32_e32 v16, v17, v16
	v_cvt_f64_f32_e32 v[16:17], v16
	global_store_dwordx2 v[22:23], v[16:17], off
	flat_load_dwordx2 v[14:15], v[14:15]
	s_waitcnt vmcnt(0) lgkmcnt(0)
	v_mul_f64 v[14:15], s[12:13], v[14:15]
.LBB162_77:
	v_cvt_f32_f64_e32 v14, v[14:15]
	v_max_f32_e32 v15, v134, v134
	v_min_f32_e32 v14, v14, v15
	v_cvt_f64_f32_e32 v[14:15], v14
	v_lshl_add_u64 v[12:13], v[2:3], 3, v[12:13]
	global_store_dwordx2 v[12:13], v[14:15], off
	v_add_u32_e32 v14, 32, v18
	v_mad_i64_i32 v[12:13], s[2:3], v14, s18, 0
	v_lshl_add_u64 v[12:13], v[12:13], 3, s[0:1]
	v_mad_i64_i32 v[14:15], s[2:3], v14, s17, 0
	v_max_f32_e32 v16, v133, v133
	s_mov_b64 vcc, s[6:7]
	s_cbranch_vccz .LBB162_80
; %bb.78:
	v_min_f32_e32 v17, 0, v16
	v_cvt_f64_f32_e32 v[20:21], v17
	v_lshl_add_u64 v[22:23], v[4:5], 3, v[12:13]
	global_store_dwordx2 v[22:23], v[20:21], off
	s_mov_b64 s[2:3], 0
	v_lshl_add_u64 v[14:15], v[14:15], 3, s[14:15]
	s_cbranch_execz .LBB162_81
; %bb.79:
	v_mov_b64_e32 v[16:17], s[2:3]
	s_branch .LBB162_82
.LBB162_80:
                                        ; implicit-def: $sgpr2_sgpr3
	v_lshl_add_u64 v[14:15], v[14:15], 3, s[14:15]
.LBB162_81:
	v_lshl_add_u64 v[20:21], v[14:15], 0, v[8:9]
	flat_load_dwordx2 v[20:21], v[20:21]
	v_lshl_add_u64 v[22:23], v[12:13], 0, v[8:9]
	s_waitcnt vmcnt(0) lgkmcnt(0)
	v_mul_f64 v[20:21], s[12:13], v[20:21]
	v_cvt_f32_f64_e32 v17, v[20:21]
	v_min_f32_e32 v16, v17, v16
	v_cvt_f64_f32_e32 v[16:17], v16
	global_store_dwordx2 v[22:23], v[16:17], off
	v_lshl_add_u64 v[16:17], v[0:1], 3, v[14:15]
	flat_load_dwordx2 v[16:17], v[16:17]
	s_waitcnt vmcnt(0) lgkmcnt(0)
	v_mul_f64 v[16:17], s[12:13], v[16:17]
.LBB162_82:
	v_cvt_f32_f64_e32 v16, v[16:17]
	v_max_f32_e32 v17, v132, v132
	v_min_f32_e32 v16, v16, v17
	v_cvt_f64_f32_e32 v[16:17], v16
	v_lshl_add_u64 v[20:21], v[0:1], 3, v[12:13]
	global_store_dwordx2 v[20:21], v[16:17], off
	v_max_f32_e32 v16, v131, v131
	s_mov_b64 vcc, s[6:7]
	s_cbranch_vccz .LBB162_85
; %bb.83:
	v_min_f32_e32 v17, 0, v16
	v_cvt_f64_f32_e32 v[20:21], v17
	v_lshl_add_u64 v[22:23], v[6:7], 3, v[12:13]
	global_store_dwordx2 v[22:23], v[20:21], off
	s_mov_b64 s[2:3], 0
	s_cbranch_execz .LBB162_86
; %bb.84:
	v_mov_b64_e32 v[14:15], s[2:3]
	s_branch .LBB162_87
.LBB162_85:
                                        ; implicit-def: $sgpr2_sgpr3
.LBB162_86:
	v_lshl_add_u64 v[20:21], v[14:15], 0, v[10:11]
	flat_load_dwordx2 v[20:21], v[20:21]
	v_lshl_add_u64 v[22:23], v[12:13], 0, v[10:11]
	v_lshl_add_u64 v[14:15], v[2:3], 3, v[14:15]
	s_waitcnt vmcnt(0) lgkmcnt(0)
	v_mul_f64 v[20:21], s[12:13], v[20:21]
	v_cvt_f32_f64_e32 v17, v[20:21]
	v_min_f32_e32 v16, v17, v16
	v_cvt_f64_f32_e32 v[16:17], v16
	global_store_dwordx2 v[22:23], v[16:17], off
	flat_load_dwordx2 v[14:15], v[14:15]
	s_waitcnt vmcnt(0) lgkmcnt(0)
	v_mul_f64 v[14:15], s[12:13], v[14:15]
.LBB162_87:
	v_cvt_f32_f64_e32 v14, v[14:15]
	v_max_f32_e32 v15, v130, v130
	v_min_f32_e32 v14, v14, v15
	v_cvt_f64_f32_e32 v[14:15], v14
	v_lshl_add_u64 v[12:13], v[2:3], 3, v[12:13]
	global_store_dwordx2 v[12:13], v[14:15], off
	v_add_u32_e32 v14, 40, v18
	v_mad_i64_i32 v[12:13], s[2:3], v14, s18, 0
	v_lshl_add_u64 v[12:13], v[12:13], 3, s[0:1]
	v_mad_i64_i32 v[14:15], s[2:3], v14, s17, 0
	v_max_f32_e32 v16, v129, v129
	s_mov_b64 vcc, s[6:7]
	s_cbranch_vccz .LBB162_90
; %bb.88:
	v_min_f32_e32 v17, 0, v16
	v_cvt_f64_f32_e32 v[20:21], v17
	v_lshl_add_u64 v[22:23], v[4:5], 3, v[12:13]
	global_store_dwordx2 v[22:23], v[20:21], off
	s_mov_b64 s[2:3], 0
	v_lshl_add_u64 v[14:15], v[14:15], 3, s[14:15]
	s_cbranch_execz .LBB162_91
; %bb.89:
	v_mov_b64_e32 v[16:17], s[2:3]
	s_branch .LBB162_92
.LBB162_90:
                                        ; implicit-def: $sgpr2_sgpr3
	v_lshl_add_u64 v[14:15], v[14:15], 3, s[14:15]
.LBB162_91:
	v_lshl_add_u64 v[20:21], v[14:15], 0, v[8:9]
	flat_load_dwordx2 v[20:21], v[20:21]
	v_lshl_add_u64 v[22:23], v[12:13], 0, v[8:9]
	s_waitcnt vmcnt(0) lgkmcnt(0)
	v_mul_f64 v[20:21], s[12:13], v[20:21]
	v_cvt_f32_f64_e32 v17, v[20:21]
	v_min_f32_e32 v16, v17, v16
	v_cvt_f64_f32_e32 v[16:17], v16
	global_store_dwordx2 v[22:23], v[16:17], off
	v_lshl_add_u64 v[16:17], v[0:1], 3, v[14:15]
	flat_load_dwordx2 v[16:17], v[16:17]
	s_waitcnt vmcnt(0) lgkmcnt(0)
	v_mul_f64 v[16:17], s[12:13], v[16:17]
.LBB162_92:
	v_cvt_f32_f64_e32 v16, v[16:17]
	v_max_f32_e32 v17, v128, v128
	v_min_f32_e32 v16, v16, v17
	v_cvt_f64_f32_e32 v[16:17], v16
	v_lshl_add_u64 v[20:21], v[0:1], 3, v[12:13]
	global_store_dwordx2 v[20:21], v[16:17], off
	v_max_f32_e32 v16, v127, v127
	s_mov_b64 vcc, s[6:7]
	s_cbranch_vccz .LBB162_95
; %bb.93:
	v_min_f32_e32 v17, 0, v16
	v_cvt_f64_f32_e32 v[20:21], v17
	v_lshl_add_u64 v[22:23], v[6:7], 3, v[12:13]
	global_store_dwordx2 v[22:23], v[20:21], off
	s_mov_b64 s[2:3], 0
	s_cbranch_execz .LBB162_96
; %bb.94:
	v_mov_b64_e32 v[14:15], s[2:3]
	s_branch .LBB162_97
.LBB162_95:
                                        ; implicit-def: $sgpr2_sgpr3
.LBB162_96:
	v_lshl_add_u64 v[20:21], v[14:15], 0, v[10:11]
	flat_load_dwordx2 v[20:21], v[20:21]
	v_lshl_add_u64 v[22:23], v[12:13], 0, v[10:11]
	v_lshl_add_u64 v[14:15], v[2:3], 3, v[14:15]
	s_waitcnt vmcnt(0) lgkmcnt(0)
	v_mul_f64 v[20:21], s[12:13], v[20:21]
	v_cvt_f32_f64_e32 v17, v[20:21]
	v_min_f32_e32 v16, v17, v16
	v_cvt_f64_f32_e32 v[16:17], v16
	global_store_dwordx2 v[22:23], v[16:17], off
	flat_load_dwordx2 v[14:15], v[14:15]
	s_waitcnt vmcnt(0) lgkmcnt(0)
	v_mul_f64 v[14:15], s[12:13], v[14:15]
.LBB162_97:
	v_cvt_f32_f64_e32 v14, v[14:15]
	v_max_f32_e32 v15, v126, v126
	v_min_f32_e32 v14, v14, v15
	v_cvt_f64_f32_e32 v[14:15], v14
	v_lshl_add_u64 v[12:13], v[2:3], 3, v[12:13]
	global_store_dwordx2 v[12:13], v[14:15], off
	v_add_u32_e32 v14, 48, v18
	v_mad_i64_i32 v[12:13], s[2:3], v14, s18, 0
	v_lshl_add_u64 v[12:13], v[12:13], 3, s[0:1]
	v_mad_i64_i32 v[14:15], s[2:3], v14, s17, 0
	v_max_f32_e32 v16, v125, v125
	s_mov_b64 vcc, s[6:7]
	s_cbranch_vccz .LBB162_100
; %bb.98:
	v_min_f32_e32 v17, 0, v16
	v_cvt_f64_f32_e32 v[20:21], v17
	v_lshl_add_u64 v[22:23], v[4:5], 3, v[12:13]
	global_store_dwordx2 v[22:23], v[20:21], off
	s_mov_b64 s[2:3], 0
	v_lshl_add_u64 v[14:15], v[14:15], 3, s[14:15]
	s_cbranch_execz .LBB162_101
; %bb.99:
	v_mov_b64_e32 v[16:17], s[2:3]
	s_branch .LBB162_102
.LBB162_100:
                                        ; implicit-def: $sgpr2_sgpr3
	v_lshl_add_u64 v[14:15], v[14:15], 3, s[14:15]
.LBB162_101:
	v_lshl_add_u64 v[20:21], v[14:15], 0, v[8:9]
	flat_load_dwordx2 v[20:21], v[20:21]
	v_lshl_add_u64 v[22:23], v[12:13], 0, v[8:9]
	s_waitcnt vmcnt(0) lgkmcnt(0)
	v_mul_f64 v[20:21], s[12:13], v[20:21]
	v_cvt_f32_f64_e32 v17, v[20:21]
	v_min_f32_e32 v16, v17, v16
	v_cvt_f64_f32_e32 v[16:17], v16
	global_store_dwordx2 v[22:23], v[16:17], off
	v_lshl_add_u64 v[16:17], v[0:1], 3, v[14:15]
	flat_load_dwordx2 v[16:17], v[16:17]
	s_waitcnt vmcnt(0) lgkmcnt(0)
	v_mul_f64 v[16:17], s[12:13], v[16:17]
.LBB162_102:
	v_cvt_f32_f64_e32 v16, v[16:17]
	v_max_f32_e32 v17, v124, v124
	v_min_f32_e32 v16, v16, v17
	v_cvt_f64_f32_e32 v[16:17], v16
	v_lshl_add_u64 v[20:21], v[0:1], 3, v[12:13]
	global_store_dwordx2 v[20:21], v[16:17], off
	v_max_f32_e32 v16, v123, v123
	s_mov_b64 vcc, s[6:7]
	s_cbranch_vccz .LBB162_105
; %bb.103:
	v_min_f32_e32 v17, 0, v16
	v_cvt_f64_f32_e32 v[20:21], v17
	v_lshl_add_u64 v[22:23], v[6:7], 3, v[12:13]
	global_store_dwordx2 v[22:23], v[20:21], off
	s_mov_b64 s[2:3], 0
	s_cbranch_execz .LBB162_106
; %bb.104:
	v_mov_b64_e32 v[14:15], s[2:3]
	s_branch .LBB162_107
.LBB162_105:
                                        ; implicit-def: $sgpr2_sgpr3
.LBB162_106:
	v_lshl_add_u64 v[20:21], v[14:15], 0, v[10:11]
	flat_load_dwordx2 v[20:21], v[20:21]
	v_lshl_add_u64 v[22:23], v[12:13], 0, v[10:11]
	v_lshl_add_u64 v[14:15], v[2:3], 3, v[14:15]
	s_waitcnt vmcnt(0) lgkmcnt(0)
	v_mul_f64 v[20:21], s[12:13], v[20:21]
	v_cvt_f32_f64_e32 v17, v[20:21]
	v_min_f32_e32 v16, v17, v16
	v_cvt_f64_f32_e32 v[16:17], v16
	global_store_dwordx2 v[22:23], v[16:17], off
	flat_load_dwordx2 v[14:15], v[14:15]
	s_waitcnt vmcnt(0) lgkmcnt(0)
	v_mul_f64 v[14:15], s[12:13], v[14:15]
.LBB162_107:
	v_cvt_f32_f64_e32 v14, v[14:15]
	v_max_f32_e32 v15, v122, v122
	v_min_f32_e32 v14, v14, v15
	v_cvt_f64_f32_e32 v[14:15], v14
	v_lshl_add_u64 v[12:13], v[2:3], 3, v[12:13]
	global_store_dwordx2 v[12:13], v[14:15], off
	v_add_u32_e32 v14, 56, v18
	v_mad_i64_i32 v[12:13], s[2:3], v14, s18, 0
	v_lshl_add_u64 v[12:13], v[12:13], 3, s[0:1]
	v_mad_i64_i32 v[14:15], s[2:3], v14, s17, 0
	v_max_f32_e32 v16, v121, v121
	s_mov_b64 vcc, s[6:7]
	s_cbranch_vccz .LBB162_110
; %bb.108:
	v_min_f32_e32 v17, 0, v16
	v_cvt_f64_f32_e32 v[20:21], v17
	v_lshl_add_u64 v[22:23], v[4:5], 3, v[12:13]
	global_store_dwordx2 v[22:23], v[20:21], off
	s_mov_b64 s[2:3], 0
	v_lshl_add_u64 v[14:15], v[14:15], 3, s[14:15]
	s_cbranch_execz .LBB162_111
; %bb.109:
	v_mov_b64_e32 v[16:17], s[2:3]
	s_branch .LBB162_112
.LBB162_110:
                                        ; implicit-def: $sgpr2_sgpr3
	v_lshl_add_u64 v[14:15], v[14:15], 3, s[14:15]
.LBB162_111:
	v_lshl_add_u64 v[20:21], v[14:15], 0, v[8:9]
	flat_load_dwordx2 v[20:21], v[20:21]
	v_lshl_add_u64 v[22:23], v[12:13], 0, v[8:9]
	s_waitcnt vmcnt(0) lgkmcnt(0)
	v_mul_f64 v[20:21], s[12:13], v[20:21]
	v_cvt_f32_f64_e32 v17, v[20:21]
	v_min_f32_e32 v16, v17, v16
	v_cvt_f64_f32_e32 v[16:17], v16
	global_store_dwordx2 v[22:23], v[16:17], off
	v_lshl_add_u64 v[16:17], v[0:1], 3, v[14:15]
	flat_load_dwordx2 v[16:17], v[16:17]
	s_waitcnt vmcnt(0) lgkmcnt(0)
	v_mul_f64 v[16:17], s[12:13], v[16:17]
.LBB162_112:
	v_cvt_f32_f64_e32 v16, v[16:17]
	v_max_f32_e32 v17, v120, v120
	v_min_f32_e32 v16, v16, v17
	v_cvt_f64_f32_e32 v[16:17], v16
	v_lshl_add_u64 v[20:21], v[0:1], 3, v[12:13]
	global_store_dwordx2 v[20:21], v[16:17], off
	v_max_f32_e32 v16, v119, v119
	s_mov_b64 vcc, s[6:7]
	s_cbranch_vccz .LBB162_115
; %bb.113:
	v_min_f32_e32 v17, 0, v16
	v_cvt_f64_f32_e32 v[20:21], v17
	v_lshl_add_u64 v[22:23], v[6:7], 3, v[12:13]
	global_store_dwordx2 v[22:23], v[20:21], off
	s_mov_b64 s[2:3], 0
	s_cbranch_execz .LBB162_116
; %bb.114:
	v_mov_b64_e32 v[14:15], s[2:3]
	s_branch .LBB162_117
.LBB162_115:
                                        ; implicit-def: $sgpr2_sgpr3
.LBB162_116:
	v_lshl_add_u64 v[20:21], v[14:15], 0, v[10:11]
	flat_load_dwordx2 v[20:21], v[20:21]
	v_lshl_add_u64 v[22:23], v[12:13], 0, v[10:11]
	v_lshl_add_u64 v[14:15], v[2:3], 3, v[14:15]
	s_waitcnt vmcnt(0) lgkmcnt(0)
	v_mul_f64 v[20:21], s[12:13], v[20:21]
	v_cvt_f32_f64_e32 v17, v[20:21]
	v_min_f32_e32 v16, v17, v16
	v_cvt_f64_f32_e32 v[16:17], v16
	global_store_dwordx2 v[22:23], v[16:17], off
	flat_load_dwordx2 v[14:15], v[14:15]
	s_waitcnt vmcnt(0) lgkmcnt(0)
	v_mul_f64 v[14:15], s[12:13], v[14:15]
.LBB162_117:
	v_cvt_f32_f64_e32 v14, v[14:15]
	v_max_f32_e32 v15, v118, v118
	v_min_f32_e32 v14, v14, v15
	v_cvt_f64_f32_e32 v[14:15], v14
	v_lshl_add_u64 v[12:13], v[2:3], 3, v[12:13]
	global_store_dwordx2 v[12:13], v[14:15], off
	v_add_u32_e32 v14, 64, v18
	v_mad_i64_i32 v[12:13], s[2:3], v14, s18, 0
	v_lshl_add_u64 v[12:13], v[12:13], 3, s[0:1]
	v_mad_i64_i32 v[14:15], s[2:3], v14, s17, 0
	v_max_f32_e32 v16, v117, v117
	s_mov_b64 vcc, s[6:7]
	s_cbranch_vccz .LBB162_120
; %bb.118:
	v_min_f32_e32 v17, 0, v16
	v_cvt_f64_f32_e32 v[20:21], v17
	v_lshl_add_u64 v[22:23], v[4:5], 3, v[12:13]
	global_store_dwordx2 v[22:23], v[20:21], off
	s_mov_b64 s[2:3], 0
	v_lshl_add_u64 v[14:15], v[14:15], 3, s[14:15]
	s_cbranch_execz .LBB162_121
; %bb.119:
	v_mov_b64_e32 v[16:17], s[2:3]
	s_branch .LBB162_122
.LBB162_120:
                                        ; implicit-def: $sgpr2_sgpr3
	v_lshl_add_u64 v[14:15], v[14:15], 3, s[14:15]
.LBB162_121:
	v_lshl_add_u64 v[20:21], v[14:15], 0, v[8:9]
	flat_load_dwordx2 v[20:21], v[20:21]
	v_lshl_add_u64 v[22:23], v[12:13], 0, v[8:9]
	s_waitcnt vmcnt(0) lgkmcnt(0)
	v_mul_f64 v[20:21], s[12:13], v[20:21]
	v_cvt_f32_f64_e32 v17, v[20:21]
	v_min_f32_e32 v16, v17, v16
	v_cvt_f64_f32_e32 v[16:17], v16
	global_store_dwordx2 v[22:23], v[16:17], off
	v_lshl_add_u64 v[16:17], v[0:1], 3, v[14:15]
	flat_load_dwordx2 v[16:17], v[16:17]
	s_waitcnt vmcnt(0) lgkmcnt(0)
	v_mul_f64 v[16:17], s[12:13], v[16:17]
.LBB162_122:
	v_cvt_f32_f64_e32 v16, v[16:17]
	v_max_f32_e32 v17, v116, v116
	v_min_f32_e32 v16, v16, v17
	v_cvt_f64_f32_e32 v[16:17], v16
	v_lshl_add_u64 v[20:21], v[0:1], 3, v[12:13]
	global_store_dwordx2 v[20:21], v[16:17], off
	v_max_f32_e32 v16, v115, v115
	s_mov_b64 vcc, s[6:7]
	s_cbranch_vccz .LBB162_125
; %bb.123:
	v_min_f32_e32 v17, 0, v16
	v_cvt_f64_f32_e32 v[20:21], v17
	v_lshl_add_u64 v[22:23], v[6:7], 3, v[12:13]
	global_store_dwordx2 v[22:23], v[20:21], off
	s_mov_b64 s[2:3], 0
	s_cbranch_execz .LBB162_126
; %bb.124:
	v_mov_b64_e32 v[14:15], s[2:3]
	s_branch .LBB162_127
.LBB162_125:
                                        ; implicit-def: $sgpr2_sgpr3
.LBB162_126:
	v_lshl_add_u64 v[20:21], v[14:15], 0, v[10:11]
	flat_load_dwordx2 v[20:21], v[20:21]
	v_lshl_add_u64 v[22:23], v[12:13], 0, v[10:11]
	v_lshl_add_u64 v[14:15], v[2:3], 3, v[14:15]
	s_waitcnt vmcnt(0) lgkmcnt(0)
	v_mul_f64 v[20:21], s[12:13], v[20:21]
	v_cvt_f32_f64_e32 v17, v[20:21]
	v_min_f32_e32 v16, v17, v16
	v_cvt_f64_f32_e32 v[16:17], v16
	global_store_dwordx2 v[22:23], v[16:17], off
	flat_load_dwordx2 v[14:15], v[14:15]
	s_waitcnt vmcnt(0) lgkmcnt(0)
	v_mul_f64 v[14:15], s[12:13], v[14:15]
.LBB162_127:
	v_cvt_f32_f64_e32 v14, v[14:15]
	v_max_f32_e32 v15, v114, v114
	v_min_f32_e32 v14, v14, v15
	v_cvt_f64_f32_e32 v[14:15], v14
	v_lshl_add_u64 v[12:13], v[2:3], 3, v[12:13]
	global_store_dwordx2 v[12:13], v[14:15], off
	v_add_u32_e32 v14, 0x48, v18
	v_mad_i64_i32 v[12:13], s[2:3], v14, s18, 0
	v_lshl_add_u64 v[12:13], v[12:13], 3, s[0:1]
	v_mad_i64_i32 v[14:15], s[2:3], v14, s17, 0
	v_max_f32_e32 v16, v113, v113
	s_mov_b64 vcc, s[6:7]
	s_cbranch_vccz .LBB162_130
; %bb.128:
	v_min_f32_e32 v17, 0, v16
	v_cvt_f64_f32_e32 v[20:21], v17
	v_lshl_add_u64 v[22:23], v[4:5], 3, v[12:13]
	global_store_dwordx2 v[22:23], v[20:21], off
	s_mov_b64 s[2:3], 0
	v_lshl_add_u64 v[14:15], v[14:15], 3, s[14:15]
	s_cbranch_execz .LBB162_131
; %bb.129:
	v_mov_b64_e32 v[16:17], s[2:3]
	s_branch .LBB162_132
.LBB162_130:
                                        ; implicit-def: $sgpr2_sgpr3
	v_lshl_add_u64 v[14:15], v[14:15], 3, s[14:15]
.LBB162_131:
	v_lshl_add_u64 v[20:21], v[14:15], 0, v[8:9]
	flat_load_dwordx2 v[20:21], v[20:21]
	v_lshl_add_u64 v[22:23], v[12:13], 0, v[8:9]
	s_waitcnt vmcnt(0) lgkmcnt(0)
	v_mul_f64 v[20:21], s[12:13], v[20:21]
	v_cvt_f32_f64_e32 v17, v[20:21]
	v_min_f32_e32 v16, v17, v16
	v_cvt_f64_f32_e32 v[16:17], v16
	global_store_dwordx2 v[22:23], v[16:17], off
	v_lshl_add_u64 v[16:17], v[0:1], 3, v[14:15]
	flat_load_dwordx2 v[16:17], v[16:17]
	s_waitcnt vmcnt(0) lgkmcnt(0)
	v_mul_f64 v[16:17], s[12:13], v[16:17]
.LBB162_132:
	v_cvt_f32_f64_e32 v16, v[16:17]
	v_max_f32_e32 v17, v112, v112
	v_min_f32_e32 v16, v16, v17
	v_cvt_f64_f32_e32 v[16:17], v16
	v_lshl_add_u64 v[20:21], v[0:1], 3, v[12:13]
	global_store_dwordx2 v[20:21], v[16:17], off
	v_max_f32_e32 v16, v111, v111
	s_mov_b64 vcc, s[6:7]
	s_cbranch_vccz .LBB162_135
; %bb.133:
	v_min_f32_e32 v17, 0, v16
	v_cvt_f64_f32_e32 v[20:21], v17
	v_lshl_add_u64 v[22:23], v[6:7], 3, v[12:13]
	global_store_dwordx2 v[22:23], v[20:21], off
	s_mov_b64 s[2:3], 0
	s_cbranch_execz .LBB162_136
; %bb.134:
	v_mov_b64_e32 v[14:15], s[2:3]
	s_branch .LBB162_137
.LBB162_135:
                                        ; implicit-def: $sgpr2_sgpr3
.LBB162_136:
	v_lshl_add_u64 v[20:21], v[14:15], 0, v[10:11]
	flat_load_dwordx2 v[20:21], v[20:21]
	v_lshl_add_u64 v[22:23], v[12:13], 0, v[10:11]
	v_lshl_add_u64 v[14:15], v[2:3], 3, v[14:15]
	s_waitcnt vmcnt(0) lgkmcnt(0)
	v_mul_f64 v[20:21], s[12:13], v[20:21]
	v_cvt_f32_f64_e32 v17, v[20:21]
	v_min_f32_e32 v16, v17, v16
	v_cvt_f64_f32_e32 v[16:17], v16
	global_store_dwordx2 v[22:23], v[16:17], off
	flat_load_dwordx2 v[14:15], v[14:15]
	s_waitcnt vmcnt(0) lgkmcnt(0)
	v_mul_f64 v[14:15], s[12:13], v[14:15]
.LBB162_137:
	v_cvt_f32_f64_e32 v14, v[14:15]
	v_max_f32_e32 v15, v110, v110
	v_min_f32_e32 v14, v14, v15
	v_cvt_f64_f32_e32 v[14:15], v14
	v_lshl_add_u64 v[12:13], v[2:3], 3, v[12:13]
	global_store_dwordx2 v[12:13], v[14:15], off
	v_add_u32_e32 v14, 0x50, v18
	v_mad_i64_i32 v[12:13], s[2:3], v14, s18, 0
	v_lshl_add_u64 v[12:13], v[12:13], 3, s[0:1]
	v_mad_i64_i32 v[14:15], s[2:3], v14, s17, 0
	v_max_f32_e32 v16, v109, v109
	s_mov_b64 vcc, s[6:7]
	s_cbranch_vccz .LBB162_140
; %bb.138:
	v_min_f32_e32 v17, 0, v16
	v_cvt_f64_f32_e32 v[20:21], v17
	v_lshl_add_u64 v[22:23], v[4:5], 3, v[12:13]
	global_store_dwordx2 v[22:23], v[20:21], off
	s_mov_b64 s[2:3], 0
	v_lshl_add_u64 v[14:15], v[14:15], 3, s[14:15]
	s_cbranch_execz .LBB162_141
; %bb.139:
	v_mov_b64_e32 v[16:17], s[2:3]
	s_branch .LBB162_142
.LBB162_140:
                                        ; implicit-def: $sgpr2_sgpr3
	v_lshl_add_u64 v[14:15], v[14:15], 3, s[14:15]
.LBB162_141:
	v_lshl_add_u64 v[20:21], v[14:15], 0, v[8:9]
	flat_load_dwordx2 v[20:21], v[20:21]
	v_lshl_add_u64 v[22:23], v[12:13], 0, v[8:9]
	s_waitcnt vmcnt(0) lgkmcnt(0)
	v_mul_f64 v[20:21], s[12:13], v[20:21]
	v_cvt_f32_f64_e32 v17, v[20:21]
	v_min_f32_e32 v16, v17, v16
	v_cvt_f64_f32_e32 v[16:17], v16
	global_store_dwordx2 v[22:23], v[16:17], off
	v_lshl_add_u64 v[16:17], v[0:1], 3, v[14:15]
	flat_load_dwordx2 v[16:17], v[16:17]
	s_waitcnt vmcnt(0) lgkmcnt(0)
	v_mul_f64 v[16:17], s[12:13], v[16:17]
.LBB162_142:
	v_cvt_f32_f64_e32 v16, v[16:17]
	v_max_f32_e32 v17, v108, v108
	v_min_f32_e32 v16, v16, v17
	v_cvt_f64_f32_e32 v[16:17], v16
	v_lshl_add_u64 v[20:21], v[0:1], 3, v[12:13]
	global_store_dwordx2 v[20:21], v[16:17], off
	v_max_f32_e32 v16, v107, v107
	s_mov_b64 vcc, s[6:7]
	s_cbranch_vccz .LBB162_145
; %bb.143:
	v_min_f32_e32 v17, 0, v16
	v_cvt_f64_f32_e32 v[20:21], v17
	v_lshl_add_u64 v[22:23], v[6:7], 3, v[12:13]
	s_mov_b32 s4, 0
	global_store_dwordx2 v[22:23], v[20:21], off
	s_cbranch_execz .LBB162_146
; %bb.144:
	v_mov_b32_e32 v14, s4
	s_branch .LBB162_147
.LBB162_145:
                                        ; implicit-def: $sgpr4
.LBB162_146:
	v_lshl_add_u64 v[20:21], v[14:15], 0, v[10:11]
	flat_load_dwordx2 v[20:21], v[20:21]
	v_lshl_add_u64 v[22:23], v[12:13], 0, v[10:11]
	v_lshl_add_u64 v[14:15], v[2:3], 3, v[14:15]
	s_waitcnt vmcnt(0) lgkmcnt(0)
	v_mul_f64 v[20:21], s[12:13], v[20:21]
	v_cvt_f32_f64_e32 v17, v[20:21]
	v_min_f32_e32 v16, v17, v16
	v_cvt_f64_f32_e32 v[16:17], v16
	global_store_dwordx2 v[22:23], v[16:17], off
	flat_load_dwordx2 v[14:15], v[14:15]
	s_waitcnt vmcnt(0) lgkmcnt(0)
	v_mul_f64 v[14:15], s[12:13], v[14:15]
	v_cvt_f32_f64_e32 v14, v[14:15]
.LBB162_147:
	v_max_f32_e32 v15, v106, v106
	v_max_f32_e32 v14, v14, v14
	v_min_f32_e32 v14, v14, v15
	v_cvt_f64_f32_e32 v[14:15], v14
	v_lshl_add_u64 v[12:13], v[2:3], 3, v[12:13]
	global_store_dwordx2 v[12:13], v[14:15], off
	v_add_u32_e32 v14, 0x58, v18
	v_mad_i64_i32 v[12:13], s[2:3], v14, s18, 0
	v_lshl_add_u64 v[12:13], v[12:13], 3, s[0:1]
	v_mad_i64_i32 v[14:15], s[2:3], v14, s17, 0
	v_max_f32_e32 v16, v105, v105
	s_mov_b64 vcc, s[6:7]
	s_cbranch_vccz .LBB162_150
; %bb.148:
	v_min_f32_e32 v17, 0, v16
	v_cvt_f64_f32_e32 v[20:21], v17
	v_lshl_add_u64 v[22:23], v[4:5], 3, v[12:13]
	s_mov_b32 s4, 0
	global_store_dwordx2 v[22:23], v[20:21], off
	v_lshl_add_u64 v[14:15], v[14:15], 3, s[14:15]
	s_cbranch_execz .LBB162_151
; %bb.149:
	v_mov_b32_e32 v16, s4
	s_branch .LBB162_152
.LBB162_150:
                                        ; implicit-def: $sgpr4
	v_lshl_add_u64 v[14:15], v[14:15], 3, s[14:15]
.LBB162_151:
	v_lshl_add_u64 v[20:21], v[14:15], 0, v[8:9]
	flat_load_dwordx2 v[20:21], v[20:21]
	v_lshl_add_u64 v[22:23], v[12:13], 0, v[8:9]
	s_waitcnt vmcnt(0) lgkmcnt(0)
	v_mul_f64 v[20:21], s[12:13], v[20:21]
	v_cvt_f32_f64_e32 v17, v[20:21]
	v_min_f32_e32 v16, v17, v16
	v_cvt_f64_f32_e32 v[16:17], v16
	global_store_dwordx2 v[22:23], v[16:17], off
	v_lshl_add_u64 v[16:17], v[0:1], 3, v[14:15]
	flat_load_dwordx2 v[16:17], v[16:17]
	s_waitcnt vmcnt(0) lgkmcnt(0)
	v_mul_f64 v[16:17], s[12:13], v[16:17]
	v_cvt_f32_f64_e32 v16, v[16:17]
.LBB162_152:
	v_max_f32_e32 v17, v104, v104
	v_max_f32_e32 v16, v16, v16
	v_min_f32_e32 v16, v16, v17
	v_cvt_f64_f32_e32 v[16:17], v16
	v_lshl_add_u64 v[20:21], v[0:1], 3, v[12:13]
	global_store_dwordx2 v[20:21], v[16:17], off
	v_max_f32_e32 v16, v103, v103
	s_mov_b64 vcc, s[6:7]
	s_cbranch_vccz .LBB162_155
; %bb.153:
	v_min_f32_e32 v17, 0, v16
	v_cvt_f64_f32_e32 v[20:21], v17
	v_lshl_add_u64 v[22:23], v[6:7], 3, v[12:13]
	s_mov_b32 s4, 0
	global_store_dwordx2 v[22:23], v[20:21], off
	s_cbranch_execz .LBB162_156
; %bb.154:
	v_mov_b32_e32 v14, s4
	s_branch .LBB162_157
.LBB162_155:
                                        ; implicit-def: $sgpr4
.LBB162_156:
	v_lshl_add_u64 v[20:21], v[14:15], 0, v[10:11]
	flat_load_dwordx2 v[20:21], v[20:21]
	v_lshl_add_u64 v[22:23], v[12:13], 0, v[10:11]
	v_lshl_add_u64 v[14:15], v[2:3], 3, v[14:15]
	s_waitcnt vmcnt(0) lgkmcnt(0)
	v_mul_f64 v[20:21], s[12:13], v[20:21]
	v_cvt_f32_f64_e32 v17, v[20:21]
	v_min_f32_e32 v16, v17, v16
	v_cvt_f64_f32_e32 v[16:17], v16
	global_store_dwordx2 v[22:23], v[16:17], off
	flat_load_dwordx2 v[14:15], v[14:15]
	s_waitcnt vmcnt(0) lgkmcnt(0)
	v_mul_f64 v[14:15], s[12:13], v[14:15]
	v_cvt_f32_f64_e32 v14, v[14:15]
.LBB162_157:
	v_max_f32_e32 v15, v102, v102
	v_max_f32_e32 v14, v14, v14
	v_min_f32_e32 v14, v14, v15
	v_cvt_f64_f32_e32 v[14:15], v14
	v_lshl_add_u64 v[12:13], v[2:3], 3, v[12:13]
	global_store_dwordx2 v[12:13], v[14:15], off
	v_add_u32_e32 v14, 0x60, v18
	v_mad_i64_i32 v[12:13], s[2:3], v14, s18, 0
	v_lshl_add_u64 v[12:13], v[12:13], 3, s[0:1]
	v_mad_i64_i32 v[14:15], s[2:3], v14, s17, 0
	v_max_f32_e32 v16, v101, v101
	s_mov_b64 vcc, s[6:7]
	s_cbranch_vccz .LBB162_160
; %bb.158:
	v_min_f32_e32 v17, 0, v16
	v_cvt_f64_f32_e32 v[20:21], v17
	v_lshl_add_u64 v[22:23], v[4:5], 3, v[12:13]
	s_mov_b32 s4, 0
	global_store_dwordx2 v[22:23], v[20:21], off
	v_lshl_add_u64 v[14:15], v[14:15], 3, s[14:15]
	s_cbranch_execz .LBB162_161
; %bb.159:
	v_mov_b32_e32 v16, s4
	s_branch .LBB162_162
.LBB162_160:
                                        ; implicit-def: $sgpr4
	v_lshl_add_u64 v[14:15], v[14:15], 3, s[14:15]
.LBB162_161:
	v_lshl_add_u64 v[20:21], v[14:15], 0, v[8:9]
	flat_load_dwordx2 v[20:21], v[20:21]
	v_lshl_add_u64 v[22:23], v[12:13], 0, v[8:9]
	s_waitcnt vmcnt(0) lgkmcnt(0)
	v_mul_f64 v[20:21], s[12:13], v[20:21]
	v_cvt_f32_f64_e32 v17, v[20:21]
	v_min_f32_e32 v16, v17, v16
	v_cvt_f64_f32_e32 v[16:17], v16
	global_store_dwordx2 v[22:23], v[16:17], off
	v_lshl_add_u64 v[16:17], v[0:1], 3, v[14:15]
	flat_load_dwordx2 v[16:17], v[16:17]
	s_waitcnt vmcnt(0) lgkmcnt(0)
	v_mul_f64 v[16:17], s[12:13], v[16:17]
	v_cvt_f32_f64_e32 v16, v[16:17]
.LBB162_162:
	v_max_f32_e32 v17, v100, v100
	v_max_f32_e32 v16, v16, v16
	v_min_f32_e32 v16, v16, v17
	v_cvt_f64_f32_e32 v[16:17], v16
	v_lshl_add_u64 v[20:21], v[0:1], 3, v[12:13]
	global_store_dwordx2 v[20:21], v[16:17], off
	v_max_f32_e32 v16, v99, v99
	s_mov_b64 vcc, s[6:7]
	s_cbranch_vccz .LBB162_165
; %bb.163:
	v_min_f32_e32 v17, 0, v16
	v_cvt_f64_f32_e32 v[20:21], v17
	v_lshl_add_u64 v[22:23], v[6:7], 3, v[12:13]
	s_mov_b32 s4, 0
	global_store_dwordx2 v[22:23], v[20:21], off
	s_cbranch_execz .LBB162_166
; %bb.164:
	v_mov_b32_e32 v14, s4
	s_branch .LBB162_167
.LBB162_165:
                                        ; implicit-def: $sgpr4
.LBB162_166:
	v_lshl_add_u64 v[20:21], v[14:15], 0, v[10:11]
	flat_load_dwordx2 v[20:21], v[20:21]
	v_lshl_add_u64 v[22:23], v[12:13], 0, v[10:11]
	v_lshl_add_u64 v[14:15], v[2:3], 3, v[14:15]
	s_waitcnt vmcnt(0) lgkmcnt(0)
	v_mul_f64 v[20:21], s[12:13], v[20:21]
	v_cvt_f32_f64_e32 v17, v[20:21]
	v_min_f32_e32 v16, v17, v16
	v_cvt_f64_f32_e32 v[16:17], v16
	global_store_dwordx2 v[22:23], v[16:17], off
	flat_load_dwordx2 v[14:15], v[14:15]
	s_waitcnt vmcnt(0) lgkmcnt(0)
	v_mul_f64 v[14:15], s[12:13], v[14:15]
	v_cvt_f32_f64_e32 v14, v[14:15]
.LBB162_167:
	v_max_f32_e32 v15, v98, v98
	v_max_f32_e32 v14, v14, v14
	v_min_f32_e32 v14, v14, v15
	v_cvt_f64_f32_e32 v[14:15], v14
	v_lshl_add_u64 v[12:13], v[2:3], 3, v[12:13]
	global_store_dwordx2 v[12:13], v[14:15], off
	v_add_u32_e32 v14, 0x68, v18
	v_mad_i64_i32 v[12:13], s[2:3], v14, s18, 0
	v_lshl_add_u64 v[12:13], v[12:13], 3, s[0:1]
	v_mad_i64_i32 v[14:15], s[2:3], v14, s17, 0
	v_max_f32_e32 v16, v97, v97
	s_mov_b64 vcc, s[6:7]
	s_cbranch_vccz .LBB162_170
; %bb.168:
	v_min_f32_e32 v17, 0, v16
	v_cvt_f64_f32_e32 v[20:21], v17
	v_lshl_add_u64 v[22:23], v[4:5], 3, v[12:13]
	s_mov_b32 s4, 0
	global_store_dwordx2 v[22:23], v[20:21], off
	v_lshl_add_u64 v[14:15], v[14:15], 3, s[14:15]
	s_cbranch_execz .LBB162_171
; %bb.169:
	v_mov_b32_e32 v16, s4
	s_branch .LBB162_172
.LBB162_170:
                                        ; implicit-def: $sgpr4
	v_lshl_add_u64 v[14:15], v[14:15], 3, s[14:15]
.LBB162_171:
	v_lshl_add_u64 v[20:21], v[14:15], 0, v[8:9]
	flat_load_dwordx2 v[20:21], v[20:21]
	v_lshl_add_u64 v[22:23], v[12:13], 0, v[8:9]
	s_waitcnt vmcnt(0) lgkmcnt(0)
	v_mul_f64 v[20:21], s[12:13], v[20:21]
	v_cvt_f32_f64_e32 v17, v[20:21]
	v_min_f32_e32 v16, v17, v16
	v_cvt_f64_f32_e32 v[16:17], v16
	global_store_dwordx2 v[22:23], v[16:17], off
	v_lshl_add_u64 v[16:17], v[0:1], 3, v[14:15]
	flat_load_dwordx2 v[16:17], v[16:17]
	s_waitcnt vmcnt(0) lgkmcnt(0)
	v_mul_f64 v[16:17], s[12:13], v[16:17]
	v_cvt_f32_f64_e32 v16, v[16:17]
.LBB162_172:
	v_max_f32_e32 v17, v96, v96
	v_max_f32_e32 v16, v16, v16
	v_min_f32_e32 v16, v16, v17
	v_cvt_f64_f32_e32 v[16:17], v16
	v_lshl_add_u64 v[20:21], v[0:1], 3, v[12:13]
	global_store_dwordx2 v[20:21], v[16:17], off
	v_max_f32_e32 v16, v95, v95
	s_mov_b64 vcc, s[6:7]
	s_cbranch_vccz .LBB162_175
; %bb.173:
	v_min_f32_e32 v17, 0, v16
	v_cvt_f64_f32_e32 v[20:21], v17
	v_lshl_add_u64 v[22:23], v[6:7], 3, v[12:13]
	s_mov_b32 s4, 0
	global_store_dwordx2 v[22:23], v[20:21], off
	s_cbranch_execz .LBB162_176
; %bb.174:
	v_mov_b32_e32 v14, s4
	s_branch .LBB162_177
.LBB162_175:
                                        ; implicit-def: $sgpr4
.LBB162_176:
	v_lshl_add_u64 v[20:21], v[14:15], 0, v[10:11]
	flat_load_dwordx2 v[20:21], v[20:21]
	v_lshl_add_u64 v[22:23], v[12:13], 0, v[10:11]
	v_lshl_add_u64 v[14:15], v[2:3], 3, v[14:15]
	s_waitcnt vmcnt(0) lgkmcnt(0)
	v_mul_f64 v[20:21], s[12:13], v[20:21]
	v_cvt_f32_f64_e32 v17, v[20:21]
	v_min_f32_e32 v16, v17, v16
	v_cvt_f64_f32_e32 v[16:17], v16
	global_store_dwordx2 v[22:23], v[16:17], off
	flat_load_dwordx2 v[14:15], v[14:15]
	s_waitcnt vmcnt(0) lgkmcnt(0)
	v_mul_f64 v[14:15], s[12:13], v[14:15]
	v_cvt_f32_f64_e32 v14, v[14:15]
.LBB162_177:
	v_max_f32_e32 v15, v94, v94
	v_max_f32_e32 v14, v14, v14
	v_min_f32_e32 v14, v14, v15
	v_cvt_f64_f32_e32 v[14:15], v14
	v_lshl_add_u64 v[12:13], v[2:3], 3, v[12:13]
	global_store_dwordx2 v[12:13], v[14:15], off
	v_add_u32_e32 v14, 0x70, v18
	v_mad_i64_i32 v[12:13], s[2:3], v14, s18, 0
	v_lshl_add_u64 v[12:13], v[12:13], 3, s[0:1]
	v_mad_i64_i32 v[14:15], s[2:3], v14, s17, 0
	v_max_f32_e32 v16, v93, v93
	s_mov_b64 vcc, s[6:7]
	s_cbranch_vccz .LBB162_180
; %bb.178:
	v_min_f32_e32 v17, 0, v16
	v_cvt_f64_f32_e32 v[20:21], v17
	v_lshl_add_u64 v[22:23], v[4:5], 3, v[12:13]
	s_mov_b32 s4, 0
	global_store_dwordx2 v[22:23], v[20:21], off
	v_lshl_add_u64 v[14:15], v[14:15], 3, s[14:15]
	s_cbranch_execz .LBB162_181
; %bb.179:
	v_mov_b32_e32 v16, s4
	s_branch .LBB162_182
.LBB162_180:
                                        ; implicit-def: $sgpr4
	v_lshl_add_u64 v[14:15], v[14:15], 3, s[14:15]
.LBB162_181:
	v_lshl_add_u64 v[20:21], v[14:15], 0, v[8:9]
	flat_load_dwordx2 v[20:21], v[20:21]
	v_lshl_add_u64 v[22:23], v[12:13], 0, v[8:9]
	s_waitcnt vmcnt(0) lgkmcnt(0)
	v_mul_f64 v[20:21], s[12:13], v[20:21]
	v_cvt_f32_f64_e32 v17, v[20:21]
	v_min_f32_e32 v16, v17, v16
	v_cvt_f64_f32_e32 v[16:17], v16
	global_store_dwordx2 v[22:23], v[16:17], off
	v_lshl_add_u64 v[16:17], v[0:1], 3, v[14:15]
	flat_load_dwordx2 v[16:17], v[16:17]
	s_waitcnt vmcnt(0) lgkmcnt(0)
	v_mul_f64 v[16:17], s[12:13], v[16:17]
	v_cvt_f32_f64_e32 v16, v[16:17]
.LBB162_182:
	v_max_f32_e32 v17, v92, v92
	v_max_f32_e32 v16, v16, v16
	v_min_f32_e32 v16, v16, v17
	v_cvt_f64_f32_e32 v[16:17], v16
	v_lshl_add_u64 v[20:21], v[0:1], 3, v[12:13]
	global_store_dwordx2 v[20:21], v[16:17], off
	v_max_f32_e32 v16, v91, v91
	s_mov_b64 vcc, s[6:7]
	s_cbranch_vccz .LBB162_185
; %bb.183:
	v_min_f32_e32 v17, 0, v16
	v_cvt_f64_f32_e32 v[20:21], v17
	v_lshl_add_u64 v[22:23], v[6:7], 3, v[12:13]
	s_mov_b32 s4, 0
	global_store_dwordx2 v[22:23], v[20:21], off
	s_cbranch_execz .LBB162_186
; %bb.184:
	v_mov_b32_e32 v14, s4
	s_branch .LBB162_187
.LBB162_185:
                                        ; implicit-def: $sgpr4
.LBB162_186:
	v_lshl_add_u64 v[20:21], v[14:15], 0, v[10:11]
	flat_load_dwordx2 v[20:21], v[20:21]
	v_lshl_add_u64 v[22:23], v[12:13], 0, v[10:11]
	v_lshl_add_u64 v[14:15], v[2:3], 3, v[14:15]
	s_waitcnt vmcnt(0) lgkmcnt(0)
	v_mul_f64 v[20:21], s[12:13], v[20:21]
	v_cvt_f32_f64_e32 v17, v[20:21]
	v_min_f32_e32 v16, v17, v16
	v_cvt_f64_f32_e32 v[16:17], v16
	global_store_dwordx2 v[22:23], v[16:17], off
	flat_load_dwordx2 v[14:15], v[14:15]
	s_waitcnt vmcnt(0) lgkmcnt(0)
	v_mul_f64 v[14:15], s[12:13], v[14:15]
	v_cvt_f32_f64_e32 v14, v[14:15]
.LBB162_187:
	v_max_f32_e32 v15, v90, v90
	v_max_f32_e32 v14, v14, v14
	v_min_f32_e32 v14, v14, v15
	v_cvt_f64_f32_e32 v[14:15], v14
	v_lshl_add_u64 v[12:13], v[2:3], 3, v[12:13]
	global_store_dwordx2 v[12:13], v[14:15], off
	v_add_u32_e32 v14, 0x78, v18
	v_mad_i64_i32 v[12:13], s[2:3], v14, s18, 0
	v_lshl_add_u64 v[12:13], v[12:13], 3, s[0:1]
	v_mad_i64_i32 v[14:15], s[0:1], v14, s17, 0
	v_max_f32_e32 v16, v89, v89
	s_mov_b64 vcc, s[6:7]
	s_cbranch_vccz .LBB162_190
; %bb.188:
	v_min_f32_e32 v17, 0, v16
	v_cvt_f64_f32_e32 v[18:19], v17
	v_lshl_add_u64 v[4:5], v[4:5], 3, v[12:13]
	s_mov_b32 s2, 0
	global_store_dwordx2 v[4:5], v[18:19], off
	v_lshl_add_u64 v[4:5], v[14:15], 3, s[14:15]
	s_cbranch_execz .LBB162_191
; %bb.189:
	v_mov_b32_e32 v8, s2
	s_branch .LBB162_192
.LBB162_190:
                                        ; implicit-def: $sgpr2
	v_lshl_add_u64 v[4:5], v[14:15], 3, s[14:15]
.LBB162_191:
	v_lshl_add_u64 v[14:15], v[4:5], 0, v[8:9]
	flat_load_dwordx2 v[14:15], v[14:15]
	v_lshl_add_u64 v[8:9], v[12:13], 0, v[8:9]
	s_waitcnt vmcnt(0) lgkmcnt(0)
	v_mul_f64 v[14:15], s[12:13], v[14:15]
	v_cvt_f32_f64_e32 v14, v[14:15]
	v_min_f32_e32 v14, v14, v16
	v_cvt_f64_f32_e32 v[14:15], v14
	global_store_dwordx2 v[8:9], v[14:15], off
	v_lshl_add_u64 v[8:9], v[0:1], 3, v[4:5]
	flat_load_dwordx2 v[8:9], v[8:9]
	s_waitcnt vmcnt(0) lgkmcnt(0)
	v_mul_f64 v[8:9], s[12:13], v[8:9]
	v_cvt_f32_f64_e32 v8, v[8:9]
.LBB162_192:
	v_max_f32_e32 v9, v88, v88
	v_max_f32_e32 v8, v8, v8
	v_min_f32_e32 v8, v8, v9
	v_cvt_f64_f32_e32 v[8:9], v8
	v_lshl_add_u64 v[0:1], v[0:1], 3, v[12:13]
	global_store_dwordx2 v[0:1], v[8:9], off
	v_max_f32_e32 v0, v87, v87
	s_mov_b64 vcc, s[6:7]
	s_cbranch_vccz .LBB162_195
; %bb.193:
	v_min_f32_e32 v1, 0, v0
	v_cvt_f64_f32_e32 v[8:9], v1
	v_lshl_add_u64 v[6:7], v[6:7], 3, v[12:13]
	s_mov_b32 s2, 0
	global_store_dwordx2 v[6:7], v[8:9], off
	s_cbranch_execz .LBB162_196
; %bb.194:
	v_mov_b32_e32 v0, s2
	s_branch .LBB162_197
.LBB162_195:
                                        ; implicit-def: $sgpr2
.LBB162_196:
	v_lshl_add_u64 v[6:7], v[4:5], 0, v[10:11]
	flat_load_dwordx2 v[6:7], v[6:7]
	v_lshl_add_u64 v[8:9], v[12:13], 0, v[10:11]
	s_waitcnt vmcnt(0) lgkmcnt(0)
	v_mul_f64 v[6:7], s[12:13], v[6:7]
	v_cvt_f32_f64_e32 v1, v[6:7]
	v_min_f32_e32 v0, v1, v0
	v_cvt_f64_f32_e32 v[0:1], v0
	global_store_dwordx2 v[8:9], v[0:1], off
	v_lshl_add_u64 v[0:1], v[2:3], 3, v[4:5]
	flat_load_dwordx2 v[0:1], v[0:1]
	s_waitcnt vmcnt(0) lgkmcnt(0)
	v_mul_f64 v[0:1], s[12:13], v[0:1]
	v_cvt_f32_f64_e32 v0, v[0:1]
.LBB162_197:
	v_max_f32_e32 v1, v86, v86
	v_max_f32_e32 v0, v0, v0
	v_min_f32_e32 v0, v0, v1
	v_cvt_f64_f32_e32 v[0:1], v0
	v_lshl_add_u64 v[2:3], v[2:3], 3, v[12:13]
	global_store_dwordx2 v[2:3], v[0:1], off
	s_endpgm
	.section	.rodata,"a",@progbits
	.p2align	6, 0x0
	.amdhsa_kernel _ZN12_GLOBAL__N_120geam_min_plus_kernelId15HIP_vector_typeIdLj2EEdLi32ELi8ELi128ELi128ELi4ELi4ELi64ELi4ELi64ELc84ELc78ELb0ELb0ELb1EPKdS3_dEEviiiT16_PT17_ilS7_ilS5_S7_ilPT18_ili26rocblas_geam_ex_operation_
		.amdhsa_group_segment_fixed_size 16384
		.amdhsa_private_segment_fixed_size 0
		.amdhsa_kernarg_size 136
		.amdhsa_user_sgpr_count 2
		.amdhsa_user_sgpr_dispatch_ptr 0
		.amdhsa_user_sgpr_queue_ptr 0
		.amdhsa_user_sgpr_kernarg_segment_ptr 1
		.amdhsa_user_sgpr_dispatch_id 0
		.amdhsa_user_sgpr_kernarg_preload_length 0
		.amdhsa_user_sgpr_kernarg_preload_offset 0
		.amdhsa_user_sgpr_private_segment_size 0
		.amdhsa_uses_dynamic_stack 0
		.amdhsa_enable_private_segment 0
		.amdhsa_system_sgpr_workgroup_id_x 1
		.amdhsa_system_sgpr_workgroup_id_y 0
		.amdhsa_system_sgpr_workgroup_id_z 1
		.amdhsa_system_sgpr_workgroup_info 0
		.amdhsa_system_vgpr_workitem_id 1
		.amdhsa_next_free_vgpr 174
		.amdhsa_next_free_sgpr 28
		.amdhsa_accum_offset 176
		.amdhsa_reserve_vcc 1
		.amdhsa_float_round_mode_32 0
		.amdhsa_float_round_mode_16_64 0
		.amdhsa_float_denorm_mode_32 3
		.amdhsa_float_denorm_mode_16_64 3
		.amdhsa_dx10_clamp 1
		.amdhsa_ieee_mode 1
		.amdhsa_fp16_overflow 0
		.amdhsa_tg_split 0
		.amdhsa_exception_fp_ieee_invalid_op 0
		.amdhsa_exception_fp_denorm_src 0
		.amdhsa_exception_fp_ieee_div_zero 0
		.amdhsa_exception_fp_ieee_overflow 0
		.amdhsa_exception_fp_ieee_underflow 0
		.amdhsa_exception_fp_ieee_inexact 0
		.amdhsa_exception_int_div_zero 0
	.end_amdhsa_kernel
	.section	.text._ZN12_GLOBAL__N_120geam_min_plus_kernelId15HIP_vector_typeIdLj2EEdLi32ELi8ELi128ELi128ELi4ELi4ELi64ELi4ELi64ELc84ELc78ELb0ELb0ELb1EPKdS3_dEEviiiT16_PT17_ilS7_ilS5_S7_ilPT18_ili26rocblas_geam_ex_operation_,"axG",@progbits,_ZN12_GLOBAL__N_120geam_min_plus_kernelId15HIP_vector_typeIdLj2EEdLi32ELi8ELi128ELi128ELi4ELi4ELi64ELi4ELi64ELc84ELc78ELb0ELb0ELb1EPKdS3_dEEviiiT16_PT17_ilS7_ilS5_S7_ilPT18_ili26rocblas_geam_ex_operation_,comdat
.Lfunc_end162:
	.size	_ZN12_GLOBAL__N_120geam_min_plus_kernelId15HIP_vector_typeIdLj2EEdLi32ELi8ELi128ELi128ELi4ELi4ELi64ELi4ELi64ELc84ELc78ELb0ELb0ELb1EPKdS3_dEEviiiT16_PT17_ilS7_ilS5_S7_ilPT18_ili26rocblas_geam_ex_operation_, .Lfunc_end162-_ZN12_GLOBAL__N_120geam_min_plus_kernelId15HIP_vector_typeIdLj2EEdLi32ELi8ELi128ELi128ELi4ELi4ELi64ELi4ELi64ELc84ELc78ELb0ELb0ELb1EPKdS3_dEEviiiT16_PT17_ilS7_ilS5_S7_ilPT18_ili26rocblas_geam_ex_operation_
                                        ; -- End function
	.section	.AMDGPU.csdata,"",@progbits
; Kernel info:
; codeLenInByte = 17496
; NumSgprs: 34
; NumVgprs: 174
; NumAgprs: 0
; TotalNumVgprs: 174
; ScratchSize: 0
; MemoryBound: 0
; FloatMode: 240
; IeeeMode: 1
; LDSByteSize: 16384 bytes/workgroup (compile time only)
; SGPRBlocks: 4
; VGPRBlocks: 21
; NumSGPRsForWavesPerEU: 34
; NumVGPRsForWavesPerEU: 174
; AccumOffset: 176
; Occupancy: 2
; WaveLimiterHint : 0
; COMPUTE_PGM_RSRC2:SCRATCH_EN: 0
; COMPUTE_PGM_RSRC2:USER_SGPR: 2
; COMPUTE_PGM_RSRC2:TRAP_HANDLER: 0
; COMPUTE_PGM_RSRC2:TGID_X_EN: 1
; COMPUTE_PGM_RSRC2:TGID_Y_EN: 0
; COMPUTE_PGM_RSRC2:TGID_Z_EN: 1
; COMPUTE_PGM_RSRC2:TIDIG_COMP_CNT: 1
; COMPUTE_PGM_RSRC3_GFX90A:ACCUM_OFFSET: 43
; COMPUTE_PGM_RSRC3_GFX90A:TG_SPLIT: 0
	.section	.text._ZN12_GLOBAL__N_120geam_min_plus_kernelId15HIP_vector_typeIdLj2EEdLi32ELi8ELi128ELi128ELi4ELi4ELi64ELi4ELi64ELc84ELc78ELb1ELb0ELb1EdKddEEviiiT16_PT17_ilS6_ilS4_S6_ilPT18_ili26rocblas_geam_ex_operation_,"axG",@progbits,_ZN12_GLOBAL__N_120geam_min_plus_kernelId15HIP_vector_typeIdLj2EEdLi32ELi8ELi128ELi128ELi4ELi4ELi64ELi4ELi64ELc84ELc78ELb1ELb0ELb1EdKddEEviiiT16_PT17_ilS6_ilS4_S6_ilPT18_ili26rocblas_geam_ex_operation_,comdat
	.globl	_ZN12_GLOBAL__N_120geam_min_plus_kernelId15HIP_vector_typeIdLj2EEdLi32ELi8ELi128ELi128ELi4ELi4ELi64ELi4ELi64ELc84ELc78ELb1ELb0ELb1EdKddEEviiiT16_PT17_ilS6_ilS4_S6_ilPT18_ili26rocblas_geam_ex_operation_ ; -- Begin function _ZN12_GLOBAL__N_120geam_min_plus_kernelId15HIP_vector_typeIdLj2EEdLi32ELi8ELi128ELi128ELi4ELi4ELi64ELi4ELi64ELc84ELc78ELb1ELb0ELb1EdKddEEviiiT16_PT17_ilS6_ilS4_S6_ilPT18_ili26rocblas_geam_ex_operation_
	.p2align	8
	.type	_ZN12_GLOBAL__N_120geam_min_plus_kernelId15HIP_vector_typeIdLj2EEdLi32ELi8ELi128ELi128ELi4ELi4ELi64ELi4ELi64ELc84ELc78ELb1ELb0ELb1EdKddEEviiiT16_PT17_ilS6_ilS4_S6_ilPT18_ili26rocblas_geam_ex_operation_,@function
_ZN12_GLOBAL__N_120geam_min_plus_kernelId15HIP_vector_typeIdLj2EEdLi32ELi8ELi128ELi128ELi4ELi4ELi64ELi4ELi64ELc84ELc78ELb1ELb0ELb1EdKddEEviiiT16_PT17_ilS6_ilS4_S6_ilPT18_ili26rocblas_geam_ex_operation_: ; @_ZN12_GLOBAL__N_120geam_min_plus_kernelId15HIP_vector_typeIdLj2EEdLi32ELi8ELi128ELi128ELi4ELi4ELi64ELi4ELi64ELc84ELc78ELb1ELb0ELb1EdKddEEviiiT16_PT17_ilS6_ilS4_S6_ilPT18_ili26rocblas_geam_ex_operation_
; %bb.0:
	s_load_dwordx4 s[4:7], s[0:1], 0x10
	s_load_dwordx4 s[8:11], s[0:1], 0x28
	s_mov_b64 s[16:17], 0
	s_waitcnt lgkmcnt(0)
	v_cmp_eq_f64_e64 s[12:13], s[4:5], 0
	s_and_b64 vcc, exec, s[12:13]
	s_cbranch_vccnz .LBB163_2
; %bb.1:
	s_mul_i32 s4, s3, s9
	s_mul_hi_u32 s5, s3, s8
	s_add_i32 s5, s5, s4
	s_mul_i32 s4, s3, s8
	s_lshl_b64 s[4:5], s[4:5], 3
	s_add_u32 s16, s6, s4
	s_addc_u32 s17, s7, s5
.LBB163_2:
	s_load_dwordx4 s[4:7], s[0:1], 0x40
	s_load_dwordx2 s[20:21], s[0:1], 0x50
	s_andn2_b64 vcc, exec, s[12:13]
	s_cbranch_vccnz .LBB163_4
; %bb.3:
	s_mov_b32 s15, 0
	s_mov_b64 s[18:19], 0
	s_cbranch_execz .LBB163_5
	s_branch .LBB163_6
.LBB163_4:
                                        ; implicit-def: $sgpr18_sgpr19
                                        ; implicit-def: $sgpr14_sgpr15
.LBB163_5:
	s_waitcnt lgkmcnt(0)
	s_mul_i32 s5, s3, s5
	s_mul_hi_u32 s8, s3, s4
	s_add_i32 s5, s8, s5
	s_mul_i32 s4, s3, s4
	s_lshl_b64 s[4:5], s[4:5], 3
	s_add_u32 s18, s10, s4
	s_mov_b32 s15, 0
	s_addc_u32 s19, s11, s5
.LBB163_6:
	s_load_dwordx4 s[8:11], s[0:1], 0x60
	s_waitcnt lgkmcnt(0)
	v_cmp_eq_f64_e64 s[4:5], s[6:7], 0
	s_and_b64 s[4:5], exec, s[4:5]
	s_mov_b64 s[12:13], 0
	s_mov_b64 vcc, s[4:5]
	s_cbranch_vccnz .LBB163_8
; %bb.7:
	s_mul_i32 s9, s3, s9
	s_mul_hi_u32 s12, s3, s8
	s_add_i32 s9, s12, s9
	s_mul_i32 s12, s15, s8
	s_add_i32 s9, s9, s12
	s_mul_i32 s8, s3, s8
	s_lshl_b64 s[8:9], s[8:9], 3
	s_add_u32 s12, s20, s8
	s_addc_u32 s13, s21, s9
.LBB163_8:
	s_load_dword s8, s[0:1], 0x0
	s_load_dword s20, s[0:1], 0x20
	;; [unrolled: 1-line block ×3, first 2 shown]
	v_and_b32_e32 v153, 0x3ff, v0
	v_bfe_u32 v154, v0, 10, 10
	s_waitcnt lgkmcnt(0)
	s_add_i32 s8, s8, -1
	s_ashr_i32 s9, s8, 31
	s_lshr_b32 s9, s9, 25
	s_add_i32 s8, s8, s9
	s_ashr_i32 s8, s8, 7
	s_add_i32 s9, s8, 1
	v_cvt_f32_u32_e32 v1, s9
	s_not_b32 s8, s8
	v_lshl_add_u32 v2, v154, 5, v153
	v_lshrrev_b32_e32 v18, 2, v2
	v_rcp_iflag_f32_e32 v0, v1
	v_and_b32_e32 v160, 3, v153
	v_mov_b32_e32 v1, 0
	v_mov_b32_e32 v94, 0x7f800000
	v_mul_f32_e32 v0, 0x4f7ffffe, v0
	v_cvt_u32_f32_e32 v3, v0
	v_lshlrev_b32_e32 v0, 3, v160
	v_lshl_or_b32 v161, v18, 5, v0
	v_mov_b32_e32 v95, 0x7f800000
	v_readfirstlane_b32 s14, v3
	s_mul_i32 s8, s8, s14
	s_mul_hi_u32 s8, s14, s8
	s_add_i32 s14, s14, s8
	s_mul_hi_u32 s8, s2, s14
	s_mul_i32 s14, s8, s9
	s_sub_i32 s14, s2, s14
	s_add_i32 s22, s8, 1
	s_sub_i32 s23, s14, s9
	s_cmp_ge_u32 s14, s9
	s_cselect_b32 s8, s22, s8
	s_cselect_b32 s14, s23, s14
	s_add_i32 s22, s8, 1
	s_cmp_ge_u32 s14, s9
	s_cselect_b32 s8, s22, s8
	s_mul_i32 s9, s8, s9
	s_sub_i32 s2, s2, s9
	s_lshl_b32 s2, s2, 7
	s_lshl_b32 s14, s8, 7
	v_add_u32_e32 v8, s2, v18
	v_mad_i64_i32 v[72:73], s[8:9], v8, s20, 0
	v_add_u32_e32 v8, 64, v8
	v_add_u32_e32 v14, s14, v18
	v_mad_i64_i32 v[74:75], s[8:9], v8, s20, 0
	v_lshl_add_u64 v[8:9], s[18:19], 0, v[0:1]
	v_mad_i64_i32 v[76:77], s[8:9], v14, s21, 0
	v_lshl_add_u64 v[2:3], s[16:17], 0, v[0:1]
	v_lshl_add_u64 v[10:11], v[76:77], 3, v[8:9]
	v_lshl_add_u64 v[4:5], v[72:73], 3, v[2:3]
	flat_load_dwordx2 v[12:13], v[10:11]
	flat_load_dwordx2 v[6:7], v[4:5]
	v_add_u32_e32 v1, 64, v14
	v_mad_i64_i32 v[78:79], s[8:9], v1, s21, 0
	v_lshl_add_u64 v[8:9], v[78:79], 3, v[8:9]
	v_lshl_add_u64 v[2:3], v[74:75], 3, v[2:3]
	flat_load_dwordx2 v[14:15], v[8:9]
	flat_load_dwordx2 v[16:17], v[2:3]
	flat_load_dwordx2 v[80:81], v[2:3] offset:32
	flat_load_dwordx2 v[82:83], v[8:9] offset:32
	;; [unrolled: 1-line block ×4, first 2 shown]
	s_mov_b32 s20, 0
	s_mov_b64 s[8:9], -1
	v_mov_b32_e32 v96, 0x7f800000
	v_mov_b32_e32 v97, 0x7f800000
	;; [unrolled: 1-line block ×48, first 2 shown]
	v_add_u32_e32 v162, 0x2000, v161
	v_mov_b32_e32 v144, 0x7f800000
	v_mov_b32_e32 v145, 0x7f800000
	;; [unrolled: 1-line block ×14, first 2 shown]
	s_waitcnt vmcnt(0) lgkmcnt(0)
	ds_write2st64_b64 v161, v[12:13], v[14:15] offset0:16 offset1:20
	ds_write2st64_b64 v161, v[6:7], v[16:17] offset1:4
	s_waitcnt lgkmcnt(0)
	s_barrier
.LBB163_9:                              ; =>This Inner Loop Header: Depth=1
	v_cndmask_b32_e64 v0, 0, 1, s[8:9]
	s_lshl_b32 s8, s20, 3
	v_cmp_ne_u32_e32 vcc, 1, v0
	v_lshl_add_u32 v0, v153, 5, s8
	ds_read_b128 v[12:15], v0
	ds_read_b128 v[8:11], v0 offset:1024
	ds_read_b128 v[4:7], v0 offset:2048
	;; [unrolled: 1-line block ×3, first 2 shown]
	v_lshl_add_u32 v16, v154, 5, s8
	ds_read_b128 v[88:91], v16 offset:8192
	ds_read_b128 v[164:167], v16 offset:8448
	;; [unrolled: 1-line block ×16, first 2 shown]
	s_waitcnt lgkmcnt(14)
	v_add_f64 v[92:93], v[14:15], v[90:91]
	v_add_f64 v[168:169], v[12:13], v[88:89]
	v_cvt_f32_f64_e32 v163, v[168:169]
	v_cvt_f32_f64_e32 v92, v[92:93]
	v_min3_f32 v159, v163, v92, v159
	v_add_f64 v[92:93], v[10:11], v[90:91]
	v_add_f64 v[168:169], v[8:9], v[88:89]
	v_cvt_f32_f64_e32 v163, v[168:169]
	v_cvt_f32_f64_e32 v92, v[92:93]
	v_min3_f32 v158, v163, v92, v158
	v_add_f64 v[92:93], v[6:7], v[90:91]
	v_add_f64 v[168:169], v[4:5], v[88:89]
	v_add_f64 v[90:91], v[2:3], v[90:91]
	v_add_f64 v[88:89], v[0:1], v[88:89]
	v_cvt_f32_f64_e32 v88, v[88:89]
	v_cvt_f32_f64_e32 v89, v[90:91]
	v_min3_f32 v156, v88, v89, v156
	v_add_f64 v[88:89], v[14:15], v[166:167]
	v_add_f64 v[90:91], v[12:13], v[164:165]
	v_cvt_f32_f64_e32 v90, v[90:91]
	v_cvt_f32_f64_e32 v88, v[88:89]
	v_min3_f32 v155, v90, v88, v155
	v_add_f64 v[88:89], v[10:11], v[166:167]
	v_add_f64 v[90:91], v[8:9], v[164:165]
	;; [unrolled: 5-line block ×4, first 2 shown]
	v_cvt_f32_f64_e32 v90, v[90:91]
	v_cvt_f32_f64_e32 v88, v[88:89]
	v_min3_f32 v150, v90, v88, v150
	s_waitcnt lgkmcnt(13)
	v_add_f64 v[88:89], v[14:15], v[70:71]
	v_add_f64 v[90:91], v[12:13], v[68:69]
	v_cvt_f32_f64_e32 v90, v[90:91]
	v_cvt_f32_f64_e32 v88, v[88:89]
	v_min3_f32 v149, v90, v88, v149
	v_add_f64 v[88:89], v[10:11], v[70:71]
	v_add_f64 v[90:91], v[8:9], v[68:69]
	v_cvt_f32_f64_e32 v90, v[90:91]
	v_cvt_f32_f64_e32 v88, v[88:89]
	v_min3_f32 v148, v90, v88, v148
	v_add_f64 v[88:89], v[6:7], v[70:71]
	v_add_f64 v[90:91], v[4:5], v[68:69]
	v_add_f64 v[70:71], v[2:3], v[70:71]
	v_add_f64 v[68:69], v[0:1], v[68:69]
	v_cvt_f32_f64_e32 v68, v[68:69]
	v_cvt_f32_f64_e32 v69, v[70:71]
	v_min3_f32 v146, v68, v69, v146
	s_waitcnt lgkmcnt(12)
	v_add_f64 v[68:69], v[14:15], v[66:67]
	v_add_f64 v[70:71], v[12:13], v[64:65]
	v_cvt_f32_f64_e32 v70, v[70:71]
	v_cvt_f32_f64_e32 v68, v[68:69]
	v_min3_f32 v145, v70, v68, v145
	v_add_f64 v[68:69], v[10:11], v[66:67]
	v_add_f64 v[70:71], v[8:9], v[64:65]
	v_cvt_f32_f64_e32 v70, v[70:71]
	v_cvt_f32_f64_e32 v68, v[68:69]
	v_min3_f32 v144, v70, v68, v144
	v_add_f64 v[68:69], v[6:7], v[66:67]
	v_add_f64 v[70:71], v[4:5], v[64:65]
	v_add_f64 v[66:67], v[2:3], v[66:67]
	v_add_f64 v[64:65], v[0:1], v[64:65]
	;; [unrolled: 18-line block ×13, first 2 shown]
	s_waitcnt lgkmcnt(0)
	v_add_f64 v[14:15], v[14:15], v[18:19]
	v_add_f64 v[12:13], v[12:13], v[16:17]
	;; [unrolled: 1-line block ×8, first 2 shown]
	v_cvt_f32_f64_e32 v163, v[168:169]
	v_cvt_f32_f64_e32 v92, v[92:93]
	;; [unrolled: 1-line block ×38, first 2 shown]
	v_min3_f32 v157, v163, v92, v157
	v_min3_f32 v147, v90, v88, v147
	;; [unrolled: 1-line block ×19, first 2 shown]
	s_mov_b64 s[8:9], 0
	s_mov_b32 s20, 2
	s_cbranch_vccz .LBB163_9
; %bb.10:
	s_load_dword s20, s[0:1], 0x8
	ds_write2st64_b64 v161, v[86:87], v[80:81] offset0:8 offset1:12
	ds_write2st64_b64 v161, v[84:85], v[82:83] offset0:24 offset1:28
	s_waitcnt lgkmcnt(0)
	s_barrier
	s_cmp_lt_i32 s20, 9
	s_cbranch_scc1 .LBB163_17
; %bb.11:
	v_add_u32_e32 v163, 0x1000, v161
	v_add_u32_e32 v164, 0x3000, v161
	s_add_i32 s20, s20, -8
	s_mov_b32 s21, 8
	s_mov_b32 s22, 0
	v_mov_b32_e32 v69, 0
.LBB163_12:                             ; =>This Loop Header: Depth=1
                                        ;     Child Loop BB163_13 Depth 2
                                        ;     Child Loop BB163_15 Depth 2
	v_or_b32_e32 v68, s21, v160
	v_lshlrev_b64 v[0:1], 3, v[68:69]
	v_lshl_add_u64 v[2:3], s[16:17], 0, v[0:1]
	v_lshl_add_u64 v[0:1], s[18:19], 0, v[0:1]
	v_lshl_add_u64 v[70:71], v[72:73], 3, v[2:3]
	v_lshl_add_u64 v[82:83], v[76:77], 3, v[0:1]
	v_lshl_add_u64 v[80:81], v[74:75], 3, v[2:3]
	flat_load_dwordx2 v[86:87], v[70:71]
	flat_load_dwordx2 v[88:89], v[80:81]
	v_lshl_add_u64 v[84:85], v[78:79], 3, v[0:1]
	flat_load_dwordx2 v[90:91], v[82:83]
	flat_load_dwordx2 v[92:93], v[84:85]
	s_mov_b64 s[8:9], -1
	s_mov_b32 s23, 0
.LBB163_13:                             ;   Parent Loop BB163_12 Depth=1
                                        ; =>  This Inner Loop Header: Depth=2
	v_cndmask_b32_e64 v0, 0, 1, s[8:9]
	s_lshl_b32 s8, s23, 3
	v_cmp_ne_u32_e32 vcc, 1, v0
	v_lshl_add_u32 v0, v153, 5, s8
	ds_read_b128 v[12:15], v0 offset:4096
	ds_read_b128 v[8:11], v0 offset:5120
	;; [unrolled: 1-line block ×4, first 2 shown]
	v_lshl_add_u32 v16, v154, 5, s8
	ds_read_b128 v[166:169], v16 offset:12288
	ds_read_b128 v[170:173], v16 offset:12544
	;; [unrolled: 1-line block ×16, first 2 shown]
	s_waitcnt lgkmcnt(0)
	v_add_f64 v[178:179], v[14:15], v[168:169]
	v_add_f64 v[180:181], v[12:13], v[166:167]
	v_cvt_f32_f64_e32 v68, v[180:181]
	v_cvt_f32_f64_e32 v165, v[178:179]
	v_add_f64 v[178:179], v[10:11], v[168:169]
	v_add_f64 v[180:181], v[8:9], v[166:167]
	v_min3_f32 v159, v68, v165, v159
	v_cvt_f32_f64_e32 v68, v[180:181]
	v_cvt_f32_f64_e32 v165, v[178:179]
	v_add_f64 v[178:179], v[6:7], v[168:169]
	v_add_f64 v[180:181], v[4:5], v[166:167]
	v_min3_f32 v158, v68, v165, v158
	;; [unrolled: 5-line block ×13, first 2 shown]
	v_cvt_f32_f64_e32 v68, v[168:169]
	v_cvt_f32_f64_e32 v165, v[166:167]
	v_add_f64 v[166:167], v[6:7], v[66:67]
	v_add_f64 v[168:169], v[4:5], v[64:65]
	v_add_f64 v[66:67], v[2:3], v[66:67]
	v_add_f64 v[64:65], v[0:1], v[64:65]
	v_cvt_f32_f64_e32 v64, v[64:65]
	v_cvt_f32_f64_e32 v65, v[66:67]
	v_min3_f32 v142, v64, v65, v142
	v_add_f64 v[64:65], v[14:15], v[62:63]
	v_add_f64 v[66:67], v[12:13], v[60:61]
	v_cvt_f32_f64_e32 v66, v[66:67]
	v_cvt_f32_f64_e32 v64, v[64:65]
	v_min3_f32 v141, v66, v64, v141
	v_add_f64 v[64:65], v[10:11], v[62:63]
	v_add_f64 v[66:67], v[8:9], v[60:61]
	v_cvt_f32_f64_e32 v66, v[66:67]
	v_cvt_f32_f64_e32 v64, v[64:65]
	v_min3_f32 v140, v66, v64, v140
	v_add_f64 v[64:65], v[6:7], v[62:63]
	v_add_f64 v[66:67], v[4:5], v[60:61]
	v_add_f64 v[62:63], v[2:3], v[62:63]
	v_add_f64 v[60:61], v[0:1], v[60:61]
	v_cvt_f32_f64_e32 v60, v[60:61]
	v_cvt_f32_f64_e32 v61, v[62:63]
	v_min3_f32 v138, v60, v61, v138
	v_add_f64 v[60:61], v[14:15], v[58:59]
	v_add_f64 v[62:63], v[12:13], v[56:57]
	v_cvt_f32_f64_e32 v62, v[62:63]
	v_cvt_f32_f64_e32 v60, v[60:61]
	v_min3_f32 v137, v62, v60, v137
	v_add_f64 v[60:61], v[10:11], v[58:59]
	v_add_f64 v[62:63], v[8:9], v[56:57]
	v_cvt_f32_f64_e32 v62, v[62:63]
	v_cvt_f32_f64_e32 v60, v[60:61]
	v_min3_f32 v136, v62, v60, v136
	;; [unrolled: 17-line block ×11, first 2 shown]
	v_add_f64 v[24:25], v[6:7], v[22:23]
	v_add_f64 v[26:27], v[4:5], v[20:21]
	v_add_f64 v[22:23], v[2:3], v[22:23]
	v_add_f64 v[20:21], v[0:1], v[20:21]
	v_add_f64 v[14:15], v[14:15], v[18:19]
	v_add_f64 v[12:13], v[12:13], v[16:17]
	v_add_f64 v[10:11], v[10:11], v[18:19]
	v_add_f64 v[8:9], v[8:9], v[16:17]
	v_add_f64 v[6:7], v[6:7], v[18:19]
	v_add_f64 v[4:5], v[4:5], v[16:17]
	v_add_f64 v[2:3], v[2:3], v[18:19]
	v_add_f64 v[0:1], v[0:1], v[16:17]
	v_min3_f32 v144, v68, v165, v144
	v_cvt_f32_f64_e32 v68, v[168:169]
	v_cvt_f32_f64_e32 v165, v[166:167]
	;; [unrolled: 1-line block ×34, first 2 shown]
	v_min3_f32 v143, v68, v165, v143
	v_min3_f32 v139, v66, v64, v139
	v_min3_f32 v135, v62, v60, v135
	v_min3_f32 v131, v58, v56, v131
	v_min3_f32 v127, v54, v52, v127
	v_min3_f32 v123, v50, v48, v123
	v_min3_f32 v119, v46, v44, v119
	v_min3_f32 v115, v42, v40, v115
	v_min3_f32 v111, v38, v36, v111
	v_min3_f32 v107, v34, v32, v107
	v_min3_f32 v103, v30, v28, v103
	v_min3_f32 v99, v26, v24, v99
	v_min3_f32 v98, v20, v21, v98
	v_min3_f32 v97, v12, v13, v97
	v_min3_f32 v96, v8, v9, v96
	v_min3_f32 v95, v4, v5, v95
	v_min3_f32 v94, v0, v1, v94
	s_mov_b32 s23, 2
	s_mov_b64 s[8:9], 0
	s_cbranch_vccz .LBB163_13
; %bb.14:                               ;   in Loop: Header=BB163_12 Depth=1
	s_waitcnt vmcnt(0)
	ds_write2st64_b64 v161, v[86:87], v[88:89] offset1:4
	ds_write2st64_b64 v162, v[90:91], v[92:93] offset1:4
	s_waitcnt lgkmcnt(0)
	s_barrier
	flat_load_dwordx2 v[86:87], v[70:71] offset:32
	flat_load_dwordx2 v[88:89], v[80:81] offset:32
	;; [unrolled: 1-line block ×4, first 2 shown]
	s_mov_b32 s23, 0
	s_mov_b64 s[8:9], -1
.LBB163_15:                             ;   Parent Loop BB163_12 Depth=1
                                        ; =>  This Inner Loop Header: Depth=2
	v_cndmask_b32_e64 v0, 0, 1, s[8:9]
	s_lshl_b32 s8, s23, 3
	v_cmp_ne_u32_e32 vcc, 1, v0
	v_lshl_add_u32 v0, v153, 5, s8
	ds_read_b128 v[12:15], v0
	ds_read_b128 v[8:11], v0 offset:1024
	ds_read_b128 v[4:7], v0 offset:2048
	;; [unrolled: 1-line block ×3, first 2 shown]
	v_lshl_add_u32 v16, v154, 5, s8
	ds_read_b128 v[80:83], v16 offset:8192
	ds_read_b128 v[166:169], v16 offset:8448
	;; [unrolled: 1-line block ×16, first 2 shown]
	s_waitcnt lgkmcnt(0)
	v_add_f64 v[70:71], v[14:15], v[82:83]
	v_add_f64 v[84:85], v[12:13], v[80:81]
	v_cvt_f32_f64_e32 v68, v[84:85]
	v_cvt_f32_f64_e32 v70, v[70:71]
	v_min3_f32 v159, v68, v70, v159
	v_add_f64 v[70:71], v[10:11], v[82:83]
	v_add_f64 v[84:85], v[8:9], v[80:81]
	v_cvt_f32_f64_e32 v68, v[84:85]
	v_cvt_f32_f64_e32 v70, v[70:71]
	v_min3_f32 v158, v68, v70, v158
	;; [unrolled: 5-line block ×14, first 2 shown]
	v_add_f64 v[70:71], v[6:7], v[66:67]
	v_add_f64 v[80:81], v[4:5], v[64:65]
	v_add_f64 v[66:67], v[2:3], v[66:67]
	v_add_f64 v[64:65], v[0:1], v[64:65]
	v_cvt_f32_f64_e32 v64, v[64:65]
	v_cvt_f32_f64_e32 v65, v[66:67]
	v_min3_f32 v142, v64, v65, v142
	v_add_f64 v[64:65], v[14:15], v[62:63]
	v_add_f64 v[66:67], v[12:13], v[60:61]
	v_cvt_f32_f64_e32 v66, v[66:67]
	v_cvt_f32_f64_e32 v64, v[64:65]
	v_min3_f32 v141, v66, v64, v141
	v_add_f64 v[64:65], v[10:11], v[62:63]
	v_add_f64 v[66:67], v[8:9], v[60:61]
	v_cvt_f32_f64_e32 v66, v[66:67]
	v_cvt_f32_f64_e32 v64, v[64:65]
	v_min3_f32 v140, v66, v64, v140
	v_add_f64 v[64:65], v[6:7], v[62:63]
	v_add_f64 v[66:67], v[4:5], v[60:61]
	v_add_f64 v[62:63], v[2:3], v[62:63]
	v_add_f64 v[60:61], v[0:1], v[60:61]
	v_cvt_f32_f64_e32 v60, v[60:61]
	v_cvt_f32_f64_e32 v61, v[62:63]
	v_min3_f32 v138, v60, v61, v138
	v_add_f64 v[60:61], v[14:15], v[58:59]
	v_add_f64 v[62:63], v[12:13], v[56:57]
	v_cvt_f32_f64_e32 v62, v[62:63]
	v_cvt_f32_f64_e32 v60, v[60:61]
	v_min3_f32 v137, v62, v60, v137
	v_add_f64 v[60:61], v[10:11], v[58:59]
	v_add_f64 v[62:63], v[8:9], v[56:57]
	v_cvt_f32_f64_e32 v62, v[62:63]
	v_cvt_f32_f64_e32 v60, v[60:61]
	v_min3_f32 v136, v62, v60, v136
	;; [unrolled: 17-line block ×11, first 2 shown]
	v_add_f64 v[24:25], v[6:7], v[22:23]
	v_add_f64 v[26:27], v[4:5], v[20:21]
	;; [unrolled: 1-line block ×12, first 2 shown]
	v_cvt_f32_f64_e32 v68, v[80:81]
	v_cvt_f32_f64_e32 v70, v[70:71]
	;; [unrolled: 1-line block ×34, first 2 shown]
	v_min3_f32 v143, v68, v70, v143
	v_min3_f32 v139, v66, v64, v139
	;; [unrolled: 1-line block ×17, first 2 shown]
	s_mov_b32 s23, 2
	s_mov_b64 s[8:9], 0
	s_cbranch_vccz .LBB163_15
; %bb.16:                               ;   in Loop: Header=BB163_12 Depth=1
	s_add_i32 s21, s21, 8
	s_add_i32 s22, s22, 8
	s_cmp_ge_i32 s22, s20
	s_waitcnt vmcnt(0)
	ds_write2st64_b64 v163, v[86:87], v[88:89] offset1:4
	ds_write2st64_b64 v164, v[90:91], v[92:93] offset1:4
	s_waitcnt lgkmcnt(0)
	s_barrier
	s_cbranch_scc0 .LBB163_12
.LBB163_17:
	s_mov_b32 s16, 0
	s_mov_b64 s[8:9], -1
.LBB163_18:                             ; =>This Inner Loop Header: Depth=1
	v_cndmask_b32_e64 v0, 0, 1, s[8:9]
	s_lshl_b32 s8, s16, 3
	v_cmp_ne_u32_e32 vcc, 1, v0
	v_lshl_add_u32 v0, v153, 5, s8
	ds_read_b128 v[12:15], v0 offset:4096
	ds_read_b128 v[8:11], v0 offset:5120
	;; [unrolled: 1-line block ×4, first 2 shown]
	v_lshl_add_u32 v16, v154, 5, s8
	ds_read_b128 v[68:71], v16 offset:12288
	ds_read_b128 v[72:75], v16 offset:12544
	;; [unrolled: 1-line block ×16, first 2 shown]
	s_waitcnt lgkmcnt(14)
	v_add_f64 v[80:81], v[14:15], v[70:71]
	v_add_f64 v[82:83], v[12:13], v[68:69]
	v_cvt_f32_f64_e32 v82, v[82:83]
	v_cvt_f32_f64_e32 v80, v[80:81]
	v_min3_f32 v159, v82, v80, v159
	v_add_f64 v[80:81], v[10:11], v[70:71]
	v_add_f64 v[82:83], v[8:9], v[68:69]
	v_cvt_f32_f64_e32 v82, v[82:83]
	v_cvt_f32_f64_e32 v80, v[80:81]
	v_min3_f32 v158, v82, v80, v158
	v_add_f64 v[80:81], v[6:7], v[70:71]
	v_add_f64 v[82:83], v[4:5], v[68:69]
	;; [unrolled: 1-line block ×4, first 2 shown]
	v_cvt_f32_f64_e32 v68, v[68:69]
	v_cvt_f32_f64_e32 v69, v[70:71]
	v_min3_f32 v156, v68, v69, v156
	v_add_f64 v[68:69], v[14:15], v[74:75]
	v_add_f64 v[70:71], v[12:13], v[72:73]
	v_cvt_f32_f64_e32 v70, v[70:71]
	v_cvt_f32_f64_e32 v68, v[68:69]
	v_min3_f32 v155, v70, v68, v155
	v_add_f64 v[68:69], v[10:11], v[74:75]
	v_add_f64 v[70:71], v[8:9], v[72:73]
	;; [unrolled: 5-line block ×4, first 2 shown]
	v_cvt_f32_f64_e32 v70, v[70:71]
	v_cvt_f32_f64_e32 v68, v[68:69]
	v_min3_f32 v150, v70, v68, v150
	s_waitcnt lgkmcnt(13)
	v_add_f64 v[68:69], v[14:15], v[78:79]
	v_add_f64 v[70:71], v[12:13], v[76:77]
	v_cvt_f32_f64_e32 v70, v[70:71]
	v_cvt_f32_f64_e32 v68, v[68:69]
	v_min3_f32 v149, v70, v68, v149
	v_add_f64 v[68:69], v[10:11], v[78:79]
	v_add_f64 v[70:71], v[8:9], v[76:77]
	v_cvt_f32_f64_e32 v70, v[70:71]
	v_cvt_f32_f64_e32 v68, v[68:69]
	v_min3_f32 v148, v70, v68, v148
	;; [unrolled: 5-line block ×4, first 2 shown]
	s_waitcnt lgkmcnt(12)
	v_add_f64 v[68:69], v[14:15], v[66:67]
	v_add_f64 v[70:71], v[12:13], v[64:65]
	v_cvt_f32_f64_e32 v70, v[70:71]
	v_cvt_f32_f64_e32 v68, v[68:69]
	v_min3_f32 v145, v70, v68, v145
	v_add_f64 v[68:69], v[10:11], v[66:67]
	v_add_f64 v[70:71], v[8:9], v[64:65]
	v_cvt_f32_f64_e32 v70, v[70:71]
	v_cvt_f32_f64_e32 v68, v[68:69]
	v_min3_f32 v144, v70, v68, v144
	v_add_f64 v[68:69], v[6:7], v[66:67]
	v_add_f64 v[70:71], v[4:5], v[64:65]
	v_add_f64 v[66:67], v[2:3], v[66:67]
	v_add_f64 v[64:65], v[0:1], v[64:65]
	v_cvt_f32_f64_e32 v64, v[64:65]
	v_cvt_f32_f64_e32 v65, v[66:67]
	v_min3_f32 v142, v64, v65, v142
	s_waitcnt lgkmcnt(11)
	v_add_f64 v[64:65], v[14:15], v[62:63]
	v_add_f64 v[66:67], v[12:13], v[60:61]
	v_cvt_f32_f64_e32 v66, v[66:67]
	v_cvt_f32_f64_e32 v64, v[64:65]
	v_min3_f32 v141, v66, v64, v141
	v_add_f64 v[64:65], v[10:11], v[62:63]
	v_add_f64 v[66:67], v[8:9], v[60:61]
	v_cvt_f32_f64_e32 v66, v[66:67]
	v_cvt_f32_f64_e32 v64, v[64:65]
	v_min3_f32 v140, v66, v64, v140
	v_add_f64 v[64:65], v[6:7], v[62:63]
	v_add_f64 v[66:67], v[4:5], v[60:61]
	v_add_f64 v[62:63], v[2:3], v[62:63]
	v_add_f64 v[60:61], v[0:1], v[60:61]
	v_cvt_f32_f64_e32 v60, v[60:61]
	v_cvt_f32_f64_e32 v61, v[62:63]
	v_min3_f32 v138, v60, v61, v138
	;; [unrolled: 18-line block ×11, first 2 shown]
	s_waitcnt lgkmcnt(1)
	v_add_f64 v[24:25], v[14:15], v[22:23]
	v_add_f64 v[26:27], v[12:13], v[20:21]
	v_cvt_f32_f64_e32 v26, v[26:27]
	v_cvt_f32_f64_e32 v24, v[24:25]
	v_min3_f32 v101, v26, v24, v101
	v_add_f64 v[24:25], v[10:11], v[22:23]
	v_add_f64 v[26:27], v[8:9], v[20:21]
	v_cvt_f32_f64_e32 v26, v[26:27]
	v_cvt_f32_f64_e32 v24, v[24:25]
	v_min3_f32 v100, v26, v24, v100
	v_add_f64 v[24:25], v[6:7], v[22:23]
	v_add_f64 v[26:27], v[4:5], v[20:21]
	;; [unrolled: 1-line block ×4, first 2 shown]
	s_waitcnt lgkmcnt(0)
	v_add_f64 v[14:15], v[14:15], v[18:19]
	v_add_f64 v[12:13], v[12:13], v[16:17]
	v_add_f64 v[10:11], v[10:11], v[18:19]
	v_add_f64 v[8:9], v[8:9], v[16:17]
	v_add_f64 v[6:7], v[6:7], v[18:19]
	v_add_f64 v[4:5], v[4:5], v[16:17]
	v_add_f64 v[2:3], v[2:3], v[18:19]
	v_add_f64 v[0:1], v[0:1], v[16:17]
	v_cvt_f32_f64_e32 v82, v[82:83]
	v_cvt_f32_f64_e32 v80, v[80:81]
	v_cvt_f32_f64_e32 v70, v[70:71]
	v_cvt_f32_f64_e32 v68, v[68:69]
	v_cvt_f32_f64_e32 v66, v[66:67]
	v_cvt_f32_f64_e32 v64, v[64:65]
	v_cvt_f32_f64_e32 v62, v[62:63]
	v_cvt_f32_f64_e32 v60, v[60:61]
	v_cvt_f32_f64_e32 v58, v[58:59]
	v_cvt_f32_f64_e32 v56, v[56:57]
	v_cvt_f32_f64_e32 v54, v[54:55]
	v_cvt_f32_f64_e32 v52, v[52:53]
	v_cvt_f32_f64_e32 v50, v[50:51]
	v_cvt_f32_f64_e32 v48, v[48:49]
	v_cvt_f32_f64_e32 v46, v[46:47]
	v_cvt_f32_f64_e32 v44, v[44:45]
	v_cvt_f32_f64_e32 v42, v[42:43]
	v_cvt_f32_f64_e32 v40, v[40:41]
	v_cvt_f32_f64_e32 v38, v[38:39]
	v_cvt_f32_f64_e32 v36, v[36:37]
	v_cvt_f32_f64_e32 v34, v[34:35]
	v_cvt_f32_f64_e32 v32, v[32:33]
	v_cvt_f32_f64_e32 v30, v[30:31]
	v_cvt_f32_f64_e32 v28, v[28:29]
	v_cvt_f32_f64_e32 v26, v[26:27]
	v_cvt_f32_f64_e32 v24, v[24:25]
	v_cvt_f32_f64_e32 v20, v[20:21]
	v_cvt_f32_f64_e32 v21, v[22:23]
	v_cvt_f32_f64_e32 v12, v[12:13]
	v_cvt_f32_f64_e32 v13, v[14:15]
	v_cvt_f32_f64_e32 v8, v[8:9]
	v_cvt_f32_f64_e32 v9, v[10:11]
	v_cvt_f32_f64_e32 v4, v[4:5]
	v_cvt_f32_f64_e32 v5, v[6:7]
	v_cvt_f32_f64_e32 v0, v[0:1]
	v_cvt_f32_f64_e32 v1, v[2:3]
	v_min3_f32 v157, v82, v80, v157
	v_min3_f32 v143, v70, v68, v143
	;; [unrolled: 1-line block ×18, first 2 shown]
	s_mov_b32 s16, 2
	s_mov_b64 s[8:9], 0
	s_cbranch_vccz .LBB163_18
; %bb.19:
	s_load_dwordx2 s[8:9], s[0:1], 0x78
	s_load_dword s16, s[0:1], 0x58
	s_load_dword s17, s[0:1], 0x70
	v_add_u32_e32 v4, s2, v153
	v_add_u32_e32 v18, s14, v154
	s_waitcnt lgkmcnt(0)
	s_mul_i32 s0, s3, s9
	s_mul_hi_u32 s1, s3, s8
	s_mul_i32 s9, s15, s8
	s_add_i32 s0, s1, s0
	s_add_i32 s1, s0, s9
	s_mul_i32 s0, s3, s8
	s_lshl_b64 s[0:1], s[0:1], 3
	s_add_u32 s0, s10, s0
	s_addc_u32 s1, s11, s1
	v_add_u32_e32 v0, 32, v4
	v_mad_i64_i32 v[2:3], s[2:3], v18, s17, 0
	v_ashrrev_i32_e32 v5, 31, v4
	v_ashrrev_i32_e32 v1, 31, v0
	v_lshl_add_u64 v[12:13], v[2:3], 3, s[0:1]
	v_mad_i64_i32 v[2:3], s[2:3], v18, s16, 0
	v_max_f32_e32 v6, v159, v159
	s_mov_b64 vcc, s[4:5]
	s_cbranch_vccz .LBB163_22
; %bb.20:
	v_min_f32_e32 v7, 0, v6
	v_cvt_f64_f32_e32 v[8:9], v7
	v_lshl_add_u64 v[10:11], v[4:5], 3, v[12:13]
	global_store_dwordx2 v[10:11], v[8:9], off
	s_mov_b64 s[2:3], 0
	v_lshl_add_u64 v[14:15], v[2:3], 3, s[12:13]
	v_lshlrev_b64 v[8:9], 3, v[4:5]
	s_cbranch_execz .LBB163_23
; %bb.21:
	v_mov_b64_e32 v[10:11], s[2:3]
	s_branch .LBB163_24
.LBB163_22:
                                        ; implicit-def: $sgpr2_sgpr3
	v_lshl_add_u64 v[14:15], v[2:3], 3, s[12:13]
	v_lshlrev_b64 v[8:9], 3, v[4:5]
.LBB163_23:
	v_lshl_add_u64 v[2:3], v[14:15], 0, v[8:9]
	flat_load_dwordx2 v[2:3], v[2:3]
	v_lshl_add_u64 v[10:11], v[12:13], 0, v[8:9]
	s_waitcnt vmcnt(0) lgkmcnt(0)
	v_mul_f64 v[2:3], v[2:3], s[6:7]
	v_cvt_f32_f64_e32 v2, v[2:3]
	v_min_f32_e32 v2, v2, v6
	v_cvt_f64_f32_e32 v[2:3], v2
	global_store_dwordx2 v[10:11], v[2:3], off
	v_lshl_add_u64 v[2:3], v[0:1], 3, v[14:15]
	flat_load_dwordx2 v[2:3], v[2:3]
	s_waitcnt vmcnt(0) lgkmcnt(0)
	v_mul_f64 v[10:11], v[2:3], s[6:7]
.LBB163_24:
	v_cvt_f32_f64_e32 v10, v[10:11]
	v_max_f32_e32 v11, v158, v158
	v_min_f32_e32 v10, v10, v11
	v_add_u32_e32 v6, 64, v4
	v_add_u32_e32 v2, 0x60, v4
	v_cvt_f64_f32_e32 v[10:11], v10
	v_lshl_add_u64 v[16:17], v[0:1], 3, v[12:13]
	v_ashrrev_i32_e32 v7, 31, v6
	v_ashrrev_i32_e32 v3, 31, v2
	global_store_dwordx2 v[16:17], v[10:11], off
	v_max_f32_e32 v16, v157, v157
	s_mov_b64 vcc, s[4:5]
	s_cbranch_vccz .LBB163_27
; %bb.25:
	v_min_f32_e32 v10, 0, v16
	v_cvt_f64_f32_e32 v[10:11], v10
	v_lshl_add_u64 v[20:21], v[6:7], 3, v[12:13]
	global_store_dwordx2 v[20:21], v[10:11], off
	s_mov_b64 s[2:3], 0
	v_lshlrev_b64 v[10:11], 3, v[6:7]
	s_cbranch_execz .LBB163_28
; %bb.26:
	v_mov_b64_e32 v[14:15], s[2:3]
	s_branch .LBB163_29
.LBB163_27:
                                        ; implicit-def: $sgpr2_sgpr3
	v_lshlrev_b64 v[10:11], 3, v[6:7]
.LBB163_28:
	v_lshl_add_u64 v[20:21], v[14:15], 0, v[10:11]
	flat_load_dwordx2 v[20:21], v[20:21]
	v_lshl_add_u64 v[22:23], v[12:13], 0, v[10:11]
	v_lshl_add_u64 v[14:15], v[2:3], 3, v[14:15]
	s_waitcnt vmcnt(0) lgkmcnt(0)
	v_mul_f64 v[20:21], v[20:21], s[6:7]
	v_cvt_f32_f64_e32 v17, v[20:21]
	v_min_f32_e32 v16, v17, v16
	v_cvt_f64_f32_e32 v[16:17], v16
	global_store_dwordx2 v[22:23], v[16:17], off
	flat_load_dwordx2 v[14:15], v[14:15]
	s_waitcnt vmcnt(0) lgkmcnt(0)
	v_mul_f64 v[14:15], v[14:15], s[6:7]
.LBB163_29:
	v_cvt_f32_f64_e32 v14, v[14:15]
	v_max_f32_e32 v15, v156, v156
	v_min_f32_e32 v14, v14, v15
	v_cvt_f64_f32_e32 v[14:15], v14
	v_lshl_add_u64 v[12:13], v[2:3], 3, v[12:13]
	global_store_dwordx2 v[12:13], v[14:15], off
	v_add_u32_e32 v14, 8, v18
	v_mad_i64_i32 v[12:13], s[2:3], v14, s17, 0
	v_lshl_add_u64 v[12:13], v[12:13], 3, s[0:1]
	v_mad_i64_i32 v[14:15], s[2:3], v14, s16, 0
	v_max_f32_e32 v16, v155, v155
	s_mov_b64 vcc, s[4:5]
	s_cbranch_vccz .LBB163_32
; %bb.30:
	v_min_f32_e32 v17, 0, v16
	v_cvt_f64_f32_e32 v[20:21], v17
	v_lshl_add_u64 v[22:23], v[4:5], 3, v[12:13]
	global_store_dwordx2 v[22:23], v[20:21], off
	s_mov_b64 s[2:3], 0
	v_lshl_add_u64 v[14:15], v[14:15], 3, s[12:13]
	s_cbranch_execz .LBB163_33
; %bb.31:
	v_mov_b64_e32 v[16:17], s[2:3]
	s_branch .LBB163_34
.LBB163_32:
                                        ; implicit-def: $sgpr2_sgpr3
	v_lshl_add_u64 v[14:15], v[14:15], 3, s[12:13]
.LBB163_33:
	v_lshl_add_u64 v[20:21], v[14:15], 0, v[8:9]
	flat_load_dwordx2 v[20:21], v[20:21]
	v_lshl_add_u64 v[22:23], v[12:13], 0, v[8:9]
	s_waitcnt vmcnt(0) lgkmcnt(0)
	v_mul_f64 v[20:21], v[20:21], s[6:7]
	v_cvt_f32_f64_e32 v17, v[20:21]
	v_min_f32_e32 v16, v17, v16
	v_cvt_f64_f32_e32 v[16:17], v16
	global_store_dwordx2 v[22:23], v[16:17], off
	v_lshl_add_u64 v[16:17], v[0:1], 3, v[14:15]
	flat_load_dwordx2 v[16:17], v[16:17]
	s_waitcnt vmcnt(0) lgkmcnt(0)
	v_mul_f64 v[16:17], v[16:17], s[6:7]
.LBB163_34:
	v_cvt_f32_f64_e32 v16, v[16:17]
	v_max_f32_e32 v17, v152, v152
	v_min_f32_e32 v16, v16, v17
	v_cvt_f64_f32_e32 v[16:17], v16
	v_lshl_add_u64 v[20:21], v[0:1], 3, v[12:13]
	global_store_dwordx2 v[20:21], v[16:17], off
	v_max_f32_e32 v16, v151, v151
	s_mov_b64 vcc, s[4:5]
	s_cbranch_vccz .LBB163_37
; %bb.35:
	v_min_f32_e32 v17, 0, v16
	v_cvt_f64_f32_e32 v[20:21], v17
	v_lshl_add_u64 v[22:23], v[6:7], 3, v[12:13]
	global_store_dwordx2 v[22:23], v[20:21], off
	s_mov_b64 s[2:3], 0
	s_cbranch_execz .LBB163_38
; %bb.36:
	v_mov_b64_e32 v[14:15], s[2:3]
	s_branch .LBB163_39
.LBB163_37:
                                        ; implicit-def: $sgpr2_sgpr3
.LBB163_38:
	v_lshl_add_u64 v[20:21], v[14:15], 0, v[10:11]
	flat_load_dwordx2 v[20:21], v[20:21]
	v_lshl_add_u64 v[22:23], v[12:13], 0, v[10:11]
	v_lshl_add_u64 v[14:15], v[2:3], 3, v[14:15]
	s_waitcnt vmcnt(0) lgkmcnt(0)
	v_mul_f64 v[20:21], v[20:21], s[6:7]
	v_cvt_f32_f64_e32 v17, v[20:21]
	v_min_f32_e32 v16, v17, v16
	v_cvt_f64_f32_e32 v[16:17], v16
	global_store_dwordx2 v[22:23], v[16:17], off
	flat_load_dwordx2 v[14:15], v[14:15]
	s_waitcnt vmcnt(0) lgkmcnt(0)
	v_mul_f64 v[14:15], v[14:15], s[6:7]
.LBB163_39:
	v_cvt_f32_f64_e32 v14, v[14:15]
	v_max_f32_e32 v15, v150, v150
	v_min_f32_e32 v14, v14, v15
	v_cvt_f64_f32_e32 v[14:15], v14
	v_lshl_add_u64 v[12:13], v[2:3], 3, v[12:13]
	global_store_dwordx2 v[12:13], v[14:15], off
	v_add_u32_e32 v14, 16, v18
	v_mad_i64_i32 v[12:13], s[2:3], v14, s17, 0
	v_lshl_add_u64 v[12:13], v[12:13], 3, s[0:1]
	v_mad_i64_i32 v[14:15], s[2:3], v14, s16, 0
	v_max_f32_e32 v16, v149, v149
	s_mov_b64 vcc, s[4:5]
	s_cbranch_vccz .LBB163_42
; %bb.40:
	v_min_f32_e32 v17, 0, v16
	v_cvt_f64_f32_e32 v[20:21], v17
	v_lshl_add_u64 v[22:23], v[4:5], 3, v[12:13]
	global_store_dwordx2 v[22:23], v[20:21], off
	s_mov_b64 s[2:3], 0
	v_lshl_add_u64 v[14:15], v[14:15], 3, s[12:13]
	s_cbranch_execz .LBB163_43
; %bb.41:
	v_mov_b64_e32 v[16:17], s[2:3]
	s_branch .LBB163_44
.LBB163_42:
                                        ; implicit-def: $sgpr2_sgpr3
	v_lshl_add_u64 v[14:15], v[14:15], 3, s[12:13]
.LBB163_43:
	v_lshl_add_u64 v[20:21], v[14:15], 0, v[8:9]
	flat_load_dwordx2 v[20:21], v[20:21]
	v_lshl_add_u64 v[22:23], v[12:13], 0, v[8:9]
	s_waitcnt vmcnt(0) lgkmcnt(0)
	v_mul_f64 v[20:21], v[20:21], s[6:7]
	v_cvt_f32_f64_e32 v17, v[20:21]
	v_min_f32_e32 v16, v17, v16
	v_cvt_f64_f32_e32 v[16:17], v16
	global_store_dwordx2 v[22:23], v[16:17], off
	v_lshl_add_u64 v[16:17], v[0:1], 3, v[14:15]
	flat_load_dwordx2 v[16:17], v[16:17]
	s_waitcnt vmcnt(0) lgkmcnt(0)
	v_mul_f64 v[16:17], v[16:17], s[6:7]
.LBB163_44:
	v_cvt_f32_f64_e32 v16, v[16:17]
	v_max_f32_e32 v17, v148, v148
	v_min_f32_e32 v16, v16, v17
	v_cvt_f64_f32_e32 v[16:17], v16
	v_lshl_add_u64 v[20:21], v[0:1], 3, v[12:13]
	global_store_dwordx2 v[20:21], v[16:17], off
	v_max_f32_e32 v16, v147, v147
	s_mov_b64 vcc, s[4:5]
	s_cbranch_vccz .LBB163_47
; %bb.45:
	v_min_f32_e32 v17, 0, v16
	v_cvt_f64_f32_e32 v[20:21], v17
	v_lshl_add_u64 v[22:23], v[6:7], 3, v[12:13]
	global_store_dwordx2 v[22:23], v[20:21], off
	s_mov_b64 s[2:3], 0
	s_cbranch_execz .LBB163_48
; %bb.46:
	v_mov_b64_e32 v[14:15], s[2:3]
	s_branch .LBB163_49
.LBB163_47:
                                        ; implicit-def: $sgpr2_sgpr3
.LBB163_48:
	v_lshl_add_u64 v[20:21], v[14:15], 0, v[10:11]
	flat_load_dwordx2 v[20:21], v[20:21]
	v_lshl_add_u64 v[22:23], v[12:13], 0, v[10:11]
	v_lshl_add_u64 v[14:15], v[2:3], 3, v[14:15]
	s_waitcnt vmcnt(0) lgkmcnt(0)
	v_mul_f64 v[20:21], v[20:21], s[6:7]
	v_cvt_f32_f64_e32 v17, v[20:21]
	v_min_f32_e32 v16, v17, v16
	v_cvt_f64_f32_e32 v[16:17], v16
	global_store_dwordx2 v[22:23], v[16:17], off
	flat_load_dwordx2 v[14:15], v[14:15]
	s_waitcnt vmcnt(0) lgkmcnt(0)
	v_mul_f64 v[14:15], v[14:15], s[6:7]
.LBB163_49:
	v_cvt_f32_f64_e32 v14, v[14:15]
	v_max_f32_e32 v15, v146, v146
	v_min_f32_e32 v14, v14, v15
	v_cvt_f64_f32_e32 v[14:15], v14
	v_lshl_add_u64 v[12:13], v[2:3], 3, v[12:13]
	global_store_dwordx2 v[12:13], v[14:15], off
	v_add_u32_e32 v14, 24, v18
	v_mad_i64_i32 v[12:13], s[2:3], v14, s17, 0
	v_lshl_add_u64 v[12:13], v[12:13], 3, s[0:1]
	v_mad_i64_i32 v[14:15], s[2:3], v14, s16, 0
	v_max_f32_e32 v16, v145, v145
	s_mov_b64 vcc, s[4:5]
	s_cbranch_vccz .LBB163_52
; %bb.50:
	v_min_f32_e32 v17, 0, v16
	v_cvt_f64_f32_e32 v[20:21], v17
	v_lshl_add_u64 v[22:23], v[4:5], 3, v[12:13]
	global_store_dwordx2 v[22:23], v[20:21], off
	s_mov_b64 s[2:3], 0
	v_lshl_add_u64 v[14:15], v[14:15], 3, s[12:13]
	s_cbranch_execz .LBB163_53
; %bb.51:
	v_mov_b64_e32 v[16:17], s[2:3]
	s_branch .LBB163_54
.LBB163_52:
                                        ; implicit-def: $sgpr2_sgpr3
	v_lshl_add_u64 v[14:15], v[14:15], 3, s[12:13]
.LBB163_53:
	v_lshl_add_u64 v[20:21], v[14:15], 0, v[8:9]
	flat_load_dwordx2 v[20:21], v[20:21]
	v_lshl_add_u64 v[22:23], v[12:13], 0, v[8:9]
	s_waitcnt vmcnt(0) lgkmcnt(0)
	v_mul_f64 v[20:21], v[20:21], s[6:7]
	v_cvt_f32_f64_e32 v17, v[20:21]
	v_min_f32_e32 v16, v17, v16
	v_cvt_f64_f32_e32 v[16:17], v16
	global_store_dwordx2 v[22:23], v[16:17], off
	v_lshl_add_u64 v[16:17], v[0:1], 3, v[14:15]
	flat_load_dwordx2 v[16:17], v[16:17]
	s_waitcnt vmcnt(0) lgkmcnt(0)
	v_mul_f64 v[16:17], v[16:17], s[6:7]
.LBB163_54:
	v_cvt_f32_f64_e32 v16, v[16:17]
	v_max_f32_e32 v17, v144, v144
	v_min_f32_e32 v16, v16, v17
	v_cvt_f64_f32_e32 v[16:17], v16
	v_lshl_add_u64 v[20:21], v[0:1], 3, v[12:13]
	global_store_dwordx2 v[20:21], v[16:17], off
	v_max_f32_e32 v16, v143, v143
	s_mov_b64 vcc, s[4:5]
	s_cbranch_vccz .LBB163_57
; %bb.55:
	v_min_f32_e32 v17, 0, v16
	v_cvt_f64_f32_e32 v[20:21], v17
	v_lshl_add_u64 v[22:23], v[6:7], 3, v[12:13]
	global_store_dwordx2 v[22:23], v[20:21], off
	s_mov_b64 s[2:3], 0
	s_cbranch_execz .LBB163_58
; %bb.56:
	v_mov_b64_e32 v[14:15], s[2:3]
	s_branch .LBB163_59
.LBB163_57:
                                        ; implicit-def: $sgpr2_sgpr3
.LBB163_58:
	v_lshl_add_u64 v[20:21], v[14:15], 0, v[10:11]
	flat_load_dwordx2 v[20:21], v[20:21]
	v_lshl_add_u64 v[22:23], v[12:13], 0, v[10:11]
	v_lshl_add_u64 v[14:15], v[2:3], 3, v[14:15]
	s_waitcnt vmcnt(0) lgkmcnt(0)
	v_mul_f64 v[20:21], v[20:21], s[6:7]
	v_cvt_f32_f64_e32 v17, v[20:21]
	v_min_f32_e32 v16, v17, v16
	v_cvt_f64_f32_e32 v[16:17], v16
	global_store_dwordx2 v[22:23], v[16:17], off
	flat_load_dwordx2 v[14:15], v[14:15]
	s_waitcnt vmcnt(0) lgkmcnt(0)
	v_mul_f64 v[14:15], v[14:15], s[6:7]
.LBB163_59:
	v_cvt_f32_f64_e32 v14, v[14:15]
	v_max_f32_e32 v15, v142, v142
	v_min_f32_e32 v14, v14, v15
	v_cvt_f64_f32_e32 v[14:15], v14
	v_lshl_add_u64 v[12:13], v[2:3], 3, v[12:13]
	global_store_dwordx2 v[12:13], v[14:15], off
	v_add_u32_e32 v14, 32, v18
	v_mad_i64_i32 v[12:13], s[2:3], v14, s17, 0
	v_lshl_add_u64 v[12:13], v[12:13], 3, s[0:1]
	v_mad_i64_i32 v[14:15], s[2:3], v14, s16, 0
	v_max_f32_e32 v16, v141, v141
	s_mov_b64 vcc, s[4:5]
	s_cbranch_vccz .LBB163_62
; %bb.60:
	v_min_f32_e32 v17, 0, v16
	v_cvt_f64_f32_e32 v[20:21], v17
	v_lshl_add_u64 v[22:23], v[4:5], 3, v[12:13]
	global_store_dwordx2 v[22:23], v[20:21], off
	s_mov_b64 s[2:3], 0
	v_lshl_add_u64 v[14:15], v[14:15], 3, s[12:13]
	s_cbranch_execz .LBB163_63
; %bb.61:
	v_mov_b64_e32 v[16:17], s[2:3]
	s_branch .LBB163_64
.LBB163_62:
                                        ; implicit-def: $sgpr2_sgpr3
	v_lshl_add_u64 v[14:15], v[14:15], 3, s[12:13]
.LBB163_63:
	v_lshl_add_u64 v[20:21], v[14:15], 0, v[8:9]
	flat_load_dwordx2 v[20:21], v[20:21]
	v_lshl_add_u64 v[22:23], v[12:13], 0, v[8:9]
	s_waitcnt vmcnt(0) lgkmcnt(0)
	v_mul_f64 v[20:21], v[20:21], s[6:7]
	v_cvt_f32_f64_e32 v17, v[20:21]
	v_min_f32_e32 v16, v17, v16
	v_cvt_f64_f32_e32 v[16:17], v16
	global_store_dwordx2 v[22:23], v[16:17], off
	v_lshl_add_u64 v[16:17], v[0:1], 3, v[14:15]
	flat_load_dwordx2 v[16:17], v[16:17]
	s_waitcnt vmcnt(0) lgkmcnt(0)
	v_mul_f64 v[16:17], v[16:17], s[6:7]
.LBB163_64:
	v_cvt_f32_f64_e32 v16, v[16:17]
	v_max_f32_e32 v17, v140, v140
	v_min_f32_e32 v16, v16, v17
	v_cvt_f64_f32_e32 v[16:17], v16
	v_lshl_add_u64 v[20:21], v[0:1], 3, v[12:13]
	global_store_dwordx2 v[20:21], v[16:17], off
	v_max_f32_e32 v16, v139, v139
	s_mov_b64 vcc, s[4:5]
	s_cbranch_vccz .LBB163_67
; %bb.65:
	v_min_f32_e32 v17, 0, v16
	v_cvt_f64_f32_e32 v[20:21], v17
	v_lshl_add_u64 v[22:23], v[6:7], 3, v[12:13]
	global_store_dwordx2 v[22:23], v[20:21], off
	s_mov_b64 s[2:3], 0
	s_cbranch_execz .LBB163_68
; %bb.66:
	v_mov_b64_e32 v[14:15], s[2:3]
	s_branch .LBB163_69
.LBB163_67:
                                        ; implicit-def: $sgpr2_sgpr3
.LBB163_68:
	v_lshl_add_u64 v[20:21], v[14:15], 0, v[10:11]
	flat_load_dwordx2 v[20:21], v[20:21]
	v_lshl_add_u64 v[22:23], v[12:13], 0, v[10:11]
	v_lshl_add_u64 v[14:15], v[2:3], 3, v[14:15]
	s_waitcnt vmcnt(0) lgkmcnt(0)
	v_mul_f64 v[20:21], v[20:21], s[6:7]
	v_cvt_f32_f64_e32 v17, v[20:21]
	v_min_f32_e32 v16, v17, v16
	v_cvt_f64_f32_e32 v[16:17], v16
	global_store_dwordx2 v[22:23], v[16:17], off
	flat_load_dwordx2 v[14:15], v[14:15]
	s_waitcnt vmcnt(0) lgkmcnt(0)
	v_mul_f64 v[14:15], v[14:15], s[6:7]
.LBB163_69:
	v_cvt_f32_f64_e32 v14, v[14:15]
	v_max_f32_e32 v15, v138, v138
	v_min_f32_e32 v14, v14, v15
	v_cvt_f64_f32_e32 v[14:15], v14
	v_lshl_add_u64 v[12:13], v[2:3], 3, v[12:13]
	global_store_dwordx2 v[12:13], v[14:15], off
	v_add_u32_e32 v14, 40, v18
	v_mad_i64_i32 v[12:13], s[2:3], v14, s17, 0
	v_lshl_add_u64 v[12:13], v[12:13], 3, s[0:1]
	v_mad_i64_i32 v[14:15], s[2:3], v14, s16, 0
	v_max_f32_e32 v16, v137, v137
	s_mov_b64 vcc, s[4:5]
	s_cbranch_vccz .LBB163_72
; %bb.70:
	v_min_f32_e32 v17, 0, v16
	v_cvt_f64_f32_e32 v[20:21], v17
	v_lshl_add_u64 v[22:23], v[4:5], 3, v[12:13]
	global_store_dwordx2 v[22:23], v[20:21], off
	s_mov_b64 s[2:3], 0
	v_lshl_add_u64 v[14:15], v[14:15], 3, s[12:13]
	s_cbranch_execz .LBB163_73
; %bb.71:
	v_mov_b64_e32 v[16:17], s[2:3]
	s_branch .LBB163_74
.LBB163_72:
                                        ; implicit-def: $sgpr2_sgpr3
	v_lshl_add_u64 v[14:15], v[14:15], 3, s[12:13]
.LBB163_73:
	v_lshl_add_u64 v[20:21], v[14:15], 0, v[8:9]
	flat_load_dwordx2 v[20:21], v[20:21]
	v_lshl_add_u64 v[22:23], v[12:13], 0, v[8:9]
	s_waitcnt vmcnt(0) lgkmcnt(0)
	v_mul_f64 v[20:21], v[20:21], s[6:7]
	v_cvt_f32_f64_e32 v17, v[20:21]
	v_min_f32_e32 v16, v17, v16
	v_cvt_f64_f32_e32 v[16:17], v16
	global_store_dwordx2 v[22:23], v[16:17], off
	v_lshl_add_u64 v[16:17], v[0:1], 3, v[14:15]
	flat_load_dwordx2 v[16:17], v[16:17]
	s_waitcnt vmcnt(0) lgkmcnt(0)
	v_mul_f64 v[16:17], v[16:17], s[6:7]
.LBB163_74:
	v_cvt_f32_f64_e32 v16, v[16:17]
	v_max_f32_e32 v17, v136, v136
	v_min_f32_e32 v16, v16, v17
	v_cvt_f64_f32_e32 v[16:17], v16
	v_lshl_add_u64 v[20:21], v[0:1], 3, v[12:13]
	global_store_dwordx2 v[20:21], v[16:17], off
	v_max_f32_e32 v16, v135, v135
	s_mov_b64 vcc, s[4:5]
	s_cbranch_vccz .LBB163_77
; %bb.75:
	v_min_f32_e32 v17, 0, v16
	v_cvt_f64_f32_e32 v[20:21], v17
	v_lshl_add_u64 v[22:23], v[6:7], 3, v[12:13]
	global_store_dwordx2 v[22:23], v[20:21], off
	s_mov_b64 s[2:3], 0
	s_cbranch_execz .LBB163_78
; %bb.76:
	v_mov_b64_e32 v[14:15], s[2:3]
	s_branch .LBB163_79
.LBB163_77:
                                        ; implicit-def: $sgpr2_sgpr3
.LBB163_78:
	v_lshl_add_u64 v[20:21], v[14:15], 0, v[10:11]
	flat_load_dwordx2 v[20:21], v[20:21]
	v_lshl_add_u64 v[22:23], v[12:13], 0, v[10:11]
	v_lshl_add_u64 v[14:15], v[2:3], 3, v[14:15]
	s_waitcnt vmcnt(0) lgkmcnt(0)
	v_mul_f64 v[20:21], v[20:21], s[6:7]
	v_cvt_f32_f64_e32 v17, v[20:21]
	v_min_f32_e32 v16, v17, v16
	v_cvt_f64_f32_e32 v[16:17], v16
	global_store_dwordx2 v[22:23], v[16:17], off
	flat_load_dwordx2 v[14:15], v[14:15]
	s_waitcnt vmcnt(0) lgkmcnt(0)
	v_mul_f64 v[14:15], v[14:15], s[6:7]
.LBB163_79:
	v_cvt_f32_f64_e32 v14, v[14:15]
	v_max_f32_e32 v15, v134, v134
	v_min_f32_e32 v14, v14, v15
	v_cvt_f64_f32_e32 v[14:15], v14
	v_lshl_add_u64 v[12:13], v[2:3], 3, v[12:13]
	global_store_dwordx2 v[12:13], v[14:15], off
	v_add_u32_e32 v14, 48, v18
	v_mad_i64_i32 v[12:13], s[2:3], v14, s17, 0
	v_lshl_add_u64 v[12:13], v[12:13], 3, s[0:1]
	v_mad_i64_i32 v[14:15], s[2:3], v14, s16, 0
	v_max_f32_e32 v16, v133, v133
	s_mov_b64 vcc, s[4:5]
	s_cbranch_vccz .LBB163_82
; %bb.80:
	v_min_f32_e32 v17, 0, v16
	v_cvt_f64_f32_e32 v[20:21], v17
	v_lshl_add_u64 v[22:23], v[4:5], 3, v[12:13]
	global_store_dwordx2 v[22:23], v[20:21], off
	s_mov_b64 s[2:3], 0
	v_lshl_add_u64 v[14:15], v[14:15], 3, s[12:13]
	s_cbranch_execz .LBB163_83
; %bb.81:
	v_mov_b64_e32 v[16:17], s[2:3]
	s_branch .LBB163_84
.LBB163_82:
                                        ; implicit-def: $sgpr2_sgpr3
	v_lshl_add_u64 v[14:15], v[14:15], 3, s[12:13]
.LBB163_83:
	v_lshl_add_u64 v[20:21], v[14:15], 0, v[8:9]
	flat_load_dwordx2 v[20:21], v[20:21]
	v_lshl_add_u64 v[22:23], v[12:13], 0, v[8:9]
	s_waitcnt vmcnt(0) lgkmcnt(0)
	v_mul_f64 v[20:21], v[20:21], s[6:7]
	v_cvt_f32_f64_e32 v17, v[20:21]
	v_min_f32_e32 v16, v17, v16
	v_cvt_f64_f32_e32 v[16:17], v16
	global_store_dwordx2 v[22:23], v[16:17], off
	v_lshl_add_u64 v[16:17], v[0:1], 3, v[14:15]
	flat_load_dwordx2 v[16:17], v[16:17]
	s_waitcnt vmcnt(0) lgkmcnt(0)
	v_mul_f64 v[16:17], v[16:17], s[6:7]
.LBB163_84:
	v_cvt_f32_f64_e32 v16, v[16:17]
	v_max_f32_e32 v17, v132, v132
	v_min_f32_e32 v16, v16, v17
	v_cvt_f64_f32_e32 v[16:17], v16
	v_lshl_add_u64 v[20:21], v[0:1], 3, v[12:13]
	global_store_dwordx2 v[20:21], v[16:17], off
	v_max_f32_e32 v16, v131, v131
	s_mov_b64 vcc, s[4:5]
	s_cbranch_vccz .LBB163_87
; %bb.85:
	v_min_f32_e32 v17, 0, v16
	v_cvt_f64_f32_e32 v[20:21], v17
	v_lshl_add_u64 v[22:23], v[6:7], 3, v[12:13]
	global_store_dwordx2 v[22:23], v[20:21], off
	s_mov_b64 s[2:3], 0
	s_cbranch_execz .LBB163_88
; %bb.86:
	v_mov_b64_e32 v[14:15], s[2:3]
	s_branch .LBB163_89
.LBB163_87:
                                        ; implicit-def: $sgpr2_sgpr3
.LBB163_88:
	v_lshl_add_u64 v[20:21], v[14:15], 0, v[10:11]
	flat_load_dwordx2 v[20:21], v[20:21]
	v_lshl_add_u64 v[22:23], v[12:13], 0, v[10:11]
	v_lshl_add_u64 v[14:15], v[2:3], 3, v[14:15]
	s_waitcnt vmcnt(0) lgkmcnt(0)
	v_mul_f64 v[20:21], v[20:21], s[6:7]
	v_cvt_f32_f64_e32 v17, v[20:21]
	v_min_f32_e32 v16, v17, v16
	v_cvt_f64_f32_e32 v[16:17], v16
	global_store_dwordx2 v[22:23], v[16:17], off
	flat_load_dwordx2 v[14:15], v[14:15]
	s_waitcnt vmcnt(0) lgkmcnt(0)
	v_mul_f64 v[14:15], v[14:15], s[6:7]
.LBB163_89:
	v_cvt_f32_f64_e32 v14, v[14:15]
	v_max_f32_e32 v15, v130, v130
	v_min_f32_e32 v14, v14, v15
	v_cvt_f64_f32_e32 v[14:15], v14
	v_lshl_add_u64 v[12:13], v[2:3], 3, v[12:13]
	global_store_dwordx2 v[12:13], v[14:15], off
	v_add_u32_e32 v14, 56, v18
	v_mad_i64_i32 v[12:13], s[2:3], v14, s17, 0
	v_lshl_add_u64 v[12:13], v[12:13], 3, s[0:1]
	v_mad_i64_i32 v[14:15], s[2:3], v14, s16, 0
	v_max_f32_e32 v16, v129, v129
	s_mov_b64 vcc, s[4:5]
	s_cbranch_vccz .LBB163_92
; %bb.90:
	v_min_f32_e32 v17, 0, v16
	v_cvt_f64_f32_e32 v[20:21], v17
	v_lshl_add_u64 v[22:23], v[4:5], 3, v[12:13]
	global_store_dwordx2 v[22:23], v[20:21], off
	s_mov_b64 s[2:3], 0
	v_lshl_add_u64 v[14:15], v[14:15], 3, s[12:13]
	s_cbranch_execz .LBB163_93
; %bb.91:
	v_mov_b64_e32 v[16:17], s[2:3]
	s_branch .LBB163_94
.LBB163_92:
                                        ; implicit-def: $sgpr2_sgpr3
	v_lshl_add_u64 v[14:15], v[14:15], 3, s[12:13]
.LBB163_93:
	v_lshl_add_u64 v[20:21], v[14:15], 0, v[8:9]
	flat_load_dwordx2 v[20:21], v[20:21]
	v_lshl_add_u64 v[22:23], v[12:13], 0, v[8:9]
	s_waitcnt vmcnt(0) lgkmcnt(0)
	v_mul_f64 v[20:21], v[20:21], s[6:7]
	v_cvt_f32_f64_e32 v17, v[20:21]
	v_min_f32_e32 v16, v17, v16
	v_cvt_f64_f32_e32 v[16:17], v16
	global_store_dwordx2 v[22:23], v[16:17], off
	v_lshl_add_u64 v[16:17], v[0:1], 3, v[14:15]
	flat_load_dwordx2 v[16:17], v[16:17]
	s_waitcnt vmcnt(0) lgkmcnt(0)
	v_mul_f64 v[16:17], v[16:17], s[6:7]
.LBB163_94:
	v_cvt_f32_f64_e32 v16, v[16:17]
	v_max_f32_e32 v17, v128, v128
	v_min_f32_e32 v16, v16, v17
	v_cvt_f64_f32_e32 v[16:17], v16
	v_lshl_add_u64 v[20:21], v[0:1], 3, v[12:13]
	global_store_dwordx2 v[20:21], v[16:17], off
	v_max_f32_e32 v16, v127, v127
	s_mov_b64 vcc, s[4:5]
	s_cbranch_vccz .LBB163_97
; %bb.95:
	v_min_f32_e32 v17, 0, v16
	v_cvt_f64_f32_e32 v[20:21], v17
	v_lshl_add_u64 v[22:23], v[6:7], 3, v[12:13]
	global_store_dwordx2 v[22:23], v[20:21], off
	s_mov_b64 s[2:3], 0
	s_cbranch_execz .LBB163_98
; %bb.96:
	v_mov_b64_e32 v[14:15], s[2:3]
	s_branch .LBB163_99
.LBB163_97:
                                        ; implicit-def: $sgpr2_sgpr3
.LBB163_98:
	v_lshl_add_u64 v[20:21], v[14:15], 0, v[10:11]
	flat_load_dwordx2 v[20:21], v[20:21]
	v_lshl_add_u64 v[22:23], v[12:13], 0, v[10:11]
	v_lshl_add_u64 v[14:15], v[2:3], 3, v[14:15]
	s_waitcnt vmcnt(0) lgkmcnt(0)
	v_mul_f64 v[20:21], v[20:21], s[6:7]
	v_cvt_f32_f64_e32 v17, v[20:21]
	v_min_f32_e32 v16, v17, v16
	v_cvt_f64_f32_e32 v[16:17], v16
	global_store_dwordx2 v[22:23], v[16:17], off
	flat_load_dwordx2 v[14:15], v[14:15]
	s_waitcnt vmcnt(0) lgkmcnt(0)
	v_mul_f64 v[14:15], v[14:15], s[6:7]
.LBB163_99:
	v_cvt_f32_f64_e32 v14, v[14:15]
	v_max_f32_e32 v15, v126, v126
	v_min_f32_e32 v14, v14, v15
	v_cvt_f64_f32_e32 v[14:15], v14
	v_lshl_add_u64 v[12:13], v[2:3], 3, v[12:13]
	global_store_dwordx2 v[12:13], v[14:15], off
	v_add_u32_e32 v14, 64, v18
	v_mad_i64_i32 v[12:13], s[2:3], v14, s17, 0
	v_lshl_add_u64 v[12:13], v[12:13], 3, s[0:1]
	v_mad_i64_i32 v[14:15], s[2:3], v14, s16, 0
	v_max_f32_e32 v16, v125, v125
	s_mov_b64 vcc, s[4:5]
	s_cbranch_vccz .LBB163_102
; %bb.100:
	v_min_f32_e32 v17, 0, v16
	v_cvt_f64_f32_e32 v[20:21], v17
	v_lshl_add_u64 v[22:23], v[4:5], 3, v[12:13]
	global_store_dwordx2 v[22:23], v[20:21], off
	s_mov_b64 s[2:3], 0
	v_lshl_add_u64 v[14:15], v[14:15], 3, s[12:13]
	s_cbranch_execz .LBB163_103
; %bb.101:
	v_mov_b64_e32 v[16:17], s[2:3]
	s_branch .LBB163_104
.LBB163_102:
                                        ; implicit-def: $sgpr2_sgpr3
	v_lshl_add_u64 v[14:15], v[14:15], 3, s[12:13]
.LBB163_103:
	v_lshl_add_u64 v[20:21], v[14:15], 0, v[8:9]
	flat_load_dwordx2 v[20:21], v[20:21]
	v_lshl_add_u64 v[22:23], v[12:13], 0, v[8:9]
	s_waitcnt vmcnt(0) lgkmcnt(0)
	v_mul_f64 v[20:21], v[20:21], s[6:7]
	v_cvt_f32_f64_e32 v17, v[20:21]
	v_min_f32_e32 v16, v17, v16
	v_cvt_f64_f32_e32 v[16:17], v16
	global_store_dwordx2 v[22:23], v[16:17], off
	v_lshl_add_u64 v[16:17], v[0:1], 3, v[14:15]
	flat_load_dwordx2 v[16:17], v[16:17]
	s_waitcnt vmcnt(0) lgkmcnt(0)
	v_mul_f64 v[16:17], v[16:17], s[6:7]
.LBB163_104:
	v_cvt_f32_f64_e32 v16, v[16:17]
	v_max_f32_e32 v17, v124, v124
	v_min_f32_e32 v16, v16, v17
	v_cvt_f64_f32_e32 v[16:17], v16
	v_lshl_add_u64 v[20:21], v[0:1], 3, v[12:13]
	global_store_dwordx2 v[20:21], v[16:17], off
	v_max_f32_e32 v16, v123, v123
	s_mov_b64 vcc, s[4:5]
	s_cbranch_vccz .LBB163_107
; %bb.105:
	v_min_f32_e32 v17, 0, v16
	v_cvt_f64_f32_e32 v[20:21], v17
	v_lshl_add_u64 v[22:23], v[6:7], 3, v[12:13]
	global_store_dwordx2 v[22:23], v[20:21], off
	s_mov_b64 s[2:3], 0
	s_cbranch_execz .LBB163_108
; %bb.106:
	v_mov_b64_e32 v[14:15], s[2:3]
	s_branch .LBB163_109
.LBB163_107:
                                        ; implicit-def: $sgpr2_sgpr3
.LBB163_108:
	v_lshl_add_u64 v[20:21], v[14:15], 0, v[10:11]
	flat_load_dwordx2 v[20:21], v[20:21]
	v_lshl_add_u64 v[22:23], v[12:13], 0, v[10:11]
	v_lshl_add_u64 v[14:15], v[2:3], 3, v[14:15]
	s_waitcnt vmcnt(0) lgkmcnt(0)
	v_mul_f64 v[20:21], v[20:21], s[6:7]
	v_cvt_f32_f64_e32 v17, v[20:21]
	v_min_f32_e32 v16, v17, v16
	v_cvt_f64_f32_e32 v[16:17], v16
	global_store_dwordx2 v[22:23], v[16:17], off
	flat_load_dwordx2 v[14:15], v[14:15]
	s_waitcnt vmcnt(0) lgkmcnt(0)
	v_mul_f64 v[14:15], v[14:15], s[6:7]
.LBB163_109:
	v_cvt_f32_f64_e32 v14, v[14:15]
	v_max_f32_e32 v15, v122, v122
	v_min_f32_e32 v14, v14, v15
	v_cvt_f64_f32_e32 v[14:15], v14
	v_lshl_add_u64 v[12:13], v[2:3], 3, v[12:13]
	global_store_dwordx2 v[12:13], v[14:15], off
	v_add_u32_e32 v14, 0x48, v18
	v_mad_i64_i32 v[12:13], s[2:3], v14, s17, 0
	v_lshl_add_u64 v[12:13], v[12:13], 3, s[0:1]
	v_mad_i64_i32 v[14:15], s[2:3], v14, s16, 0
	v_max_f32_e32 v16, v121, v121
	s_mov_b64 vcc, s[4:5]
	s_cbranch_vccz .LBB163_112
; %bb.110:
	v_min_f32_e32 v17, 0, v16
	v_cvt_f64_f32_e32 v[20:21], v17
	v_lshl_add_u64 v[22:23], v[4:5], 3, v[12:13]
	global_store_dwordx2 v[22:23], v[20:21], off
	s_mov_b64 s[2:3], 0
	v_lshl_add_u64 v[14:15], v[14:15], 3, s[12:13]
	s_cbranch_execz .LBB163_113
; %bb.111:
	v_mov_b64_e32 v[16:17], s[2:3]
	s_branch .LBB163_114
.LBB163_112:
                                        ; implicit-def: $sgpr2_sgpr3
	v_lshl_add_u64 v[14:15], v[14:15], 3, s[12:13]
.LBB163_113:
	v_lshl_add_u64 v[20:21], v[14:15], 0, v[8:9]
	flat_load_dwordx2 v[20:21], v[20:21]
	v_lshl_add_u64 v[22:23], v[12:13], 0, v[8:9]
	s_waitcnt vmcnt(0) lgkmcnt(0)
	v_mul_f64 v[20:21], v[20:21], s[6:7]
	v_cvt_f32_f64_e32 v17, v[20:21]
	v_min_f32_e32 v16, v17, v16
	v_cvt_f64_f32_e32 v[16:17], v16
	global_store_dwordx2 v[22:23], v[16:17], off
	v_lshl_add_u64 v[16:17], v[0:1], 3, v[14:15]
	flat_load_dwordx2 v[16:17], v[16:17]
	s_waitcnt vmcnt(0) lgkmcnt(0)
	v_mul_f64 v[16:17], v[16:17], s[6:7]
.LBB163_114:
	v_cvt_f32_f64_e32 v16, v[16:17]
	v_max_f32_e32 v17, v120, v120
	v_min_f32_e32 v16, v16, v17
	v_cvt_f64_f32_e32 v[16:17], v16
	v_lshl_add_u64 v[20:21], v[0:1], 3, v[12:13]
	global_store_dwordx2 v[20:21], v[16:17], off
	v_max_f32_e32 v16, v119, v119
	s_mov_b64 vcc, s[4:5]
	s_cbranch_vccz .LBB163_117
; %bb.115:
	v_min_f32_e32 v17, 0, v16
	v_cvt_f64_f32_e32 v[20:21], v17
	v_lshl_add_u64 v[22:23], v[6:7], 3, v[12:13]
	global_store_dwordx2 v[22:23], v[20:21], off
	s_mov_b64 s[2:3], 0
	s_cbranch_execz .LBB163_118
; %bb.116:
	v_mov_b64_e32 v[14:15], s[2:3]
	s_branch .LBB163_119
.LBB163_117:
                                        ; implicit-def: $sgpr2_sgpr3
.LBB163_118:
	v_lshl_add_u64 v[20:21], v[14:15], 0, v[10:11]
	flat_load_dwordx2 v[20:21], v[20:21]
	v_lshl_add_u64 v[22:23], v[12:13], 0, v[10:11]
	v_lshl_add_u64 v[14:15], v[2:3], 3, v[14:15]
	s_waitcnt vmcnt(0) lgkmcnt(0)
	v_mul_f64 v[20:21], v[20:21], s[6:7]
	v_cvt_f32_f64_e32 v17, v[20:21]
	v_min_f32_e32 v16, v17, v16
	v_cvt_f64_f32_e32 v[16:17], v16
	global_store_dwordx2 v[22:23], v[16:17], off
	flat_load_dwordx2 v[14:15], v[14:15]
	s_waitcnt vmcnt(0) lgkmcnt(0)
	v_mul_f64 v[14:15], v[14:15], s[6:7]
.LBB163_119:
	v_cvt_f32_f64_e32 v14, v[14:15]
	v_max_f32_e32 v15, v118, v118
	v_min_f32_e32 v14, v14, v15
	v_cvt_f64_f32_e32 v[14:15], v14
	v_lshl_add_u64 v[12:13], v[2:3], 3, v[12:13]
	global_store_dwordx2 v[12:13], v[14:15], off
	v_add_u32_e32 v14, 0x50, v18
	v_mad_i64_i32 v[12:13], s[2:3], v14, s17, 0
	v_lshl_add_u64 v[12:13], v[12:13], 3, s[0:1]
	v_mad_i64_i32 v[14:15], s[2:3], v14, s16, 0
	v_max_f32_e32 v16, v117, v117
	s_mov_b64 vcc, s[4:5]
	s_cbranch_vccz .LBB163_122
; %bb.120:
	v_min_f32_e32 v17, 0, v16
	v_cvt_f64_f32_e32 v[20:21], v17
	v_lshl_add_u64 v[22:23], v[4:5], 3, v[12:13]
	global_store_dwordx2 v[22:23], v[20:21], off
	s_mov_b64 s[2:3], 0
	v_lshl_add_u64 v[14:15], v[14:15], 3, s[12:13]
	s_cbranch_execz .LBB163_123
; %bb.121:
	v_mov_b64_e32 v[16:17], s[2:3]
	s_branch .LBB163_124
.LBB163_122:
                                        ; implicit-def: $sgpr2_sgpr3
	v_lshl_add_u64 v[14:15], v[14:15], 3, s[12:13]
.LBB163_123:
	v_lshl_add_u64 v[20:21], v[14:15], 0, v[8:9]
	flat_load_dwordx2 v[20:21], v[20:21]
	v_lshl_add_u64 v[22:23], v[12:13], 0, v[8:9]
	s_waitcnt vmcnt(0) lgkmcnt(0)
	v_mul_f64 v[20:21], v[20:21], s[6:7]
	v_cvt_f32_f64_e32 v17, v[20:21]
	v_min_f32_e32 v16, v17, v16
	v_cvt_f64_f32_e32 v[16:17], v16
	global_store_dwordx2 v[22:23], v[16:17], off
	v_lshl_add_u64 v[16:17], v[0:1], 3, v[14:15]
	flat_load_dwordx2 v[16:17], v[16:17]
	s_waitcnt vmcnt(0) lgkmcnt(0)
	v_mul_f64 v[16:17], v[16:17], s[6:7]
.LBB163_124:
	v_cvt_f32_f64_e32 v16, v[16:17]
	v_max_f32_e32 v17, v116, v116
	v_min_f32_e32 v16, v16, v17
	v_cvt_f64_f32_e32 v[16:17], v16
	v_lshl_add_u64 v[20:21], v[0:1], 3, v[12:13]
	global_store_dwordx2 v[20:21], v[16:17], off
	v_max_f32_e32 v16, v115, v115
	s_mov_b64 vcc, s[4:5]
	s_cbranch_vccz .LBB163_127
; %bb.125:
	v_min_f32_e32 v17, 0, v16
	v_cvt_f64_f32_e32 v[20:21], v17
	v_lshl_add_u64 v[22:23], v[6:7], 3, v[12:13]
	s_mov_b32 s8, 0
	global_store_dwordx2 v[22:23], v[20:21], off
	s_cbranch_execz .LBB163_128
; %bb.126:
	v_mov_b32_e32 v14, s8
	s_branch .LBB163_129
.LBB163_127:
                                        ; implicit-def: $sgpr8
.LBB163_128:
	v_lshl_add_u64 v[20:21], v[14:15], 0, v[10:11]
	flat_load_dwordx2 v[20:21], v[20:21]
	v_lshl_add_u64 v[22:23], v[12:13], 0, v[10:11]
	v_lshl_add_u64 v[14:15], v[2:3], 3, v[14:15]
	s_waitcnt vmcnt(0) lgkmcnt(0)
	v_mul_f64 v[20:21], v[20:21], s[6:7]
	v_cvt_f32_f64_e32 v17, v[20:21]
	v_min_f32_e32 v16, v17, v16
	v_cvt_f64_f32_e32 v[16:17], v16
	global_store_dwordx2 v[22:23], v[16:17], off
	flat_load_dwordx2 v[14:15], v[14:15]
	s_waitcnt vmcnt(0) lgkmcnt(0)
	v_mul_f64 v[14:15], v[14:15], s[6:7]
	v_cvt_f32_f64_e32 v14, v[14:15]
.LBB163_129:
	v_max_f32_e32 v15, v114, v114
	v_max_f32_e32 v14, v14, v14
	v_min_f32_e32 v14, v14, v15
	v_cvt_f64_f32_e32 v[14:15], v14
	v_lshl_add_u64 v[12:13], v[2:3], 3, v[12:13]
	global_store_dwordx2 v[12:13], v[14:15], off
	v_add_u32_e32 v14, 0x58, v18
	v_mad_i64_i32 v[12:13], s[2:3], v14, s17, 0
	v_lshl_add_u64 v[12:13], v[12:13], 3, s[0:1]
	v_mad_i64_i32 v[14:15], s[2:3], v14, s16, 0
	v_max_f32_e32 v16, v113, v113
	s_mov_b64 vcc, s[4:5]
	s_cbranch_vccz .LBB163_132
; %bb.130:
	v_min_f32_e32 v17, 0, v16
	v_cvt_f64_f32_e32 v[20:21], v17
	v_lshl_add_u64 v[22:23], v[4:5], 3, v[12:13]
	s_mov_b32 s8, 0
	global_store_dwordx2 v[22:23], v[20:21], off
	v_lshl_add_u64 v[14:15], v[14:15], 3, s[12:13]
	s_cbranch_execz .LBB163_133
; %bb.131:
	v_mov_b32_e32 v16, s8
	s_branch .LBB163_134
.LBB163_132:
                                        ; implicit-def: $sgpr8
	v_lshl_add_u64 v[14:15], v[14:15], 3, s[12:13]
.LBB163_133:
	v_lshl_add_u64 v[20:21], v[14:15], 0, v[8:9]
	flat_load_dwordx2 v[20:21], v[20:21]
	v_lshl_add_u64 v[22:23], v[12:13], 0, v[8:9]
	s_waitcnt vmcnt(0) lgkmcnt(0)
	v_mul_f64 v[20:21], v[20:21], s[6:7]
	v_cvt_f32_f64_e32 v17, v[20:21]
	v_min_f32_e32 v16, v17, v16
	v_cvt_f64_f32_e32 v[16:17], v16
	global_store_dwordx2 v[22:23], v[16:17], off
	v_lshl_add_u64 v[16:17], v[0:1], 3, v[14:15]
	flat_load_dwordx2 v[16:17], v[16:17]
	s_waitcnt vmcnt(0) lgkmcnt(0)
	v_mul_f64 v[16:17], v[16:17], s[6:7]
	v_cvt_f32_f64_e32 v16, v[16:17]
.LBB163_134:
	v_max_f32_e32 v17, v112, v112
	v_max_f32_e32 v16, v16, v16
	v_min_f32_e32 v16, v16, v17
	v_cvt_f64_f32_e32 v[16:17], v16
	v_lshl_add_u64 v[20:21], v[0:1], 3, v[12:13]
	global_store_dwordx2 v[20:21], v[16:17], off
	v_max_f32_e32 v16, v111, v111
	s_mov_b64 vcc, s[4:5]
	s_cbranch_vccz .LBB163_137
; %bb.135:
	v_min_f32_e32 v17, 0, v16
	v_cvt_f64_f32_e32 v[20:21], v17
	v_lshl_add_u64 v[22:23], v[6:7], 3, v[12:13]
	s_mov_b32 s8, 0
	global_store_dwordx2 v[22:23], v[20:21], off
	s_cbranch_execz .LBB163_138
; %bb.136:
	v_mov_b32_e32 v14, s8
	s_branch .LBB163_139
.LBB163_137:
                                        ; implicit-def: $sgpr8
.LBB163_138:
	v_lshl_add_u64 v[20:21], v[14:15], 0, v[10:11]
	flat_load_dwordx2 v[20:21], v[20:21]
	v_lshl_add_u64 v[22:23], v[12:13], 0, v[10:11]
	v_lshl_add_u64 v[14:15], v[2:3], 3, v[14:15]
	s_waitcnt vmcnt(0) lgkmcnt(0)
	v_mul_f64 v[20:21], v[20:21], s[6:7]
	v_cvt_f32_f64_e32 v17, v[20:21]
	v_min_f32_e32 v16, v17, v16
	v_cvt_f64_f32_e32 v[16:17], v16
	global_store_dwordx2 v[22:23], v[16:17], off
	flat_load_dwordx2 v[14:15], v[14:15]
	s_waitcnt vmcnt(0) lgkmcnt(0)
	v_mul_f64 v[14:15], v[14:15], s[6:7]
	v_cvt_f32_f64_e32 v14, v[14:15]
.LBB163_139:
	v_max_f32_e32 v15, v110, v110
	v_max_f32_e32 v14, v14, v14
	v_min_f32_e32 v14, v14, v15
	v_cvt_f64_f32_e32 v[14:15], v14
	v_lshl_add_u64 v[12:13], v[2:3], 3, v[12:13]
	global_store_dwordx2 v[12:13], v[14:15], off
	v_add_u32_e32 v14, 0x60, v18
	v_mad_i64_i32 v[12:13], s[2:3], v14, s17, 0
	v_lshl_add_u64 v[12:13], v[12:13], 3, s[0:1]
	v_mad_i64_i32 v[14:15], s[2:3], v14, s16, 0
	v_max_f32_e32 v16, v109, v109
	s_mov_b64 vcc, s[4:5]
	s_cbranch_vccz .LBB163_142
; %bb.140:
	v_min_f32_e32 v17, 0, v16
	v_cvt_f64_f32_e32 v[20:21], v17
	v_lshl_add_u64 v[22:23], v[4:5], 3, v[12:13]
	s_mov_b32 s8, 0
	global_store_dwordx2 v[22:23], v[20:21], off
	v_lshl_add_u64 v[14:15], v[14:15], 3, s[12:13]
	s_cbranch_execz .LBB163_143
; %bb.141:
	v_mov_b32_e32 v16, s8
	s_branch .LBB163_144
.LBB163_142:
                                        ; implicit-def: $sgpr8
	v_lshl_add_u64 v[14:15], v[14:15], 3, s[12:13]
.LBB163_143:
	v_lshl_add_u64 v[20:21], v[14:15], 0, v[8:9]
	flat_load_dwordx2 v[20:21], v[20:21]
	v_lshl_add_u64 v[22:23], v[12:13], 0, v[8:9]
	s_waitcnt vmcnt(0) lgkmcnt(0)
	v_mul_f64 v[20:21], v[20:21], s[6:7]
	v_cvt_f32_f64_e32 v17, v[20:21]
	v_min_f32_e32 v16, v17, v16
	v_cvt_f64_f32_e32 v[16:17], v16
	global_store_dwordx2 v[22:23], v[16:17], off
	v_lshl_add_u64 v[16:17], v[0:1], 3, v[14:15]
	flat_load_dwordx2 v[16:17], v[16:17]
	s_waitcnt vmcnt(0) lgkmcnt(0)
	v_mul_f64 v[16:17], v[16:17], s[6:7]
	v_cvt_f32_f64_e32 v16, v[16:17]
.LBB163_144:
	v_max_f32_e32 v17, v108, v108
	v_max_f32_e32 v16, v16, v16
	v_min_f32_e32 v16, v16, v17
	v_cvt_f64_f32_e32 v[16:17], v16
	v_lshl_add_u64 v[20:21], v[0:1], 3, v[12:13]
	global_store_dwordx2 v[20:21], v[16:17], off
	v_max_f32_e32 v16, v107, v107
	s_mov_b64 vcc, s[4:5]
	s_cbranch_vccz .LBB163_147
; %bb.145:
	v_min_f32_e32 v17, 0, v16
	v_cvt_f64_f32_e32 v[20:21], v17
	v_lshl_add_u64 v[22:23], v[6:7], 3, v[12:13]
	s_mov_b32 s8, 0
	global_store_dwordx2 v[22:23], v[20:21], off
	s_cbranch_execz .LBB163_148
; %bb.146:
	v_mov_b32_e32 v14, s8
	s_branch .LBB163_149
.LBB163_147:
                                        ; implicit-def: $sgpr8
.LBB163_148:
	v_lshl_add_u64 v[20:21], v[14:15], 0, v[10:11]
	flat_load_dwordx2 v[20:21], v[20:21]
	v_lshl_add_u64 v[22:23], v[12:13], 0, v[10:11]
	v_lshl_add_u64 v[14:15], v[2:3], 3, v[14:15]
	s_waitcnt vmcnt(0) lgkmcnt(0)
	v_mul_f64 v[20:21], v[20:21], s[6:7]
	v_cvt_f32_f64_e32 v17, v[20:21]
	v_min_f32_e32 v16, v17, v16
	v_cvt_f64_f32_e32 v[16:17], v16
	global_store_dwordx2 v[22:23], v[16:17], off
	flat_load_dwordx2 v[14:15], v[14:15]
	s_waitcnt vmcnt(0) lgkmcnt(0)
	v_mul_f64 v[14:15], v[14:15], s[6:7]
	v_cvt_f32_f64_e32 v14, v[14:15]
.LBB163_149:
	v_max_f32_e32 v15, v106, v106
	v_max_f32_e32 v14, v14, v14
	v_min_f32_e32 v14, v14, v15
	v_cvt_f64_f32_e32 v[14:15], v14
	v_lshl_add_u64 v[12:13], v[2:3], 3, v[12:13]
	global_store_dwordx2 v[12:13], v[14:15], off
	v_add_u32_e32 v14, 0x68, v18
	v_mad_i64_i32 v[12:13], s[2:3], v14, s17, 0
	v_lshl_add_u64 v[12:13], v[12:13], 3, s[0:1]
	v_mad_i64_i32 v[14:15], s[2:3], v14, s16, 0
	v_max_f32_e32 v16, v105, v105
	s_mov_b64 vcc, s[4:5]
	s_cbranch_vccz .LBB163_152
; %bb.150:
	v_min_f32_e32 v17, 0, v16
	v_cvt_f64_f32_e32 v[20:21], v17
	v_lshl_add_u64 v[22:23], v[4:5], 3, v[12:13]
	s_mov_b32 s8, 0
	global_store_dwordx2 v[22:23], v[20:21], off
	v_lshl_add_u64 v[14:15], v[14:15], 3, s[12:13]
	s_cbranch_execz .LBB163_153
; %bb.151:
	v_mov_b32_e32 v16, s8
	s_branch .LBB163_154
.LBB163_152:
                                        ; implicit-def: $sgpr8
	v_lshl_add_u64 v[14:15], v[14:15], 3, s[12:13]
.LBB163_153:
	v_lshl_add_u64 v[20:21], v[14:15], 0, v[8:9]
	flat_load_dwordx2 v[20:21], v[20:21]
	v_lshl_add_u64 v[22:23], v[12:13], 0, v[8:9]
	s_waitcnt vmcnt(0) lgkmcnt(0)
	v_mul_f64 v[20:21], v[20:21], s[6:7]
	v_cvt_f32_f64_e32 v17, v[20:21]
	v_min_f32_e32 v16, v17, v16
	v_cvt_f64_f32_e32 v[16:17], v16
	global_store_dwordx2 v[22:23], v[16:17], off
	v_lshl_add_u64 v[16:17], v[0:1], 3, v[14:15]
	flat_load_dwordx2 v[16:17], v[16:17]
	s_waitcnt vmcnt(0) lgkmcnt(0)
	v_mul_f64 v[16:17], v[16:17], s[6:7]
	v_cvt_f32_f64_e32 v16, v[16:17]
.LBB163_154:
	v_max_f32_e32 v17, v104, v104
	v_max_f32_e32 v16, v16, v16
	v_min_f32_e32 v16, v16, v17
	v_cvt_f64_f32_e32 v[16:17], v16
	v_lshl_add_u64 v[20:21], v[0:1], 3, v[12:13]
	global_store_dwordx2 v[20:21], v[16:17], off
	v_max_f32_e32 v16, v103, v103
	s_mov_b64 vcc, s[4:5]
	s_cbranch_vccz .LBB163_157
; %bb.155:
	v_min_f32_e32 v17, 0, v16
	v_cvt_f64_f32_e32 v[20:21], v17
	v_lshl_add_u64 v[22:23], v[6:7], 3, v[12:13]
	s_mov_b32 s8, 0
	global_store_dwordx2 v[22:23], v[20:21], off
	s_cbranch_execz .LBB163_158
; %bb.156:
	v_mov_b32_e32 v14, s8
	s_branch .LBB163_159
.LBB163_157:
                                        ; implicit-def: $sgpr8
.LBB163_158:
	v_lshl_add_u64 v[20:21], v[14:15], 0, v[10:11]
	flat_load_dwordx2 v[20:21], v[20:21]
	v_lshl_add_u64 v[22:23], v[12:13], 0, v[10:11]
	v_lshl_add_u64 v[14:15], v[2:3], 3, v[14:15]
	s_waitcnt vmcnt(0) lgkmcnt(0)
	v_mul_f64 v[20:21], v[20:21], s[6:7]
	v_cvt_f32_f64_e32 v17, v[20:21]
	v_min_f32_e32 v16, v17, v16
	v_cvt_f64_f32_e32 v[16:17], v16
	global_store_dwordx2 v[22:23], v[16:17], off
	flat_load_dwordx2 v[14:15], v[14:15]
	s_waitcnt vmcnt(0) lgkmcnt(0)
	v_mul_f64 v[14:15], v[14:15], s[6:7]
	v_cvt_f32_f64_e32 v14, v[14:15]
.LBB163_159:
	v_max_f32_e32 v15, v102, v102
	v_max_f32_e32 v14, v14, v14
	v_min_f32_e32 v14, v14, v15
	v_cvt_f64_f32_e32 v[14:15], v14
	v_lshl_add_u64 v[12:13], v[2:3], 3, v[12:13]
	global_store_dwordx2 v[12:13], v[14:15], off
	v_add_u32_e32 v14, 0x70, v18
	v_mad_i64_i32 v[12:13], s[2:3], v14, s17, 0
	v_lshl_add_u64 v[12:13], v[12:13], 3, s[0:1]
	v_mad_i64_i32 v[14:15], s[2:3], v14, s16, 0
	v_max_f32_e32 v16, v101, v101
	s_mov_b64 vcc, s[4:5]
	s_cbranch_vccz .LBB163_162
; %bb.160:
	v_min_f32_e32 v17, 0, v16
	v_cvt_f64_f32_e32 v[20:21], v17
	v_lshl_add_u64 v[22:23], v[4:5], 3, v[12:13]
	s_mov_b32 s8, 0
	global_store_dwordx2 v[22:23], v[20:21], off
	v_lshl_add_u64 v[14:15], v[14:15], 3, s[12:13]
	s_cbranch_execz .LBB163_163
; %bb.161:
	v_mov_b32_e32 v16, s8
	s_branch .LBB163_164
.LBB163_162:
                                        ; implicit-def: $sgpr8
	v_lshl_add_u64 v[14:15], v[14:15], 3, s[12:13]
.LBB163_163:
	v_lshl_add_u64 v[20:21], v[14:15], 0, v[8:9]
	flat_load_dwordx2 v[20:21], v[20:21]
	v_lshl_add_u64 v[22:23], v[12:13], 0, v[8:9]
	s_waitcnt vmcnt(0) lgkmcnt(0)
	v_mul_f64 v[20:21], v[20:21], s[6:7]
	v_cvt_f32_f64_e32 v17, v[20:21]
	v_min_f32_e32 v16, v17, v16
	v_cvt_f64_f32_e32 v[16:17], v16
	global_store_dwordx2 v[22:23], v[16:17], off
	v_lshl_add_u64 v[16:17], v[0:1], 3, v[14:15]
	flat_load_dwordx2 v[16:17], v[16:17]
	s_waitcnt vmcnt(0) lgkmcnt(0)
	v_mul_f64 v[16:17], v[16:17], s[6:7]
	v_cvt_f32_f64_e32 v16, v[16:17]
.LBB163_164:
	v_max_f32_e32 v17, v100, v100
	v_max_f32_e32 v16, v16, v16
	v_min_f32_e32 v16, v16, v17
	v_cvt_f64_f32_e32 v[16:17], v16
	v_lshl_add_u64 v[20:21], v[0:1], 3, v[12:13]
	global_store_dwordx2 v[20:21], v[16:17], off
	v_max_f32_e32 v16, v99, v99
	s_mov_b64 vcc, s[4:5]
	s_cbranch_vccz .LBB163_167
; %bb.165:
	v_min_f32_e32 v17, 0, v16
	v_cvt_f64_f32_e32 v[20:21], v17
	v_lshl_add_u64 v[22:23], v[6:7], 3, v[12:13]
	s_mov_b32 s8, 0
	global_store_dwordx2 v[22:23], v[20:21], off
	s_cbranch_execz .LBB163_168
; %bb.166:
	v_mov_b32_e32 v14, s8
	s_branch .LBB163_169
.LBB163_167:
                                        ; implicit-def: $sgpr8
.LBB163_168:
	v_lshl_add_u64 v[20:21], v[14:15], 0, v[10:11]
	flat_load_dwordx2 v[20:21], v[20:21]
	v_lshl_add_u64 v[22:23], v[12:13], 0, v[10:11]
	v_lshl_add_u64 v[14:15], v[2:3], 3, v[14:15]
	s_waitcnt vmcnt(0) lgkmcnt(0)
	v_mul_f64 v[20:21], v[20:21], s[6:7]
	v_cvt_f32_f64_e32 v17, v[20:21]
	v_min_f32_e32 v16, v17, v16
	v_cvt_f64_f32_e32 v[16:17], v16
	global_store_dwordx2 v[22:23], v[16:17], off
	flat_load_dwordx2 v[14:15], v[14:15]
	s_waitcnt vmcnt(0) lgkmcnt(0)
	v_mul_f64 v[14:15], v[14:15], s[6:7]
	v_cvt_f32_f64_e32 v14, v[14:15]
.LBB163_169:
	v_max_f32_e32 v15, v98, v98
	v_max_f32_e32 v14, v14, v14
	v_min_f32_e32 v14, v14, v15
	v_cvt_f64_f32_e32 v[14:15], v14
	v_lshl_add_u64 v[12:13], v[2:3], 3, v[12:13]
	global_store_dwordx2 v[12:13], v[14:15], off
	v_add_u32_e32 v14, 0x78, v18
	v_mad_i64_i32 v[12:13], s[2:3], v14, s17, 0
	v_lshl_add_u64 v[12:13], v[12:13], 3, s[0:1]
	v_mad_i64_i32 v[14:15], s[0:1], v14, s16, 0
	v_max_f32_e32 v16, v97, v97
	s_mov_b64 vcc, s[4:5]
	s_cbranch_vccz .LBB163_172
; %bb.170:
	v_min_f32_e32 v17, 0, v16
	v_cvt_f64_f32_e32 v[18:19], v17
	v_lshl_add_u64 v[4:5], v[4:5], 3, v[12:13]
	s_mov_b32 s2, 0
	global_store_dwordx2 v[4:5], v[18:19], off
	v_lshl_add_u64 v[4:5], v[14:15], 3, s[12:13]
	s_cbranch_execz .LBB163_173
; %bb.171:
	v_mov_b32_e32 v8, s2
	s_branch .LBB163_174
.LBB163_172:
                                        ; implicit-def: $sgpr2
	v_lshl_add_u64 v[4:5], v[14:15], 3, s[12:13]
.LBB163_173:
	v_lshl_add_u64 v[14:15], v[4:5], 0, v[8:9]
	flat_load_dwordx2 v[14:15], v[14:15]
	v_lshl_add_u64 v[8:9], v[12:13], 0, v[8:9]
	s_waitcnt vmcnt(0) lgkmcnt(0)
	v_mul_f64 v[14:15], v[14:15], s[6:7]
	v_cvt_f32_f64_e32 v14, v[14:15]
	v_min_f32_e32 v14, v14, v16
	v_cvt_f64_f32_e32 v[14:15], v14
	global_store_dwordx2 v[8:9], v[14:15], off
	v_lshl_add_u64 v[8:9], v[0:1], 3, v[4:5]
	flat_load_dwordx2 v[8:9], v[8:9]
	s_waitcnt vmcnt(0) lgkmcnt(0)
	v_mul_f64 v[8:9], v[8:9], s[6:7]
	v_cvt_f32_f64_e32 v8, v[8:9]
.LBB163_174:
	v_max_f32_e32 v9, v96, v96
	v_max_f32_e32 v8, v8, v8
	v_min_f32_e32 v8, v8, v9
	v_cvt_f64_f32_e32 v[8:9], v8
	v_lshl_add_u64 v[0:1], v[0:1], 3, v[12:13]
	global_store_dwordx2 v[0:1], v[8:9], off
	v_max_f32_e32 v0, v95, v95
	s_mov_b64 vcc, s[4:5]
	s_cbranch_vccz .LBB163_177
; %bb.175:
	v_min_f32_e32 v1, 0, v0
	v_cvt_f64_f32_e32 v[8:9], v1
	v_lshl_add_u64 v[6:7], v[6:7], 3, v[12:13]
	s_mov_b32 s2, 0
	global_store_dwordx2 v[6:7], v[8:9], off
	s_cbranch_execz .LBB163_178
; %bb.176:
	v_mov_b32_e32 v0, s2
	s_branch .LBB163_179
.LBB163_177:
                                        ; implicit-def: $sgpr2
.LBB163_178:
	v_lshl_add_u64 v[6:7], v[4:5], 0, v[10:11]
	flat_load_dwordx2 v[6:7], v[6:7]
	v_lshl_add_u64 v[8:9], v[12:13], 0, v[10:11]
	s_waitcnt vmcnt(0) lgkmcnt(0)
	v_mul_f64 v[6:7], v[6:7], s[6:7]
	v_cvt_f32_f64_e32 v1, v[6:7]
	v_min_f32_e32 v0, v1, v0
	v_cvt_f64_f32_e32 v[0:1], v0
	global_store_dwordx2 v[8:9], v[0:1], off
	v_lshl_add_u64 v[0:1], v[2:3], 3, v[4:5]
	flat_load_dwordx2 v[0:1], v[0:1]
	s_waitcnt vmcnt(0) lgkmcnt(0)
	v_mul_f64 v[0:1], v[0:1], s[6:7]
	v_cvt_f32_f64_e32 v0, v[0:1]
.LBB163_179:
	v_max_f32_e32 v1, v94, v94
	v_max_f32_e32 v0, v0, v0
	v_min_f32_e32 v0, v0, v1
	v_cvt_f64_f32_e32 v[0:1], v0
	v_lshl_add_u64 v[2:3], v[2:3], 3, v[12:13]
	global_store_dwordx2 v[2:3], v[0:1], off
	s_endpgm
	.section	.rodata,"a",@progbits
	.p2align	6, 0x0
	.amdhsa_kernel _ZN12_GLOBAL__N_120geam_min_plus_kernelId15HIP_vector_typeIdLj2EEdLi32ELi8ELi128ELi128ELi4ELi4ELi64ELi4ELi64ELc84ELc78ELb1ELb0ELb1EdKddEEviiiT16_PT17_ilS6_ilS4_S6_ilPT18_ili26rocblas_geam_ex_operation_
		.amdhsa_group_segment_fixed_size 16384
		.amdhsa_private_segment_fixed_size 0
		.amdhsa_kernarg_size 136
		.amdhsa_user_sgpr_count 2
		.amdhsa_user_sgpr_dispatch_ptr 0
		.amdhsa_user_sgpr_queue_ptr 0
		.amdhsa_user_sgpr_kernarg_segment_ptr 1
		.amdhsa_user_sgpr_dispatch_id 0
		.amdhsa_user_sgpr_kernarg_preload_length 0
		.amdhsa_user_sgpr_kernarg_preload_offset 0
		.amdhsa_user_sgpr_private_segment_size 0
		.amdhsa_uses_dynamic_stack 0
		.amdhsa_enable_private_segment 0
		.amdhsa_system_sgpr_workgroup_id_x 1
		.amdhsa_system_sgpr_workgroup_id_y 0
		.amdhsa_system_sgpr_workgroup_id_z 1
		.amdhsa_system_sgpr_workgroup_info 0
		.amdhsa_system_vgpr_workitem_id 1
		.amdhsa_next_free_vgpr 182
		.amdhsa_next_free_sgpr 24
		.amdhsa_accum_offset 184
		.amdhsa_reserve_vcc 1
		.amdhsa_float_round_mode_32 0
		.amdhsa_float_round_mode_16_64 0
		.amdhsa_float_denorm_mode_32 3
		.amdhsa_float_denorm_mode_16_64 3
		.amdhsa_dx10_clamp 1
		.amdhsa_ieee_mode 1
		.amdhsa_fp16_overflow 0
		.amdhsa_tg_split 0
		.amdhsa_exception_fp_ieee_invalid_op 0
		.amdhsa_exception_fp_denorm_src 0
		.amdhsa_exception_fp_ieee_div_zero 0
		.amdhsa_exception_fp_ieee_overflow 0
		.amdhsa_exception_fp_ieee_underflow 0
		.amdhsa_exception_fp_ieee_inexact 0
		.amdhsa_exception_int_div_zero 0
	.end_amdhsa_kernel
	.section	.text._ZN12_GLOBAL__N_120geam_min_plus_kernelId15HIP_vector_typeIdLj2EEdLi32ELi8ELi128ELi128ELi4ELi4ELi64ELi4ELi64ELc84ELc78ELb1ELb0ELb1EdKddEEviiiT16_PT17_ilS6_ilS4_S6_ilPT18_ili26rocblas_geam_ex_operation_,"axG",@progbits,_ZN12_GLOBAL__N_120geam_min_plus_kernelId15HIP_vector_typeIdLj2EEdLi32ELi8ELi128ELi128ELi4ELi4ELi64ELi4ELi64ELc84ELc78ELb1ELb0ELb1EdKddEEviiiT16_PT17_ilS6_ilS4_S6_ilPT18_ili26rocblas_geam_ex_operation_,comdat
.Lfunc_end163:
	.size	_ZN12_GLOBAL__N_120geam_min_plus_kernelId15HIP_vector_typeIdLj2EEdLi32ELi8ELi128ELi128ELi4ELi4ELi64ELi4ELi64ELc84ELc78ELb1ELb0ELb1EdKddEEviiiT16_PT17_ilS6_ilS4_S6_ilPT18_ili26rocblas_geam_ex_operation_, .Lfunc_end163-_ZN12_GLOBAL__N_120geam_min_plus_kernelId15HIP_vector_typeIdLj2EEdLi32ELi8ELi128ELi128ELi4ELi4ELi64ELi4ELi64ELc84ELc78ELb1ELb0ELb1EdKddEEviiiT16_PT17_ilS6_ilS4_S6_ilPT18_ili26rocblas_geam_ex_operation_
                                        ; -- End function
	.section	.AMDGPU.csdata,"",@progbits
; Kernel info:
; codeLenInByte = 16848
; NumSgprs: 30
; NumVgprs: 182
; NumAgprs: 0
; TotalNumVgprs: 182
; ScratchSize: 0
; MemoryBound: 0
; FloatMode: 240
; IeeeMode: 1
; LDSByteSize: 16384 bytes/workgroup (compile time only)
; SGPRBlocks: 3
; VGPRBlocks: 22
; NumSGPRsForWavesPerEU: 30
; NumVGPRsForWavesPerEU: 182
; AccumOffset: 184
; Occupancy: 2
; WaveLimiterHint : 0
; COMPUTE_PGM_RSRC2:SCRATCH_EN: 0
; COMPUTE_PGM_RSRC2:USER_SGPR: 2
; COMPUTE_PGM_RSRC2:TRAP_HANDLER: 0
; COMPUTE_PGM_RSRC2:TGID_X_EN: 1
; COMPUTE_PGM_RSRC2:TGID_Y_EN: 0
; COMPUTE_PGM_RSRC2:TGID_Z_EN: 1
; COMPUTE_PGM_RSRC2:TIDIG_COMP_CNT: 1
; COMPUTE_PGM_RSRC3_GFX90A:ACCUM_OFFSET: 45
; COMPUTE_PGM_RSRC3_GFX90A:TG_SPLIT: 0
	.section	.text._ZN12_GLOBAL__N_120geam_min_plus_kernelId15HIP_vector_typeIdLj2EEdLi32ELi8ELi128ELi128ELi4ELi4ELi64ELi4ELi64ELc84ELc78ELb0ELb0ELb1EdKddEEviiiT16_PT17_ilS6_ilS4_S6_ilPT18_ili26rocblas_geam_ex_operation_,"axG",@progbits,_ZN12_GLOBAL__N_120geam_min_plus_kernelId15HIP_vector_typeIdLj2EEdLi32ELi8ELi128ELi128ELi4ELi4ELi64ELi4ELi64ELc84ELc78ELb0ELb0ELb1EdKddEEviiiT16_PT17_ilS6_ilS4_S6_ilPT18_ili26rocblas_geam_ex_operation_,comdat
	.globl	_ZN12_GLOBAL__N_120geam_min_plus_kernelId15HIP_vector_typeIdLj2EEdLi32ELi8ELi128ELi128ELi4ELi4ELi64ELi4ELi64ELc84ELc78ELb0ELb0ELb1EdKddEEviiiT16_PT17_ilS6_ilS4_S6_ilPT18_ili26rocblas_geam_ex_operation_ ; -- Begin function _ZN12_GLOBAL__N_120geam_min_plus_kernelId15HIP_vector_typeIdLj2EEdLi32ELi8ELi128ELi128ELi4ELi4ELi64ELi4ELi64ELc84ELc78ELb0ELb0ELb1EdKddEEviiiT16_PT17_ilS6_ilS4_S6_ilPT18_ili26rocblas_geam_ex_operation_
	.p2align	8
	.type	_ZN12_GLOBAL__N_120geam_min_plus_kernelId15HIP_vector_typeIdLj2EEdLi32ELi8ELi128ELi128ELi4ELi4ELi64ELi4ELi64ELc84ELc78ELb0ELb0ELb1EdKddEEviiiT16_PT17_ilS6_ilS4_S6_ilPT18_ili26rocblas_geam_ex_operation_,@function
_ZN12_GLOBAL__N_120geam_min_plus_kernelId15HIP_vector_typeIdLj2EEdLi32ELi8ELi128ELi128ELi4ELi4ELi64ELi4ELi64ELc84ELc78ELb0ELb0ELb1EdKddEEviiiT16_PT17_ilS6_ilS4_S6_ilPT18_ili26rocblas_geam_ex_operation_: ; @_ZN12_GLOBAL__N_120geam_min_plus_kernelId15HIP_vector_typeIdLj2EEdLi32ELi8ELi128ELi128ELi4ELi4ELi64ELi4ELi64ELc84ELc78ELb0ELb0ELb1EdKddEEviiiT16_PT17_ilS6_ilS4_S6_ilPT18_ili26rocblas_geam_ex_operation_
; %bb.0:
	s_load_dwordx4 s[16:19], s[0:1], 0x10
	s_load_dwordx4 s[4:7], s[0:1], 0x28
	s_mov_b64 s[20:21], 0
	s_waitcnt lgkmcnt(0)
	v_cmp_eq_f64_e64 s[12:13], s[16:17], 0
	s_and_b64 vcc, exec, s[12:13]
	s_cbranch_vccnz .LBB164_2
; %bb.1:
	s_mul_i32 s5, s3, s5
	s_mul_hi_u32 s8, s3, s4
	s_add_i32 s5, s8, s5
	s_mul_i32 s4, s3, s4
	s_lshl_b64 s[4:5], s[4:5], 3
	s_add_u32 s20, s18, s4
	s_addc_u32 s21, s19, s5
.LBB164_2:
	s_load_dwordx4 s[8:11], s[0:1], 0x40
	s_load_dwordx2 s[4:5], s[0:1], 0x50
	s_andn2_b64 vcc, exec, s[12:13]
	s_cbranch_vccnz .LBB164_4
; %bb.3:
	s_mov_b32 s19, 0
	s_mov_b64 s[22:23], 0
	s_cbranch_execz .LBB164_5
	s_branch .LBB164_6
.LBB164_4:
                                        ; implicit-def: $sgpr22_sgpr23
                                        ; implicit-def: $sgpr18_sgpr19
.LBB164_5:
	s_waitcnt lgkmcnt(0)
	s_mul_i32 s9, s3, s9
	s_mul_hi_u32 s12, s3, s8
	s_add_i32 s9, s12, s9
	s_mul_i32 s8, s3, s8
	s_lshl_b64 s[8:9], s[8:9], 3
	s_add_u32 s22, s6, s8
	s_mov_b32 s19, 0
	s_addc_u32 s23, s7, s9
.LBB164_6:
	s_load_dwordx4 s[12:15], s[0:1], 0x60
	s_waitcnt lgkmcnt(0)
	v_cmp_eq_f64_e64 s[6:7], s[10:11], 0
	s_and_b64 s[6:7], exec, s[6:7]
	v_cmp_neq_f64_e64 s[24:25], s[16:17], 0
	s_mov_b64 s[8:9], 0
	s_mov_b64 vcc, s[6:7]
	s_cbranch_vccnz .LBB164_8
; %bb.7:
	s_mul_i32 s8, s3, s13
	s_mul_hi_u32 s9, s3, s12
	s_add_i32 s8, s9, s8
	s_mul_i32 s9, s19, s12
	s_add_i32 s9, s8, s9
	s_mul_i32 s8, s3, s12
	s_lshl_b64 s[8:9], s[8:9], 3
	s_add_u32 s8, s4, s8
	s_addc_u32 s9, s5, s9
.LBB164_8:
	s_load_dword s4, s[0:1], 0x0
	s_load_dword s26, s[0:1], 0x20
	v_and_b32_e32 v143, 0x3ff, v0
	v_bfe_u32 v144, v0, 10, 10
	v_lshl_add_u32 v2, v144, 5, v143
	s_waitcnt lgkmcnt(0)
	s_add_i32 s4, s4, -1
	s_ashr_i32 s5, s4, 31
	s_lshr_b32 s5, s5, 25
	s_add_i32 s4, s4, s5
	s_ashr_i32 s12, s4, 7
	s_add_i32 s13, s12, 1
	v_cvt_f32_u32_e32 v1, s13
	s_not_b32 s12, s12
	v_lshrrev_b32_e32 v10, 2, v2
	v_and_b32_e32 v152, 3, v143
	v_rcp_iflag_f32_e32 v0, v1
	v_cndmask_b32_e64 v1, 0, 1, s[24:25]
	v_cmp_ne_u32_e64 s[4:5], 1, v1
	v_mul_f32_e32 v0, 0x4f7ffffe, v0
	v_cvt_u32_f32_e32 v0, v0
	s_nop 0
	v_readfirstlane_b32 s18, v0
	s_mul_i32 s12, s12, s18
	s_mul_hi_u32 s12, s18, s12
	s_add_i32 s18, s18, s12
	s_mul_hi_u32 s12, s2, s18
	s_mul_i32 s18, s12, s13
	s_sub_i32 s18, s2, s18
	s_add_i32 s27, s12, 1
	s_sub_i32 s28, s18, s13
	s_cmp_ge_u32 s18, s13
	s_cselect_b32 s12, s27, s12
	s_cselect_b32 s18, s28, s18
	s_add_i32 s27, s12, 1
	s_cmp_ge_u32 s18, s13
	s_cselect_b32 s12, s27, s12
	s_mul_i32 s13, s12, s13
	s_sub_i32 s2, s2, s13
	s_lshl_b32 s2, s2, 7
	v_add_u32_e32 v81, s2, v10
	s_andn2_b64 vcc, exec, s[24:25]
	v_lshlrev_b32_e32 v0, 3, v152
	v_add_u32_e32 v80, 64, v81
	s_cbranch_vccnz .LBB164_10
; %bb.9:
	v_mov_b32_e32 v1, 0
	v_lshl_add_u64 v[2:3], s[20:21], 0, v[0:1]
	v_mad_i64_i32 v[4:5], s[24:25], v81, s26, 0
	v_lshl_add_u64 v[4:5], v[4:5], 3, v[2:3]
	v_mad_i64_i32 v[6:7], s[24:25], v80, s26, 0
	v_lshl_add_u64 v[2:3], v[6:7], 3, v[2:3]
	flat_load_dwordx2 v[6:7], v[4:5]
	flat_load_dwordx2 v[8:9], v[2:3]
	s_waitcnt vmcnt(0) lgkmcnt(0)
	v_mul_f64 v[2:3], v[6:7], s[16:17]
	v_mul_f64 v[4:5], v[8:9], s[16:17]
	s_branch .LBB164_11
.LBB164_10:
	v_mov_b64_e32 v[2:3], 0
	v_mov_b64_e32 v[4:5], 0
.LBB164_11:
	s_load_dword s27, s[0:1], 0x38
	s_lshl_b32 s18, s12, 7
	v_add_u32_e32 v83, s18, v10
	s_and_b64 vcc, exec, s[4:5]
	v_add_u32_e32 v82, 64, v83
	s_cbranch_vccnz .LBB164_15
; %bb.12:
	v_mov_b32_e32 v1, 0
	v_lshl_add_u64 v[6:7], s[22:23], 0, v[0:1]
	s_waitcnt lgkmcnt(0)
	v_mad_i64_i32 v[8:9], s[12:13], v83, s27, 0
	v_lshl_add_u64 v[8:9], v[8:9], 3, v[6:7]
	v_mad_i64_i32 v[12:13], s[12:13], v82, s27, 0
	v_lshl_add_u64 v[6:7], v[12:13], 3, v[6:7]
	flat_load_dwordx2 v[12:13], v[8:9]
	flat_load_dwordx2 v[14:15], v[6:7]
	s_waitcnt vmcnt(0) lgkmcnt(0)
	v_mul_f64 v[6:7], v[12:13], s[16:17]
	v_mul_f64 v[8:9], v[14:15], s[16:17]
	s_and_b64 vcc, exec, s[4:5]
	s_cbranch_vccnz .LBB164_16
.LBB164_13:
	v_mov_b32_e32 v1, 0
	v_lshl_add_u64 v[12:13], s[20:21], 0, v[0:1]
	v_mad_i64_i32 v[14:15], s[12:13], v81, s26, 0
	v_lshl_add_u64 v[14:15], v[14:15], 3, v[12:13]
	v_mad_i64_i32 v[16:17], s[12:13], v80, s26, 0
	v_lshl_add_u64 v[12:13], v[16:17], 3, v[12:13]
	flat_load_dwordx2 v[16:17], v[14:15] offset:32
	flat_load_dwordx2 v[18:19], v[12:13] offset:32
	s_waitcnt vmcnt(0) lgkmcnt(0)
	v_mul_f64 v[72:73], v[16:17], s[16:17]
	v_mul_f64 v[74:75], v[18:19], s[16:17]
	s_and_b64 vcc, exec, s[4:5]
	s_cbranch_vccnz .LBB164_17
.LBB164_14:
	v_mov_b32_e32 v1, 0
	v_lshl_add_u64 v[12:13], s[22:23], 0, v[0:1]
	s_waitcnt lgkmcnt(0)
	v_mad_i64_i32 v[14:15], s[12:13], v83, s27, 0
	v_lshl_add_u64 v[14:15], v[14:15], 3, v[12:13]
	v_mad_i64_i32 v[16:17], s[12:13], v82, s27, 0
	v_lshl_add_u64 v[12:13], v[16:17], 3, v[12:13]
	flat_load_dwordx2 v[16:17], v[14:15] offset:32
	flat_load_dwordx2 v[18:19], v[12:13] offset:32
	s_waitcnt vmcnt(0) lgkmcnt(0)
	v_mul_f64 v[76:77], v[16:17], s[16:17]
	v_mul_f64 v[78:79], v[18:19], s[16:17]
	s_branch .LBB164_18
.LBB164_15:
	v_mov_b64_e32 v[6:7], 0
	v_mov_b64_e32 v[8:9], 0
	s_and_b64 vcc, exec, s[4:5]
	s_cbranch_vccz .LBB164_13
.LBB164_16:
	v_mov_b64_e32 v[72:73], 0
	v_mov_b64_e32 v[74:75], 0
	s_and_b64 vcc, exec, s[4:5]
	s_cbranch_vccz .LBB164_14
.LBB164_17:
	v_mov_b64_e32 v[76:77], 0
	v_mov_b64_e32 v[78:79], 0
.LBB164_18:
	v_lshl_or_b32 v153, v10, 5, v0
	v_add_u32_e32 v154, 0x2000, v153
	s_mov_b32 s24, 0
	s_mov_b64 s[12:13], -1
	v_mov_b32_e32 v86, 0x7f800000
	v_mov_b32_e32 v87, 0x7f800000
	;; [unrolled: 1-line block ×64, first 2 shown]
	ds_write2st64_b64 v153, v[2:3], v[4:5] offset1:4
	ds_write2st64_b64 v153, v[6:7], v[8:9] offset0:16 offset1:20
	s_waitcnt lgkmcnt(0)
	s_barrier
.LBB164_19:                             ; =>This Inner Loop Header: Depth=1
	v_cndmask_b32_e64 v0, 0, 1, s[12:13]
	s_lshl_b32 s12, s24, 3
	v_cmp_ne_u32_e32 vcc, 1, v0
	v_lshl_add_u32 v0, v143, 5, s12
	ds_read_b128 v[12:15], v0
	ds_read_b128 v[8:11], v0 offset:1024
	ds_read_b128 v[4:7], v0 offset:2048
	;; [unrolled: 1-line block ×3, first 2 shown]
	v_lshl_add_u32 v16, v144, 5, s12
	ds_read_b128 v[156:159], v16 offset:8192
	ds_read_b128 v[160:163], v16 offset:8448
	ds_read_b128 v[68:71], v16 offset:8704
	ds_read_b128 v[64:67], v16 offset:8960
	ds_read_b128 v[60:63], v16 offset:9216
	ds_read_b128 v[56:59], v16 offset:9472
	ds_read_b128 v[52:55], v16 offset:9728
	ds_read_b128 v[48:51], v16 offset:9984
	ds_read_b128 v[44:47], v16 offset:10240
	ds_read_b128 v[40:43], v16 offset:10496
	ds_read_b128 v[36:39], v16 offset:10752
	ds_read_b128 v[32:35], v16 offset:11008
	ds_read_b128 v[28:31], v16 offset:11264
	ds_read_b128 v[24:27], v16 offset:11520
	ds_read_b128 v[20:23], v16 offset:11776
	ds_read_b128 v[16:19], v16 offset:12032
	s_waitcnt lgkmcnt(14)
	v_add_f64 v[84:85], v[14:15], v[158:159]
	v_add_f64 v[164:165], v[12:13], v[156:157]
	v_cvt_f32_f64_e32 v155, v[164:165]
	v_cvt_f32_f64_e32 v84, v[84:85]
	v_min3_f32 v151, v155, v84, v151
	v_add_f64 v[84:85], v[10:11], v[158:159]
	v_add_f64 v[164:165], v[8:9], v[156:157]
	v_cvt_f32_f64_e32 v155, v[164:165]
	v_cvt_f32_f64_e32 v84, v[84:85]
	v_min3_f32 v150, v155, v84, v150
	;; [unrolled: 5-line block ×8, first 2 shown]
	s_waitcnt lgkmcnt(13)
	v_add_f64 v[84:85], v[14:15], v[70:71]
	v_add_f64 v[156:157], v[12:13], v[68:69]
	v_cvt_f32_f64_e32 v155, v[156:157]
	v_cvt_f32_f64_e32 v84, v[84:85]
	v_min3_f32 v141, v155, v84, v141
	v_add_f64 v[84:85], v[10:11], v[70:71]
	v_add_f64 v[156:157], v[8:9], v[68:69]
	v_cvt_f32_f64_e32 v155, v[156:157]
	v_cvt_f32_f64_e32 v84, v[84:85]
	v_min3_f32 v140, v155, v84, v140
	v_add_f64 v[84:85], v[6:7], v[70:71]
	v_add_f64 v[156:157], v[4:5], v[68:69]
	v_add_f64 v[70:71], v[2:3], v[70:71]
	v_add_f64 v[68:69], v[0:1], v[68:69]
	v_cvt_f32_f64_e32 v68, v[68:69]
	v_cvt_f32_f64_e32 v69, v[70:71]
	v_min3_f32 v138, v68, v69, v138
	s_waitcnt lgkmcnt(12)
	v_add_f64 v[68:69], v[14:15], v[66:67]
	v_add_f64 v[70:71], v[12:13], v[64:65]
	v_cvt_f32_f64_e32 v70, v[70:71]
	v_cvt_f32_f64_e32 v68, v[68:69]
	v_min3_f32 v137, v70, v68, v137
	v_add_f64 v[68:69], v[10:11], v[66:67]
	v_add_f64 v[70:71], v[8:9], v[64:65]
	v_cvt_f32_f64_e32 v70, v[70:71]
	v_cvt_f32_f64_e32 v68, v[68:69]
	v_min3_f32 v136, v70, v68, v136
	v_add_f64 v[68:69], v[6:7], v[66:67]
	v_add_f64 v[70:71], v[4:5], v[64:65]
	v_add_f64 v[66:67], v[2:3], v[66:67]
	v_add_f64 v[64:65], v[0:1], v[64:65]
	v_cvt_f32_f64_e32 v64, v[64:65]
	v_cvt_f32_f64_e32 v65, v[66:67]
	v_min3_f32 v134, v64, v65, v134
	;; [unrolled: 18-line block ×12, first 2 shown]
	s_waitcnt lgkmcnt(1)
	v_add_f64 v[24:25], v[14:15], v[22:23]
	v_add_f64 v[26:27], v[12:13], v[20:21]
	v_cvt_f32_f64_e32 v26, v[26:27]
	v_cvt_f32_f64_e32 v24, v[24:25]
	v_min3_f32 v93, v26, v24, v93
	v_add_f64 v[24:25], v[10:11], v[22:23]
	v_add_f64 v[26:27], v[8:9], v[20:21]
	v_cvt_f32_f64_e32 v26, v[26:27]
	v_cvt_f32_f64_e32 v24, v[24:25]
	v_min3_f32 v92, v26, v24, v92
	v_add_f64 v[24:25], v[6:7], v[22:23]
	v_add_f64 v[26:27], v[4:5], v[20:21]
	;; [unrolled: 1-line block ×4, first 2 shown]
	s_waitcnt lgkmcnt(0)
	v_add_f64 v[14:15], v[14:15], v[18:19]
	v_add_f64 v[12:13], v[12:13], v[16:17]
	;; [unrolled: 1-line block ×8, first 2 shown]
	v_cvt_f32_f64_e32 v155, v[156:157]
	v_cvt_f32_f64_e32 v84, v[84:85]
	;; [unrolled: 1-line block ×36, first 2 shown]
	v_min3_f32 v139, v155, v84, v139
	v_min3_f32 v135, v70, v68, v135
	;; [unrolled: 1-line block ×18, first 2 shown]
	s_mov_b32 s24, 2
	s_mov_b64 s[12:13], 0
	s_cbranch_vccz .LBB164_19
; %bb.20:
	s_load_dword s25, s[0:1], 0x8
	s_mov_b32 s24, 8
	ds_write2st64_b64 v153, v[72:73], v[74:75] offset0:8 offset1:12
	ds_write2st64_b64 v153, v[76:77], v[78:79] offset0:24 offset1:28
	s_waitcnt lgkmcnt(0)
	s_barrier
	s_cmp_gt_i32 s25, 8
	s_cbranch_scc0 .LBB164_37
; %bb.21:
	v_add_u32_e32 v155, 0x1000, v153
	v_add_u32_e32 v156, 0x3000, v153
	s_add_i32 s25, s25, -8
	v_mad_i64_i32 v[68:69], s[12:13], v81, s26, 0
	v_mad_i64_i32 v[70:71], s[12:13], v80, s26, 0
	;; [unrolled: 1-line block ×4, first 2 shown]
	s_mov_b32 s26, 0
	v_mov_b32_e32 v77, 0
.LBB164_22:                             ; =>This Loop Header: Depth=1
                                        ;     Child Loop BB164_28 Depth 2
                                        ;     Child Loop BB164_35 Depth 2
	s_and_b64 vcc, exec, s[4:5]
	v_or_b32_e32 v76, s24, v152
	s_cbranch_vccnz .LBB164_25
; %bb.23:                               ;   in Loop: Header=BB164_22 Depth=1
	v_lshl_add_u64 v[0:1], v[76:77], 3, s[20:21]
	v_lshl_add_u64 v[2:3], v[68:69], 3, v[0:1]
	;; [unrolled: 1-line block ×3, first 2 shown]
	flat_load_dwordx2 v[4:5], v[2:3]
	flat_load_dwordx2 v[6:7], v[0:1]
	s_waitcnt vmcnt(0) lgkmcnt(0)
	v_mul_f64 v[78:79], v[4:5], s[16:17]
	v_mul_f64 v[80:81], v[6:7], s[16:17]
	s_and_b64 vcc, exec, s[4:5]
	s_cbranch_vccnz .LBB164_26
.LBB164_24:                             ;   in Loop: Header=BB164_22 Depth=1
	v_lshl_add_u64 v[0:1], v[76:77], 3, s[22:23]
	v_lshl_add_u64 v[2:3], v[72:73], 3, v[0:1]
	;; [unrolled: 1-line block ×3, first 2 shown]
	flat_load_dwordx2 v[4:5], v[2:3]
	flat_load_dwordx2 v[6:7], v[0:1]
	s_waitcnt vmcnt(0) lgkmcnt(0)
	v_mul_f64 v[82:83], v[4:5], s[16:17]
	v_mul_f64 v[84:85], v[6:7], s[16:17]
	s_branch .LBB164_27
.LBB164_25:                             ;   in Loop: Header=BB164_22 Depth=1
	v_mov_b64_e32 v[78:79], 0
	v_mov_b64_e32 v[80:81], 0
	s_and_b64 vcc, exec, s[4:5]
	s_cbranch_vccz .LBB164_24
.LBB164_26:                             ;   in Loop: Header=BB164_22 Depth=1
	v_mov_b64_e32 v[82:83], 0
	v_mov_b64_e32 v[84:85], 0
.LBB164_27:                             ;   in Loop: Header=BB164_22 Depth=1
	s_mov_b32 s27, 0
	s_mov_b64 s[12:13], -1
.LBB164_28:                             ;   Parent Loop BB164_22 Depth=1
                                        ; =>  This Inner Loop Header: Depth=2
	v_cndmask_b32_e64 v0, 0, 1, s[12:13]
	s_lshl_b32 s12, s27, 3
	v_cmp_ne_u32_e32 vcc, 1, v0
	v_lshl_add_u32 v0, v143, 5, s12
	ds_read_b128 v[12:15], v0 offset:4096
	ds_read_b128 v[8:11], v0 offset:5120
	;; [unrolled: 1-line block ×4, first 2 shown]
	v_lshl_add_u32 v16, v144, 5, s12
	ds_read_b128 v[158:161], v16 offset:12288
	ds_read_b128 v[162:165], v16 offset:12544
	ds_read_b128 v[166:169], v16 offset:12800
	ds_read_b128 v[64:67], v16 offset:13056
	ds_read_b128 v[60:63], v16 offset:13312
	ds_read_b128 v[56:59], v16 offset:13568
	ds_read_b128 v[52:55], v16 offset:13824
	ds_read_b128 v[48:51], v16 offset:14080
	ds_read_b128 v[44:47], v16 offset:14336
	ds_read_b128 v[40:43], v16 offset:14592
	ds_read_b128 v[36:39], v16 offset:14848
	ds_read_b128 v[32:35], v16 offset:15104
	ds_read_b128 v[28:31], v16 offset:15360
	ds_read_b128 v[24:27], v16 offset:15616
	ds_read_b128 v[20:23], v16 offset:15872
	ds_read_b128 v[16:19], v16 offset:16128
	s_waitcnt lgkmcnt(14)
	v_add_f64 v[170:171], v[14:15], v[160:161]
	v_add_f64 v[172:173], v[12:13], v[158:159]
	v_cvt_f32_f64_e32 v157, v[172:173]
	v_cvt_f32_f64_e32 v170, v[170:171]
	v_min3_f32 v151, v157, v170, v151
	v_add_f64 v[170:171], v[10:11], v[160:161]
	v_add_f64 v[172:173], v[8:9], v[158:159]
	v_cvt_f32_f64_e32 v157, v[172:173]
	v_cvt_f32_f64_e32 v170, v[170:171]
	v_min3_f32 v150, v157, v170, v150
	v_add_f64 v[170:171], v[6:7], v[160:161]
	v_add_f64 v[172:173], v[4:5], v[158:159]
	v_cvt_f32_f64_e32 v157, v[172:173]
	v_cvt_f32_f64_e32 v170, v[170:171]
	v_add_f64 v[160:161], v[2:3], v[160:161]
	v_add_f64 v[158:159], v[0:1], v[158:159]
	v_min3_f32 v149, v157, v170, v149
	v_cvt_f32_f64_e32 v157, v[158:159]
	v_cvt_f32_f64_e32 v158, v[160:161]
	v_min3_f32 v148, v157, v158, v148
	v_add_f64 v[158:159], v[14:15], v[164:165]
	v_add_f64 v[160:161], v[12:13], v[162:163]
	v_cvt_f32_f64_e32 v157, v[160:161]
	v_cvt_f32_f64_e32 v158, v[158:159]
	v_min3_f32 v147, v157, v158, v147
	v_add_f64 v[158:159], v[10:11], v[164:165]
	v_add_f64 v[160:161], v[8:9], v[162:163]
	;; [unrolled: 5-line block ×4, first 2 shown]
	v_cvt_f32_f64_e32 v157, v[160:161]
	v_cvt_f32_f64_e32 v158, v[158:159]
	v_min3_f32 v142, v157, v158, v142
	s_waitcnt lgkmcnt(13)
	v_add_f64 v[158:159], v[14:15], v[168:169]
	v_add_f64 v[160:161], v[12:13], v[166:167]
	v_cvt_f32_f64_e32 v157, v[160:161]
	v_cvt_f32_f64_e32 v158, v[158:159]
	v_min3_f32 v141, v157, v158, v141
	v_add_f64 v[158:159], v[10:11], v[168:169]
	v_add_f64 v[160:161], v[8:9], v[166:167]
	v_cvt_f32_f64_e32 v157, v[160:161]
	v_cvt_f32_f64_e32 v158, v[158:159]
	v_min3_f32 v140, v157, v158, v140
	;; [unrolled: 5-line block ×4, first 2 shown]
	s_waitcnt lgkmcnt(12)
	v_add_f64 v[158:159], v[14:15], v[66:67]
	v_add_f64 v[160:161], v[12:13], v[64:65]
	v_cvt_f32_f64_e32 v157, v[160:161]
	v_cvt_f32_f64_e32 v158, v[158:159]
	v_min3_f32 v137, v157, v158, v137
	v_add_f64 v[158:159], v[10:11], v[66:67]
	v_add_f64 v[160:161], v[8:9], v[64:65]
	v_cvt_f32_f64_e32 v157, v[160:161]
	v_cvt_f32_f64_e32 v158, v[158:159]
	v_min3_f32 v136, v157, v158, v136
	v_add_f64 v[158:159], v[6:7], v[66:67]
	v_add_f64 v[160:161], v[4:5], v[64:65]
	v_add_f64 v[66:67], v[2:3], v[66:67]
	v_add_f64 v[64:65], v[0:1], v[64:65]
	v_cvt_f32_f64_e32 v64, v[64:65]
	v_cvt_f32_f64_e32 v65, v[66:67]
	v_min3_f32 v134, v64, v65, v134
	s_waitcnt lgkmcnt(11)
	v_add_f64 v[64:65], v[14:15], v[62:63]
	v_add_f64 v[66:67], v[12:13], v[60:61]
	v_cvt_f32_f64_e32 v66, v[66:67]
	v_cvt_f32_f64_e32 v64, v[64:65]
	v_min3_f32 v133, v66, v64, v133
	v_add_f64 v[64:65], v[10:11], v[62:63]
	v_add_f64 v[66:67], v[8:9], v[60:61]
	v_cvt_f32_f64_e32 v66, v[66:67]
	v_cvt_f32_f64_e32 v64, v[64:65]
	v_min3_f32 v132, v66, v64, v132
	v_add_f64 v[64:65], v[6:7], v[62:63]
	v_add_f64 v[66:67], v[4:5], v[60:61]
	v_add_f64 v[62:63], v[2:3], v[62:63]
	v_add_f64 v[60:61], v[0:1], v[60:61]
	v_cvt_f32_f64_e32 v60, v[60:61]
	v_cvt_f32_f64_e32 v61, v[62:63]
	v_min3_f32 v130, v60, v61, v130
	;; [unrolled: 18-line block ×11, first 2 shown]
	s_waitcnt lgkmcnt(1)
	v_add_f64 v[24:25], v[14:15], v[22:23]
	v_add_f64 v[26:27], v[12:13], v[20:21]
	v_cvt_f32_f64_e32 v26, v[26:27]
	v_cvt_f32_f64_e32 v24, v[24:25]
	v_min3_f32 v93, v26, v24, v93
	v_add_f64 v[24:25], v[10:11], v[22:23]
	v_add_f64 v[26:27], v[8:9], v[20:21]
	v_cvt_f32_f64_e32 v26, v[26:27]
	v_cvt_f32_f64_e32 v24, v[24:25]
	v_min3_f32 v92, v26, v24, v92
	v_add_f64 v[24:25], v[6:7], v[22:23]
	v_add_f64 v[26:27], v[4:5], v[20:21]
	v_add_f64 v[22:23], v[2:3], v[22:23]
	v_add_f64 v[20:21], v[0:1], v[20:21]
	s_waitcnt lgkmcnt(0)
	v_add_f64 v[14:15], v[14:15], v[18:19]
	v_add_f64 v[12:13], v[12:13], v[16:17]
	;; [unrolled: 1-line block ×8, first 2 shown]
	v_cvt_f32_f64_e32 v157, v[160:161]
	v_cvt_f32_f64_e32 v158, v[158:159]
	;; [unrolled: 1-line block ×34, first 2 shown]
	v_min3_f32 v135, v157, v158, v135
	v_min3_f32 v131, v66, v64, v131
	;; [unrolled: 1-line block ×17, first 2 shown]
	s_mov_b32 s27, 2
	s_mov_b64 s[12:13], 0
	s_cbranch_vccz .LBB164_28
; %bb.29:                               ;   in Loop: Header=BB164_22 Depth=1
	s_and_b64 vcc, exec, s[4:5]
	ds_write2st64_b64 v153, v[78:79], v[80:81] offset1:4
	ds_write2st64_b64 v154, v[82:83], v[84:85] offset1:4
	s_waitcnt lgkmcnt(0)
	s_barrier
	s_cbranch_vccnz .LBB164_32
; %bb.30:                               ;   in Loop: Header=BB164_22 Depth=1
	v_lshl_add_u64 v[0:1], v[76:77], 3, s[20:21]
	v_lshl_add_u64 v[2:3], v[68:69], 3, v[0:1]
	;; [unrolled: 1-line block ×3, first 2 shown]
	flat_load_dwordx2 v[4:5], v[2:3] offset:32
	flat_load_dwordx2 v[6:7], v[0:1] offset:32
	s_waitcnt vmcnt(0) lgkmcnt(0)
	v_mul_f64 v[78:79], v[4:5], s[16:17]
	v_mul_f64 v[80:81], v[6:7], s[16:17]
	s_and_b64 vcc, exec, s[4:5]
	s_cbranch_vccnz .LBB164_33
.LBB164_31:                             ;   in Loop: Header=BB164_22 Depth=1
	v_lshl_add_u64 v[0:1], v[76:77], 3, s[22:23]
	v_lshl_add_u64 v[2:3], v[72:73], 3, v[0:1]
	;; [unrolled: 1-line block ×3, first 2 shown]
	flat_load_dwordx2 v[4:5], v[2:3] offset:32
	flat_load_dwordx2 v[6:7], v[0:1] offset:32
	s_waitcnt vmcnt(0) lgkmcnt(0)
	v_mul_f64 v[82:83], v[4:5], s[16:17]
	v_mul_f64 v[84:85], v[6:7], s[16:17]
	s_branch .LBB164_34
.LBB164_32:                             ;   in Loop: Header=BB164_22 Depth=1
	v_mov_b64_e32 v[78:79], 0
	v_mov_b64_e32 v[80:81], 0
	s_and_b64 vcc, exec, s[4:5]
	s_cbranch_vccz .LBB164_31
.LBB164_33:                             ;   in Loop: Header=BB164_22 Depth=1
	v_mov_b64_e32 v[82:83], 0
	v_mov_b64_e32 v[84:85], 0
.LBB164_34:                             ;   in Loop: Header=BB164_22 Depth=1
	s_mov_b32 s27, 0
	s_mov_b64 s[12:13], -1
.LBB164_35:                             ;   Parent Loop BB164_22 Depth=1
                                        ; =>  This Inner Loop Header: Depth=2
	v_cndmask_b32_e64 v0, 0, 1, s[12:13]
	s_lshl_b32 s12, s27, 3
	v_cmp_ne_u32_e32 vcc, 1, v0
	v_lshl_add_u32 v0, v143, 5, s12
	ds_read_b128 v[12:15], v0
	ds_read_b128 v[8:11], v0 offset:1024
	ds_read_b128 v[4:7], v0 offset:2048
	;; [unrolled: 1-line block ×3, first 2 shown]
	v_lshl_add_u32 v16, v144, 5, s12
	ds_read_b128 v[158:161], v16 offset:8192
	ds_read_b128 v[162:165], v16 offset:8448
	;; [unrolled: 1-line block ×16, first 2 shown]
	s_waitcnt lgkmcnt(14)
	v_add_f64 v[170:171], v[14:15], v[160:161]
	v_add_f64 v[172:173], v[12:13], v[158:159]
	v_cvt_f32_f64_e32 v76, v[172:173]
	v_cvt_f32_f64_e32 v157, v[170:171]
	v_add_f64 v[170:171], v[10:11], v[160:161]
	v_add_f64 v[172:173], v[8:9], v[158:159]
	v_min3_f32 v151, v76, v157, v151
	v_cvt_f32_f64_e32 v76, v[172:173]
	v_cvt_f32_f64_e32 v157, v[170:171]
	v_add_f64 v[170:171], v[6:7], v[160:161]
	v_add_f64 v[172:173], v[4:5], v[158:159]
	v_min3_f32 v150, v76, v157, v150
	;; [unrolled: 5-line block ×7, first 2 shown]
	v_cvt_f32_f64_e32 v76, v[160:161]
	v_cvt_f32_f64_e32 v157, v[158:159]
	s_waitcnt lgkmcnt(13)
	v_add_f64 v[158:159], v[14:15], v[168:169]
	v_add_f64 v[160:161], v[12:13], v[166:167]
	v_min3_f32 v142, v76, v157, v142
	v_cvt_f32_f64_e32 v76, v[160:161]
	v_cvt_f32_f64_e32 v157, v[158:159]
	v_add_f64 v[158:159], v[10:11], v[168:169]
	v_add_f64 v[160:161], v[8:9], v[166:167]
	v_min3_f32 v141, v76, v157, v141
	v_cvt_f32_f64_e32 v76, v[160:161]
	v_cvt_f32_f64_e32 v157, v[158:159]
	;; [unrolled: 5-line block ×4, first 2 shown]
	s_waitcnt lgkmcnt(12)
	v_add_f64 v[158:159], v[14:15], v[66:67]
	v_add_f64 v[160:161], v[12:13], v[64:65]
	v_min3_f32 v138, v76, v157, v138
	v_cvt_f32_f64_e32 v76, v[160:161]
	v_cvt_f32_f64_e32 v157, v[158:159]
	v_add_f64 v[158:159], v[10:11], v[66:67]
	v_add_f64 v[160:161], v[8:9], v[64:65]
	v_min3_f32 v137, v76, v157, v137
	v_cvt_f32_f64_e32 v76, v[160:161]
	v_cvt_f32_f64_e32 v157, v[158:159]
	v_add_f64 v[158:159], v[6:7], v[66:67]
	v_add_f64 v[160:161], v[4:5], v[64:65]
	v_add_f64 v[66:67], v[2:3], v[66:67]
	v_add_f64 v[64:65], v[0:1], v[64:65]
	v_cvt_f32_f64_e32 v64, v[64:65]
	v_cvt_f32_f64_e32 v65, v[66:67]
	v_min3_f32 v134, v64, v65, v134
	s_waitcnt lgkmcnt(11)
	v_add_f64 v[64:65], v[14:15], v[62:63]
	v_add_f64 v[66:67], v[12:13], v[60:61]
	v_cvt_f32_f64_e32 v66, v[66:67]
	v_cvt_f32_f64_e32 v64, v[64:65]
	v_min3_f32 v133, v66, v64, v133
	v_add_f64 v[64:65], v[10:11], v[62:63]
	v_add_f64 v[66:67], v[8:9], v[60:61]
	v_cvt_f32_f64_e32 v66, v[66:67]
	v_cvt_f32_f64_e32 v64, v[64:65]
	v_min3_f32 v132, v66, v64, v132
	v_add_f64 v[64:65], v[6:7], v[62:63]
	v_add_f64 v[66:67], v[4:5], v[60:61]
	v_add_f64 v[62:63], v[2:3], v[62:63]
	v_add_f64 v[60:61], v[0:1], v[60:61]
	v_cvt_f32_f64_e32 v60, v[60:61]
	v_cvt_f32_f64_e32 v61, v[62:63]
	v_min3_f32 v130, v60, v61, v130
	s_waitcnt lgkmcnt(10)
	v_add_f64 v[60:61], v[14:15], v[58:59]
	v_add_f64 v[62:63], v[12:13], v[56:57]
	v_cvt_f32_f64_e32 v62, v[62:63]
	v_cvt_f32_f64_e32 v60, v[60:61]
	v_min3_f32 v129, v62, v60, v129
	v_add_f64 v[60:61], v[10:11], v[58:59]
	v_add_f64 v[62:63], v[8:9], v[56:57]
	v_cvt_f32_f64_e32 v62, v[62:63]
	v_cvt_f32_f64_e32 v60, v[60:61]
	v_min3_f32 v128, v62, v60, v128
	;; [unrolled: 18-line block ×11, first 2 shown]
	v_add_f64 v[24:25], v[6:7], v[22:23]
	v_add_f64 v[26:27], v[4:5], v[20:21]
	;; [unrolled: 1-line block ×4, first 2 shown]
	s_waitcnt lgkmcnt(0)
	v_add_f64 v[14:15], v[14:15], v[18:19]
	v_add_f64 v[12:13], v[12:13], v[16:17]
	;; [unrolled: 1-line block ×8, first 2 shown]
	v_min3_f32 v136, v76, v157, v136
	v_cvt_f32_f64_e32 v76, v[160:161]
	v_cvt_f32_f64_e32 v157, v[158:159]
	;; [unrolled: 1-line block ×34, first 2 shown]
	v_min3_f32 v135, v76, v157, v135
	v_min3_f32 v131, v66, v64, v131
	;; [unrolled: 1-line block ×17, first 2 shown]
	s_mov_b32 s27, 2
	s_mov_b64 s[12:13], 0
	s_cbranch_vccz .LBB164_35
; %bb.36:                               ;   in Loop: Header=BB164_22 Depth=1
	s_add_i32 s24, s24, 8
	s_add_i32 s26, s26, 8
	s_cmp_ge_i32 s26, s25
	ds_write2st64_b64 v155, v[78:79], v[80:81] offset1:4
	ds_write2st64_b64 v156, v[82:83], v[84:85] offset1:4
	s_waitcnt lgkmcnt(0)
	s_barrier
	s_cbranch_scc0 .LBB164_22
.LBB164_37:
	s_mov_b32 s12, 0
	s_mov_b64 s[4:5], -1
.LBB164_38:                             ; =>This Inner Loop Header: Depth=1
	v_cndmask_b32_e64 v0, 0, 1, s[4:5]
	s_lshl_b32 s4, s12, 3
	v_cmp_ne_u32_e32 vcc, 1, v0
	v_lshl_add_u32 v0, v143, 5, s4
	ds_read_b128 v[12:15], v0 offset:4096
	ds_read_b128 v[8:11], v0 offset:5120
	;; [unrolled: 1-line block ×4, first 2 shown]
	v_lshl_add_u32 v16, v144, 5, s4
	ds_read_b128 v[68:71], v16 offset:12288
	ds_read_b128 v[72:75], v16 offset:12544
	;; [unrolled: 1-line block ×16, first 2 shown]
	s_waitcnt lgkmcnt(14)
	v_add_f64 v[80:81], v[14:15], v[70:71]
	v_add_f64 v[82:83], v[12:13], v[68:69]
	v_cvt_f32_f64_e32 v82, v[82:83]
	v_cvt_f32_f64_e32 v80, v[80:81]
	v_min3_f32 v151, v82, v80, v151
	v_add_f64 v[80:81], v[10:11], v[70:71]
	v_add_f64 v[82:83], v[8:9], v[68:69]
	v_cvt_f32_f64_e32 v82, v[82:83]
	v_cvt_f32_f64_e32 v80, v[80:81]
	v_min3_f32 v150, v82, v80, v150
	v_add_f64 v[80:81], v[6:7], v[70:71]
	v_add_f64 v[82:83], v[4:5], v[68:69]
	;; [unrolled: 1-line block ×4, first 2 shown]
	v_cvt_f32_f64_e32 v68, v[68:69]
	v_cvt_f32_f64_e32 v69, v[70:71]
	v_min3_f32 v148, v68, v69, v148
	v_add_f64 v[68:69], v[14:15], v[74:75]
	v_add_f64 v[70:71], v[12:13], v[72:73]
	v_cvt_f32_f64_e32 v70, v[70:71]
	v_cvt_f32_f64_e32 v68, v[68:69]
	v_min3_f32 v147, v70, v68, v147
	v_add_f64 v[68:69], v[10:11], v[74:75]
	v_add_f64 v[70:71], v[8:9], v[72:73]
	;; [unrolled: 5-line block ×4, first 2 shown]
	v_cvt_f32_f64_e32 v70, v[70:71]
	v_cvt_f32_f64_e32 v68, v[68:69]
	v_min3_f32 v142, v70, v68, v142
	s_waitcnt lgkmcnt(13)
	v_add_f64 v[68:69], v[14:15], v[78:79]
	v_add_f64 v[70:71], v[12:13], v[76:77]
	v_cvt_f32_f64_e32 v70, v[70:71]
	v_cvt_f32_f64_e32 v68, v[68:69]
	v_min3_f32 v141, v70, v68, v141
	v_add_f64 v[68:69], v[10:11], v[78:79]
	v_add_f64 v[70:71], v[8:9], v[76:77]
	v_cvt_f32_f64_e32 v70, v[70:71]
	v_cvt_f32_f64_e32 v68, v[68:69]
	v_min3_f32 v140, v70, v68, v140
	;; [unrolled: 5-line block ×4, first 2 shown]
	s_waitcnt lgkmcnt(12)
	v_add_f64 v[68:69], v[14:15], v[66:67]
	v_add_f64 v[70:71], v[12:13], v[64:65]
	v_cvt_f32_f64_e32 v70, v[70:71]
	v_cvt_f32_f64_e32 v68, v[68:69]
	v_min3_f32 v137, v70, v68, v137
	v_add_f64 v[68:69], v[10:11], v[66:67]
	v_add_f64 v[70:71], v[8:9], v[64:65]
	v_cvt_f32_f64_e32 v70, v[70:71]
	v_cvt_f32_f64_e32 v68, v[68:69]
	v_min3_f32 v136, v70, v68, v136
	v_add_f64 v[68:69], v[6:7], v[66:67]
	v_add_f64 v[70:71], v[4:5], v[64:65]
	v_add_f64 v[66:67], v[2:3], v[66:67]
	v_add_f64 v[64:65], v[0:1], v[64:65]
	v_cvt_f32_f64_e32 v64, v[64:65]
	v_cvt_f32_f64_e32 v65, v[66:67]
	v_min3_f32 v134, v64, v65, v134
	s_waitcnt lgkmcnt(11)
	v_add_f64 v[64:65], v[14:15], v[62:63]
	v_add_f64 v[66:67], v[12:13], v[60:61]
	v_cvt_f32_f64_e32 v66, v[66:67]
	v_cvt_f32_f64_e32 v64, v[64:65]
	v_min3_f32 v133, v66, v64, v133
	v_add_f64 v[64:65], v[10:11], v[62:63]
	v_add_f64 v[66:67], v[8:9], v[60:61]
	v_cvt_f32_f64_e32 v66, v[66:67]
	v_cvt_f32_f64_e32 v64, v[64:65]
	v_min3_f32 v132, v66, v64, v132
	v_add_f64 v[64:65], v[6:7], v[62:63]
	v_add_f64 v[66:67], v[4:5], v[60:61]
	v_add_f64 v[62:63], v[2:3], v[62:63]
	v_add_f64 v[60:61], v[0:1], v[60:61]
	v_cvt_f32_f64_e32 v60, v[60:61]
	v_cvt_f32_f64_e32 v61, v[62:63]
	v_min3_f32 v130, v60, v61, v130
	;; [unrolled: 18-line block ×11, first 2 shown]
	s_waitcnt lgkmcnt(1)
	v_add_f64 v[24:25], v[14:15], v[22:23]
	v_add_f64 v[26:27], v[12:13], v[20:21]
	v_cvt_f32_f64_e32 v26, v[26:27]
	v_cvt_f32_f64_e32 v24, v[24:25]
	v_min3_f32 v93, v26, v24, v93
	v_add_f64 v[24:25], v[10:11], v[22:23]
	v_add_f64 v[26:27], v[8:9], v[20:21]
	v_cvt_f32_f64_e32 v26, v[26:27]
	v_cvt_f32_f64_e32 v24, v[24:25]
	v_min3_f32 v92, v26, v24, v92
	v_add_f64 v[24:25], v[6:7], v[22:23]
	v_add_f64 v[26:27], v[4:5], v[20:21]
	;; [unrolled: 1-line block ×4, first 2 shown]
	s_waitcnt lgkmcnt(0)
	v_add_f64 v[14:15], v[14:15], v[18:19]
	v_add_f64 v[12:13], v[12:13], v[16:17]
	;; [unrolled: 1-line block ×8, first 2 shown]
	v_cvt_f32_f64_e32 v82, v[82:83]
	v_cvt_f32_f64_e32 v80, v[80:81]
	;; [unrolled: 1-line block ×36, first 2 shown]
	v_min3_f32 v149, v82, v80, v149
	v_min3_f32 v135, v70, v68, v135
	;; [unrolled: 1-line block ×18, first 2 shown]
	s_mov_b32 s12, 2
	s_mov_b64 s[4:5], 0
	s_cbranch_vccz .LBB164_38
; %bb.39:
	s_load_dwordx2 s[4:5], s[0:1], 0x78
	s_load_dword s12, s[0:1], 0x58
	s_load_dword s13, s[0:1], 0x70
	v_add_u32_e32 v4, s2, v143
	v_add_u32_e32 v18, s18, v144
	s_waitcnt lgkmcnt(0)
	s_mul_i32 s0, s3, s5
	s_mul_hi_u32 s1, s3, s4
	s_mul_i32 s5, s19, s4
	s_add_i32 s0, s1, s0
	s_add_i32 s1, s0, s5
	s_mul_i32 s0, s3, s4
	s_lshl_b64 s[0:1], s[0:1], 3
	s_add_u32 s0, s14, s0
	s_addc_u32 s1, s15, s1
	v_add_u32_e32 v0, 32, v4
	v_mad_i64_i32 v[2:3], s[2:3], v18, s13, 0
	v_ashrrev_i32_e32 v5, 31, v4
	v_ashrrev_i32_e32 v1, 31, v0
	v_lshl_add_u64 v[12:13], v[2:3], 3, s[0:1]
	v_mad_i64_i32 v[2:3], s[2:3], v18, s12, 0
	v_max_f32_e32 v6, v151, v151
	s_mov_b64 vcc, s[6:7]
	s_cbranch_vccz .LBB164_42
; %bb.40:
	v_min_f32_e32 v7, 0, v6
	v_cvt_f64_f32_e32 v[8:9], v7
	v_lshl_add_u64 v[10:11], v[4:5], 3, v[12:13]
	global_store_dwordx2 v[10:11], v[8:9], off
	s_mov_b64 s[2:3], 0
	v_lshl_add_u64 v[14:15], v[2:3], 3, s[8:9]
	v_lshlrev_b64 v[8:9], 3, v[4:5]
	s_cbranch_execz .LBB164_43
; %bb.41:
	v_mov_b64_e32 v[10:11], s[2:3]
	s_branch .LBB164_44
.LBB164_42:
                                        ; implicit-def: $sgpr2_sgpr3
	v_lshl_add_u64 v[14:15], v[2:3], 3, s[8:9]
	v_lshlrev_b64 v[8:9], 3, v[4:5]
.LBB164_43:
	v_lshl_add_u64 v[2:3], v[14:15], 0, v[8:9]
	flat_load_dwordx2 v[2:3], v[2:3]
	v_lshl_add_u64 v[10:11], v[12:13], 0, v[8:9]
	s_waitcnt vmcnt(0) lgkmcnt(0)
	v_mul_f64 v[2:3], v[2:3], s[10:11]
	v_cvt_f32_f64_e32 v2, v[2:3]
	v_min_f32_e32 v2, v2, v6
	v_cvt_f64_f32_e32 v[2:3], v2
	global_store_dwordx2 v[10:11], v[2:3], off
	v_lshl_add_u64 v[2:3], v[0:1], 3, v[14:15]
	flat_load_dwordx2 v[2:3], v[2:3]
	s_waitcnt vmcnt(0) lgkmcnt(0)
	v_mul_f64 v[10:11], v[2:3], s[10:11]
.LBB164_44:
	v_cvt_f32_f64_e32 v10, v[10:11]
	v_max_f32_e32 v11, v150, v150
	v_min_f32_e32 v10, v10, v11
	v_add_u32_e32 v6, 64, v4
	v_add_u32_e32 v2, 0x60, v4
	v_cvt_f64_f32_e32 v[10:11], v10
	v_lshl_add_u64 v[16:17], v[0:1], 3, v[12:13]
	v_ashrrev_i32_e32 v7, 31, v6
	v_ashrrev_i32_e32 v3, 31, v2
	global_store_dwordx2 v[16:17], v[10:11], off
	v_max_f32_e32 v16, v149, v149
	s_mov_b64 vcc, s[6:7]
	s_cbranch_vccz .LBB164_47
; %bb.45:
	v_min_f32_e32 v10, 0, v16
	v_cvt_f64_f32_e32 v[10:11], v10
	v_lshl_add_u64 v[20:21], v[6:7], 3, v[12:13]
	global_store_dwordx2 v[20:21], v[10:11], off
	s_mov_b64 s[2:3], 0
	v_lshlrev_b64 v[10:11], 3, v[6:7]
	s_cbranch_execz .LBB164_48
; %bb.46:
	v_mov_b64_e32 v[14:15], s[2:3]
	s_branch .LBB164_49
.LBB164_47:
                                        ; implicit-def: $sgpr2_sgpr3
	v_lshlrev_b64 v[10:11], 3, v[6:7]
.LBB164_48:
	v_lshl_add_u64 v[20:21], v[14:15], 0, v[10:11]
	flat_load_dwordx2 v[20:21], v[20:21]
	v_lshl_add_u64 v[22:23], v[12:13], 0, v[10:11]
	v_lshl_add_u64 v[14:15], v[2:3], 3, v[14:15]
	s_waitcnt vmcnt(0) lgkmcnt(0)
	v_mul_f64 v[20:21], v[20:21], s[10:11]
	v_cvt_f32_f64_e32 v17, v[20:21]
	v_min_f32_e32 v16, v17, v16
	v_cvt_f64_f32_e32 v[16:17], v16
	global_store_dwordx2 v[22:23], v[16:17], off
	flat_load_dwordx2 v[14:15], v[14:15]
	s_waitcnt vmcnt(0) lgkmcnt(0)
	v_mul_f64 v[14:15], v[14:15], s[10:11]
.LBB164_49:
	v_cvt_f32_f64_e32 v14, v[14:15]
	v_max_f32_e32 v15, v148, v148
	v_min_f32_e32 v14, v14, v15
	v_cvt_f64_f32_e32 v[14:15], v14
	v_lshl_add_u64 v[12:13], v[2:3], 3, v[12:13]
	global_store_dwordx2 v[12:13], v[14:15], off
	v_add_u32_e32 v14, 8, v18
	v_mad_i64_i32 v[12:13], s[2:3], v14, s13, 0
	v_lshl_add_u64 v[12:13], v[12:13], 3, s[0:1]
	v_mad_i64_i32 v[14:15], s[2:3], v14, s12, 0
	v_max_f32_e32 v16, v147, v147
	s_mov_b64 vcc, s[6:7]
	s_cbranch_vccz .LBB164_52
; %bb.50:
	v_min_f32_e32 v17, 0, v16
	v_cvt_f64_f32_e32 v[20:21], v17
	v_lshl_add_u64 v[22:23], v[4:5], 3, v[12:13]
	global_store_dwordx2 v[22:23], v[20:21], off
	s_mov_b64 s[2:3], 0
	v_lshl_add_u64 v[14:15], v[14:15], 3, s[8:9]
	s_cbranch_execz .LBB164_53
; %bb.51:
	v_mov_b64_e32 v[16:17], s[2:3]
	s_branch .LBB164_54
.LBB164_52:
                                        ; implicit-def: $sgpr2_sgpr3
	v_lshl_add_u64 v[14:15], v[14:15], 3, s[8:9]
.LBB164_53:
	v_lshl_add_u64 v[20:21], v[14:15], 0, v[8:9]
	flat_load_dwordx2 v[20:21], v[20:21]
	v_lshl_add_u64 v[22:23], v[12:13], 0, v[8:9]
	s_waitcnt vmcnt(0) lgkmcnt(0)
	v_mul_f64 v[20:21], v[20:21], s[10:11]
	v_cvt_f32_f64_e32 v17, v[20:21]
	v_min_f32_e32 v16, v17, v16
	v_cvt_f64_f32_e32 v[16:17], v16
	global_store_dwordx2 v[22:23], v[16:17], off
	v_lshl_add_u64 v[16:17], v[0:1], 3, v[14:15]
	flat_load_dwordx2 v[16:17], v[16:17]
	s_waitcnt vmcnt(0) lgkmcnt(0)
	v_mul_f64 v[16:17], v[16:17], s[10:11]
.LBB164_54:
	v_cvt_f32_f64_e32 v16, v[16:17]
	v_max_f32_e32 v17, v146, v146
	v_min_f32_e32 v16, v16, v17
	v_cvt_f64_f32_e32 v[16:17], v16
	v_lshl_add_u64 v[20:21], v[0:1], 3, v[12:13]
	global_store_dwordx2 v[20:21], v[16:17], off
	v_max_f32_e32 v16, v145, v145
	s_mov_b64 vcc, s[6:7]
	s_cbranch_vccz .LBB164_57
; %bb.55:
	v_min_f32_e32 v17, 0, v16
	v_cvt_f64_f32_e32 v[20:21], v17
	v_lshl_add_u64 v[22:23], v[6:7], 3, v[12:13]
	global_store_dwordx2 v[22:23], v[20:21], off
	s_mov_b64 s[2:3], 0
	s_cbranch_execz .LBB164_58
; %bb.56:
	v_mov_b64_e32 v[14:15], s[2:3]
	s_branch .LBB164_59
.LBB164_57:
                                        ; implicit-def: $sgpr2_sgpr3
.LBB164_58:
	v_lshl_add_u64 v[20:21], v[14:15], 0, v[10:11]
	flat_load_dwordx2 v[20:21], v[20:21]
	v_lshl_add_u64 v[22:23], v[12:13], 0, v[10:11]
	v_lshl_add_u64 v[14:15], v[2:3], 3, v[14:15]
	s_waitcnt vmcnt(0) lgkmcnt(0)
	v_mul_f64 v[20:21], v[20:21], s[10:11]
	v_cvt_f32_f64_e32 v17, v[20:21]
	v_min_f32_e32 v16, v17, v16
	v_cvt_f64_f32_e32 v[16:17], v16
	global_store_dwordx2 v[22:23], v[16:17], off
	flat_load_dwordx2 v[14:15], v[14:15]
	s_waitcnt vmcnt(0) lgkmcnt(0)
	v_mul_f64 v[14:15], v[14:15], s[10:11]
.LBB164_59:
	v_cvt_f32_f64_e32 v14, v[14:15]
	v_max_f32_e32 v15, v142, v142
	v_min_f32_e32 v14, v14, v15
	v_cvt_f64_f32_e32 v[14:15], v14
	v_lshl_add_u64 v[12:13], v[2:3], 3, v[12:13]
	global_store_dwordx2 v[12:13], v[14:15], off
	v_add_u32_e32 v14, 16, v18
	v_mad_i64_i32 v[12:13], s[2:3], v14, s13, 0
	v_lshl_add_u64 v[12:13], v[12:13], 3, s[0:1]
	v_mad_i64_i32 v[14:15], s[2:3], v14, s12, 0
	v_max_f32_e32 v16, v141, v141
	s_mov_b64 vcc, s[6:7]
	s_cbranch_vccz .LBB164_62
; %bb.60:
	v_min_f32_e32 v17, 0, v16
	v_cvt_f64_f32_e32 v[20:21], v17
	v_lshl_add_u64 v[22:23], v[4:5], 3, v[12:13]
	global_store_dwordx2 v[22:23], v[20:21], off
	s_mov_b64 s[2:3], 0
	v_lshl_add_u64 v[14:15], v[14:15], 3, s[8:9]
	s_cbranch_execz .LBB164_63
; %bb.61:
	v_mov_b64_e32 v[16:17], s[2:3]
	s_branch .LBB164_64
.LBB164_62:
                                        ; implicit-def: $sgpr2_sgpr3
	v_lshl_add_u64 v[14:15], v[14:15], 3, s[8:9]
.LBB164_63:
	v_lshl_add_u64 v[20:21], v[14:15], 0, v[8:9]
	flat_load_dwordx2 v[20:21], v[20:21]
	v_lshl_add_u64 v[22:23], v[12:13], 0, v[8:9]
	s_waitcnt vmcnt(0) lgkmcnt(0)
	v_mul_f64 v[20:21], v[20:21], s[10:11]
	v_cvt_f32_f64_e32 v17, v[20:21]
	v_min_f32_e32 v16, v17, v16
	v_cvt_f64_f32_e32 v[16:17], v16
	global_store_dwordx2 v[22:23], v[16:17], off
	v_lshl_add_u64 v[16:17], v[0:1], 3, v[14:15]
	flat_load_dwordx2 v[16:17], v[16:17]
	s_waitcnt vmcnt(0) lgkmcnt(0)
	v_mul_f64 v[16:17], v[16:17], s[10:11]
.LBB164_64:
	v_cvt_f32_f64_e32 v16, v[16:17]
	v_max_f32_e32 v17, v140, v140
	v_min_f32_e32 v16, v16, v17
	v_cvt_f64_f32_e32 v[16:17], v16
	v_lshl_add_u64 v[20:21], v[0:1], 3, v[12:13]
	global_store_dwordx2 v[20:21], v[16:17], off
	v_max_f32_e32 v16, v139, v139
	s_mov_b64 vcc, s[6:7]
	s_cbranch_vccz .LBB164_67
; %bb.65:
	v_min_f32_e32 v17, 0, v16
	v_cvt_f64_f32_e32 v[20:21], v17
	v_lshl_add_u64 v[22:23], v[6:7], 3, v[12:13]
	global_store_dwordx2 v[22:23], v[20:21], off
	s_mov_b64 s[2:3], 0
	s_cbranch_execz .LBB164_68
; %bb.66:
	v_mov_b64_e32 v[14:15], s[2:3]
	s_branch .LBB164_69
.LBB164_67:
                                        ; implicit-def: $sgpr2_sgpr3
.LBB164_68:
	v_lshl_add_u64 v[20:21], v[14:15], 0, v[10:11]
	flat_load_dwordx2 v[20:21], v[20:21]
	v_lshl_add_u64 v[22:23], v[12:13], 0, v[10:11]
	v_lshl_add_u64 v[14:15], v[2:3], 3, v[14:15]
	s_waitcnt vmcnt(0) lgkmcnt(0)
	v_mul_f64 v[20:21], v[20:21], s[10:11]
	v_cvt_f32_f64_e32 v17, v[20:21]
	v_min_f32_e32 v16, v17, v16
	v_cvt_f64_f32_e32 v[16:17], v16
	global_store_dwordx2 v[22:23], v[16:17], off
	flat_load_dwordx2 v[14:15], v[14:15]
	s_waitcnt vmcnt(0) lgkmcnt(0)
	v_mul_f64 v[14:15], v[14:15], s[10:11]
.LBB164_69:
	v_cvt_f32_f64_e32 v14, v[14:15]
	v_max_f32_e32 v15, v138, v138
	v_min_f32_e32 v14, v14, v15
	v_cvt_f64_f32_e32 v[14:15], v14
	v_lshl_add_u64 v[12:13], v[2:3], 3, v[12:13]
	global_store_dwordx2 v[12:13], v[14:15], off
	v_add_u32_e32 v14, 24, v18
	v_mad_i64_i32 v[12:13], s[2:3], v14, s13, 0
	v_lshl_add_u64 v[12:13], v[12:13], 3, s[0:1]
	v_mad_i64_i32 v[14:15], s[2:3], v14, s12, 0
	v_max_f32_e32 v16, v137, v137
	s_mov_b64 vcc, s[6:7]
	s_cbranch_vccz .LBB164_72
; %bb.70:
	v_min_f32_e32 v17, 0, v16
	v_cvt_f64_f32_e32 v[20:21], v17
	v_lshl_add_u64 v[22:23], v[4:5], 3, v[12:13]
	global_store_dwordx2 v[22:23], v[20:21], off
	s_mov_b64 s[2:3], 0
	v_lshl_add_u64 v[14:15], v[14:15], 3, s[8:9]
	s_cbranch_execz .LBB164_73
; %bb.71:
	v_mov_b64_e32 v[16:17], s[2:3]
	s_branch .LBB164_74
.LBB164_72:
                                        ; implicit-def: $sgpr2_sgpr3
	v_lshl_add_u64 v[14:15], v[14:15], 3, s[8:9]
.LBB164_73:
	v_lshl_add_u64 v[20:21], v[14:15], 0, v[8:9]
	flat_load_dwordx2 v[20:21], v[20:21]
	v_lshl_add_u64 v[22:23], v[12:13], 0, v[8:9]
	s_waitcnt vmcnt(0) lgkmcnt(0)
	v_mul_f64 v[20:21], v[20:21], s[10:11]
	v_cvt_f32_f64_e32 v17, v[20:21]
	v_min_f32_e32 v16, v17, v16
	v_cvt_f64_f32_e32 v[16:17], v16
	global_store_dwordx2 v[22:23], v[16:17], off
	v_lshl_add_u64 v[16:17], v[0:1], 3, v[14:15]
	flat_load_dwordx2 v[16:17], v[16:17]
	s_waitcnt vmcnt(0) lgkmcnt(0)
	v_mul_f64 v[16:17], v[16:17], s[10:11]
.LBB164_74:
	v_cvt_f32_f64_e32 v16, v[16:17]
	v_max_f32_e32 v17, v136, v136
	v_min_f32_e32 v16, v16, v17
	v_cvt_f64_f32_e32 v[16:17], v16
	v_lshl_add_u64 v[20:21], v[0:1], 3, v[12:13]
	global_store_dwordx2 v[20:21], v[16:17], off
	v_max_f32_e32 v16, v135, v135
	s_mov_b64 vcc, s[6:7]
	s_cbranch_vccz .LBB164_77
; %bb.75:
	v_min_f32_e32 v17, 0, v16
	v_cvt_f64_f32_e32 v[20:21], v17
	v_lshl_add_u64 v[22:23], v[6:7], 3, v[12:13]
	global_store_dwordx2 v[22:23], v[20:21], off
	s_mov_b64 s[2:3], 0
	s_cbranch_execz .LBB164_78
; %bb.76:
	v_mov_b64_e32 v[14:15], s[2:3]
	s_branch .LBB164_79
.LBB164_77:
                                        ; implicit-def: $sgpr2_sgpr3
.LBB164_78:
	v_lshl_add_u64 v[20:21], v[14:15], 0, v[10:11]
	flat_load_dwordx2 v[20:21], v[20:21]
	v_lshl_add_u64 v[22:23], v[12:13], 0, v[10:11]
	v_lshl_add_u64 v[14:15], v[2:3], 3, v[14:15]
	s_waitcnt vmcnt(0) lgkmcnt(0)
	v_mul_f64 v[20:21], v[20:21], s[10:11]
	v_cvt_f32_f64_e32 v17, v[20:21]
	v_min_f32_e32 v16, v17, v16
	v_cvt_f64_f32_e32 v[16:17], v16
	global_store_dwordx2 v[22:23], v[16:17], off
	flat_load_dwordx2 v[14:15], v[14:15]
	s_waitcnt vmcnt(0) lgkmcnt(0)
	v_mul_f64 v[14:15], v[14:15], s[10:11]
.LBB164_79:
	v_cvt_f32_f64_e32 v14, v[14:15]
	v_max_f32_e32 v15, v134, v134
	v_min_f32_e32 v14, v14, v15
	v_cvt_f64_f32_e32 v[14:15], v14
	v_lshl_add_u64 v[12:13], v[2:3], 3, v[12:13]
	global_store_dwordx2 v[12:13], v[14:15], off
	v_add_u32_e32 v14, 32, v18
	v_mad_i64_i32 v[12:13], s[2:3], v14, s13, 0
	v_lshl_add_u64 v[12:13], v[12:13], 3, s[0:1]
	v_mad_i64_i32 v[14:15], s[2:3], v14, s12, 0
	v_max_f32_e32 v16, v133, v133
	s_mov_b64 vcc, s[6:7]
	s_cbranch_vccz .LBB164_82
; %bb.80:
	v_min_f32_e32 v17, 0, v16
	v_cvt_f64_f32_e32 v[20:21], v17
	v_lshl_add_u64 v[22:23], v[4:5], 3, v[12:13]
	global_store_dwordx2 v[22:23], v[20:21], off
	s_mov_b64 s[2:3], 0
	v_lshl_add_u64 v[14:15], v[14:15], 3, s[8:9]
	s_cbranch_execz .LBB164_83
; %bb.81:
	v_mov_b64_e32 v[16:17], s[2:3]
	s_branch .LBB164_84
.LBB164_82:
                                        ; implicit-def: $sgpr2_sgpr3
	v_lshl_add_u64 v[14:15], v[14:15], 3, s[8:9]
.LBB164_83:
	v_lshl_add_u64 v[20:21], v[14:15], 0, v[8:9]
	flat_load_dwordx2 v[20:21], v[20:21]
	v_lshl_add_u64 v[22:23], v[12:13], 0, v[8:9]
	s_waitcnt vmcnt(0) lgkmcnt(0)
	v_mul_f64 v[20:21], v[20:21], s[10:11]
	v_cvt_f32_f64_e32 v17, v[20:21]
	v_min_f32_e32 v16, v17, v16
	v_cvt_f64_f32_e32 v[16:17], v16
	global_store_dwordx2 v[22:23], v[16:17], off
	v_lshl_add_u64 v[16:17], v[0:1], 3, v[14:15]
	flat_load_dwordx2 v[16:17], v[16:17]
	s_waitcnt vmcnt(0) lgkmcnt(0)
	v_mul_f64 v[16:17], v[16:17], s[10:11]
.LBB164_84:
	v_cvt_f32_f64_e32 v16, v[16:17]
	v_max_f32_e32 v17, v132, v132
	v_min_f32_e32 v16, v16, v17
	v_cvt_f64_f32_e32 v[16:17], v16
	v_lshl_add_u64 v[20:21], v[0:1], 3, v[12:13]
	global_store_dwordx2 v[20:21], v[16:17], off
	v_max_f32_e32 v16, v131, v131
	s_mov_b64 vcc, s[6:7]
	s_cbranch_vccz .LBB164_87
; %bb.85:
	v_min_f32_e32 v17, 0, v16
	v_cvt_f64_f32_e32 v[20:21], v17
	v_lshl_add_u64 v[22:23], v[6:7], 3, v[12:13]
	global_store_dwordx2 v[22:23], v[20:21], off
	s_mov_b64 s[2:3], 0
	s_cbranch_execz .LBB164_88
; %bb.86:
	v_mov_b64_e32 v[14:15], s[2:3]
	s_branch .LBB164_89
.LBB164_87:
                                        ; implicit-def: $sgpr2_sgpr3
.LBB164_88:
	v_lshl_add_u64 v[20:21], v[14:15], 0, v[10:11]
	flat_load_dwordx2 v[20:21], v[20:21]
	v_lshl_add_u64 v[22:23], v[12:13], 0, v[10:11]
	v_lshl_add_u64 v[14:15], v[2:3], 3, v[14:15]
	s_waitcnt vmcnt(0) lgkmcnt(0)
	v_mul_f64 v[20:21], v[20:21], s[10:11]
	v_cvt_f32_f64_e32 v17, v[20:21]
	v_min_f32_e32 v16, v17, v16
	v_cvt_f64_f32_e32 v[16:17], v16
	global_store_dwordx2 v[22:23], v[16:17], off
	flat_load_dwordx2 v[14:15], v[14:15]
	s_waitcnt vmcnt(0) lgkmcnt(0)
	v_mul_f64 v[14:15], v[14:15], s[10:11]
.LBB164_89:
	v_cvt_f32_f64_e32 v14, v[14:15]
	v_max_f32_e32 v15, v130, v130
	v_min_f32_e32 v14, v14, v15
	v_cvt_f64_f32_e32 v[14:15], v14
	v_lshl_add_u64 v[12:13], v[2:3], 3, v[12:13]
	global_store_dwordx2 v[12:13], v[14:15], off
	v_add_u32_e32 v14, 40, v18
	v_mad_i64_i32 v[12:13], s[2:3], v14, s13, 0
	v_lshl_add_u64 v[12:13], v[12:13], 3, s[0:1]
	v_mad_i64_i32 v[14:15], s[2:3], v14, s12, 0
	v_max_f32_e32 v16, v129, v129
	s_mov_b64 vcc, s[6:7]
	s_cbranch_vccz .LBB164_92
; %bb.90:
	v_min_f32_e32 v17, 0, v16
	v_cvt_f64_f32_e32 v[20:21], v17
	v_lshl_add_u64 v[22:23], v[4:5], 3, v[12:13]
	global_store_dwordx2 v[22:23], v[20:21], off
	s_mov_b64 s[2:3], 0
	v_lshl_add_u64 v[14:15], v[14:15], 3, s[8:9]
	s_cbranch_execz .LBB164_93
; %bb.91:
	v_mov_b64_e32 v[16:17], s[2:3]
	s_branch .LBB164_94
.LBB164_92:
                                        ; implicit-def: $sgpr2_sgpr3
	v_lshl_add_u64 v[14:15], v[14:15], 3, s[8:9]
.LBB164_93:
	v_lshl_add_u64 v[20:21], v[14:15], 0, v[8:9]
	flat_load_dwordx2 v[20:21], v[20:21]
	v_lshl_add_u64 v[22:23], v[12:13], 0, v[8:9]
	s_waitcnt vmcnt(0) lgkmcnt(0)
	v_mul_f64 v[20:21], v[20:21], s[10:11]
	v_cvt_f32_f64_e32 v17, v[20:21]
	v_min_f32_e32 v16, v17, v16
	v_cvt_f64_f32_e32 v[16:17], v16
	global_store_dwordx2 v[22:23], v[16:17], off
	v_lshl_add_u64 v[16:17], v[0:1], 3, v[14:15]
	flat_load_dwordx2 v[16:17], v[16:17]
	s_waitcnt vmcnt(0) lgkmcnt(0)
	v_mul_f64 v[16:17], v[16:17], s[10:11]
.LBB164_94:
	v_cvt_f32_f64_e32 v16, v[16:17]
	v_max_f32_e32 v17, v128, v128
	v_min_f32_e32 v16, v16, v17
	v_cvt_f64_f32_e32 v[16:17], v16
	v_lshl_add_u64 v[20:21], v[0:1], 3, v[12:13]
	global_store_dwordx2 v[20:21], v[16:17], off
	v_max_f32_e32 v16, v127, v127
	s_mov_b64 vcc, s[6:7]
	s_cbranch_vccz .LBB164_97
; %bb.95:
	v_min_f32_e32 v17, 0, v16
	v_cvt_f64_f32_e32 v[20:21], v17
	v_lshl_add_u64 v[22:23], v[6:7], 3, v[12:13]
	global_store_dwordx2 v[22:23], v[20:21], off
	s_mov_b64 s[2:3], 0
	s_cbranch_execz .LBB164_98
; %bb.96:
	v_mov_b64_e32 v[14:15], s[2:3]
	s_branch .LBB164_99
.LBB164_97:
                                        ; implicit-def: $sgpr2_sgpr3
.LBB164_98:
	v_lshl_add_u64 v[20:21], v[14:15], 0, v[10:11]
	flat_load_dwordx2 v[20:21], v[20:21]
	v_lshl_add_u64 v[22:23], v[12:13], 0, v[10:11]
	v_lshl_add_u64 v[14:15], v[2:3], 3, v[14:15]
	s_waitcnt vmcnt(0) lgkmcnt(0)
	v_mul_f64 v[20:21], v[20:21], s[10:11]
	v_cvt_f32_f64_e32 v17, v[20:21]
	v_min_f32_e32 v16, v17, v16
	v_cvt_f64_f32_e32 v[16:17], v16
	global_store_dwordx2 v[22:23], v[16:17], off
	flat_load_dwordx2 v[14:15], v[14:15]
	s_waitcnt vmcnt(0) lgkmcnt(0)
	v_mul_f64 v[14:15], v[14:15], s[10:11]
.LBB164_99:
	v_cvt_f32_f64_e32 v14, v[14:15]
	v_max_f32_e32 v15, v126, v126
	v_min_f32_e32 v14, v14, v15
	v_cvt_f64_f32_e32 v[14:15], v14
	v_lshl_add_u64 v[12:13], v[2:3], 3, v[12:13]
	global_store_dwordx2 v[12:13], v[14:15], off
	v_add_u32_e32 v14, 48, v18
	v_mad_i64_i32 v[12:13], s[2:3], v14, s13, 0
	v_lshl_add_u64 v[12:13], v[12:13], 3, s[0:1]
	v_mad_i64_i32 v[14:15], s[2:3], v14, s12, 0
	v_max_f32_e32 v16, v125, v125
	s_mov_b64 vcc, s[6:7]
	s_cbranch_vccz .LBB164_102
; %bb.100:
	v_min_f32_e32 v17, 0, v16
	v_cvt_f64_f32_e32 v[20:21], v17
	v_lshl_add_u64 v[22:23], v[4:5], 3, v[12:13]
	global_store_dwordx2 v[22:23], v[20:21], off
	s_mov_b64 s[2:3], 0
	v_lshl_add_u64 v[14:15], v[14:15], 3, s[8:9]
	s_cbranch_execz .LBB164_103
; %bb.101:
	v_mov_b64_e32 v[16:17], s[2:3]
	s_branch .LBB164_104
.LBB164_102:
                                        ; implicit-def: $sgpr2_sgpr3
	v_lshl_add_u64 v[14:15], v[14:15], 3, s[8:9]
.LBB164_103:
	v_lshl_add_u64 v[20:21], v[14:15], 0, v[8:9]
	flat_load_dwordx2 v[20:21], v[20:21]
	v_lshl_add_u64 v[22:23], v[12:13], 0, v[8:9]
	s_waitcnt vmcnt(0) lgkmcnt(0)
	v_mul_f64 v[20:21], v[20:21], s[10:11]
	v_cvt_f32_f64_e32 v17, v[20:21]
	v_min_f32_e32 v16, v17, v16
	v_cvt_f64_f32_e32 v[16:17], v16
	global_store_dwordx2 v[22:23], v[16:17], off
	v_lshl_add_u64 v[16:17], v[0:1], 3, v[14:15]
	flat_load_dwordx2 v[16:17], v[16:17]
	s_waitcnt vmcnt(0) lgkmcnt(0)
	v_mul_f64 v[16:17], v[16:17], s[10:11]
.LBB164_104:
	v_cvt_f32_f64_e32 v16, v[16:17]
	v_max_f32_e32 v17, v124, v124
	v_min_f32_e32 v16, v16, v17
	v_cvt_f64_f32_e32 v[16:17], v16
	v_lshl_add_u64 v[20:21], v[0:1], 3, v[12:13]
	global_store_dwordx2 v[20:21], v[16:17], off
	v_max_f32_e32 v16, v123, v123
	s_mov_b64 vcc, s[6:7]
	s_cbranch_vccz .LBB164_107
; %bb.105:
	v_min_f32_e32 v17, 0, v16
	v_cvt_f64_f32_e32 v[20:21], v17
	v_lshl_add_u64 v[22:23], v[6:7], 3, v[12:13]
	global_store_dwordx2 v[22:23], v[20:21], off
	s_mov_b64 s[2:3], 0
	s_cbranch_execz .LBB164_108
; %bb.106:
	v_mov_b64_e32 v[14:15], s[2:3]
	s_branch .LBB164_109
.LBB164_107:
                                        ; implicit-def: $sgpr2_sgpr3
.LBB164_108:
	v_lshl_add_u64 v[20:21], v[14:15], 0, v[10:11]
	flat_load_dwordx2 v[20:21], v[20:21]
	v_lshl_add_u64 v[22:23], v[12:13], 0, v[10:11]
	v_lshl_add_u64 v[14:15], v[2:3], 3, v[14:15]
	s_waitcnt vmcnt(0) lgkmcnt(0)
	v_mul_f64 v[20:21], v[20:21], s[10:11]
	v_cvt_f32_f64_e32 v17, v[20:21]
	v_min_f32_e32 v16, v17, v16
	v_cvt_f64_f32_e32 v[16:17], v16
	global_store_dwordx2 v[22:23], v[16:17], off
	flat_load_dwordx2 v[14:15], v[14:15]
	s_waitcnt vmcnt(0) lgkmcnt(0)
	v_mul_f64 v[14:15], v[14:15], s[10:11]
.LBB164_109:
	v_cvt_f32_f64_e32 v14, v[14:15]
	v_max_f32_e32 v15, v122, v122
	v_min_f32_e32 v14, v14, v15
	v_cvt_f64_f32_e32 v[14:15], v14
	v_lshl_add_u64 v[12:13], v[2:3], 3, v[12:13]
	global_store_dwordx2 v[12:13], v[14:15], off
	v_add_u32_e32 v14, 56, v18
	v_mad_i64_i32 v[12:13], s[2:3], v14, s13, 0
	v_lshl_add_u64 v[12:13], v[12:13], 3, s[0:1]
	v_mad_i64_i32 v[14:15], s[2:3], v14, s12, 0
	v_max_f32_e32 v16, v121, v121
	s_mov_b64 vcc, s[6:7]
	s_cbranch_vccz .LBB164_112
; %bb.110:
	v_min_f32_e32 v17, 0, v16
	v_cvt_f64_f32_e32 v[20:21], v17
	v_lshl_add_u64 v[22:23], v[4:5], 3, v[12:13]
	global_store_dwordx2 v[22:23], v[20:21], off
	s_mov_b64 s[2:3], 0
	v_lshl_add_u64 v[14:15], v[14:15], 3, s[8:9]
	s_cbranch_execz .LBB164_113
; %bb.111:
	v_mov_b64_e32 v[16:17], s[2:3]
	s_branch .LBB164_114
.LBB164_112:
                                        ; implicit-def: $sgpr2_sgpr3
	v_lshl_add_u64 v[14:15], v[14:15], 3, s[8:9]
.LBB164_113:
	v_lshl_add_u64 v[20:21], v[14:15], 0, v[8:9]
	flat_load_dwordx2 v[20:21], v[20:21]
	v_lshl_add_u64 v[22:23], v[12:13], 0, v[8:9]
	s_waitcnt vmcnt(0) lgkmcnt(0)
	v_mul_f64 v[20:21], v[20:21], s[10:11]
	v_cvt_f32_f64_e32 v17, v[20:21]
	v_min_f32_e32 v16, v17, v16
	v_cvt_f64_f32_e32 v[16:17], v16
	global_store_dwordx2 v[22:23], v[16:17], off
	v_lshl_add_u64 v[16:17], v[0:1], 3, v[14:15]
	flat_load_dwordx2 v[16:17], v[16:17]
	s_waitcnt vmcnt(0) lgkmcnt(0)
	v_mul_f64 v[16:17], v[16:17], s[10:11]
.LBB164_114:
	v_cvt_f32_f64_e32 v16, v[16:17]
	v_max_f32_e32 v17, v120, v120
	v_min_f32_e32 v16, v16, v17
	v_cvt_f64_f32_e32 v[16:17], v16
	v_lshl_add_u64 v[20:21], v[0:1], 3, v[12:13]
	global_store_dwordx2 v[20:21], v[16:17], off
	v_max_f32_e32 v16, v119, v119
	s_mov_b64 vcc, s[6:7]
	s_cbranch_vccz .LBB164_117
; %bb.115:
	v_min_f32_e32 v17, 0, v16
	v_cvt_f64_f32_e32 v[20:21], v17
	v_lshl_add_u64 v[22:23], v[6:7], 3, v[12:13]
	global_store_dwordx2 v[22:23], v[20:21], off
	s_mov_b64 s[2:3], 0
	s_cbranch_execz .LBB164_118
; %bb.116:
	v_mov_b64_e32 v[14:15], s[2:3]
	s_branch .LBB164_119
.LBB164_117:
                                        ; implicit-def: $sgpr2_sgpr3
.LBB164_118:
	v_lshl_add_u64 v[20:21], v[14:15], 0, v[10:11]
	flat_load_dwordx2 v[20:21], v[20:21]
	v_lshl_add_u64 v[22:23], v[12:13], 0, v[10:11]
	v_lshl_add_u64 v[14:15], v[2:3], 3, v[14:15]
	s_waitcnt vmcnt(0) lgkmcnt(0)
	v_mul_f64 v[20:21], v[20:21], s[10:11]
	v_cvt_f32_f64_e32 v17, v[20:21]
	v_min_f32_e32 v16, v17, v16
	v_cvt_f64_f32_e32 v[16:17], v16
	global_store_dwordx2 v[22:23], v[16:17], off
	flat_load_dwordx2 v[14:15], v[14:15]
	s_waitcnt vmcnt(0) lgkmcnt(0)
	v_mul_f64 v[14:15], v[14:15], s[10:11]
.LBB164_119:
	v_cvt_f32_f64_e32 v14, v[14:15]
	v_max_f32_e32 v15, v118, v118
	v_min_f32_e32 v14, v14, v15
	v_cvt_f64_f32_e32 v[14:15], v14
	v_lshl_add_u64 v[12:13], v[2:3], 3, v[12:13]
	global_store_dwordx2 v[12:13], v[14:15], off
	v_add_u32_e32 v14, 64, v18
	v_mad_i64_i32 v[12:13], s[2:3], v14, s13, 0
	v_lshl_add_u64 v[12:13], v[12:13], 3, s[0:1]
	v_mad_i64_i32 v[14:15], s[2:3], v14, s12, 0
	v_max_f32_e32 v16, v117, v117
	s_mov_b64 vcc, s[6:7]
	s_cbranch_vccz .LBB164_122
; %bb.120:
	v_min_f32_e32 v17, 0, v16
	v_cvt_f64_f32_e32 v[20:21], v17
	v_lshl_add_u64 v[22:23], v[4:5], 3, v[12:13]
	global_store_dwordx2 v[22:23], v[20:21], off
	s_mov_b64 s[2:3], 0
	v_lshl_add_u64 v[14:15], v[14:15], 3, s[8:9]
	s_cbranch_execz .LBB164_123
; %bb.121:
	v_mov_b64_e32 v[16:17], s[2:3]
	s_branch .LBB164_124
.LBB164_122:
                                        ; implicit-def: $sgpr2_sgpr3
	v_lshl_add_u64 v[14:15], v[14:15], 3, s[8:9]
.LBB164_123:
	v_lshl_add_u64 v[20:21], v[14:15], 0, v[8:9]
	flat_load_dwordx2 v[20:21], v[20:21]
	v_lshl_add_u64 v[22:23], v[12:13], 0, v[8:9]
	s_waitcnt vmcnt(0) lgkmcnt(0)
	v_mul_f64 v[20:21], v[20:21], s[10:11]
	v_cvt_f32_f64_e32 v17, v[20:21]
	v_min_f32_e32 v16, v17, v16
	v_cvt_f64_f32_e32 v[16:17], v16
	global_store_dwordx2 v[22:23], v[16:17], off
	v_lshl_add_u64 v[16:17], v[0:1], 3, v[14:15]
	flat_load_dwordx2 v[16:17], v[16:17]
	s_waitcnt vmcnt(0) lgkmcnt(0)
	v_mul_f64 v[16:17], v[16:17], s[10:11]
.LBB164_124:
	v_cvt_f32_f64_e32 v16, v[16:17]
	v_max_f32_e32 v17, v116, v116
	v_min_f32_e32 v16, v16, v17
	v_cvt_f64_f32_e32 v[16:17], v16
	v_lshl_add_u64 v[20:21], v[0:1], 3, v[12:13]
	global_store_dwordx2 v[20:21], v[16:17], off
	v_max_f32_e32 v16, v115, v115
	s_mov_b64 vcc, s[6:7]
	s_cbranch_vccz .LBB164_127
; %bb.125:
	v_min_f32_e32 v17, 0, v16
	v_cvt_f64_f32_e32 v[20:21], v17
	v_lshl_add_u64 v[22:23], v[6:7], 3, v[12:13]
	global_store_dwordx2 v[22:23], v[20:21], off
	s_mov_b64 s[2:3], 0
	s_cbranch_execz .LBB164_128
; %bb.126:
	v_mov_b64_e32 v[14:15], s[2:3]
	s_branch .LBB164_129
.LBB164_127:
                                        ; implicit-def: $sgpr2_sgpr3
.LBB164_128:
	v_lshl_add_u64 v[20:21], v[14:15], 0, v[10:11]
	flat_load_dwordx2 v[20:21], v[20:21]
	v_lshl_add_u64 v[22:23], v[12:13], 0, v[10:11]
	v_lshl_add_u64 v[14:15], v[2:3], 3, v[14:15]
	s_waitcnt vmcnt(0) lgkmcnt(0)
	v_mul_f64 v[20:21], v[20:21], s[10:11]
	v_cvt_f32_f64_e32 v17, v[20:21]
	v_min_f32_e32 v16, v17, v16
	v_cvt_f64_f32_e32 v[16:17], v16
	global_store_dwordx2 v[22:23], v[16:17], off
	flat_load_dwordx2 v[14:15], v[14:15]
	s_waitcnt vmcnt(0) lgkmcnt(0)
	v_mul_f64 v[14:15], v[14:15], s[10:11]
.LBB164_129:
	v_cvt_f32_f64_e32 v14, v[14:15]
	v_max_f32_e32 v15, v114, v114
	v_min_f32_e32 v14, v14, v15
	v_cvt_f64_f32_e32 v[14:15], v14
	v_lshl_add_u64 v[12:13], v[2:3], 3, v[12:13]
	global_store_dwordx2 v[12:13], v[14:15], off
	v_add_u32_e32 v14, 0x48, v18
	v_mad_i64_i32 v[12:13], s[2:3], v14, s13, 0
	v_lshl_add_u64 v[12:13], v[12:13], 3, s[0:1]
	v_mad_i64_i32 v[14:15], s[2:3], v14, s12, 0
	v_max_f32_e32 v16, v113, v113
	s_mov_b64 vcc, s[6:7]
	s_cbranch_vccz .LBB164_132
; %bb.130:
	v_min_f32_e32 v17, 0, v16
	v_cvt_f64_f32_e32 v[20:21], v17
	v_lshl_add_u64 v[22:23], v[4:5], 3, v[12:13]
	global_store_dwordx2 v[22:23], v[20:21], off
	s_mov_b64 s[2:3], 0
	v_lshl_add_u64 v[14:15], v[14:15], 3, s[8:9]
	s_cbranch_execz .LBB164_133
; %bb.131:
	v_mov_b64_e32 v[16:17], s[2:3]
	s_branch .LBB164_134
.LBB164_132:
                                        ; implicit-def: $sgpr2_sgpr3
	v_lshl_add_u64 v[14:15], v[14:15], 3, s[8:9]
.LBB164_133:
	v_lshl_add_u64 v[20:21], v[14:15], 0, v[8:9]
	flat_load_dwordx2 v[20:21], v[20:21]
	v_lshl_add_u64 v[22:23], v[12:13], 0, v[8:9]
	s_waitcnt vmcnt(0) lgkmcnt(0)
	v_mul_f64 v[20:21], v[20:21], s[10:11]
	v_cvt_f32_f64_e32 v17, v[20:21]
	v_min_f32_e32 v16, v17, v16
	v_cvt_f64_f32_e32 v[16:17], v16
	global_store_dwordx2 v[22:23], v[16:17], off
	v_lshl_add_u64 v[16:17], v[0:1], 3, v[14:15]
	flat_load_dwordx2 v[16:17], v[16:17]
	s_waitcnt vmcnt(0) lgkmcnt(0)
	v_mul_f64 v[16:17], v[16:17], s[10:11]
.LBB164_134:
	v_cvt_f32_f64_e32 v16, v[16:17]
	v_max_f32_e32 v17, v112, v112
	v_min_f32_e32 v16, v16, v17
	v_cvt_f64_f32_e32 v[16:17], v16
	v_lshl_add_u64 v[20:21], v[0:1], 3, v[12:13]
	global_store_dwordx2 v[20:21], v[16:17], off
	v_max_f32_e32 v16, v111, v111
	s_mov_b64 vcc, s[6:7]
	s_cbranch_vccz .LBB164_137
; %bb.135:
	v_min_f32_e32 v17, 0, v16
	v_cvt_f64_f32_e32 v[20:21], v17
	v_lshl_add_u64 v[22:23], v[6:7], 3, v[12:13]
	global_store_dwordx2 v[22:23], v[20:21], off
	s_mov_b64 s[2:3], 0
	s_cbranch_execz .LBB164_138
; %bb.136:
	v_mov_b64_e32 v[14:15], s[2:3]
	s_branch .LBB164_139
.LBB164_137:
                                        ; implicit-def: $sgpr2_sgpr3
.LBB164_138:
	v_lshl_add_u64 v[20:21], v[14:15], 0, v[10:11]
	flat_load_dwordx2 v[20:21], v[20:21]
	v_lshl_add_u64 v[22:23], v[12:13], 0, v[10:11]
	v_lshl_add_u64 v[14:15], v[2:3], 3, v[14:15]
	s_waitcnt vmcnt(0) lgkmcnt(0)
	v_mul_f64 v[20:21], v[20:21], s[10:11]
	v_cvt_f32_f64_e32 v17, v[20:21]
	v_min_f32_e32 v16, v17, v16
	v_cvt_f64_f32_e32 v[16:17], v16
	global_store_dwordx2 v[22:23], v[16:17], off
	flat_load_dwordx2 v[14:15], v[14:15]
	s_waitcnt vmcnt(0) lgkmcnt(0)
	v_mul_f64 v[14:15], v[14:15], s[10:11]
.LBB164_139:
	v_cvt_f32_f64_e32 v14, v[14:15]
	v_max_f32_e32 v15, v110, v110
	v_min_f32_e32 v14, v14, v15
	v_cvt_f64_f32_e32 v[14:15], v14
	v_lshl_add_u64 v[12:13], v[2:3], 3, v[12:13]
	global_store_dwordx2 v[12:13], v[14:15], off
	v_add_u32_e32 v14, 0x50, v18
	v_mad_i64_i32 v[12:13], s[2:3], v14, s13, 0
	v_lshl_add_u64 v[12:13], v[12:13], 3, s[0:1]
	v_mad_i64_i32 v[14:15], s[2:3], v14, s12, 0
	v_max_f32_e32 v16, v109, v109
	s_mov_b64 vcc, s[6:7]
	s_cbranch_vccz .LBB164_142
; %bb.140:
	v_min_f32_e32 v17, 0, v16
	v_cvt_f64_f32_e32 v[20:21], v17
	v_lshl_add_u64 v[22:23], v[4:5], 3, v[12:13]
	global_store_dwordx2 v[22:23], v[20:21], off
	s_mov_b64 s[2:3], 0
	v_lshl_add_u64 v[14:15], v[14:15], 3, s[8:9]
	s_cbranch_execz .LBB164_143
; %bb.141:
	v_mov_b64_e32 v[16:17], s[2:3]
	s_branch .LBB164_144
.LBB164_142:
                                        ; implicit-def: $sgpr2_sgpr3
	v_lshl_add_u64 v[14:15], v[14:15], 3, s[8:9]
.LBB164_143:
	v_lshl_add_u64 v[20:21], v[14:15], 0, v[8:9]
	flat_load_dwordx2 v[20:21], v[20:21]
	v_lshl_add_u64 v[22:23], v[12:13], 0, v[8:9]
	s_waitcnt vmcnt(0) lgkmcnt(0)
	v_mul_f64 v[20:21], v[20:21], s[10:11]
	v_cvt_f32_f64_e32 v17, v[20:21]
	v_min_f32_e32 v16, v17, v16
	v_cvt_f64_f32_e32 v[16:17], v16
	global_store_dwordx2 v[22:23], v[16:17], off
	v_lshl_add_u64 v[16:17], v[0:1], 3, v[14:15]
	flat_load_dwordx2 v[16:17], v[16:17]
	s_waitcnt vmcnt(0) lgkmcnt(0)
	v_mul_f64 v[16:17], v[16:17], s[10:11]
.LBB164_144:
	v_cvt_f32_f64_e32 v16, v[16:17]
	v_max_f32_e32 v17, v108, v108
	v_min_f32_e32 v16, v16, v17
	v_cvt_f64_f32_e32 v[16:17], v16
	v_lshl_add_u64 v[20:21], v[0:1], 3, v[12:13]
	global_store_dwordx2 v[20:21], v[16:17], off
	v_max_f32_e32 v16, v107, v107
	s_mov_b64 vcc, s[6:7]
	s_cbranch_vccz .LBB164_147
; %bb.145:
	v_min_f32_e32 v17, 0, v16
	v_cvt_f64_f32_e32 v[20:21], v17
	v_lshl_add_u64 v[22:23], v[6:7], 3, v[12:13]
	s_mov_b32 s4, 0
	global_store_dwordx2 v[22:23], v[20:21], off
	s_cbranch_execz .LBB164_148
; %bb.146:
	v_mov_b32_e32 v14, s4
	s_branch .LBB164_149
.LBB164_147:
                                        ; implicit-def: $sgpr4
.LBB164_148:
	v_lshl_add_u64 v[20:21], v[14:15], 0, v[10:11]
	flat_load_dwordx2 v[20:21], v[20:21]
	v_lshl_add_u64 v[22:23], v[12:13], 0, v[10:11]
	v_lshl_add_u64 v[14:15], v[2:3], 3, v[14:15]
	s_waitcnt vmcnt(0) lgkmcnt(0)
	v_mul_f64 v[20:21], v[20:21], s[10:11]
	v_cvt_f32_f64_e32 v17, v[20:21]
	v_min_f32_e32 v16, v17, v16
	v_cvt_f64_f32_e32 v[16:17], v16
	global_store_dwordx2 v[22:23], v[16:17], off
	flat_load_dwordx2 v[14:15], v[14:15]
	s_waitcnt vmcnt(0) lgkmcnt(0)
	v_mul_f64 v[14:15], v[14:15], s[10:11]
	v_cvt_f32_f64_e32 v14, v[14:15]
.LBB164_149:
	v_max_f32_e32 v15, v106, v106
	v_max_f32_e32 v14, v14, v14
	v_min_f32_e32 v14, v14, v15
	v_cvt_f64_f32_e32 v[14:15], v14
	v_lshl_add_u64 v[12:13], v[2:3], 3, v[12:13]
	global_store_dwordx2 v[12:13], v[14:15], off
	v_add_u32_e32 v14, 0x58, v18
	v_mad_i64_i32 v[12:13], s[2:3], v14, s13, 0
	v_lshl_add_u64 v[12:13], v[12:13], 3, s[0:1]
	v_mad_i64_i32 v[14:15], s[2:3], v14, s12, 0
	v_max_f32_e32 v16, v105, v105
	s_mov_b64 vcc, s[6:7]
	s_cbranch_vccz .LBB164_152
; %bb.150:
	v_min_f32_e32 v17, 0, v16
	v_cvt_f64_f32_e32 v[20:21], v17
	v_lshl_add_u64 v[22:23], v[4:5], 3, v[12:13]
	s_mov_b32 s4, 0
	global_store_dwordx2 v[22:23], v[20:21], off
	v_lshl_add_u64 v[14:15], v[14:15], 3, s[8:9]
	s_cbranch_execz .LBB164_153
; %bb.151:
	v_mov_b32_e32 v16, s4
	s_branch .LBB164_154
.LBB164_152:
                                        ; implicit-def: $sgpr4
	v_lshl_add_u64 v[14:15], v[14:15], 3, s[8:9]
.LBB164_153:
	v_lshl_add_u64 v[20:21], v[14:15], 0, v[8:9]
	flat_load_dwordx2 v[20:21], v[20:21]
	v_lshl_add_u64 v[22:23], v[12:13], 0, v[8:9]
	s_waitcnt vmcnt(0) lgkmcnt(0)
	v_mul_f64 v[20:21], v[20:21], s[10:11]
	v_cvt_f32_f64_e32 v17, v[20:21]
	v_min_f32_e32 v16, v17, v16
	v_cvt_f64_f32_e32 v[16:17], v16
	global_store_dwordx2 v[22:23], v[16:17], off
	v_lshl_add_u64 v[16:17], v[0:1], 3, v[14:15]
	flat_load_dwordx2 v[16:17], v[16:17]
	s_waitcnt vmcnt(0) lgkmcnt(0)
	v_mul_f64 v[16:17], v[16:17], s[10:11]
	v_cvt_f32_f64_e32 v16, v[16:17]
.LBB164_154:
	v_max_f32_e32 v17, v104, v104
	v_max_f32_e32 v16, v16, v16
	v_min_f32_e32 v16, v16, v17
	v_cvt_f64_f32_e32 v[16:17], v16
	v_lshl_add_u64 v[20:21], v[0:1], 3, v[12:13]
	global_store_dwordx2 v[20:21], v[16:17], off
	v_max_f32_e32 v16, v103, v103
	s_mov_b64 vcc, s[6:7]
	s_cbranch_vccz .LBB164_157
; %bb.155:
	v_min_f32_e32 v17, 0, v16
	v_cvt_f64_f32_e32 v[20:21], v17
	v_lshl_add_u64 v[22:23], v[6:7], 3, v[12:13]
	s_mov_b32 s4, 0
	global_store_dwordx2 v[22:23], v[20:21], off
	s_cbranch_execz .LBB164_158
; %bb.156:
	v_mov_b32_e32 v14, s4
	s_branch .LBB164_159
.LBB164_157:
                                        ; implicit-def: $sgpr4
.LBB164_158:
	v_lshl_add_u64 v[20:21], v[14:15], 0, v[10:11]
	flat_load_dwordx2 v[20:21], v[20:21]
	v_lshl_add_u64 v[22:23], v[12:13], 0, v[10:11]
	v_lshl_add_u64 v[14:15], v[2:3], 3, v[14:15]
	s_waitcnt vmcnt(0) lgkmcnt(0)
	v_mul_f64 v[20:21], v[20:21], s[10:11]
	v_cvt_f32_f64_e32 v17, v[20:21]
	v_min_f32_e32 v16, v17, v16
	v_cvt_f64_f32_e32 v[16:17], v16
	global_store_dwordx2 v[22:23], v[16:17], off
	flat_load_dwordx2 v[14:15], v[14:15]
	s_waitcnt vmcnt(0) lgkmcnt(0)
	v_mul_f64 v[14:15], v[14:15], s[10:11]
	v_cvt_f32_f64_e32 v14, v[14:15]
.LBB164_159:
	v_max_f32_e32 v15, v102, v102
	v_max_f32_e32 v14, v14, v14
	v_min_f32_e32 v14, v14, v15
	v_cvt_f64_f32_e32 v[14:15], v14
	v_lshl_add_u64 v[12:13], v[2:3], 3, v[12:13]
	global_store_dwordx2 v[12:13], v[14:15], off
	v_add_u32_e32 v14, 0x60, v18
	v_mad_i64_i32 v[12:13], s[2:3], v14, s13, 0
	v_lshl_add_u64 v[12:13], v[12:13], 3, s[0:1]
	v_mad_i64_i32 v[14:15], s[2:3], v14, s12, 0
	v_max_f32_e32 v16, v101, v101
	s_mov_b64 vcc, s[6:7]
	s_cbranch_vccz .LBB164_162
; %bb.160:
	v_min_f32_e32 v17, 0, v16
	v_cvt_f64_f32_e32 v[20:21], v17
	v_lshl_add_u64 v[22:23], v[4:5], 3, v[12:13]
	s_mov_b32 s4, 0
	global_store_dwordx2 v[22:23], v[20:21], off
	v_lshl_add_u64 v[14:15], v[14:15], 3, s[8:9]
	s_cbranch_execz .LBB164_163
; %bb.161:
	v_mov_b32_e32 v16, s4
	s_branch .LBB164_164
.LBB164_162:
                                        ; implicit-def: $sgpr4
	v_lshl_add_u64 v[14:15], v[14:15], 3, s[8:9]
.LBB164_163:
	v_lshl_add_u64 v[20:21], v[14:15], 0, v[8:9]
	flat_load_dwordx2 v[20:21], v[20:21]
	v_lshl_add_u64 v[22:23], v[12:13], 0, v[8:9]
	s_waitcnt vmcnt(0) lgkmcnt(0)
	v_mul_f64 v[20:21], v[20:21], s[10:11]
	v_cvt_f32_f64_e32 v17, v[20:21]
	v_min_f32_e32 v16, v17, v16
	v_cvt_f64_f32_e32 v[16:17], v16
	global_store_dwordx2 v[22:23], v[16:17], off
	v_lshl_add_u64 v[16:17], v[0:1], 3, v[14:15]
	flat_load_dwordx2 v[16:17], v[16:17]
	s_waitcnt vmcnt(0) lgkmcnt(0)
	v_mul_f64 v[16:17], v[16:17], s[10:11]
	v_cvt_f32_f64_e32 v16, v[16:17]
.LBB164_164:
	v_max_f32_e32 v17, v100, v100
	v_max_f32_e32 v16, v16, v16
	v_min_f32_e32 v16, v16, v17
	v_cvt_f64_f32_e32 v[16:17], v16
	v_lshl_add_u64 v[20:21], v[0:1], 3, v[12:13]
	global_store_dwordx2 v[20:21], v[16:17], off
	v_max_f32_e32 v16, v99, v99
	s_mov_b64 vcc, s[6:7]
	s_cbranch_vccz .LBB164_167
; %bb.165:
	v_min_f32_e32 v17, 0, v16
	v_cvt_f64_f32_e32 v[20:21], v17
	v_lshl_add_u64 v[22:23], v[6:7], 3, v[12:13]
	s_mov_b32 s4, 0
	global_store_dwordx2 v[22:23], v[20:21], off
	s_cbranch_execz .LBB164_168
; %bb.166:
	v_mov_b32_e32 v14, s4
	s_branch .LBB164_169
.LBB164_167:
                                        ; implicit-def: $sgpr4
.LBB164_168:
	v_lshl_add_u64 v[20:21], v[14:15], 0, v[10:11]
	flat_load_dwordx2 v[20:21], v[20:21]
	v_lshl_add_u64 v[22:23], v[12:13], 0, v[10:11]
	v_lshl_add_u64 v[14:15], v[2:3], 3, v[14:15]
	s_waitcnt vmcnt(0) lgkmcnt(0)
	v_mul_f64 v[20:21], v[20:21], s[10:11]
	v_cvt_f32_f64_e32 v17, v[20:21]
	v_min_f32_e32 v16, v17, v16
	v_cvt_f64_f32_e32 v[16:17], v16
	global_store_dwordx2 v[22:23], v[16:17], off
	flat_load_dwordx2 v[14:15], v[14:15]
	s_waitcnt vmcnt(0) lgkmcnt(0)
	v_mul_f64 v[14:15], v[14:15], s[10:11]
	v_cvt_f32_f64_e32 v14, v[14:15]
.LBB164_169:
	v_max_f32_e32 v15, v98, v98
	v_max_f32_e32 v14, v14, v14
	v_min_f32_e32 v14, v14, v15
	v_cvt_f64_f32_e32 v[14:15], v14
	v_lshl_add_u64 v[12:13], v[2:3], 3, v[12:13]
	global_store_dwordx2 v[12:13], v[14:15], off
	v_add_u32_e32 v14, 0x68, v18
	v_mad_i64_i32 v[12:13], s[2:3], v14, s13, 0
	v_lshl_add_u64 v[12:13], v[12:13], 3, s[0:1]
	v_mad_i64_i32 v[14:15], s[2:3], v14, s12, 0
	v_max_f32_e32 v16, v97, v97
	s_mov_b64 vcc, s[6:7]
	s_cbranch_vccz .LBB164_172
; %bb.170:
	v_min_f32_e32 v17, 0, v16
	v_cvt_f64_f32_e32 v[20:21], v17
	v_lshl_add_u64 v[22:23], v[4:5], 3, v[12:13]
	s_mov_b32 s4, 0
	global_store_dwordx2 v[22:23], v[20:21], off
	v_lshl_add_u64 v[14:15], v[14:15], 3, s[8:9]
	s_cbranch_execz .LBB164_173
; %bb.171:
	v_mov_b32_e32 v16, s4
	s_branch .LBB164_174
.LBB164_172:
                                        ; implicit-def: $sgpr4
	v_lshl_add_u64 v[14:15], v[14:15], 3, s[8:9]
.LBB164_173:
	v_lshl_add_u64 v[20:21], v[14:15], 0, v[8:9]
	flat_load_dwordx2 v[20:21], v[20:21]
	v_lshl_add_u64 v[22:23], v[12:13], 0, v[8:9]
	s_waitcnt vmcnt(0) lgkmcnt(0)
	v_mul_f64 v[20:21], v[20:21], s[10:11]
	v_cvt_f32_f64_e32 v17, v[20:21]
	v_min_f32_e32 v16, v17, v16
	v_cvt_f64_f32_e32 v[16:17], v16
	global_store_dwordx2 v[22:23], v[16:17], off
	v_lshl_add_u64 v[16:17], v[0:1], 3, v[14:15]
	flat_load_dwordx2 v[16:17], v[16:17]
	s_waitcnt vmcnt(0) lgkmcnt(0)
	v_mul_f64 v[16:17], v[16:17], s[10:11]
	v_cvt_f32_f64_e32 v16, v[16:17]
.LBB164_174:
	v_max_f32_e32 v17, v96, v96
	v_max_f32_e32 v16, v16, v16
	v_min_f32_e32 v16, v16, v17
	v_cvt_f64_f32_e32 v[16:17], v16
	v_lshl_add_u64 v[20:21], v[0:1], 3, v[12:13]
	global_store_dwordx2 v[20:21], v[16:17], off
	v_max_f32_e32 v16, v95, v95
	s_mov_b64 vcc, s[6:7]
	s_cbranch_vccz .LBB164_177
; %bb.175:
	v_min_f32_e32 v17, 0, v16
	v_cvt_f64_f32_e32 v[20:21], v17
	v_lshl_add_u64 v[22:23], v[6:7], 3, v[12:13]
	s_mov_b32 s4, 0
	global_store_dwordx2 v[22:23], v[20:21], off
	s_cbranch_execz .LBB164_178
; %bb.176:
	v_mov_b32_e32 v14, s4
	s_branch .LBB164_179
.LBB164_177:
                                        ; implicit-def: $sgpr4
.LBB164_178:
	v_lshl_add_u64 v[20:21], v[14:15], 0, v[10:11]
	flat_load_dwordx2 v[20:21], v[20:21]
	v_lshl_add_u64 v[22:23], v[12:13], 0, v[10:11]
	v_lshl_add_u64 v[14:15], v[2:3], 3, v[14:15]
	s_waitcnt vmcnt(0) lgkmcnt(0)
	v_mul_f64 v[20:21], v[20:21], s[10:11]
	v_cvt_f32_f64_e32 v17, v[20:21]
	v_min_f32_e32 v16, v17, v16
	v_cvt_f64_f32_e32 v[16:17], v16
	global_store_dwordx2 v[22:23], v[16:17], off
	flat_load_dwordx2 v[14:15], v[14:15]
	s_waitcnt vmcnt(0) lgkmcnt(0)
	v_mul_f64 v[14:15], v[14:15], s[10:11]
	v_cvt_f32_f64_e32 v14, v[14:15]
.LBB164_179:
	v_max_f32_e32 v15, v94, v94
	v_max_f32_e32 v14, v14, v14
	v_min_f32_e32 v14, v14, v15
	v_cvt_f64_f32_e32 v[14:15], v14
	v_lshl_add_u64 v[12:13], v[2:3], 3, v[12:13]
	global_store_dwordx2 v[12:13], v[14:15], off
	v_add_u32_e32 v14, 0x70, v18
	v_mad_i64_i32 v[12:13], s[2:3], v14, s13, 0
	v_lshl_add_u64 v[12:13], v[12:13], 3, s[0:1]
	v_mad_i64_i32 v[14:15], s[2:3], v14, s12, 0
	v_max_f32_e32 v16, v93, v93
	s_mov_b64 vcc, s[6:7]
	s_cbranch_vccz .LBB164_182
; %bb.180:
	v_min_f32_e32 v17, 0, v16
	v_cvt_f64_f32_e32 v[20:21], v17
	v_lshl_add_u64 v[22:23], v[4:5], 3, v[12:13]
	s_mov_b32 s4, 0
	global_store_dwordx2 v[22:23], v[20:21], off
	v_lshl_add_u64 v[14:15], v[14:15], 3, s[8:9]
	s_cbranch_execz .LBB164_183
; %bb.181:
	v_mov_b32_e32 v16, s4
	s_branch .LBB164_184
.LBB164_182:
                                        ; implicit-def: $sgpr4
	v_lshl_add_u64 v[14:15], v[14:15], 3, s[8:9]
.LBB164_183:
	v_lshl_add_u64 v[20:21], v[14:15], 0, v[8:9]
	flat_load_dwordx2 v[20:21], v[20:21]
	v_lshl_add_u64 v[22:23], v[12:13], 0, v[8:9]
	s_waitcnt vmcnt(0) lgkmcnt(0)
	v_mul_f64 v[20:21], v[20:21], s[10:11]
	v_cvt_f32_f64_e32 v17, v[20:21]
	v_min_f32_e32 v16, v17, v16
	v_cvt_f64_f32_e32 v[16:17], v16
	global_store_dwordx2 v[22:23], v[16:17], off
	v_lshl_add_u64 v[16:17], v[0:1], 3, v[14:15]
	flat_load_dwordx2 v[16:17], v[16:17]
	s_waitcnt vmcnt(0) lgkmcnt(0)
	v_mul_f64 v[16:17], v[16:17], s[10:11]
	v_cvt_f32_f64_e32 v16, v[16:17]
.LBB164_184:
	v_max_f32_e32 v17, v92, v92
	v_max_f32_e32 v16, v16, v16
	v_min_f32_e32 v16, v16, v17
	v_cvt_f64_f32_e32 v[16:17], v16
	v_lshl_add_u64 v[20:21], v[0:1], 3, v[12:13]
	global_store_dwordx2 v[20:21], v[16:17], off
	v_max_f32_e32 v16, v91, v91
	s_mov_b64 vcc, s[6:7]
	s_cbranch_vccz .LBB164_187
; %bb.185:
	v_min_f32_e32 v17, 0, v16
	v_cvt_f64_f32_e32 v[20:21], v17
	v_lshl_add_u64 v[22:23], v[6:7], 3, v[12:13]
	s_mov_b32 s4, 0
	global_store_dwordx2 v[22:23], v[20:21], off
	s_cbranch_execz .LBB164_188
; %bb.186:
	v_mov_b32_e32 v14, s4
	s_branch .LBB164_189
.LBB164_187:
                                        ; implicit-def: $sgpr4
.LBB164_188:
	v_lshl_add_u64 v[20:21], v[14:15], 0, v[10:11]
	flat_load_dwordx2 v[20:21], v[20:21]
	v_lshl_add_u64 v[22:23], v[12:13], 0, v[10:11]
	v_lshl_add_u64 v[14:15], v[2:3], 3, v[14:15]
	s_waitcnt vmcnt(0) lgkmcnt(0)
	v_mul_f64 v[20:21], v[20:21], s[10:11]
	v_cvt_f32_f64_e32 v17, v[20:21]
	v_min_f32_e32 v16, v17, v16
	v_cvt_f64_f32_e32 v[16:17], v16
	global_store_dwordx2 v[22:23], v[16:17], off
	flat_load_dwordx2 v[14:15], v[14:15]
	s_waitcnt vmcnt(0) lgkmcnt(0)
	v_mul_f64 v[14:15], v[14:15], s[10:11]
	v_cvt_f32_f64_e32 v14, v[14:15]
.LBB164_189:
	v_max_f32_e32 v15, v90, v90
	v_max_f32_e32 v14, v14, v14
	v_min_f32_e32 v14, v14, v15
	v_cvt_f64_f32_e32 v[14:15], v14
	v_lshl_add_u64 v[12:13], v[2:3], 3, v[12:13]
	global_store_dwordx2 v[12:13], v[14:15], off
	v_add_u32_e32 v14, 0x78, v18
	v_mad_i64_i32 v[12:13], s[2:3], v14, s13, 0
	v_lshl_add_u64 v[12:13], v[12:13], 3, s[0:1]
	v_mad_i64_i32 v[14:15], s[0:1], v14, s12, 0
	v_max_f32_e32 v16, v89, v89
	s_mov_b64 vcc, s[6:7]
	s_cbranch_vccz .LBB164_192
; %bb.190:
	v_min_f32_e32 v17, 0, v16
	v_cvt_f64_f32_e32 v[18:19], v17
	v_lshl_add_u64 v[4:5], v[4:5], 3, v[12:13]
	s_mov_b32 s2, 0
	global_store_dwordx2 v[4:5], v[18:19], off
	v_lshl_add_u64 v[4:5], v[14:15], 3, s[8:9]
	s_cbranch_execz .LBB164_193
; %bb.191:
	v_mov_b32_e32 v8, s2
	s_branch .LBB164_194
.LBB164_192:
                                        ; implicit-def: $sgpr2
	v_lshl_add_u64 v[4:5], v[14:15], 3, s[8:9]
.LBB164_193:
	v_lshl_add_u64 v[14:15], v[4:5], 0, v[8:9]
	flat_load_dwordx2 v[14:15], v[14:15]
	v_lshl_add_u64 v[8:9], v[12:13], 0, v[8:9]
	s_waitcnt vmcnt(0) lgkmcnt(0)
	v_mul_f64 v[14:15], v[14:15], s[10:11]
	v_cvt_f32_f64_e32 v14, v[14:15]
	v_min_f32_e32 v14, v14, v16
	v_cvt_f64_f32_e32 v[14:15], v14
	global_store_dwordx2 v[8:9], v[14:15], off
	v_lshl_add_u64 v[8:9], v[0:1], 3, v[4:5]
	flat_load_dwordx2 v[8:9], v[8:9]
	s_waitcnt vmcnt(0) lgkmcnt(0)
	v_mul_f64 v[8:9], v[8:9], s[10:11]
	v_cvt_f32_f64_e32 v8, v[8:9]
.LBB164_194:
	v_max_f32_e32 v9, v88, v88
	v_max_f32_e32 v8, v8, v8
	v_min_f32_e32 v8, v8, v9
	v_cvt_f64_f32_e32 v[8:9], v8
	v_lshl_add_u64 v[0:1], v[0:1], 3, v[12:13]
	global_store_dwordx2 v[0:1], v[8:9], off
	v_max_f32_e32 v0, v87, v87
	s_mov_b64 vcc, s[6:7]
	s_cbranch_vccz .LBB164_197
; %bb.195:
	v_min_f32_e32 v1, 0, v0
	v_cvt_f64_f32_e32 v[8:9], v1
	v_lshl_add_u64 v[6:7], v[6:7], 3, v[12:13]
	s_mov_b32 s2, 0
	global_store_dwordx2 v[6:7], v[8:9], off
	s_cbranch_execz .LBB164_198
; %bb.196:
	v_mov_b32_e32 v0, s2
	s_branch .LBB164_199
.LBB164_197:
                                        ; implicit-def: $sgpr2
.LBB164_198:
	v_lshl_add_u64 v[6:7], v[4:5], 0, v[10:11]
	flat_load_dwordx2 v[6:7], v[6:7]
	v_lshl_add_u64 v[8:9], v[12:13], 0, v[10:11]
	s_waitcnt vmcnt(0) lgkmcnt(0)
	v_mul_f64 v[6:7], v[6:7], s[10:11]
	v_cvt_f32_f64_e32 v1, v[6:7]
	v_min_f32_e32 v0, v1, v0
	v_cvt_f64_f32_e32 v[0:1], v0
	global_store_dwordx2 v[8:9], v[0:1], off
	v_lshl_add_u64 v[0:1], v[2:3], 3, v[4:5]
	flat_load_dwordx2 v[0:1], v[0:1]
	s_waitcnt vmcnt(0) lgkmcnt(0)
	v_mul_f64 v[0:1], v[0:1], s[10:11]
	v_cvt_f32_f64_e32 v0, v[0:1]
.LBB164_199:
	v_max_f32_e32 v1, v86, v86
	v_max_f32_e32 v0, v0, v0
	v_min_f32_e32 v0, v0, v1
	v_cvt_f64_f32_e32 v[0:1], v0
	v_lshl_add_u64 v[2:3], v[2:3], 3, v[12:13]
	global_store_dwordx2 v[2:3], v[0:1], off
	s_endpgm
	.section	.rodata,"a",@progbits
	.p2align	6, 0x0
	.amdhsa_kernel _ZN12_GLOBAL__N_120geam_min_plus_kernelId15HIP_vector_typeIdLj2EEdLi32ELi8ELi128ELi128ELi4ELi4ELi64ELi4ELi64ELc84ELc78ELb0ELb0ELb1EdKddEEviiiT16_PT17_ilS6_ilS4_S6_ilPT18_ili26rocblas_geam_ex_operation_
		.amdhsa_group_segment_fixed_size 16384
		.amdhsa_private_segment_fixed_size 0
		.amdhsa_kernarg_size 136
		.amdhsa_user_sgpr_count 2
		.amdhsa_user_sgpr_dispatch_ptr 0
		.amdhsa_user_sgpr_queue_ptr 0
		.amdhsa_user_sgpr_kernarg_segment_ptr 1
		.amdhsa_user_sgpr_dispatch_id 0
		.amdhsa_user_sgpr_kernarg_preload_length 0
		.amdhsa_user_sgpr_kernarg_preload_offset 0
		.amdhsa_user_sgpr_private_segment_size 0
		.amdhsa_uses_dynamic_stack 0
		.amdhsa_enable_private_segment 0
		.amdhsa_system_sgpr_workgroup_id_x 1
		.amdhsa_system_sgpr_workgroup_id_y 0
		.amdhsa_system_sgpr_workgroup_id_z 1
		.amdhsa_system_sgpr_workgroup_info 0
		.amdhsa_system_vgpr_workitem_id 1
		.amdhsa_next_free_vgpr 174
		.amdhsa_next_free_sgpr 29
		.amdhsa_accum_offset 176
		.amdhsa_reserve_vcc 1
		.amdhsa_float_round_mode_32 0
		.amdhsa_float_round_mode_16_64 0
		.amdhsa_float_denorm_mode_32 3
		.amdhsa_float_denorm_mode_16_64 3
		.amdhsa_dx10_clamp 1
		.amdhsa_ieee_mode 1
		.amdhsa_fp16_overflow 0
		.amdhsa_tg_split 0
		.amdhsa_exception_fp_ieee_invalid_op 0
		.amdhsa_exception_fp_denorm_src 0
		.amdhsa_exception_fp_ieee_div_zero 0
		.amdhsa_exception_fp_ieee_overflow 0
		.amdhsa_exception_fp_ieee_underflow 0
		.amdhsa_exception_fp_ieee_inexact 0
		.amdhsa_exception_int_div_zero 0
	.end_amdhsa_kernel
	.section	.text._ZN12_GLOBAL__N_120geam_min_plus_kernelId15HIP_vector_typeIdLj2EEdLi32ELi8ELi128ELi128ELi4ELi4ELi64ELi4ELi64ELc84ELc78ELb0ELb0ELb1EdKddEEviiiT16_PT17_ilS6_ilS4_S6_ilPT18_ili26rocblas_geam_ex_operation_,"axG",@progbits,_ZN12_GLOBAL__N_120geam_min_plus_kernelId15HIP_vector_typeIdLj2EEdLi32ELi8ELi128ELi128ELi4ELi4ELi64ELi4ELi64ELc84ELc78ELb0ELb0ELb1EdKddEEviiiT16_PT17_ilS6_ilS4_S6_ilPT18_ili26rocblas_geam_ex_operation_,comdat
.Lfunc_end164:
	.size	_ZN12_GLOBAL__N_120geam_min_plus_kernelId15HIP_vector_typeIdLj2EEdLi32ELi8ELi128ELi128ELi4ELi4ELi64ELi4ELi64ELc84ELc78ELb0ELb0ELb1EdKddEEviiiT16_PT17_ilS6_ilS4_S6_ilPT18_ili26rocblas_geam_ex_operation_, .Lfunc_end164-_ZN12_GLOBAL__N_120geam_min_plus_kernelId15HIP_vector_typeIdLj2EEdLi32ELi8ELi128ELi128ELi4ELi4ELi64ELi4ELi64ELc84ELc78ELb0ELb0ELb1EdKddEEviiiT16_PT17_ilS6_ilS4_S6_ilPT18_ili26rocblas_geam_ex_operation_
                                        ; -- End function
	.section	.AMDGPU.csdata,"",@progbits
; Kernel info:
; codeLenInByte = 17484
; NumSgprs: 35
; NumVgprs: 174
; NumAgprs: 0
; TotalNumVgprs: 174
; ScratchSize: 0
; MemoryBound: 0
; FloatMode: 240
; IeeeMode: 1
; LDSByteSize: 16384 bytes/workgroup (compile time only)
; SGPRBlocks: 4
; VGPRBlocks: 21
; NumSGPRsForWavesPerEU: 35
; NumVGPRsForWavesPerEU: 174
; AccumOffset: 176
; Occupancy: 2
; WaveLimiterHint : 0
; COMPUTE_PGM_RSRC2:SCRATCH_EN: 0
; COMPUTE_PGM_RSRC2:USER_SGPR: 2
; COMPUTE_PGM_RSRC2:TRAP_HANDLER: 0
; COMPUTE_PGM_RSRC2:TGID_X_EN: 1
; COMPUTE_PGM_RSRC2:TGID_Y_EN: 0
; COMPUTE_PGM_RSRC2:TGID_Z_EN: 1
; COMPUTE_PGM_RSRC2:TIDIG_COMP_CNT: 1
; COMPUTE_PGM_RSRC3_GFX90A:ACCUM_OFFSET: 43
; COMPUTE_PGM_RSRC3_GFX90A:TG_SPLIT: 0
	.section	.text._ZN12_GLOBAL__N_120geam_min_plus_kernelId15HIP_vector_typeIdLj2EEdLi32ELi8ELi128ELi128ELi4ELi4ELi64ELi4ELi64ELc84ELc78ELb0ELb1ELb1EPKdS3_dEEviiiT16_PT17_ilS7_ilS5_S7_ilPT18_ili26rocblas_geam_ex_operation_,"axG",@progbits,_ZN12_GLOBAL__N_120geam_min_plus_kernelId15HIP_vector_typeIdLj2EEdLi32ELi8ELi128ELi128ELi4ELi4ELi64ELi4ELi64ELc84ELc78ELb0ELb1ELb1EPKdS3_dEEviiiT16_PT17_ilS7_ilS5_S7_ilPT18_ili26rocblas_geam_ex_operation_,comdat
	.globl	_ZN12_GLOBAL__N_120geam_min_plus_kernelId15HIP_vector_typeIdLj2EEdLi32ELi8ELi128ELi128ELi4ELi4ELi64ELi4ELi64ELc84ELc78ELb0ELb1ELb1EPKdS3_dEEviiiT16_PT17_ilS7_ilS5_S7_ilPT18_ili26rocblas_geam_ex_operation_ ; -- Begin function _ZN12_GLOBAL__N_120geam_min_plus_kernelId15HIP_vector_typeIdLj2EEdLi32ELi8ELi128ELi128ELi4ELi4ELi64ELi4ELi64ELc84ELc78ELb0ELb1ELb1EPKdS3_dEEviiiT16_PT17_ilS7_ilS5_S7_ilPT18_ili26rocblas_geam_ex_operation_
	.p2align	8
	.type	_ZN12_GLOBAL__N_120geam_min_plus_kernelId15HIP_vector_typeIdLj2EEdLi32ELi8ELi128ELi128ELi4ELi4ELi64ELi4ELi64ELc84ELc78ELb0ELb1ELb1EPKdS3_dEEviiiT16_PT17_ilS7_ilS5_S7_ilPT18_ili26rocblas_geam_ex_operation_,@function
_ZN12_GLOBAL__N_120geam_min_plus_kernelId15HIP_vector_typeIdLj2EEdLi32ELi8ELi128ELi128ELi4ELi4ELi64ELi4ELi64ELc84ELc78ELb0ELb1ELb1EPKdS3_dEEviiiT16_PT17_ilS7_ilS5_S7_ilPT18_ili26rocblas_geam_ex_operation_: ; @_ZN12_GLOBAL__N_120geam_min_plus_kernelId15HIP_vector_typeIdLj2EEdLi32ELi8ELi128ELi128ELi4ELi4ELi64ELi4ELi64ELc84ELc78ELb0ELb1ELb1EPKdS3_dEEviiiT16_PT17_ilS7_ilS5_S7_ilPT18_ili26rocblas_geam_ex_operation_
; %bb.0:
	s_load_dwordx4 s[12:15], s[0:1], 0x10
	s_load_dwordx4 s[4:7], s[0:1], 0x28
	s_mov_b32 s24, s3
	s_mov_b32 s25, 0
	s_lshl_b64 s[16:17], s[24:25], 3
	s_waitcnt lgkmcnt(0)
	s_add_u32 s18, s12, s16
	s_load_dwordx4 s[8:11], s[0:1], 0x40
	s_addc_u32 s19, s13, s17
	s_load_dwordx2 s[28:29], s[18:19], 0x0
	s_load_dwordx2 s[12:13], s[0:1], 0x50
	s_mov_b64 s[30:31], 0
	s_mov_b64 s[34:35], 0
	s_waitcnt lgkmcnt(0)
	s_add_u32 s10, s10, s16
	v_cmp_eq_f64_e64 s[18:19], s[28:29], 0
	s_addc_u32 s11, s11, s17
	v_cmp_neq_f64_e64 s[16:17], s[28:29], 0
	s_and_b64 vcc, exec, s[18:19]
	s_cbranch_vccnz .LBB165_2
; %bb.1:
	s_mul_i32 s3, s24, s5
	s_mul_hi_u32 s5, s24, s4
	s_add_i32 s5, s5, s3
	s_mul_i32 s4, s24, s4
	s_lshl_b64 s[4:5], s[4:5], 3
	s_add_u32 s34, s14, s4
	s_addc_u32 s35, s15, s5
.LBB165_2:
	s_load_dwordx2 s[20:21], s[10:11], 0x0
	s_andn2_b64 vcc, exec, s[16:17]
	s_cbranch_vccnz .LBB165_4
; %bb.3:
	s_mul_i32 s3, s24, s9
	s_mul_hi_u32 s4, s24, s8
	s_add_i32 s5, s4, s3
	s_mul_i32 s4, s24, s8
	s_lshl_b64 s[4:5], s[4:5], 3
	s_add_u32 s30, s6, s4
	s_addc_u32 s31, s7, s5
.LBB165_4:
	s_load_dwordx4 s[16:19], s[0:1], 0x60
	s_waitcnt lgkmcnt(0)
	v_cmp_eq_f64_e64 s[4:5], s[20:21], 0
	s_mov_b64 s[22:23], 0
	v_cmp_neq_f64_e64 s[26:27], s[20:21], 0
	s_and_b64 vcc, exec, s[4:5]
	s_cbranch_vccnz .LBB165_6
; %bb.5:
	s_mul_i32 s3, s24, s17
	s_mul_hi_u32 s4, s24, s16
	s_add_i32 s5, s4, s3
	s_mul_i32 s4, s24, s16
	s_lshl_b64 s[4:5], s[4:5], 3
	s_add_u32 s22, s12, s4
	s_addc_u32 s23, s13, s5
.LBB165_6:
	s_load_dwordx4 s[12:15], s[0:1], 0x0
	s_load_dword s38, s[0:1], 0x20
	v_and_b32_e32 v139, 0x3ff, v0
	v_bfe_u32 v140, v0, 10, 10
	v_and_b32_e32 v150, 3, v139
	s_waitcnt lgkmcnt(0)
	s_add_i32 s3, s12, -1
	s_ashr_i32 s4, s3, 31
	s_lshr_b32 s4, s4, 25
	s_add_i32 s3, s3, s4
	s_ashr_i32 s3, s3, 7
	s_add_i32 s4, s3, 1
	v_cvt_f32_u32_e32 v1, s4
	s_not_b32 s3, s3
	v_cmp_le_i32_e32 vcc, s14, v150
	v_cmp_eq_f64_e64 s[16:17], s[28:29], 0
	v_rcp_iflag_f32_e32 v0, v1
	v_lshl_add_u32 v1, v140, 5, v139
	v_lshrrev_b32_e32 v12, 2, v1
	v_mov_b32_e32 v2, 0x7fefffff
	v_mul_f32_e32 v0, 0x4f7ffffe, v0
	v_cvt_u32_f32_e32 v0, v0
	s_nop 0
	v_readfirstlane_b32 s5, v0
	s_mul_i32 s3, s3, s5
	s_mul_hi_u32 s3, s5, s3
	s_add_i32 s5, s5, s3
	s_mul_hi_u32 s3, s2, s5
	s_mul_i32 s5, s3, s4
	s_sub_i32 s5, s2, s5
	s_add_i32 s6, s3, 1
	s_sub_i32 s7, s5, s4
	s_cmp_ge_u32 s5, s4
	s_cselect_b32 s3, s6, s3
	s_cselect_b32 s5, s7, s5
	s_add_i32 s6, s3, 1
	s_cmp_ge_u32 s5, s4
	s_cselect_b32 s8, s6, s3
	s_mul_i32 s3, s8, s4
	s_sub_i32 s2, s2, s3
	s_lshl_b32 s25, s2, 7
	v_add_u32_e32 v80, s25, v12
	s_add_i32 s15, s14, -1
	v_cmp_le_i32_e64 s[2:3], s12, v80
	v_min_i32_e32 v4, s15, v150
	s_or_b64 s[4:5], vcc, s[2:3]
	v_ashrrev_i32_e32 v5, 31, v4
	s_or_b64 s[6:7], s[16:17], s[4:5]
	v_lshl_add_u64 v[6:7], v[4:5], 3, s[34:35]
	v_cndmask_b32_e64 v1, 0, v2, s[4:5]
	s_xor_b64 s[6:7], s[6:7], -1
	v_cndmask_b32_e64 v0, 0, -1, s[4:5]
	s_and_saveexec_b64 s[4:5], s[6:7]
	s_cbranch_execz .LBB165_8
; %bb.7:
	v_mad_i64_i32 v[0:1], s[6:7], v80, s38, 0
	v_lshl_add_u64 v[0:1], v[0:1], 3, v[6:7]
	flat_load_dwordx2 v[0:1], v[0:1]
	s_waitcnt vmcnt(0) lgkmcnt(0)
	v_mul_f64 v[0:1], s[28:29], v[0:1]
.LBB165_8:
	s_or_b64 exec, exec, s[4:5]
	v_add_u32_e32 v81, 64, v80
	v_cmp_le_i32_e64 s[4:5], s12, v81
	s_or_b64 s[6:7], vcc, s[4:5]
	s_or_b64 s[10:11], s[16:17], s[6:7]
	v_cndmask_b32_e64 v3, 0, v2, s[6:7]
	s_xor_b64 s[10:11], s[10:11], -1
	v_cndmask_b32_e64 v2, 0, -1, s[6:7]
	s_and_saveexec_b64 s[6:7], s[10:11]
	s_cbranch_execz .LBB165_10
; %bb.9:
	v_mad_i64_i32 v[2:3], s[10:11], v81, s38, 0
	v_lshl_add_u64 v[2:3], v[2:3], 3, v[6:7]
	flat_load_dwordx2 v[2:3], v[2:3]
	s_waitcnt vmcnt(0) lgkmcnt(0)
	v_mul_f64 v[2:3], s[28:29], v[2:3]
.LBB165_10:
	s_or_b64 exec, exec, s[6:7]
	s_lshl_b32 s33, s8, 7
	s_load_dword s39, s[0:1], 0x38
	v_add_u32_e32 v82, s33, v12
	v_cmp_le_i32_e64 s[6:7], s13, v82
	s_or_b64 s[8:9], vcc, s[6:7]
	v_mov_b32_e32 v6, 0x7fefffff
	s_or_b64 s[10:11], s[16:17], s[8:9]
	v_lshl_add_u64 v[8:9], v[4:5], 3, s[30:31]
	v_cndmask_b32_e64 v5, 0, v6, s[8:9]
	s_xor_b64 s[10:11], s[10:11], -1
	v_cndmask_b32_e64 v4, 0, -1, s[8:9]
	s_and_saveexec_b64 s[8:9], s[10:11]
	s_cbranch_execz .LBB165_12
; %bb.11:
	s_waitcnt lgkmcnt(0)
	v_mad_i64_i32 v[4:5], s[10:11], v82, s39, 0
	v_lshl_add_u64 v[4:5], v[4:5], 3, v[8:9]
	flat_load_dwordx2 v[4:5], v[4:5]
	s_waitcnt vmcnt(0) lgkmcnt(0)
	v_mul_f64 v[4:5], s[28:29], v[4:5]
.LBB165_12:
	s_or_b64 exec, exec, s[8:9]
	v_add_u32_e32 v83, 64, v82
	v_cmp_le_i32_e64 s[8:9], s13, v83
	s_or_b64 vcc, vcc, s[8:9]
	s_or_b64 s[10:11], s[16:17], vcc
	v_cndmask_b32_e32 v7, 0, v6, vcc
	s_xor_b64 s[36:37], s[10:11], -1
	v_cndmask_b32_e64 v6, 0, -1, vcc
	s_and_saveexec_b64 s[10:11], s[36:37]
	s_cbranch_execz .LBB165_14
; %bb.13:
	s_waitcnt lgkmcnt(0)
	v_mad_i64_i32 v[6:7], s[36:37], v83, s39, 0
	v_lshl_add_u64 v[6:7], v[6:7], 3, v[8:9]
	flat_load_dwordx2 v[6:7], v[6:7]
	s_waitcnt vmcnt(0) lgkmcnt(0)
	v_mul_f64 v[6:7], s[28:29], v[6:7]
.LBB165_14:
	s_or_b64 exec, exec, s[10:11]
	v_or_b32_e32 v8, 4, v150
	v_cmp_le_i32_e32 vcc, s14, v8
	v_min_i32_e32 v8, s15, v8
	s_or_b64 s[10:11], vcc, s[2:3]
	v_ashrrev_i32_e32 v9, 31, v8
	v_mov_b32_e32 v13, 0x7fefffff
	s_or_b64 s[36:37], s[16:17], s[10:11]
	v_lshl_add_u64 v[10:11], v[8:9], 3, s[34:35]
	v_cndmask_b32_e64 v73, 0, v13, s[10:11]
	s_xor_b64 s[36:37], s[36:37], -1
	v_cndmask_b32_e64 v72, 0, -1, s[10:11]
	s_and_saveexec_b64 s[10:11], s[36:37]
	s_cbranch_execz .LBB165_16
; %bb.15:
	v_mad_i64_i32 v[14:15], s[36:37], v80, s38, 0
	v_lshl_add_u64 v[14:15], v[14:15], 3, v[10:11]
	flat_load_dwordx2 v[14:15], v[14:15]
	s_waitcnt vmcnt(0) lgkmcnt(0)
	v_mul_f64 v[72:73], s[28:29], v[14:15]
.LBB165_16:
	s_or_b64 exec, exec, s[10:11]
	s_or_b64 s[10:11], vcc, s[4:5]
	s_or_b64 s[36:37], s[16:17], s[10:11]
	v_cndmask_b32_e64 v75, 0, v13, s[10:11]
	s_xor_b64 s[36:37], s[36:37], -1
	v_cndmask_b32_e64 v74, 0, -1, s[10:11]
	s_and_saveexec_b64 s[10:11], s[36:37]
	s_cbranch_execz .LBB165_18
; %bb.17:
	v_mad_i64_i32 v[14:15], s[36:37], v81, s38, 0
	v_lshl_add_u64 v[10:11], v[14:15], 3, v[10:11]
	flat_load_dwordx2 v[10:11], v[10:11]
	s_waitcnt vmcnt(0) lgkmcnt(0)
	v_mul_f64 v[74:75], s[28:29], v[10:11]
.LBB165_18:
	s_or_b64 exec, exec, s[10:11]
	s_or_b64 s[10:11], vcc, s[6:7]
	v_mov_b32_e32 v10, 0x7fefffff
	s_or_b64 s[36:37], s[16:17], s[10:11]
	v_lshl_add_u64 v[8:9], v[8:9], 3, s[30:31]
	v_cndmask_b32_e64 v77, 0, v10, s[10:11]
	s_xor_b64 s[36:37], s[36:37], -1
	v_cndmask_b32_e64 v76, 0, -1, s[10:11]
	s_and_saveexec_b64 s[10:11], s[36:37]
	s_cbranch_execz .LBB165_20
; %bb.19:
	s_waitcnt lgkmcnt(0)
	v_mad_i64_i32 v[14:15], s[36:37], v82, s39, 0
	v_lshl_add_u64 v[14:15], v[14:15], 3, v[8:9]
	flat_load_dwordx2 v[14:15], v[14:15]
	s_waitcnt vmcnt(0) lgkmcnt(0)
	v_mul_f64 v[76:77], s[28:29], v[14:15]
.LBB165_20:
	s_or_b64 exec, exec, s[10:11]
	s_or_b64 vcc, vcc, s[8:9]
	s_or_b64 s[10:11], s[16:17], vcc
	v_cndmask_b32_e32 v79, 0, v10, vcc
	s_xor_b64 s[40:41], s[10:11], -1
	s_mov_b32 s36, 0
	v_cndmask_b32_e64 v78, 0, -1, vcc
	s_and_saveexec_b64 s[10:11], s[40:41]
	s_cbranch_execz .LBB165_22
; %bb.21:
	s_waitcnt lgkmcnt(0)
	v_mad_i64_i32 v[10:11], s[40:41], v83, s39, 0
	v_lshl_add_u64 v[8:9], v[10:11], 3, v[8:9]
	flat_load_dwordx2 v[8:9], v[8:9]
	s_waitcnt vmcnt(0) lgkmcnt(0)
	v_mul_f64 v[78:79], s[28:29], v[8:9]
.LBB165_22:
	s_or_b64 exec, exec, s[10:11]
	v_lshlrev_b32_e32 v8, 3, v150
	v_lshl_or_b32 v151, v12, 5, v8
	v_add_u32_e32 v152, 0x2000, v151
	s_mov_b64 s[10:11], -1
	v_mov_b32_e32 v84, 0x7f800000
	v_mov_b32_e32 v85, 0x7f800000
	;; [unrolled: 1-line block ×64, first 2 shown]
	ds_write2st64_b64 v151, v[0:1], v[2:3] offset1:4
	ds_write2st64_b64 v151, v[4:5], v[6:7] offset0:16 offset1:20
	s_waitcnt lgkmcnt(0)
	s_barrier
.LBB165_23:                             ; =>This Inner Loop Header: Depth=1
	v_cndmask_b32_e64 v0, 0, 1, s[10:11]
	s_lshl_b32 s10, s36, 3
	v_cmp_ne_u32_e32 vcc, 1, v0
	v_lshl_add_u32 v0, v139, 5, s10
	ds_read_b128 v[12:15], v0
	ds_read_b128 v[8:11], v0 offset:1024
	ds_read_b128 v[4:7], v0 offset:2048
	;; [unrolled: 1-line block ×3, first 2 shown]
	v_lshl_add_u32 v16, v140, 5, s10
	ds_read_b128 v[154:157], v16 offset:8192
	ds_read_b128 v[158:161], v16 offset:8448
	;; [unrolled: 1-line block ×16, first 2 shown]
	s_waitcnt lgkmcnt(14)
	v_add_f64 v[162:163], v[14:15], v[156:157]
	v_add_f64 v[164:165], v[12:13], v[154:155]
	v_cvt_f32_f64_e32 v153, v[164:165]
	v_cvt_f32_f64_e32 v162, v[162:163]
	v_min3_f32 v149, v153, v162, v149
	v_add_f64 v[162:163], v[10:11], v[156:157]
	v_add_f64 v[164:165], v[8:9], v[154:155]
	v_cvt_f32_f64_e32 v153, v[164:165]
	v_cvt_f32_f64_e32 v162, v[162:163]
	v_min3_f32 v148, v153, v162, v148
	v_add_f64 v[162:163], v[6:7], v[156:157]
	v_add_f64 v[164:165], v[4:5], v[154:155]
	v_cvt_f32_f64_e32 v153, v[164:165]
	v_cvt_f32_f64_e32 v162, v[162:163]
	v_add_f64 v[156:157], v[2:3], v[156:157]
	v_add_f64 v[154:155], v[0:1], v[154:155]
	v_min3_f32 v147, v153, v162, v147
	v_cvt_f32_f64_e32 v153, v[154:155]
	v_cvt_f32_f64_e32 v154, v[156:157]
	v_min3_f32 v146, v153, v154, v146
	v_add_f64 v[154:155], v[14:15], v[160:161]
	v_add_f64 v[156:157], v[12:13], v[158:159]
	v_cvt_f32_f64_e32 v153, v[156:157]
	v_cvt_f32_f64_e32 v154, v[154:155]
	v_min3_f32 v145, v153, v154, v145
	v_add_f64 v[154:155], v[10:11], v[160:161]
	v_add_f64 v[156:157], v[8:9], v[158:159]
	;; [unrolled: 5-line block ×4, first 2 shown]
	v_cvt_f32_f64_e32 v153, v[156:157]
	v_cvt_f32_f64_e32 v154, v[154:155]
	v_min3_f32 v142, v153, v154, v142
	s_waitcnt lgkmcnt(13)
	v_add_f64 v[154:155], v[14:15], v[70:71]
	v_add_f64 v[156:157], v[12:13], v[68:69]
	v_cvt_f32_f64_e32 v153, v[156:157]
	v_cvt_f32_f64_e32 v154, v[154:155]
	v_min3_f32 v141, v153, v154, v141
	v_add_f64 v[154:155], v[10:11], v[70:71]
	v_add_f64 v[156:157], v[8:9], v[68:69]
	v_cvt_f32_f64_e32 v153, v[156:157]
	v_cvt_f32_f64_e32 v154, v[154:155]
	v_min3_f32 v138, v153, v154, v138
	v_add_f64 v[154:155], v[6:7], v[70:71]
	v_add_f64 v[156:157], v[4:5], v[68:69]
	v_add_f64 v[70:71], v[2:3], v[70:71]
	v_add_f64 v[68:69], v[0:1], v[68:69]
	v_cvt_f32_f64_e32 v68, v[68:69]
	v_cvt_f32_f64_e32 v69, v[70:71]
	v_min3_f32 v136, v68, v69, v136
	s_waitcnt lgkmcnt(12)
	v_add_f64 v[68:69], v[14:15], v[66:67]
	v_add_f64 v[70:71], v[12:13], v[64:65]
	v_cvt_f32_f64_e32 v70, v[70:71]
	v_cvt_f32_f64_e32 v68, v[68:69]
	v_min3_f32 v135, v70, v68, v135
	v_add_f64 v[68:69], v[10:11], v[66:67]
	v_add_f64 v[70:71], v[8:9], v[64:65]
	v_cvt_f32_f64_e32 v70, v[70:71]
	v_cvt_f32_f64_e32 v68, v[68:69]
	v_min3_f32 v134, v70, v68, v134
	v_add_f64 v[68:69], v[6:7], v[66:67]
	v_add_f64 v[70:71], v[4:5], v[64:65]
	v_add_f64 v[66:67], v[2:3], v[66:67]
	v_add_f64 v[64:65], v[0:1], v[64:65]
	;; [unrolled: 18-line block ×13, first 2 shown]
	s_waitcnt lgkmcnt(0)
	v_add_f64 v[14:15], v[14:15], v[18:19]
	v_add_f64 v[12:13], v[12:13], v[16:17]
	;; [unrolled: 1-line block ×8, first 2 shown]
	v_cvt_f32_f64_e32 v153, v[156:157]
	v_cvt_f32_f64_e32 v154, v[154:155]
	;; [unrolled: 1-line block ×36, first 2 shown]
	v_min3_f32 v137, v153, v154, v137
	v_min3_f32 v133, v70, v68, v133
	;; [unrolled: 1-line block ×18, first 2 shown]
	s_mov_b32 s36, 2
	s_mov_b64 s[10:11], 0
	s_cbranch_vccz .LBB165_23
; %bb.24:
	s_cmp_gt_i32 s14, 8
	s_mov_b32 s36, 8
	ds_write2st64_b64 v151, v[72:73], v[74:75] offset0:8 offset1:12
	ds_write2st64_b64 v151, v[76:77], v[78:79] offset0:24 offset1:28
	s_waitcnt lgkmcnt(0)
	s_barrier
	s_cbranch_scc0 .LBB165_47
; %bb.25:
	v_add_u32_e32 v153, 0x1000, v151
	v_add_u32_e32 v154, 0x3000, v151
	s_add_i32 s37, s14, -8
	v_mad_i64_i32 v[68:69], s[10:11], v80, s38, 0
	v_mad_i64_i32 v[70:71], s[10:11], v81, s38, 0
	v_mad_i64_i32 v[72:73], s[10:11], v82, s39, 0
	v_mad_i64_i32 v[74:75], s[10:11], v83, s39, 0
	s_mov_b32 s38, 0
	v_mov_b32_e32 v155, 0x7fefffff
.LBB165_26:                             ; =>This Loop Header: Depth=1
                                        ;     Child Loop BB165_35 Depth 2
                                        ;     Child Loop BB165_45 Depth 2
	v_or_b32_e32 v156, s36, v150
	v_cmp_le_i32_e32 vcc, s14, v156
	v_min_i32_e32 v0, s15, v156
	s_or_b64 s[10:11], s[2:3], vcc
	v_ashrrev_i32_e32 v1, 31, v0
	s_or_b64 s[40:41], s[16:17], s[10:11]
	v_lshl_add_u64 v[2:3], v[0:1], 3, s[34:35]
	v_cndmask_b32_e64 v77, 0, v155, s[10:11]
	s_xor_b64 s[40:41], s[40:41], -1
	v_cndmask_b32_e64 v76, 0, -1, s[10:11]
	s_and_saveexec_b64 s[10:11], s[40:41]
	s_cbranch_execz .LBB165_28
; %bb.27:                               ;   in Loop: Header=BB165_26 Depth=1
	v_lshl_add_u64 v[4:5], v[68:69], 3, v[2:3]
	flat_load_dwordx2 v[4:5], v[4:5]
	s_waitcnt vmcnt(0) lgkmcnt(0)
	v_mul_f64 v[76:77], s[28:29], v[4:5]
.LBB165_28:                             ;   in Loop: Header=BB165_26 Depth=1
	s_or_b64 exec, exec, s[10:11]
	s_or_b64 s[10:11], s[4:5], vcc
	s_or_b64 s[40:41], s[16:17], s[10:11]
	v_cndmask_b32_e64 v79, 0, v155, s[10:11]
	s_xor_b64 s[40:41], s[40:41], -1
	v_cndmask_b32_e64 v78, 0, -1, s[10:11]
	s_and_saveexec_b64 s[10:11], s[40:41]
	s_cbranch_execz .LBB165_30
; %bb.29:                               ;   in Loop: Header=BB165_26 Depth=1
	v_lshl_add_u64 v[2:3], v[70:71], 3, v[2:3]
	flat_load_dwordx2 v[2:3], v[2:3]
	s_waitcnt vmcnt(0) lgkmcnt(0)
	v_mul_f64 v[78:79], s[28:29], v[2:3]
.LBB165_30:                             ;   in Loop: Header=BB165_26 Depth=1
	s_or_b64 exec, exec, s[10:11]
	s_or_b64 s[10:11], s[6:7], vcc
	s_or_b64 s[40:41], s[16:17], s[10:11]
	v_lshl_add_u64 v[0:1], v[0:1], 3, s[30:31]
	v_cndmask_b32_e64 v81, 0, v155, s[10:11]
	s_xor_b64 s[40:41], s[40:41], -1
	v_cndmask_b32_e64 v80, 0, -1, s[10:11]
	s_and_saveexec_b64 s[10:11], s[40:41]
	s_cbranch_execz .LBB165_32
; %bb.31:                               ;   in Loop: Header=BB165_26 Depth=1
	v_lshl_add_u64 v[2:3], v[72:73], 3, v[0:1]
	flat_load_dwordx2 v[2:3], v[2:3]
	s_waitcnt vmcnt(0) lgkmcnt(0)
	v_mul_f64 v[80:81], s[28:29], v[2:3]
.LBB165_32:                             ;   in Loop: Header=BB165_26 Depth=1
	s_or_b64 exec, exec, s[10:11]
	s_or_b64 vcc, s[8:9], vcc
	s_or_b64 s[10:11], s[16:17], vcc
	v_cndmask_b32_e32 v83, 0, v155, vcc
	s_xor_b64 s[40:41], s[10:11], -1
	v_cndmask_b32_e64 v82, 0, -1, vcc
	s_and_saveexec_b64 s[10:11], s[40:41]
	s_cbranch_execz .LBB165_34
; %bb.33:                               ;   in Loop: Header=BB165_26 Depth=1
	v_lshl_add_u64 v[0:1], v[74:75], 3, v[0:1]
	flat_load_dwordx2 v[0:1], v[0:1]
	s_waitcnt vmcnt(0) lgkmcnt(0)
	v_mul_f64 v[82:83], s[28:29], v[0:1]
.LBB165_34:                             ;   in Loop: Header=BB165_26 Depth=1
	s_or_b64 exec, exec, s[10:11]
	s_mov_b32 s39, 0
	s_mov_b64 s[10:11], -1
.LBB165_35:                             ;   Parent Loop BB165_26 Depth=1
                                        ; =>  This Inner Loop Header: Depth=2
	v_cndmask_b32_e64 v0, 0, 1, s[10:11]
	s_lshl_b32 s10, s39, 3
	v_cmp_ne_u32_e32 vcc, 1, v0
	v_lshl_add_u32 v0, v139, 5, s10
	ds_read_b128 v[12:15], v0 offset:4096
	ds_read_b128 v[8:11], v0 offset:5120
	;; [unrolled: 1-line block ×4, first 2 shown]
	v_lshl_add_u32 v16, v140, 5, s10
	ds_read_b128 v[158:161], v16 offset:12288
	ds_read_b128 v[162:165], v16 offset:12544
	;; [unrolled: 1-line block ×16, first 2 shown]
	s_waitcnt lgkmcnt(14)
	v_add_f64 v[170:171], v[14:15], v[160:161]
	v_add_f64 v[172:173], v[12:13], v[158:159]
	v_cvt_f32_f64_e32 v157, v[172:173]
	v_cvt_f32_f64_e32 v170, v[170:171]
	v_min3_f32 v149, v157, v170, v149
	v_add_f64 v[170:171], v[10:11], v[160:161]
	v_add_f64 v[172:173], v[8:9], v[158:159]
	v_cvt_f32_f64_e32 v157, v[172:173]
	v_cvt_f32_f64_e32 v170, v[170:171]
	v_min3_f32 v148, v157, v170, v148
	v_add_f64 v[170:171], v[6:7], v[160:161]
	v_add_f64 v[172:173], v[4:5], v[158:159]
	v_cvt_f32_f64_e32 v157, v[172:173]
	v_cvt_f32_f64_e32 v170, v[170:171]
	v_add_f64 v[160:161], v[2:3], v[160:161]
	v_add_f64 v[158:159], v[0:1], v[158:159]
	v_min3_f32 v147, v157, v170, v147
	v_cvt_f32_f64_e32 v157, v[158:159]
	v_cvt_f32_f64_e32 v158, v[160:161]
	v_min3_f32 v146, v157, v158, v146
	v_add_f64 v[158:159], v[14:15], v[164:165]
	v_add_f64 v[160:161], v[12:13], v[162:163]
	v_cvt_f32_f64_e32 v157, v[160:161]
	v_cvt_f32_f64_e32 v158, v[158:159]
	v_min3_f32 v145, v157, v158, v145
	v_add_f64 v[158:159], v[10:11], v[164:165]
	v_add_f64 v[160:161], v[8:9], v[162:163]
	v_cvt_f32_f64_e32 v157, v[160:161]
	v_cvt_f32_f64_e32 v158, v[158:159]
	v_min3_f32 v144, v157, v158, v144
	v_add_f64 v[158:159], v[6:7], v[164:165]
	v_add_f64 v[160:161], v[4:5], v[162:163]
	v_cvt_f32_f64_e32 v157, v[160:161]
	v_cvt_f32_f64_e32 v158, v[158:159]
	v_min3_f32 v143, v157, v158, v143
	v_add_f64 v[158:159], v[2:3], v[164:165]
	v_add_f64 v[160:161], v[0:1], v[162:163]
	v_cvt_f32_f64_e32 v157, v[160:161]
	v_cvt_f32_f64_e32 v158, v[158:159]
	v_min3_f32 v142, v157, v158, v142
	s_waitcnt lgkmcnt(13)
	v_add_f64 v[158:159], v[14:15], v[168:169]
	v_add_f64 v[160:161], v[12:13], v[166:167]
	v_cvt_f32_f64_e32 v157, v[160:161]
	v_cvt_f32_f64_e32 v158, v[158:159]
	v_min3_f32 v141, v157, v158, v141
	v_add_f64 v[158:159], v[10:11], v[168:169]
	v_add_f64 v[160:161], v[8:9], v[166:167]
	v_cvt_f32_f64_e32 v157, v[160:161]
	v_cvt_f32_f64_e32 v158, v[158:159]
	v_min3_f32 v138, v157, v158, v138
	;; [unrolled: 5-line block ×4, first 2 shown]
	s_waitcnt lgkmcnt(12)
	v_add_f64 v[158:159], v[14:15], v[66:67]
	v_add_f64 v[160:161], v[12:13], v[64:65]
	v_cvt_f32_f64_e32 v157, v[160:161]
	v_cvt_f32_f64_e32 v158, v[158:159]
	v_min3_f32 v135, v157, v158, v135
	v_add_f64 v[158:159], v[10:11], v[66:67]
	v_add_f64 v[160:161], v[8:9], v[64:65]
	v_cvt_f32_f64_e32 v157, v[160:161]
	v_cvt_f32_f64_e32 v158, v[158:159]
	v_min3_f32 v134, v157, v158, v134
	v_add_f64 v[158:159], v[6:7], v[66:67]
	v_add_f64 v[160:161], v[4:5], v[64:65]
	v_add_f64 v[66:67], v[2:3], v[66:67]
	v_add_f64 v[64:65], v[0:1], v[64:65]
	v_cvt_f32_f64_e32 v64, v[64:65]
	v_cvt_f32_f64_e32 v65, v[66:67]
	v_min3_f32 v132, v64, v65, v132
	s_waitcnt lgkmcnt(11)
	v_add_f64 v[64:65], v[14:15], v[62:63]
	v_add_f64 v[66:67], v[12:13], v[60:61]
	v_cvt_f32_f64_e32 v66, v[66:67]
	v_cvt_f32_f64_e32 v64, v[64:65]
	v_min3_f32 v131, v66, v64, v131
	v_add_f64 v[64:65], v[10:11], v[62:63]
	v_add_f64 v[66:67], v[8:9], v[60:61]
	v_cvt_f32_f64_e32 v66, v[66:67]
	v_cvt_f32_f64_e32 v64, v[64:65]
	v_min3_f32 v130, v66, v64, v130
	v_add_f64 v[64:65], v[6:7], v[62:63]
	v_add_f64 v[66:67], v[4:5], v[60:61]
	v_add_f64 v[62:63], v[2:3], v[62:63]
	v_add_f64 v[60:61], v[0:1], v[60:61]
	v_cvt_f32_f64_e32 v60, v[60:61]
	v_cvt_f32_f64_e32 v61, v[62:63]
	v_min3_f32 v128, v60, v61, v128
	;; [unrolled: 18-line block ×11, first 2 shown]
	s_waitcnt lgkmcnt(1)
	v_add_f64 v[24:25], v[14:15], v[22:23]
	v_add_f64 v[26:27], v[12:13], v[20:21]
	v_cvt_f32_f64_e32 v26, v[26:27]
	v_cvt_f32_f64_e32 v24, v[24:25]
	v_min3_f32 v91, v26, v24, v91
	v_add_f64 v[24:25], v[10:11], v[22:23]
	v_add_f64 v[26:27], v[8:9], v[20:21]
	v_cvt_f32_f64_e32 v26, v[26:27]
	v_cvt_f32_f64_e32 v24, v[24:25]
	v_min3_f32 v90, v26, v24, v90
	v_add_f64 v[24:25], v[6:7], v[22:23]
	v_add_f64 v[26:27], v[4:5], v[20:21]
	;; [unrolled: 1-line block ×4, first 2 shown]
	s_waitcnt lgkmcnt(0)
	v_add_f64 v[14:15], v[14:15], v[18:19]
	v_add_f64 v[12:13], v[12:13], v[16:17]
	;; [unrolled: 1-line block ×8, first 2 shown]
	v_cvt_f32_f64_e32 v157, v[160:161]
	v_cvt_f32_f64_e32 v158, v[158:159]
	;; [unrolled: 1-line block ×34, first 2 shown]
	v_min3_f32 v133, v157, v158, v133
	v_min3_f32 v129, v66, v64, v129
	;; [unrolled: 1-line block ×17, first 2 shown]
	s_mov_b32 s39, 2
	s_mov_b64 s[10:11], 0
	s_cbranch_vccz .LBB165_35
; %bb.36:                               ;   in Loop: Header=BB165_26 Depth=1
	v_or_b32_e32 v0, 4, v156
	v_cmp_le_i32_e32 vcc, s14, v0
	v_min_i32_e32 v0, s15, v0
	s_or_b64 s[10:11], s[2:3], vcc
	v_ashrrev_i32_e32 v1, 31, v0
	s_or_b64 s[40:41], s[16:17], s[10:11]
	ds_write2st64_b64 v151, v[76:77], v[78:79] offset1:4
	ds_write2st64_b64 v152, v[80:81], v[82:83] offset1:4
	v_lshl_add_u64 v[2:3], v[0:1], 3, s[34:35]
	v_cndmask_b32_e64 v77, 0, v155, s[10:11]
	s_xor_b64 s[40:41], s[40:41], -1
	v_cndmask_b32_e64 v76, 0, -1, s[10:11]
	s_waitcnt lgkmcnt(0)
	s_barrier
	s_and_saveexec_b64 s[10:11], s[40:41]
	s_cbranch_execz .LBB165_38
; %bb.37:                               ;   in Loop: Header=BB165_26 Depth=1
	v_lshl_add_u64 v[4:5], v[68:69], 3, v[2:3]
	flat_load_dwordx2 v[4:5], v[4:5]
	s_waitcnt vmcnt(0) lgkmcnt(0)
	v_mul_f64 v[76:77], s[28:29], v[4:5]
.LBB165_38:                             ;   in Loop: Header=BB165_26 Depth=1
	s_or_b64 exec, exec, s[10:11]
	s_or_b64 s[10:11], s[4:5], vcc
	s_or_b64 s[40:41], s[16:17], s[10:11]
	v_cndmask_b32_e64 v79, 0, v155, s[10:11]
	s_xor_b64 s[40:41], s[40:41], -1
	v_cndmask_b32_e64 v78, 0, -1, s[10:11]
	s_and_saveexec_b64 s[10:11], s[40:41]
	s_cbranch_execz .LBB165_40
; %bb.39:                               ;   in Loop: Header=BB165_26 Depth=1
	v_lshl_add_u64 v[2:3], v[70:71], 3, v[2:3]
	flat_load_dwordx2 v[2:3], v[2:3]
	s_waitcnt vmcnt(0) lgkmcnt(0)
	v_mul_f64 v[78:79], s[28:29], v[2:3]
.LBB165_40:                             ;   in Loop: Header=BB165_26 Depth=1
	s_or_b64 exec, exec, s[10:11]
	s_or_b64 s[10:11], s[6:7], vcc
	s_or_b64 s[40:41], s[16:17], s[10:11]
	v_lshl_add_u64 v[0:1], v[0:1], 3, s[30:31]
	v_cndmask_b32_e64 v81, 0, v155, s[10:11]
	s_xor_b64 s[40:41], s[40:41], -1
	v_cndmask_b32_e64 v80, 0, -1, s[10:11]
	s_and_saveexec_b64 s[10:11], s[40:41]
	s_cbranch_execz .LBB165_42
; %bb.41:                               ;   in Loop: Header=BB165_26 Depth=1
	v_lshl_add_u64 v[2:3], v[72:73], 3, v[0:1]
	flat_load_dwordx2 v[2:3], v[2:3]
	s_waitcnt vmcnt(0) lgkmcnt(0)
	v_mul_f64 v[80:81], s[28:29], v[2:3]
.LBB165_42:                             ;   in Loop: Header=BB165_26 Depth=1
	s_or_b64 exec, exec, s[10:11]
	s_or_b64 vcc, s[8:9], vcc
	s_or_b64 s[10:11], s[16:17], vcc
	v_cndmask_b32_e32 v83, 0, v155, vcc
	s_xor_b64 s[40:41], s[10:11], -1
	v_cndmask_b32_e64 v82, 0, -1, vcc
	s_and_saveexec_b64 s[10:11], s[40:41]
	s_cbranch_execz .LBB165_44
; %bb.43:                               ;   in Loop: Header=BB165_26 Depth=1
	v_lshl_add_u64 v[0:1], v[74:75], 3, v[0:1]
	flat_load_dwordx2 v[0:1], v[0:1]
	s_waitcnt vmcnt(0) lgkmcnt(0)
	v_mul_f64 v[82:83], s[28:29], v[0:1]
.LBB165_44:                             ;   in Loop: Header=BB165_26 Depth=1
	s_or_b64 exec, exec, s[10:11]
	s_mov_b32 s39, 0
	s_mov_b64 s[10:11], -1
.LBB165_45:                             ;   Parent Loop BB165_26 Depth=1
                                        ; =>  This Inner Loop Header: Depth=2
	v_cndmask_b32_e64 v0, 0, 1, s[10:11]
	s_lshl_b32 s10, s39, 3
	v_cmp_ne_u32_e32 vcc, 1, v0
	v_lshl_add_u32 v0, v139, 5, s10
	ds_read_b128 v[12:15], v0
	ds_read_b128 v[8:11], v0 offset:1024
	ds_read_b128 v[4:7], v0 offset:2048
	;; [unrolled: 1-line block ×3, first 2 shown]
	v_lshl_add_u32 v16, v140, 5, s10
	ds_read_b128 v[156:159], v16 offset:8192
	ds_read_b128 v[160:163], v16 offset:8448
	;; [unrolled: 1-line block ×16, first 2 shown]
	s_waitcnt lgkmcnt(14)
	v_add_f64 v[168:169], v[14:15], v[158:159]
	v_add_f64 v[170:171], v[12:13], v[156:157]
	v_cvt_f32_f64_e32 v170, v[170:171]
	v_cvt_f32_f64_e32 v168, v[168:169]
	v_min3_f32 v149, v170, v168, v149
	v_add_f64 v[168:169], v[10:11], v[158:159]
	v_add_f64 v[170:171], v[8:9], v[156:157]
	v_cvt_f32_f64_e32 v170, v[170:171]
	v_cvt_f32_f64_e32 v168, v[168:169]
	v_min3_f32 v148, v170, v168, v148
	v_add_f64 v[168:169], v[6:7], v[158:159]
	v_add_f64 v[170:171], v[4:5], v[156:157]
	;; [unrolled: 1-line block ×4, first 2 shown]
	v_cvt_f32_f64_e32 v156, v[156:157]
	v_cvt_f32_f64_e32 v157, v[158:159]
	v_min3_f32 v146, v156, v157, v146
	v_add_f64 v[156:157], v[14:15], v[162:163]
	v_add_f64 v[158:159], v[12:13], v[160:161]
	v_cvt_f32_f64_e32 v158, v[158:159]
	v_cvt_f32_f64_e32 v156, v[156:157]
	v_min3_f32 v145, v158, v156, v145
	v_add_f64 v[156:157], v[10:11], v[162:163]
	v_add_f64 v[158:159], v[8:9], v[160:161]
	;; [unrolled: 5-line block ×4, first 2 shown]
	v_cvt_f32_f64_e32 v158, v[158:159]
	v_cvt_f32_f64_e32 v156, v[156:157]
	v_min3_f32 v142, v158, v156, v142
	s_waitcnt lgkmcnt(13)
	v_add_f64 v[156:157], v[14:15], v[166:167]
	v_add_f64 v[158:159], v[12:13], v[164:165]
	v_cvt_f32_f64_e32 v158, v[158:159]
	v_cvt_f32_f64_e32 v156, v[156:157]
	v_min3_f32 v141, v158, v156, v141
	v_add_f64 v[156:157], v[10:11], v[166:167]
	v_add_f64 v[158:159], v[8:9], v[164:165]
	v_cvt_f32_f64_e32 v158, v[158:159]
	v_cvt_f32_f64_e32 v156, v[156:157]
	v_min3_f32 v138, v158, v156, v138
	v_add_f64 v[156:157], v[6:7], v[166:167]
	v_add_f64 v[158:159], v[4:5], v[164:165]
	v_cvt_f32_f64_e32 v158, v[158:159]
	v_cvt_f32_f64_e32 v156, v[156:157]
	v_min3_f32 v137, v158, v156, v137
	v_add_f64 v[156:157], v[2:3], v[166:167]
	v_add_f64 v[158:159], v[0:1], v[164:165]
	v_cvt_f32_f64_e32 v158, v[158:159]
	v_cvt_f32_f64_e32 v156, v[156:157]
	v_min3_f32 v136, v158, v156, v136
	s_waitcnt lgkmcnt(12)
	v_add_f64 v[156:157], v[14:15], v[66:67]
	v_add_f64 v[158:159], v[12:13], v[64:65]
	v_cvt_f32_f64_e32 v158, v[158:159]
	v_cvt_f32_f64_e32 v156, v[156:157]
	v_min3_f32 v135, v158, v156, v135
	v_add_f64 v[156:157], v[10:11], v[66:67]
	v_add_f64 v[158:159], v[8:9], v[64:65]
	v_cvt_f32_f64_e32 v158, v[158:159]
	v_cvt_f32_f64_e32 v156, v[156:157]
	v_min3_f32 v134, v158, v156, v134
	v_add_f64 v[156:157], v[6:7], v[66:67]
	v_add_f64 v[158:159], v[4:5], v[64:65]
	v_add_f64 v[66:67], v[2:3], v[66:67]
	v_add_f64 v[64:65], v[0:1], v[64:65]
	v_cvt_f32_f64_e32 v64, v[64:65]
	v_cvt_f32_f64_e32 v65, v[66:67]
	v_min3_f32 v132, v64, v65, v132
	s_waitcnt lgkmcnt(11)
	v_add_f64 v[64:65], v[14:15], v[62:63]
	v_add_f64 v[66:67], v[12:13], v[60:61]
	v_cvt_f32_f64_e32 v66, v[66:67]
	v_cvt_f32_f64_e32 v64, v[64:65]
	v_min3_f32 v131, v66, v64, v131
	v_add_f64 v[64:65], v[10:11], v[62:63]
	v_add_f64 v[66:67], v[8:9], v[60:61]
	v_cvt_f32_f64_e32 v66, v[66:67]
	v_cvt_f32_f64_e32 v64, v[64:65]
	v_min3_f32 v130, v66, v64, v130
	v_add_f64 v[64:65], v[6:7], v[62:63]
	v_add_f64 v[66:67], v[4:5], v[60:61]
	v_add_f64 v[62:63], v[2:3], v[62:63]
	v_add_f64 v[60:61], v[0:1], v[60:61]
	v_cvt_f32_f64_e32 v60, v[60:61]
	v_cvt_f32_f64_e32 v61, v[62:63]
	v_min3_f32 v128, v60, v61, v128
	;; [unrolled: 18-line block ×11, first 2 shown]
	s_waitcnt lgkmcnt(1)
	v_add_f64 v[24:25], v[14:15], v[22:23]
	v_add_f64 v[26:27], v[12:13], v[20:21]
	v_cvt_f32_f64_e32 v26, v[26:27]
	v_cvt_f32_f64_e32 v24, v[24:25]
	v_min3_f32 v91, v26, v24, v91
	v_add_f64 v[24:25], v[10:11], v[22:23]
	v_add_f64 v[26:27], v[8:9], v[20:21]
	v_cvt_f32_f64_e32 v26, v[26:27]
	v_cvt_f32_f64_e32 v24, v[24:25]
	v_min3_f32 v90, v26, v24, v90
	v_add_f64 v[24:25], v[6:7], v[22:23]
	v_add_f64 v[26:27], v[4:5], v[20:21]
	v_add_f64 v[22:23], v[2:3], v[22:23]
	v_add_f64 v[20:21], v[0:1], v[20:21]
	s_waitcnt lgkmcnt(0)
	v_add_f64 v[14:15], v[14:15], v[18:19]
	v_add_f64 v[12:13], v[12:13], v[16:17]
	;; [unrolled: 1-line block ×8, first 2 shown]
	v_cvt_f32_f64_e32 v170, v[170:171]
	v_cvt_f32_f64_e32 v168, v[168:169]
	v_cvt_f32_f64_e32 v158, v[158:159]
	v_cvt_f32_f64_e32 v156, v[156:157]
	v_cvt_f32_f64_e32 v66, v[66:67]
	v_cvt_f32_f64_e32 v64, v[64:65]
	v_cvt_f32_f64_e32 v62, v[62:63]
	v_cvt_f32_f64_e32 v60, v[60:61]
	v_cvt_f32_f64_e32 v58, v[58:59]
	v_cvt_f32_f64_e32 v56, v[56:57]
	v_cvt_f32_f64_e32 v54, v[54:55]
	v_cvt_f32_f64_e32 v52, v[52:53]
	v_cvt_f32_f64_e32 v50, v[50:51]
	v_cvt_f32_f64_e32 v48, v[48:49]
	v_cvt_f32_f64_e32 v46, v[46:47]
	v_cvt_f32_f64_e32 v44, v[44:45]
	v_cvt_f32_f64_e32 v42, v[42:43]
	v_cvt_f32_f64_e32 v40, v[40:41]
	v_cvt_f32_f64_e32 v38, v[38:39]
	v_cvt_f32_f64_e32 v36, v[36:37]
	v_cvt_f32_f64_e32 v34, v[34:35]
	v_cvt_f32_f64_e32 v32, v[32:33]
	v_cvt_f32_f64_e32 v30, v[30:31]
	v_cvt_f32_f64_e32 v28, v[28:29]
	v_cvt_f32_f64_e32 v26, v[26:27]
	v_cvt_f32_f64_e32 v24, v[24:25]
	v_cvt_f32_f64_e32 v20, v[20:21]
	v_cvt_f32_f64_e32 v21, v[22:23]
	v_cvt_f32_f64_e32 v12, v[12:13]
	v_cvt_f32_f64_e32 v13, v[14:15]
	v_cvt_f32_f64_e32 v8, v[8:9]
	v_cvt_f32_f64_e32 v9, v[10:11]
	v_cvt_f32_f64_e32 v4, v[4:5]
	v_cvt_f32_f64_e32 v5, v[6:7]
	v_cvt_f32_f64_e32 v0, v[0:1]
	v_cvt_f32_f64_e32 v1, v[2:3]
	v_min3_f32 v147, v170, v168, v147
	v_min3_f32 v133, v158, v156, v133
	;; [unrolled: 1-line block ×18, first 2 shown]
	s_mov_b32 s39, 2
	s_mov_b64 s[10:11], 0
	s_cbranch_vccz .LBB165_45
; %bb.46:                               ;   in Loop: Header=BB165_26 Depth=1
	s_add_i32 s36, s36, 8
	s_add_i32 s38, s38, 8
	s_cmp_ge_i32 s38, s37
	ds_write2st64_b64 v153, v[76:77], v[78:79] offset1:4
	ds_write2st64_b64 v154, v[80:81], v[82:83] offset1:4
	s_waitcnt lgkmcnt(0)
	s_barrier
	s_cbranch_scc0 .LBB165_26
.LBB165_47:
	s_mov_b32 s4, 0
	s_mov_b64 s[2:3], -1
.LBB165_48:                             ; =>This Inner Loop Header: Depth=1
	v_cndmask_b32_e64 v0, 0, 1, s[2:3]
	s_lshl_b32 s2, s4, 3
	v_cmp_ne_u32_e32 vcc, 1, v0
	v_lshl_add_u32 v0, v139, 5, s2
	ds_read_b128 v[12:15], v0 offset:4096
	ds_read_b128 v[8:11], v0 offset:5120
	;; [unrolled: 1-line block ×4, first 2 shown]
	v_lshl_add_u32 v16, v140, 5, s2
	ds_read_b128 v[68:71], v16 offset:12288
	ds_read_b128 v[72:75], v16 offset:12544
	;; [unrolled: 1-line block ×16, first 2 shown]
	s_waitcnt lgkmcnt(14)
	v_add_f64 v[80:81], v[14:15], v[70:71]
	v_add_f64 v[82:83], v[12:13], v[68:69]
	v_cvt_f32_f64_e32 v82, v[82:83]
	v_cvt_f32_f64_e32 v80, v[80:81]
	v_min3_f32 v149, v82, v80, v149
	v_add_f64 v[80:81], v[10:11], v[70:71]
	v_add_f64 v[82:83], v[8:9], v[68:69]
	v_cvt_f32_f64_e32 v82, v[82:83]
	v_cvt_f32_f64_e32 v80, v[80:81]
	v_min3_f32 v148, v82, v80, v148
	v_add_f64 v[80:81], v[6:7], v[70:71]
	v_add_f64 v[82:83], v[4:5], v[68:69]
	;; [unrolled: 1-line block ×4, first 2 shown]
	v_cvt_f32_f64_e32 v68, v[68:69]
	v_cvt_f32_f64_e32 v69, v[70:71]
	v_min3_f32 v146, v68, v69, v146
	v_add_f64 v[68:69], v[14:15], v[74:75]
	v_add_f64 v[70:71], v[12:13], v[72:73]
	v_cvt_f32_f64_e32 v70, v[70:71]
	v_cvt_f32_f64_e32 v68, v[68:69]
	v_min3_f32 v145, v70, v68, v145
	v_add_f64 v[68:69], v[10:11], v[74:75]
	v_add_f64 v[70:71], v[8:9], v[72:73]
	;; [unrolled: 5-line block ×4, first 2 shown]
	v_cvt_f32_f64_e32 v70, v[70:71]
	v_cvt_f32_f64_e32 v68, v[68:69]
	v_min3_f32 v142, v70, v68, v142
	s_waitcnt lgkmcnt(13)
	v_add_f64 v[68:69], v[14:15], v[78:79]
	v_add_f64 v[70:71], v[12:13], v[76:77]
	v_cvt_f32_f64_e32 v70, v[70:71]
	v_cvt_f32_f64_e32 v68, v[68:69]
	v_min3_f32 v141, v70, v68, v141
	v_add_f64 v[68:69], v[10:11], v[78:79]
	v_add_f64 v[70:71], v[8:9], v[76:77]
	v_cvt_f32_f64_e32 v70, v[70:71]
	v_cvt_f32_f64_e32 v68, v[68:69]
	v_min3_f32 v138, v70, v68, v138
	;; [unrolled: 5-line block ×4, first 2 shown]
	s_waitcnt lgkmcnt(12)
	v_add_f64 v[68:69], v[14:15], v[66:67]
	v_add_f64 v[70:71], v[12:13], v[64:65]
	v_cvt_f32_f64_e32 v70, v[70:71]
	v_cvt_f32_f64_e32 v68, v[68:69]
	v_min3_f32 v135, v70, v68, v135
	v_add_f64 v[68:69], v[10:11], v[66:67]
	v_add_f64 v[70:71], v[8:9], v[64:65]
	v_cvt_f32_f64_e32 v70, v[70:71]
	v_cvt_f32_f64_e32 v68, v[68:69]
	v_min3_f32 v134, v70, v68, v134
	v_add_f64 v[68:69], v[6:7], v[66:67]
	v_add_f64 v[70:71], v[4:5], v[64:65]
	v_add_f64 v[66:67], v[2:3], v[66:67]
	v_add_f64 v[64:65], v[0:1], v[64:65]
	v_cvt_f32_f64_e32 v64, v[64:65]
	v_cvt_f32_f64_e32 v65, v[66:67]
	v_min3_f32 v132, v64, v65, v132
	s_waitcnt lgkmcnt(11)
	v_add_f64 v[64:65], v[14:15], v[62:63]
	v_add_f64 v[66:67], v[12:13], v[60:61]
	v_cvt_f32_f64_e32 v66, v[66:67]
	v_cvt_f32_f64_e32 v64, v[64:65]
	v_min3_f32 v131, v66, v64, v131
	v_add_f64 v[64:65], v[10:11], v[62:63]
	v_add_f64 v[66:67], v[8:9], v[60:61]
	v_cvt_f32_f64_e32 v66, v[66:67]
	v_cvt_f32_f64_e32 v64, v[64:65]
	v_min3_f32 v130, v66, v64, v130
	v_add_f64 v[64:65], v[6:7], v[62:63]
	v_add_f64 v[66:67], v[4:5], v[60:61]
	v_add_f64 v[62:63], v[2:3], v[62:63]
	v_add_f64 v[60:61], v[0:1], v[60:61]
	v_cvt_f32_f64_e32 v60, v[60:61]
	v_cvt_f32_f64_e32 v61, v[62:63]
	v_min3_f32 v128, v60, v61, v128
	;; [unrolled: 18-line block ×11, first 2 shown]
	s_waitcnt lgkmcnt(1)
	v_add_f64 v[24:25], v[14:15], v[22:23]
	v_add_f64 v[26:27], v[12:13], v[20:21]
	v_cvt_f32_f64_e32 v26, v[26:27]
	v_cvt_f32_f64_e32 v24, v[24:25]
	v_min3_f32 v91, v26, v24, v91
	v_add_f64 v[24:25], v[10:11], v[22:23]
	v_add_f64 v[26:27], v[8:9], v[20:21]
	v_cvt_f32_f64_e32 v26, v[26:27]
	v_cvt_f32_f64_e32 v24, v[24:25]
	v_min3_f32 v90, v26, v24, v90
	v_add_f64 v[24:25], v[6:7], v[22:23]
	v_add_f64 v[26:27], v[4:5], v[20:21]
	;; [unrolled: 1-line block ×4, first 2 shown]
	s_waitcnt lgkmcnt(0)
	v_add_f64 v[14:15], v[14:15], v[18:19]
	v_add_f64 v[12:13], v[12:13], v[16:17]
	;; [unrolled: 1-line block ×8, first 2 shown]
	v_cvt_f32_f64_e32 v82, v[82:83]
	v_cvt_f32_f64_e32 v80, v[80:81]
	;; [unrolled: 1-line block ×36, first 2 shown]
	v_min3_f32 v147, v82, v80, v147
	v_min3_f32 v133, v70, v68, v133
	;; [unrolled: 1-line block ×18, first 2 shown]
	s_mov_b32 s4, 2
	s_mov_b64 s[2:3], 0
	s_cbranch_vccz .LBB165_48
; %bb.49:
	s_load_dwordx2 s[2:3], s[0:1], 0x78
	s_load_dword s29, s[0:1], 0x58
	s_load_dword s28, s[0:1], 0x70
	v_add_u32_e32 v14, s33, v140
	v_add_u32_e32 v0, s25, v139
	s_waitcnt lgkmcnt(0)
	s_mul_i32 s1, s24, s3
	s_mul_hi_u32 s3, s24, s2
	s_mul_i32 s0, s24, s2
	s_add_i32 s1, s3, s1
	s_lshl_b64 s[0:1], s[0:1], 3
	s_add_u32 s14, s18, s0
	s_addc_u32 s15, s19, s1
	v_mad_i64_i32 v[2:3], s[0:1], v14, s29, 0
	v_lshl_add_u64 v[10:11], v[2:3], 3, s[22:23]
	v_mad_i64_i32 v[2:3], s[0:1], v14, s28, 0
	v_cmp_gt_i32_e64 s[2:3], s12, v0
	v_cmp_gt_i32_e64 s[10:11], s13, v14
	v_lshl_add_u64 v[8:9], v[2:3], 3, s[14:15]
	v_cndmask_b32_e64 v2, 0, 1, s[26:27]
	v_ashrrev_i32_e32 v1, 31, v0
	s_and_b64 s[6:7], s[2:3], s[10:11]
	v_cmp_ne_u32_e64 s[0:1], 1, v2
	s_and_saveexec_b64 s[4:5], s[6:7]
	s_cbranch_execz .LBB165_54
; %bb.50:
	s_and_b64 vcc, exec, s[0:1]
	s_cbranch_vccnz .LBB165_52
; %bb.51:
	v_lshl_add_u64 v[2:3], v[0:1], 3, v[10:11]
	flat_load_dwordx2 v[2:3], v[2:3]
	s_waitcnt vmcnt(0) lgkmcnt(0)
	v_mul_f64 v[2:3], s[20:21], v[2:3]
	s_branch .LBB165_53
.LBB165_52:
	v_mov_b64_e32 v[2:3], 0
.LBB165_53:
	v_cvt_f32_f64_e32 v2, v[2:3]
	v_max_f32_e32 v3, v149, v149
	v_min_f32_e32 v2, v2, v3
	v_cvt_f64_f32_e32 v[2:3], v2
	v_lshl_add_u64 v[4:5], v[0:1], 3, v[8:9]
	global_store_dwordx2 v[4:5], v[2:3], off
.LBB165_54:
	s_or_b64 exec, exec, s[4:5]
	v_add_u32_e32 v2, 32, v0
	v_cmp_gt_i32_e64 s[4:5], s12, v2
	v_ashrrev_i32_e32 v3, 31, v2
	s_and_b64 s[8:9], s[4:5], s[10:11]
	s_and_saveexec_b64 s[6:7], s[8:9]
	s_cbranch_execz .LBB165_59
; %bb.55:
	s_and_b64 vcc, exec, s[0:1]
	s_cbranch_vccnz .LBB165_57
; %bb.56:
	v_lshl_add_u64 v[4:5], v[2:3], 3, v[10:11]
	flat_load_dwordx2 v[4:5], v[4:5]
	s_waitcnt vmcnt(0) lgkmcnt(0)
	v_mul_f64 v[4:5], s[20:21], v[4:5]
	s_branch .LBB165_58
.LBB165_57:
	v_mov_b64_e32 v[4:5], 0
.LBB165_58:
	v_cvt_f32_f64_e32 v4, v[4:5]
	v_max_f32_e32 v5, v148, v148
	v_min_f32_e32 v4, v4, v5
	v_cvt_f64_f32_e32 v[4:5], v4
	v_lshl_add_u64 v[6:7], v[2:3], 3, v[8:9]
	global_store_dwordx2 v[6:7], v[4:5], off
.LBB165_59:
	s_or_b64 exec, exec, s[6:7]
	v_add_u32_e32 v4, 64, v0
	v_cmp_gt_i32_e64 s[6:7], s12, v4
	v_ashrrev_i32_e32 v5, 31, v4
	s_and_b64 s[16:17], s[6:7], s[10:11]
	;; [unrolled: 26-line block ×3, first 2 shown]
	s_and_saveexec_b64 s[10:11], s[16:17]
	s_cbranch_execz .LBB165_69
; %bb.65:
	s_and_b64 vcc, exec, s[0:1]
	s_cbranch_vccnz .LBB165_67
; %bb.66:
	v_lshl_add_u64 v[10:11], v[6:7], 3, v[10:11]
	flat_load_dwordx2 v[10:11], v[10:11]
	s_waitcnt vmcnt(0) lgkmcnt(0)
	v_mul_f64 v[10:11], s[20:21], v[10:11]
	s_branch .LBB165_68
.LBB165_67:
	v_mov_b64_e32 v[10:11], 0
.LBB165_68:
	v_cvt_f32_f64_e32 v10, v[10:11]
	v_max_f32_e32 v11, v146, v146
	v_min_f32_e32 v10, v10, v11
	v_cvt_f64_f32_e32 v[10:11], v10
	v_lshl_add_u64 v[8:9], v[6:7], 3, v[8:9]
	global_store_dwordx2 v[8:9], v[10:11], off
.LBB165_69:
	s_or_b64 exec, exec, s[10:11]
	v_add_u32_e32 v12, 8, v14
	v_mad_i64_i32 v[8:9], s[16:17], v12, s29, 0
	v_cmp_gt_i32_e64 s[10:11], s13, v12
	v_lshl_add_u64 v[10:11], v[8:9], 3, s[22:23]
	v_mad_i64_i32 v[8:9], s[16:17], v12, s28, 0
	v_lshl_add_u64 v[8:9], v[8:9], 3, s[14:15]
	s_and_b64 s[18:19], s[2:3], s[10:11]
	s_and_saveexec_b64 s[16:17], s[18:19]
	s_cbranch_execnz .LBB165_73
; %bb.70:
	s_or_b64 exec, exec, s[16:17]
	s_and_b64 s[18:19], s[4:5], s[10:11]
	s_and_saveexec_b64 s[16:17], s[18:19]
	s_cbranch_execnz .LBB165_77
.LBB165_71:
	s_or_b64 exec, exec, s[16:17]
	s_and_b64 s[18:19], s[6:7], s[10:11]
	s_and_saveexec_b64 s[16:17], s[18:19]
	s_cbranch_execnz .LBB165_81
.LBB165_72:
	s_or_b64 exec, exec, s[16:17]
	s_and_b64 s[16:17], s[8:9], s[10:11]
	s_and_saveexec_b64 s[10:11], s[16:17]
	s_cbranch_execnz .LBB165_85
	s_branch .LBB165_89
.LBB165_73:
	s_and_b64 vcc, exec, s[0:1]
	s_cbranch_vccnz .LBB165_75
; %bb.74:
	v_lshl_add_u64 v[12:13], v[0:1], 3, v[10:11]
	flat_load_dwordx2 v[12:13], v[12:13]
	s_waitcnt vmcnt(0) lgkmcnt(0)
	v_mul_f64 v[12:13], s[20:21], v[12:13]
	s_branch .LBB165_76
.LBB165_75:
	v_mov_b64_e32 v[12:13], 0
.LBB165_76:
	v_cvt_f32_f64_e32 v12, v[12:13]
	v_max_f32_e32 v13, v145, v145
	v_min_f32_e32 v12, v12, v13
	v_cvt_f64_f32_e32 v[12:13], v12
	v_lshl_add_u64 v[16:17], v[0:1], 3, v[8:9]
	global_store_dwordx2 v[16:17], v[12:13], off
	s_or_b64 exec, exec, s[16:17]
	s_and_b64 s[18:19], s[4:5], s[10:11]
	s_and_saveexec_b64 s[16:17], s[18:19]
	s_cbranch_execz .LBB165_71
.LBB165_77:
	s_and_b64 vcc, exec, s[0:1]
	s_cbranch_vccnz .LBB165_79
; %bb.78:
	v_lshl_add_u64 v[12:13], v[2:3], 3, v[10:11]
	flat_load_dwordx2 v[12:13], v[12:13]
	s_waitcnt vmcnt(0) lgkmcnt(0)
	v_mul_f64 v[12:13], s[20:21], v[12:13]
	s_branch .LBB165_80
.LBB165_79:
	v_mov_b64_e32 v[12:13], 0
.LBB165_80:
	v_cvt_f32_f64_e32 v12, v[12:13]
	v_max_f32_e32 v13, v144, v144
	v_min_f32_e32 v12, v12, v13
	v_cvt_f64_f32_e32 v[12:13], v12
	v_lshl_add_u64 v[16:17], v[2:3], 3, v[8:9]
	global_store_dwordx2 v[16:17], v[12:13], off
	s_or_b64 exec, exec, s[16:17]
	s_and_b64 s[18:19], s[6:7], s[10:11]
	s_and_saveexec_b64 s[16:17], s[18:19]
	s_cbranch_execz .LBB165_72
.LBB165_81:
	s_and_b64 vcc, exec, s[0:1]
	s_cbranch_vccnz .LBB165_83
; %bb.82:
	v_lshl_add_u64 v[12:13], v[4:5], 3, v[10:11]
	flat_load_dwordx2 v[12:13], v[12:13]
	s_waitcnt vmcnt(0) lgkmcnt(0)
	v_mul_f64 v[12:13], s[20:21], v[12:13]
	s_branch .LBB165_84
.LBB165_83:
	v_mov_b64_e32 v[12:13], 0
.LBB165_84:
	v_cvt_f32_f64_e32 v12, v[12:13]
	v_max_f32_e32 v13, v143, v143
	v_min_f32_e32 v12, v12, v13
	v_cvt_f64_f32_e32 v[12:13], v12
	v_lshl_add_u64 v[16:17], v[4:5], 3, v[8:9]
	global_store_dwordx2 v[16:17], v[12:13], off
	s_or_b64 exec, exec, s[16:17]
	s_and_b64 s[16:17], s[8:9], s[10:11]
	s_and_saveexec_b64 s[10:11], s[16:17]
	s_cbranch_execz .LBB165_89
.LBB165_85:
	s_and_b64 vcc, exec, s[0:1]
	s_cbranch_vccnz .LBB165_87
; %bb.86:
	v_lshl_add_u64 v[10:11], v[6:7], 3, v[10:11]
	flat_load_dwordx2 v[10:11], v[10:11]
	s_waitcnt vmcnt(0) lgkmcnt(0)
	v_mul_f64 v[10:11], s[20:21], v[10:11]
	s_branch .LBB165_88
.LBB165_87:
	v_mov_b64_e32 v[10:11], 0
.LBB165_88:
	v_cvt_f32_f64_e32 v10, v[10:11]
	v_max_f32_e32 v11, v142, v142
	v_min_f32_e32 v10, v10, v11
	v_cvt_f64_f32_e32 v[10:11], v10
	v_lshl_add_u64 v[8:9], v[6:7], 3, v[8:9]
	global_store_dwordx2 v[8:9], v[10:11], off
.LBB165_89:
	s_or_b64 exec, exec, s[10:11]
	v_add_u32_e32 v12, 16, v14
	v_mad_i64_i32 v[8:9], s[16:17], v12, s29, 0
	v_cmp_gt_i32_e64 s[10:11], s13, v12
	v_lshl_add_u64 v[10:11], v[8:9], 3, s[22:23]
	v_mad_i64_i32 v[8:9], s[16:17], v12, s28, 0
	v_lshl_add_u64 v[8:9], v[8:9], 3, s[14:15]
	s_and_b64 s[18:19], s[2:3], s[10:11]
	s_and_saveexec_b64 s[16:17], s[18:19]
	s_cbranch_execnz .LBB165_93
; %bb.90:
	s_or_b64 exec, exec, s[16:17]
	s_and_b64 s[18:19], s[4:5], s[10:11]
	s_and_saveexec_b64 s[16:17], s[18:19]
	s_cbranch_execnz .LBB165_97
.LBB165_91:
	s_or_b64 exec, exec, s[16:17]
	s_and_b64 s[18:19], s[6:7], s[10:11]
	s_and_saveexec_b64 s[16:17], s[18:19]
	s_cbranch_execnz .LBB165_101
.LBB165_92:
	s_or_b64 exec, exec, s[16:17]
	s_and_b64 s[16:17], s[8:9], s[10:11]
	s_and_saveexec_b64 s[10:11], s[16:17]
	s_cbranch_execnz .LBB165_105
	s_branch .LBB165_109
.LBB165_93:
	s_and_b64 vcc, exec, s[0:1]
	s_cbranch_vccnz .LBB165_95
; %bb.94:
	v_lshl_add_u64 v[12:13], v[0:1], 3, v[10:11]
	flat_load_dwordx2 v[12:13], v[12:13]
	s_waitcnt vmcnt(0) lgkmcnt(0)
	v_mul_f64 v[12:13], s[20:21], v[12:13]
	s_branch .LBB165_96
.LBB165_95:
	v_mov_b64_e32 v[12:13], 0
.LBB165_96:
	v_cvt_f32_f64_e32 v12, v[12:13]
	v_max_f32_e32 v13, v141, v141
	v_min_f32_e32 v12, v12, v13
	v_cvt_f64_f32_e32 v[12:13], v12
	v_lshl_add_u64 v[16:17], v[0:1], 3, v[8:9]
	global_store_dwordx2 v[16:17], v[12:13], off
	s_or_b64 exec, exec, s[16:17]
	s_and_b64 s[18:19], s[4:5], s[10:11]
	s_and_saveexec_b64 s[16:17], s[18:19]
	s_cbranch_execz .LBB165_91
.LBB165_97:
	s_and_b64 vcc, exec, s[0:1]
	s_cbranch_vccnz .LBB165_99
; %bb.98:
	v_lshl_add_u64 v[12:13], v[2:3], 3, v[10:11]
	flat_load_dwordx2 v[12:13], v[12:13]
	s_waitcnt vmcnt(0) lgkmcnt(0)
	v_mul_f64 v[12:13], s[20:21], v[12:13]
	s_branch .LBB165_100
.LBB165_99:
	v_mov_b64_e32 v[12:13], 0
.LBB165_100:
	v_cvt_f32_f64_e32 v12, v[12:13]
	v_max_f32_e32 v13, v138, v138
	v_min_f32_e32 v12, v12, v13
	v_cvt_f64_f32_e32 v[12:13], v12
	v_lshl_add_u64 v[16:17], v[2:3], 3, v[8:9]
	global_store_dwordx2 v[16:17], v[12:13], off
	s_or_b64 exec, exec, s[16:17]
	s_and_b64 s[18:19], s[6:7], s[10:11]
	s_and_saveexec_b64 s[16:17], s[18:19]
	s_cbranch_execz .LBB165_92
.LBB165_101:
	s_and_b64 vcc, exec, s[0:1]
	s_cbranch_vccnz .LBB165_103
; %bb.102:
	v_lshl_add_u64 v[12:13], v[4:5], 3, v[10:11]
	flat_load_dwordx2 v[12:13], v[12:13]
	s_waitcnt vmcnt(0) lgkmcnt(0)
	v_mul_f64 v[12:13], s[20:21], v[12:13]
	s_branch .LBB165_104
.LBB165_103:
	v_mov_b64_e32 v[12:13], 0
.LBB165_104:
	v_cvt_f32_f64_e32 v12, v[12:13]
	v_max_f32_e32 v13, v137, v137
	v_min_f32_e32 v12, v12, v13
	v_cvt_f64_f32_e32 v[12:13], v12
	v_lshl_add_u64 v[16:17], v[4:5], 3, v[8:9]
	global_store_dwordx2 v[16:17], v[12:13], off
	s_or_b64 exec, exec, s[16:17]
	s_and_b64 s[16:17], s[8:9], s[10:11]
	s_and_saveexec_b64 s[10:11], s[16:17]
	s_cbranch_execz .LBB165_109
.LBB165_105:
	s_and_b64 vcc, exec, s[0:1]
	s_cbranch_vccnz .LBB165_107
; %bb.106:
	v_lshl_add_u64 v[10:11], v[6:7], 3, v[10:11]
	flat_load_dwordx2 v[10:11], v[10:11]
	s_waitcnt vmcnt(0) lgkmcnt(0)
	v_mul_f64 v[10:11], s[20:21], v[10:11]
	s_branch .LBB165_108
.LBB165_107:
	v_mov_b64_e32 v[10:11], 0
.LBB165_108:
	v_cvt_f32_f64_e32 v10, v[10:11]
	v_max_f32_e32 v11, v136, v136
	v_min_f32_e32 v10, v10, v11
	v_cvt_f64_f32_e32 v[10:11], v10
	v_lshl_add_u64 v[8:9], v[6:7], 3, v[8:9]
	global_store_dwordx2 v[8:9], v[10:11], off
.LBB165_109:
	s_or_b64 exec, exec, s[10:11]
	v_add_u32_e32 v12, 24, v14
	v_mad_i64_i32 v[8:9], s[16:17], v12, s29, 0
	v_cmp_gt_i32_e64 s[10:11], s13, v12
	v_lshl_add_u64 v[10:11], v[8:9], 3, s[22:23]
	v_mad_i64_i32 v[8:9], s[16:17], v12, s28, 0
	v_lshl_add_u64 v[8:9], v[8:9], 3, s[14:15]
	s_and_b64 s[18:19], s[2:3], s[10:11]
	s_and_saveexec_b64 s[16:17], s[18:19]
	s_cbranch_execnz .LBB165_113
; %bb.110:
	s_or_b64 exec, exec, s[16:17]
	s_and_b64 s[18:19], s[4:5], s[10:11]
	s_and_saveexec_b64 s[16:17], s[18:19]
	s_cbranch_execnz .LBB165_117
.LBB165_111:
	s_or_b64 exec, exec, s[16:17]
	s_and_b64 s[18:19], s[6:7], s[10:11]
	s_and_saveexec_b64 s[16:17], s[18:19]
	s_cbranch_execnz .LBB165_121
.LBB165_112:
	s_or_b64 exec, exec, s[16:17]
	s_and_b64 s[16:17], s[8:9], s[10:11]
	s_and_saveexec_b64 s[10:11], s[16:17]
	s_cbranch_execnz .LBB165_125
	s_branch .LBB165_129
.LBB165_113:
	s_and_b64 vcc, exec, s[0:1]
	s_cbranch_vccnz .LBB165_115
; %bb.114:
	v_lshl_add_u64 v[12:13], v[0:1], 3, v[10:11]
	flat_load_dwordx2 v[12:13], v[12:13]
	s_waitcnt vmcnt(0) lgkmcnt(0)
	v_mul_f64 v[12:13], s[20:21], v[12:13]
	s_branch .LBB165_116
.LBB165_115:
	v_mov_b64_e32 v[12:13], 0
.LBB165_116:
	v_cvt_f32_f64_e32 v12, v[12:13]
	v_max_f32_e32 v13, v135, v135
	v_min_f32_e32 v12, v12, v13
	v_cvt_f64_f32_e32 v[12:13], v12
	v_lshl_add_u64 v[16:17], v[0:1], 3, v[8:9]
	global_store_dwordx2 v[16:17], v[12:13], off
	s_or_b64 exec, exec, s[16:17]
	s_and_b64 s[18:19], s[4:5], s[10:11]
	s_and_saveexec_b64 s[16:17], s[18:19]
	s_cbranch_execz .LBB165_111
.LBB165_117:
	s_and_b64 vcc, exec, s[0:1]
	s_cbranch_vccnz .LBB165_119
; %bb.118:
	v_lshl_add_u64 v[12:13], v[2:3], 3, v[10:11]
	flat_load_dwordx2 v[12:13], v[12:13]
	s_waitcnt vmcnt(0) lgkmcnt(0)
	v_mul_f64 v[12:13], s[20:21], v[12:13]
	s_branch .LBB165_120
.LBB165_119:
	v_mov_b64_e32 v[12:13], 0
.LBB165_120:
	v_cvt_f32_f64_e32 v12, v[12:13]
	v_max_f32_e32 v13, v134, v134
	v_min_f32_e32 v12, v12, v13
	v_cvt_f64_f32_e32 v[12:13], v12
	v_lshl_add_u64 v[16:17], v[2:3], 3, v[8:9]
	global_store_dwordx2 v[16:17], v[12:13], off
	s_or_b64 exec, exec, s[16:17]
	s_and_b64 s[18:19], s[6:7], s[10:11]
	s_and_saveexec_b64 s[16:17], s[18:19]
	s_cbranch_execz .LBB165_112
.LBB165_121:
	s_and_b64 vcc, exec, s[0:1]
	s_cbranch_vccnz .LBB165_123
; %bb.122:
	v_lshl_add_u64 v[12:13], v[4:5], 3, v[10:11]
	flat_load_dwordx2 v[12:13], v[12:13]
	s_waitcnt vmcnt(0) lgkmcnt(0)
	v_mul_f64 v[12:13], s[20:21], v[12:13]
	s_branch .LBB165_124
.LBB165_123:
	v_mov_b64_e32 v[12:13], 0
.LBB165_124:
	v_cvt_f32_f64_e32 v12, v[12:13]
	v_max_f32_e32 v13, v133, v133
	v_min_f32_e32 v12, v12, v13
	v_cvt_f64_f32_e32 v[12:13], v12
	v_lshl_add_u64 v[16:17], v[4:5], 3, v[8:9]
	global_store_dwordx2 v[16:17], v[12:13], off
	s_or_b64 exec, exec, s[16:17]
	s_and_b64 s[16:17], s[8:9], s[10:11]
	s_and_saveexec_b64 s[10:11], s[16:17]
	s_cbranch_execz .LBB165_129
.LBB165_125:
	s_and_b64 vcc, exec, s[0:1]
	s_cbranch_vccnz .LBB165_127
; %bb.126:
	v_lshl_add_u64 v[10:11], v[6:7], 3, v[10:11]
	flat_load_dwordx2 v[10:11], v[10:11]
	s_waitcnt vmcnt(0) lgkmcnt(0)
	v_mul_f64 v[10:11], s[20:21], v[10:11]
	s_branch .LBB165_128
.LBB165_127:
	v_mov_b64_e32 v[10:11], 0
.LBB165_128:
	v_cvt_f32_f64_e32 v10, v[10:11]
	v_max_f32_e32 v11, v132, v132
	v_min_f32_e32 v10, v10, v11
	v_cvt_f64_f32_e32 v[10:11], v10
	v_lshl_add_u64 v[8:9], v[6:7], 3, v[8:9]
	global_store_dwordx2 v[8:9], v[10:11], off
.LBB165_129:
	s_or_b64 exec, exec, s[10:11]
	v_add_u32_e32 v12, 32, v14
	v_mad_i64_i32 v[8:9], s[16:17], v12, s29, 0
	v_cmp_gt_i32_e64 s[10:11], s13, v12
	v_lshl_add_u64 v[10:11], v[8:9], 3, s[22:23]
	v_mad_i64_i32 v[8:9], s[16:17], v12, s28, 0
	v_lshl_add_u64 v[8:9], v[8:9], 3, s[14:15]
	s_and_b64 s[18:19], s[2:3], s[10:11]
	s_and_saveexec_b64 s[16:17], s[18:19]
	s_cbranch_execnz .LBB165_133
; %bb.130:
	s_or_b64 exec, exec, s[16:17]
	s_and_b64 s[18:19], s[4:5], s[10:11]
	s_and_saveexec_b64 s[16:17], s[18:19]
	s_cbranch_execnz .LBB165_137
.LBB165_131:
	s_or_b64 exec, exec, s[16:17]
	s_and_b64 s[18:19], s[6:7], s[10:11]
	s_and_saveexec_b64 s[16:17], s[18:19]
	s_cbranch_execnz .LBB165_141
.LBB165_132:
	s_or_b64 exec, exec, s[16:17]
	s_and_b64 s[16:17], s[8:9], s[10:11]
	s_and_saveexec_b64 s[10:11], s[16:17]
	s_cbranch_execnz .LBB165_145
	s_branch .LBB165_149
.LBB165_133:
	s_and_b64 vcc, exec, s[0:1]
	s_cbranch_vccnz .LBB165_135
; %bb.134:
	v_lshl_add_u64 v[12:13], v[0:1], 3, v[10:11]
	flat_load_dwordx2 v[12:13], v[12:13]
	s_waitcnt vmcnt(0) lgkmcnt(0)
	v_mul_f64 v[12:13], s[20:21], v[12:13]
	s_branch .LBB165_136
.LBB165_135:
	v_mov_b64_e32 v[12:13], 0
.LBB165_136:
	v_cvt_f32_f64_e32 v12, v[12:13]
	v_max_f32_e32 v13, v131, v131
	v_min_f32_e32 v12, v12, v13
	v_cvt_f64_f32_e32 v[12:13], v12
	v_lshl_add_u64 v[16:17], v[0:1], 3, v[8:9]
	global_store_dwordx2 v[16:17], v[12:13], off
	s_or_b64 exec, exec, s[16:17]
	s_and_b64 s[18:19], s[4:5], s[10:11]
	s_and_saveexec_b64 s[16:17], s[18:19]
	s_cbranch_execz .LBB165_131
.LBB165_137:
	s_and_b64 vcc, exec, s[0:1]
	s_cbranch_vccnz .LBB165_139
; %bb.138:
	v_lshl_add_u64 v[12:13], v[2:3], 3, v[10:11]
	flat_load_dwordx2 v[12:13], v[12:13]
	s_waitcnt vmcnt(0) lgkmcnt(0)
	v_mul_f64 v[12:13], s[20:21], v[12:13]
	s_branch .LBB165_140
.LBB165_139:
	v_mov_b64_e32 v[12:13], 0
.LBB165_140:
	v_cvt_f32_f64_e32 v12, v[12:13]
	v_max_f32_e32 v13, v130, v130
	v_min_f32_e32 v12, v12, v13
	v_cvt_f64_f32_e32 v[12:13], v12
	v_lshl_add_u64 v[16:17], v[2:3], 3, v[8:9]
	global_store_dwordx2 v[16:17], v[12:13], off
	s_or_b64 exec, exec, s[16:17]
	s_and_b64 s[18:19], s[6:7], s[10:11]
	s_and_saveexec_b64 s[16:17], s[18:19]
	s_cbranch_execz .LBB165_132
.LBB165_141:
	s_and_b64 vcc, exec, s[0:1]
	s_cbranch_vccnz .LBB165_143
; %bb.142:
	v_lshl_add_u64 v[12:13], v[4:5], 3, v[10:11]
	flat_load_dwordx2 v[12:13], v[12:13]
	s_waitcnt vmcnt(0) lgkmcnt(0)
	v_mul_f64 v[12:13], s[20:21], v[12:13]
	s_branch .LBB165_144
.LBB165_143:
	v_mov_b64_e32 v[12:13], 0
.LBB165_144:
	v_cvt_f32_f64_e32 v12, v[12:13]
	v_max_f32_e32 v13, v129, v129
	v_min_f32_e32 v12, v12, v13
	v_cvt_f64_f32_e32 v[12:13], v12
	v_lshl_add_u64 v[16:17], v[4:5], 3, v[8:9]
	global_store_dwordx2 v[16:17], v[12:13], off
	s_or_b64 exec, exec, s[16:17]
	s_and_b64 s[16:17], s[8:9], s[10:11]
	s_and_saveexec_b64 s[10:11], s[16:17]
	s_cbranch_execz .LBB165_149
.LBB165_145:
	s_and_b64 vcc, exec, s[0:1]
	s_cbranch_vccnz .LBB165_147
; %bb.146:
	v_lshl_add_u64 v[10:11], v[6:7], 3, v[10:11]
	flat_load_dwordx2 v[10:11], v[10:11]
	s_waitcnt vmcnt(0) lgkmcnt(0)
	v_mul_f64 v[10:11], s[20:21], v[10:11]
	s_branch .LBB165_148
.LBB165_147:
	v_mov_b64_e32 v[10:11], 0
.LBB165_148:
	v_cvt_f32_f64_e32 v10, v[10:11]
	v_max_f32_e32 v11, v128, v128
	v_min_f32_e32 v10, v10, v11
	v_cvt_f64_f32_e32 v[10:11], v10
	v_lshl_add_u64 v[8:9], v[6:7], 3, v[8:9]
	global_store_dwordx2 v[8:9], v[10:11], off
.LBB165_149:
	s_or_b64 exec, exec, s[10:11]
	v_add_u32_e32 v12, 40, v14
	v_mad_i64_i32 v[8:9], s[16:17], v12, s29, 0
	v_cmp_gt_i32_e64 s[10:11], s13, v12
	v_lshl_add_u64 v[10:11], v[8:9], 3, s[22:23]
	v_mad_i64_i32 v[8:9], s[16:17], v12, s28, 0
	v_lshl_add_u64 v[8:9], v[8:9], 3, s[14:15]
	s_and_b64 s[18:19], s[2:3], s[10:11]
	s_and_saveexec_b64 s[16:17], s[18:19]
	s_cbranch_execnz .LBB165_153
; %bb.150:
	s_or_b64 exec, exec, s[16:17]
	s_and_b64 s[18:19], s[4:5], s[10:11]
	s_and_saveexec_b64 s[16:17], s[18:19]
	s_cbranch_execnz .LBB165_157
.LBB165_151:
	s_or_b64 exec, exec, s[16:17]
	s_and_b64 s[18:19], s[6:7], s[10:11]
	s_and_saveexec_b64 s[16:17], s[18:19]
	s_cbranch_execnz .LBB165_161
.LBB165_152:
	s_or_b64 exec, exec, s[16:17]
	s_and_b64 s[16:17], s[8:9], s[10:11]
	s_and_saveexec_b64 s[10:11], s[16:17]
	s_cbranch_execnz .LBB165_165
	s_branch .LBB165_169
.LBB165_153:
	s_and_b64 vcc, exec, s[0:1]
	s_cbranch_vccnz .LBB165_155
; %bb.154:
	v_lshl_add_u64 v[12:13], v[0:1], 3, v[10:11]
	flat_load_dwordx2 v[12:13], v[12:13]
	s_waitcnt vmcnt(0) lgkmcnt(0)
	v_mul_f64 v[12:13], s[20:21], v[12:13]
	s_branch .LBB165_156
.LBB165_155:
	v_mov_b64_e32 v[12:13], 0
.LBB165_156:
	v_cvt_f32_f64_e32 v12, v[12:13]
	v_max_f32_e32 v13, v127, v127
	v_min_f32_e32 v12, v12, v13
	v_cvt_f64_f32_e32 v[12:13], v12
	v_lshl_add_u64 v[16:17], v[0:1], 3, v[8:9]
	global_store_dwordx2 v[16:17], v[12:13], off
	s_or_b64 exec, exec, s[16:17]
	s_and_b64 s[18:19], s[4:5], s[10:11]
	s_and_saveexec_b64 s[16:17], s[18:19]
	s_cbranch_execz .LBB165_151
.LBB165_157:
	s_and_b64 vcc, exec, s[0:1]
	s_cbranch_vccnz .LBB165_159
; %bb.158:
	v_lshl_add_u64 v[12:13], v[2:3], 3, v[10:11]
	flat_load_dwordx2 v[12:13], v[12:13]
	s_waitcnt vmcnt(0) lgkmcnt(0)
	v_mul_f64 v[12:13], s[20:21], v[12:13]
	s_branch .LBB165_160
.LBB165_159:
	v_mov_b64_e32 v[12:13], 0
.LBB165_160:
	v_cvt_f32_f64_e32 v12, v[12:13]
	v_max_f32_e32 v13, v126, v126
	v_min_f32_e32 v12, v12, v13
	v_cvt_f64_f32_e32 v[12:13], v12
	v_lshl_add_u64 v[16:17], v[2:3], 3, v[8:9]
	global_store_dwordx2 v[16:17], v[12:13], off
	s_or_b64 exec, exec, s[16:17]
	s_and_b64 s[18:19], s[6:7], s[10:11]
	s_and_saveexec_b64 s[16:17], s[18:19]
	s_cbranch_execz .LBB165_152
.LBB165_161:
	s_and_b64 vcc, exec, s[0:1]
	s_cbranch_vccnz .LBB165_163
; %bb.162:
	v_lshl_add_u64 v[12:13], v[4:5], 3, v[10:11]
	flat_load_dwordx2 v[12:13], v[12:13]
	s_waitcnt vmcnt(0) lgkmcnt(0)
	v_mul_f64 v[12:13], s[20:21], v[12:13]
	s_branch .LBB165_164
.LBB165_163:
	v_mov_b64_e32 v[12:13], 0
.LBB165_164:
	v_cvt_f32_f64_e32 v12, v[12:13]
	v_max_f32_e32 v13, v125, v125
	v_min_f32_e32 v12, v12, v13
	v_cvt_f64_f32_e32 v[12:13], v12
	v_lshl_add_u64 v[16:17], v[4:5], 3, v[8:9]
	global_store_dwordx2 v[16:17], v[12:13], off
	s_or_b64 exec, exec, s[16:17]
	s_and_b64 s[16:17], s[8:9], s[10:11]
	s_and_saveexec_b64 s[10:11], s[16:17]
	s_cbranch_execz .LBB165_169
.LBB165_165:
	s_and_b64 vcc, exec, s[0:1]
	s_cbranch_vccnz .LBB165_167
; %bb.166:
	v_lshl_add_u64 v[10:11], v[6:7], 3, v[10:11]
	flat_load_dwordx2 v[10:11], v[10:11]
	s_waitcnt vmcnt(0) lgkmcnt(0)
	v_mul_f64 v[10:11], s[20:21], v[10:11]
	s_branch .LBB165_168
.LBB165_167:
	v_mov_b64_e32 v[10:11], 0
.LBB165_168:
	v_cvt_f32_f64_e32 v10, v[10:11]
	v_max_f32_e32 v11, v124, v124
	v_min_f32_e32 v10, v10, v11
	v_cvt_f64_f32_e32 v[10:11], v10
	v_lshl_add_u64 v[8:9], v[6:7], 3, v[8:9]
	global_store_dwordx2 v[8:9], v[10:11], off
.LBB165_169:
	s_or_b64 exec, exec, s[10:11]
	v_add_u32_e32 v12, 48, v14
	v_mad_i64_i32 v[8:9], s[16:17], v12, s29, 0
	v_cmp_gt_i32_e64 s[10:11], s13, v12
	v_lshl_add_u64 v[10:11], v[8:9], 3, s[22:23]
	v_mad_i64_i32 v[8:9], s[16:17], v12, s28, 0
	v_lshl_add_u64 v[8:9], v[8:9], 3, s[14:15]
	s_and_b64 s[18:19], s[2:3], s[10:11]
	s_and_saveexec_b64 s[16:17], s[18:19]
	s_cbranch_execnz .LBB165_173
; %bb.170:
	s_or_b64 exec, exec, s[16:17]
	s_and_b64 s[18:19], s[4:5], s[10:11]
	s_and_saveexec_b64 s[16:17], s[18:19]
	s_cbranch_execnz .LBB165_177
.LBB165_171:
	s_or_b64 exec, exec, s[16:17]
	s_and_b64 s[18:19], s[6:7], s[10:11]
	s_and_saveexec_b64 s[16:17], s[18:19]
	s_cbranch_execnz .LBB165_181
.LBB165_172:
	s_or_b64 exec, exec, s[16:17]
	s_and_b64 s[16:17], s[8:9], s[10:11]
	s_and_saveexec_b64 s[10:11], s[16:17]
	s_cbranch_execnz .LBB165_185
	s_branch .LBB165_189
.LBB165_173:
	s_and_b64 vcc, exec, s[0:1]
	s_cbranch_vccnz .LBB165_175
; %bb.174:
	v_lshl_add_u64 v[12:13], v[0:1], 3, v[10:11]
	flat_load_dwordx2 v[12:13], v[12:13]
	s_waitcnt vmcnt(0) lgkmcnt(0)
	v_mul_f64 v[12:13], s[20:21], v[12:13]
	s_branch .LBB165_176
.LBB165_175:
	v_mov_b64_e32 v[12:13], 0
.LBB165_176:
	v_cvt_f32_f64_e32 v12, v[12:13]
	v_max_f32_e32 v13, v123, v123
	v_min_f32_e32 v12, v12, v13
	v_cvt_f64_f32_e32 v[12:13], v12
	v_lshl_add_u64 v[16:17], v[0:1], 3, v[8:9]
	global_store_dwordx2 v[16:17], v[12:13], off
	s_or_b64 exec, exec, s[16:17]
	s_and_b64 s[18:19], s[4:5], s[10:11]
	s_and_saveexec_b64 s[16:17], s[18:19]
	s_cbranch_execz .LBB165_171
.LBB165_177:
	s_and_b64 vcc, exec, s[0:1]
	s_cbranch_vccnz .LBB165_179
; %bb.178:
	v_lshl_add_u64 v[12:13], v[2:3], 3, v[10:11]
	flat_load_dwordx2 v[12:13], v[12:13]
	s_waitcnt vmcnt(0) lgkmcnt(0)
	v_mul_f64 v[12:13], s[20:21], v[12:13]
	s_branch .LBB165_180
.LBB165_179:
	v_mov_b64_e32 v[12:13], 0
.LBB165_180:
	v_cvt_f32_f64_e32 v12, v[12:13]
	v_max_f32_e32 v13, v122, v122
	v_min_f32_e32 v12, v12, v13
	v_cvt_f64_f32_e32 v[12:13], v12
	v_lshl_add_u64 v[16:17], v[2:3], 3, v[8:9]
	global_store_dwordx2 v[16:17], v[12:13], off
	s_or_b64 exec, exec, s[16:17]
	s_and_b64 s[18:19], s[6:7], s[10:11]
	s_and_saveexec_b64 s[16:17], s[18:19]
	s_cbranch_execz .LBB165_172
.LBB165_181:
	s_and_b64 vcc, exec, s[0:1]
	s_cbranch_vccnz .LBB165_183
; %bb.182:
	v_lshl_add_u64 v[12:13], v[4:5], 3, v[10:11]
	flat_load_dwordx2 v[12:13], v[12:13]
	s_waitcnt vmcnt(0) lgkmcnt(0)
	v_mul_f64 v[12:13], s[20:21], v[12:13]
	s_branch .LBB165_184
.LBB165_183:
	v_mov_b64_e32 v[12:13], 0
.LBB165_184:
	v_cvt_f32_f64_e32 v12, v[12:13]
	v_max_f32_e32 v13, v121, v121
	v_min_f32_e32 v12, v12, v13
	v_cvt_f64_f32_e32 v[12:13], v12
	v_lshl_add_u64 v[16:17], v[4:5], 3, v[8:9]
	global_store_dwordx2 v[16:17], v[12:13], off
	s_or_b64 exec, exec, s[16:17]
	s_and_b64 s[16:17], s[8:9], s[10:11]
	s_and_saveexec_b64 s[10:11], s[16:17]
	s_cbranch_execz .LBB165_189
.LBB165_185:
	s_and_b64 vcc, exec, s[0:1]
	s_cbranch_vccnz .LBB165_187
; %bb.186:
	v_lshl_add_u64 v[10:11], v[6:7], 3, v[10:11]
	flat_load_dwordx2 v[10:11], v[10:11]
	s_waitcnt vmcnt(0) lgkmcnt(0)
	v_mul_f64 v[10:11], s[20:21], v[10:11]
	s_branch .LBB165_188
.LBB165_187:
	v_mov_b64_e32 v[10:11], 0
.LBB165_188:
	v_cvt_f32_f64_e32 v10, v[10:11]
	v_max_f32_e32 v11, v120, v120
	v_min_f32_e32 v10, v10, v11
	v_cvt_f64_f32_e32 v[10:11], v10
	v_lshl_add_u64 v[8:9], v[6:7], 3, v[8:9]
	global_store_dwordx2 v[8:9], v[10:11], off
.LBB165_189:
	s_or_b64 exec, exec, s[10:11]
	v_add_u32_e32 v12, 56, v14
	v_mad_i64_i32 v[8:9], s[16:17], v12, s29, 0
	v_cmp_gt_i32_e64 s[10:11], s13, v12
	v_lshl_add_u64 v[10:11], v[8:9], 3, s[22:23]
	v_mad_i64_i32 v[8:9], s[16:17], v12, s28, 0
	v_lshl_add_u64 v[8:9], v[8:9], 3, s[14:15]
	s_and_b64 s[18:19], s[2:3], s[10:11]
	s_and_saveexec_b64 s[16:17], s[18:19]
	s_cbranch_execnz .LBB165_193
; %bb.190:
	s_or_b64 exec, exec, s[16:17]
	s_and_b64 s[18:19], s[4:5], s[10:11]
	s_and_saveexec_b64 s[16:17], s[18:19]
	s_cbranch_execnz .LBB165_197
.LBB165_191:
	s_or_b64 exec, exec, s[16:17]
	s_and_b64 s[18:19], s[6:7], s[10:11]
	s_and_saveexec_b64 s[16:17], s[18:19]
	s_cbranch_execnz .LBB165_201
.LBB165_192:
	s_or_b64 exec, exec, s[16:17]
	s_and_b64 s[16:17], s[8:9], s[10:11]
	s_and_saveexec_b64 s[10:11], s[16:17]
	s_cbranch_execnz .LBB165_205
	s_branch .LBB165_209
.LBB165_193:
	s_and_b64 vcc, exec, s[0:1]
	s_cbranch_vccnz .LBB165_195
; %bb.194:
	v_lshl_add_u64 v[12:13], v[0:1], 3, v[10:11]
	flat_load_dwordx2 v[12:13], v[12:13]
	s_waitcnt vmcnt(0) lgkmcnt(0)
	v_mul_f64 v[12:13], s[20:21], v[12:13]
	s_branch .LBB165_196
.LBB165_195:
	v_mov_b64_e32 v[12:13], 0
.LBB165_196:
	v_cvt_f32_f64_e32 v12, v[12:13]
	v_max_f32_e32 v13, v119, v119
	v_min_f32_e32 v12, v12, v13
	v_cvt_f64_f32_e32 v[12:13], v12
	v_lshl_add_u64 v[16:17], v[0:1], 3, v[8:9]
	global_store_dwordx2 v[16:17], v[12:13], off
	s_or_b64 exec, exec, s[16:17]
	s_and_b64 s[18:19], s[4:5], s[10:11]
	s_and_saveexec_b64 s[16:17], s[18:19]
	s_cbranch_execz .LBB165_191
.LBB165_197:
	s_and_b64 vcc, exec, s[0:1]
	s_cbranch_vccnz .LBB165_199
; %bb.198:
	v_lshl_add_u64 v[12:13], v[2:3], 3, v[10:11]
	flat_load_dwordx2 v[12:13], v[12:13]
	s_waitcnt vmcnt(0) lgkmcnt(0)
	v_mul_f64 v[12:13], s[20:21], v[12:13]
	s_branch .LBB165_200
.LBB165_199:
	v_mov_b64_e32 v[12:13], 0
.LBB165_200:
	v_cvt_f32_f64_e32 v12, v[12:13]
	v_max_f32_e32 v13, v118, v118
	v_min_f32_e32 v12, v12, v13
	v_cvt_f64_f32_e32 v[12:13], v12
	v_lshl_add_u64 v[16:17], v[2:3], 3, v[8:9]
	global_store_dwordx2 v[16:17], v[12:13], off
	s_or_b64 exec, exec, s[16:17]
	s_and_b64 s[18:19], s[6:7], s[10:11]
	s_and_saveexec_b64 s[16:17], s[18:19]
	s_cbranch_execz .LBB165_192
.LBB165_201:
	s_and_b64 vcc, exec, s[0:1]
	s_cbranch_vccnz .LBB165_203
; %bb.202:
	v_lshl_add_u64 v[12:13], v[4:5], 3, v[10:11]
	flat_load_dwordx2 v[12:13], v[12:13]
	s_waitcnt vmcnt(0) lgkmcnt(0)
	v_mul_f64 v[12:13], s[20:21], v[12:13]
	s_branch .LBB165_204
.LBB165_203:
	v_mov_b64_e32 v[12:13], 0
.LBB165_204:
	v_cvt_f32_f64_e32 v12, v[12:13]
	v_max_f32_e32 v13, v117, v117
	v_min_f32_e32 v12, v12, v13
	v_cvt_f64_f32_e32 v[12:13], v12
	v_lshl_add_u64 v[16:17], v[4:5], 3, v[8:9]
	global_store_dwordx2 v[16:17], v[12:13], off
	s_or_b64 exec, exec, s[16:17]
	s_and_b64 s[16:17], s[8:9], s[10:11]
	s_and_saveexec_b64 s[10:11], s[16:17]
	s_cbranch_execz .LBB165_209
.LBB165_205:
	s_and_b64 vcc, exec, s[0:1]
	s_cbranch_vccnz .LBB165_207
; %bb.206:
	v_lshl_add_u64 v[10:11], v[6:7], 3, v[10:11]
	flat_load_dwordx2 v[10:11], v[10:11]
	s_waitcnt vmcnt(0) lgkmcnt(0)
	v_mul_f64 v[10:11], s[20:21], v[10:11]
	s_branch .LBB165_208
.LBB165_207:
	v_mov_b64_e32 v[10:11], 0
.LBB165_208:
	v_cvt_f32_f64_e32 v10, v[10:11]
	v_max_f32_e32 v11, v116, v116
	v_min_f32_e32 v10, v10, v11
	v_cvt_f64_f32_e32 v[10:11], v10
	v_lshl_add_u64 v[8:9], v[6:7], 3, v[8:9]
	global_store_dwordx2 v[8:9], v[10:11], off
.LBB165_209:
	s_or_b64 exec, exec, s[10:11]
	v_add_u32_e32 v12, 64, v14
	v_mad_i64_i32 v[8:9], s[16:17], v12, s29, 0
	v_cmp_gt_i32_e64 s[10:11], s13, v12
	v_lshl_add_u64 v[10:11], v[8:9], 3, s[22:23]
	v_mad_i64_i32 v[8:9], s[16:17], v12, s28, 0
	v_lshl_add_u64 v[8:9], v[8:9], 3, s[14:15]
	s_and_b64 s[18:19], s[2:3], s[10:11]
	s_and_saveexec_b64 s[16:17], s[18:19]
	s_cbranch_execnz .LBB165_213
; %bb.210:
	s_or_b64 exec, exec, s[16:17]
	s_and_b64 s[18:19], s[4:5], s[10:11]
	s_and_saveexec_b64 s[16:17], s[18:19]
	s_cbranch_execnz .LBB165_217
.LBB165_211:
	s_or_b64 exec, exec, s[16:17]
	s_and_b64 s[18:19], s[6:7], s[10:11]
	s_and_saveexec_b64 s[16:17], s[18:19]
	s_cbranch_execnz .LBB165_221
.LBB165_212:
	s_or_b64 exec, exec, s[16:17]
	s_and_b64 s[16:17], s[8:9], s[10:11]
	s_and_saveexec_b64 s[10:11], s[16:17]
	s_cbranch_execnz .LBB165_225
	s_branch .LBB165_229
.LBB165_213:
	s_and_b64 vcc, exec, s[0:1]
	s_cbranch_vccnz .LBB165_215
; %bb.214:
	v_lshl_add_u64 v[12:13], v[0:1], 3, v[10:11]
	flat_load_dwordx2 v[12:13], v[12:13]
	s_waitcnt vmcnt(0) lgkmcnt(0)
	v_mul_f64 v[12:13], s[20:21], v[12:13]
	s_branch .LBB165_216
.LBB165_215:
	v_mov_b64_e32 v[12:13], 0
.LBB165_216:
	v_cvt_f32_f64_e32 v12, v[12:13]
	v_max_f32_e32 v13, v115, v115
	v_min_f32_e32 v12, v12, v13
	v_cvt_f64_f32_e32 v[12:13], v12
	v_lshl_add_u64 v[16:17], v[0:1], 3, v[8:9]
	global_store_dwordx2 v[16:17], v[12:13], off
	s_or_b64 exec, exec, s[16:17]
	s_and_b64 s[18:19], s[4:5], s[10:11]
	s_and_saveexec_b64 s[16:17], s[18:19]
	s_cbranch_execz .LBB165_211
.LBB165_217:
	s_and_b64 vcc, exec, s[0:1]
	s_cbranch_vccnz .LBB165_219
; %bb.218:
	v_lshl_add_u64 v[12:13], v[2:3], 3, v[10:11]
	flat_load_dwordx2 v[12:13], v[12:13]
	s_waitcnt vmcnt(0) lgkmcnt(0)
	v_mul_f64 v[12:13], s[20:21], v[12:13]
	s_branch .LBB165_220
.LBB165_219:
	v_mov_b64_e32 v[12:13], 0
.LBB165_220:
	v_cvt_f32_f64_e32 v12, v[12:13]
	v_max_f32_e32 v13, v114, v114
	v_min_f32_e32 v12, v12, v13
	v_cvt_f64_f32_e32 v[12:13], v12
	v_lshl_add_u64 v[16:17], v[2:3], 3, v[8:9]
	global_store_dwordx2 v[16:17], v[12:13], off
	s_or_b64 exec, exec, s[16:17]
	s_and_b64 s[18:19], s[6:7], s[10:11]
	s_and_saveexec_b64 s[16:17], s[18:19]
	s_cbranch_execz .LBB165_212
.LBB165_221:
	s_and_b64 vcc, exec, s[0:1]
	s_cbranch_vccnz .LBB165_223
; %bb.222:
	v_lshl_add_u64 v[12:13], v[4:5], 3, v[10:11]
	flat_load_dwordx2 v[12:13], v[12:13]
	s_waitcnt vmcnt(0) lgkmcnt(0)
	v_mul_f64 v[12:13], s[20:21], v[12:13]
	s_branch .LBB165_224
.LBB165_223:
	v_mov_b64_e32 v[12:13], 0
.LBB165_224:
	v_cvt_f32_f64_e32 v12, v[12:13]
	v_max_f32_e32 v13, v113, v113
	v_min_f32_e32 v12, v12, v13
	v_cvt_f64_f32_e32 v[12:13], v12
	v_lshl_add_u64 v[16:17], v[4:5], 3, v[8:9]
	global_store_dwordx2 v[16:17], v[12:13], off
	s_or_b64 exec, exec, s[16:17]
	s_and_b64 s[16:17], s[8:9], s[10:11]
	s_and_saveexec_b64 s[10:11], s[16:17]
	s_cbranch_execz .LBB165_229
.LBB165_225:
	s_and_b64 vcc, exec, s[0:1]
	s_cbranch_vccnz .LBB165_227
; %bb.226:
	v_lshl_add_u64 v[10:11], v[6:7], 3, v[10:11]
	flat_load_dwordx2 v[10:11], v[10:11]
	s_waitcnt vmcnt(0) lgkmcnt(0)
	v_mul_f64 v[10:11], s[20:21], v[10:11]
	s_branch .LBB165_228
.LBB165_227:
	v_mov_b64_e32 v[10:11], 0
.LBB165_228:
	v_cvt_f32_f64_e32 v10, v[10:11]
	v_max_f32_e32 v11, v112, v112
	v_min_f32_e32 v10, v10, v11
	v_cvt_f64_f32_e32 v[10:11], v10
	v_lshl_add_u64 v[8:9], v[6:7], 3, v[8:9]
	global_store_dwordx2 v[8:9], v[10:11], off
.LBB165_229:
	s_or_b64 exec, exec, s[10:11]
	v_add_u32_e32 v12, 0x48, v14
	v_mad_i64_i32 v[8:9], s[16:17], v12, s29, 0
	v_cmp_gt_i32_e64 s[10:11], s13, v12
	v_lshl_add_u64 v[10:11], v[8:9], 3, s[22:23]
	v_mad_i64_i32 v[8:9], s[16:17], v12, s28, 0
	v_lshl_add_u64 v[8:9], v[8:9], 3, s[14:15]
	s_and_b64 s[18:19], s[2:3], s[10:11]
	s_and_saveexec_b64 s[16:17], s[18:19]
	s_cbranch_execnz .LBB165_233
; %bb.230:
	s_or_b64 exec, exec, s[16:17]
	s_and_b64 s[18:19], s[4:5], s[10:11]
	s_and_saveexec_b64 s[16:17], s[18:19]
	s_cbranch_execnz .LBB165_237
.LBB165_231:
	s_or_b64 exec, exec, s[16:17]
	s_and_b64 s[18:19], s[6:7], s[10:11]
	s_and_saveexec_b64 s[16:17], s[18:19]
	s_cbranch_execnz .LBB165_241
.LBB165_232:
	s_or_b64 exec, exec, s[16:17]
	s_and_b64 s[16:17], s[8:9], s[10:11]
	s_and_saveexec_b64 s[10:11], s[16:17]
	s_cbranch_execnz .LBB165_245
	s_branch .LBB165_249
.LBB165_233:
	s_and_b64 vcc, exec, s[0:1]
	s_cbranch_vccnz .LBB165_235
; %bb.234:
	v_lshl_add_u64 v[12:13], v[0:1], 3, v[10:11]
	flat_load_dwordx2 v[12:13], v[12:13]
	s_waitcnt vmcnt(0) lgkmcnt(0)
	v_mul_f64 v[12:13], s[20:21], v[12:13]
	s_branch .LBB165_236
.LBB165_235:
	v_mov_b64_e32 v[12:13], 0
.LBB165_236:
	v_cvt_f32_f64_e32 v12, v[12:13]
	v_max_f32_e32 v13, v111, v111
	v_min_f32_e32 v12, v12, v13
	v_cvt_f64_f32_e32 v[12:13], v12
	v_lshl_add_u64 v[16:17], v[0:1], 3, v[8:9]
	global_store_dwordx2 v[16:17], v[12:13], off
	s_or_b64 exec, exec, s[16:17]
	s_and_b64 s[18:19], s[4:5], s[10:11]
	s_and_saveexec_b64 s[16:17], s[18:19]
	s_cbranch_execz .LBB165_231
.LBB165_237:
	s_and_b64 vcc, exec, s[0:1]
	s_cbranch_vccnz .LBB165_239
; %bb.238:
	v_lshl_add_u64 v[12:13], v[2:3], 3, v[10:11]
	flat_load_dwordx2 v[12:13], v[12:13]
	s_waitcnt vmcnt(0) lgkmcnt(0)
	v_mul_f64 v[12:13], s[20:21], v[12:13]
	s_branch .LBB165_240
.LBB165_239:
	v_mov_b64_e32 v[12:13], 0
.LBB165_240:
	v_cvt_f32_f64_e32 v12, v[12:13]
	v_max_f32_e32 v13, v110, v110
	v_min_f32_e32 v12, v12, v13
	v_cvt_f64_f32_e32 v[12:13], v12
	v_lshl_add_u64 v[16:17], v[2:3], 3, v[8:9]
	global_store_dwordx2 v[16:17], v[12:13], off
	s_or_b64 exec, exec, s[16:17]
	s_and_b64 s[18:19], s[6:7], s[10:11]
	s_and_saveexec_b64 s[16:17], s[18:19]
	s_cbranch_execz .LBB165_232
.LBB165_241:
	s_and_b64 vcc, exec, s[0:1]
	s_cbranch_vccnz .LBB165_243
; %bb.242:
	v_lshl_add_u64 v[12:13], v[4:5], 3, v[10:11]
	flat_load_dwordx2 v[12:13], v[12:13]
	s_waitcnt vmcnt(0) lgkmcnt(0)
	v_mul_f64 v[12:13], s[20:21], v[12:13]
	s_branch .LBB165_244
.LBB165_243:
	v_mov_b64_e32 v[12:13], 0
.LBB165_244:
	v_cvt_f32_f64_e32 v12, v[12:13]
	v_max_f32_e32 v13, v109, v109
	v_min_f32_e32 v12, v12, v13
	v_cvt_f64_f32_e32 v[12:13], v12
	v_lshl_add_u64 v[16:17], v[4:5], 3, v[8:9]
	global_store_dwordx2 v[16:17], v[12:13], off
	s_or_b64 exec, exec, s[16:17]
	s_and_b64 s[16:17], s[8:9], s[10:11]
	s_and_saveexec_b64 s[10:11], s[16:17]
	s_cbranch_execz .LBB165_249
.LBB165_245:
	s_and_b64 vcc, exec, s[0:1]
	s_cbranch_vccnz .LBB165_247
; %bb.246:
	v_lshl_add_u64 v[10:11], v[6:7], 3, v[10:11]
	flat_load_dwordx2 v[10:11], v[10:11]
	s_waitcnt vmcnt(0) lgkmcnt(0)
	v_mul_f64 v[10:11], s[20:21], v[10:11]
	s_branch .LBB165_248
.LBB165_247:
	v_mov_b64_e32 v[10:11], 0
.LBB165_248:
	v_cvt_f32_f64_e32 v10, v[10:11]
	v_max_f32_e32 v11, v108, v108
	v_min_f32_e32 v10, v10, v11
	v_cvt_f64_f32_e32 v[10:11], v10
	v_lshl_add_u64 v[8:9], v[6:7], 3, v[8:9]
	global_store_dwordx2 v[8:9], v[10:11], off
.LBB165_249:
	s_or_b64 exec, exec, s[10:11]
	v_add_u32_e32 v12, 0x50, v14
	v_mad_i64_i32 v[8:9], s[16:17], v12, s29, 0
	v_cmp_gt_i32_e64 s[10:11], s13, v12
	v_lshl_add_u64 v[10:11], v[8:9], 3, s[22:23]
	v_mad_i64_i32 v[8:9], s[16:17], v12, s28, 0
	v_lshl_add_u64 v[8:9], v[8:9], 3, s[14:15]
	s_and_b64 s[18:19], s[2:3], s[10:11]
	s_and_saveexec_b64 s[16:17], s[18:19]
	s_cbranch_execnz .LBB165_253
; %bb.250:
	s_or_b64 exec, exec, s[16:17]
	s_and_b64 s[18:19], s[4:5], s[10:11]
	s_and_saveexec_b64 s[16:17], s[18:19]
	s_cbranch_execnz .LBB165_257
.LBB165_251:
	s_or_b64 exec, exec, s[16:17]
	s_and_b64 s[18:19], s[6:7], s[10:11]
	s_and_saveexec_b64 s[16:17], s[18:19]
	s_cbranch_execnz .LBB165_261
.LBB165_252:
	s_or_b64 exec, exec, s[16:17]
	s_and_b64 s[16:17], s[8:9], s[10:11]
	s_and_saveexec_b64 s[10:11], s[16:17]
	s_cbranch_execnz .LBB165_265
	s_branch .LBB165_269
.LBB165_253:
	s_and_b64 vcc, exec, s[0:1]
	s_cbranch_vccnz .LBB165_255
; %bb.254:
	v_lshl_add_u64 v[12:13], v[0:1], 3, v[10:11]
	flat_load_dwordx2 v[12:13], v[12:13]
	s_waitcnt vmcnt(0) lgkmcnt(0)
	v_mul_f64 v[12:13], s[20:21], v[12:13]
	s_branch .LBB165_256
.LBB165_255:
	v_mov_b64_e32 v[12:13], 0
.LBB165_256:
	v_cvt_f32_f64_e32 v12, v[12:13]
	v_max_f32_e32 v13, v107, v107
	v_min_f32_e32 v12, v12, v13
	v_cvt_f64_f32_e32 v[12:13], v12
	v_lshl_add_u64 v[16:17], v[0:1], 3, v[8:9]
	global_store_dwordx2 v[16:17], v[12:13], off
	s_or_b64 exec, exec, s[16:17]
	s_and_b64 s[18:19], s[4:5], s[10:11]
	s_and_saveexec_b64 s[16:17], s[18:19]
	s_cbranch_execz .LBB165_251
.LBB165_257:
	s_and_b64 vcc, exec, s[0:1]
	s_cbranch_vccnz .LBB165_259
; %bb.258:
	v_lshl_add_u64 v[12:13], v[2:3], 3, v[10:11]
	flat_load_dwordx2 v[12:13], v[12:13]
	s_waitcnt vmcnt(0) lgkmcnt(0)
	v_mul_f64 v[12:13], s[20:21], v[12:13]
	s_branch .LBB165_260
.LBB165_259:
	v_mov_b64_e32 v[12:13], 0
.LBB165_260:
	v_cvt_f32_f64_e32 v12, v[12:13]
	v_max_f32_e32 v13, v106, v106
	v_min_f32_e32 v12, v12, v13
	v_cvt_f64_f32_e32 v[12:13], v12
	v_lshl_add_u64 v[16:17], v[2:3], 3, v[8:9]
	global_store_dwordx2 v[16:17], v[12:13], off
	s_or_b64 exec, exec, s[16:17]
	s_and_b64 s[18:19], s[6:7], s[10:11]
	s_and_saveexec_b64 s[16:17], s[18:19]
	s_cbranch_execz .LBB165_252
.LBB165_261:
	s_and_b64 vcc, exec, s[0:1]
	s_cbranch_vccnz .LBB165_263
; %bb.262:
	v_lshl_add_u64 v[12:13], v[4:5], 3, v[10:11]
	flat_load_dwordx2 v[12:13], v[12:13]
	s_waitcnt vmcnt(0) lgkmcnt(0)
	v_mul_f64 v[12:13], s[20:21], v[12:13]
	s_branch .LBB165_264
.LBB165_263:
	v_mov_b64_e32 v[12:13], 0
.LBB165_264:
	v_cvt_f32_f64_e32 v12, v[12:13]
	v_max_f32_e32 v13, v105, v105
	v_min_f32_e32 v12, v12, v13
	v_cvt_f64_f32_e32 v[12:13], v12
	v_lshl_add_u64 v[16:17], v[4:5], 3, v[8:9]
	global_store_dwordx2 v[16:17], v[12:13], off
	s_or_b64 exec, exec, s[16:17]
	s_and_b64 s[16:17], s[8:9], s[10:11]
	s_and_saveexec_b64 s[10:11], s[16:17]
	s_cbranch_execz .LBB165_269
.LBB165_265:
	s_and_b64 vcc, exec, s[0:1]
	s_cbranch_vccnz .LBB165_267
; %bb.266:
	v_lshl_add_u64 v[10:11], v[6:7], 3, v[10:11]
	flat_load_dwordx2 v[10:11], v[10:11]
	s_waitcnt vmcnt(0) lgkmcnt(0)
	v_mul_f64 v[10:11], s[20:21], v[10:11]
	s_branch .LBB165_268
.LBB165_267:
	v_mov_b64_e32 v[10:11], 0
.LBB165_268:
	v_cvt_f32_f64_e32 v10, v[10:11]
	v_max_f32_e32 v11, v104, v104
	v_min_f32_e32 v10, v10, v11
	v_cvt_f64_f32_e32 v[10:11], v10
	v_lshl_add_u64 v[8:9], v[6:7], 3, v[8:9]
	global_store_dwordx2 v[8:9], v[10:11], off
.LBB165_269:
	s_or_b64 exec, exec, s[10:11]
	v_add_u32_e32 v12, 0x58, v14
	v_mad_i64_i32 v[8:9], s[16:17], v12, s29, 0
	v_cmp_gt_i32_e64 s[10:11], s13, v12
	v_lshl_add_u64 v[10:11], v[8:9], 3, s[22:23]
	v_mad_i64_i32 v[8:9], s[16:17], v12, s28, 0
	v_lshl_add_u64 v[8:9], v[8:9], 3, s[14:15]
	s_and_b64 s[18:19], s[2:3], s[10:11]
	s_and_saveexec_b64 s[16:17], s[18:19]
	s_cbranch_execnz .LBB165_273
; %bb.270:
	s_or_b64 exec, exec, s[16:17]
	s_and_b64 s[18:19], s[4:5], s[10:11]
	s_and_saveexec_b64 s[16:17], s[18:19]
	s_cbranch_execnz .LBB165_277
.LBB165_271:
	s_or_b64 exec, exec, s[16:17]
	s_and_b64 s[18:19], s[6:7], s[10:11]
	s_and_saveexec_b64 s[16:17], s[18:19]
	s_cbranch_execnz .LBB165_281
.LBB165_272:
	s_or_b64 exec, exec, s[16:17]
	s_and_b64 s[16:17], s[8:9], s[10:11]
	s_and_saveexec_b64 s[10:11], s[16:17]
	s_cbranch_execnz .LBB165_285
	s_branch .LBB165_289
.LBB165_273:
	s_and_b64 vcc, exec, s[0:1]
	s_cbranch_vccnz .LBB165_275
; %bb.274:
	v_lshl_add_u64 v[12:13], v[0:1], 3, v[10:11]
	flat_load_dwordx2 v[12:13], v[12:13]
	s_waitcnt vmcnt(0) lgkmcnt(0)
	v_mul_f64 v[12:13], s[20:21], v[12:13]
	s_branch .LBB165_276
.LBB165_275:
	v_mov_b64_e32 v[12:13], 0
.LBB165_276:
	v_cvt_f32_f64_e32 v12, v[12:13]
	v_max_f32_e32 v13, v103, v103
	v_min_f32_e32 v12, v12, v13
	v_cvt_f64_f32_e32 v[12:13], v12
	v_lshl_add_u64 v[16:17], v[0:1], 3, v[8:9]
	global_store_dwordx2 v[16:17], v[12:13], off
	s_or_b64 exec, exec, s[16:17]
	s_and_b64 s[18:19], s[4:5], s[10:11]
	s_and_saveexec_b64 s[16:17], s[18:19]
	s_cbranch_execz .LBB165_271
.LBB165_277:
	s_and_b64 vcc, exec, s[0:1]
	s_cbranch_vccnz .LBB165_279
; %bb.278:
	v_lshl_add_u64 v[12:13], v[2:3], 3, v[10:11]
	flat_load_dwordx2 v[12:13], v[12:13]
	s_waitcnt vmcnt(0) lgkmcnt(0)
	v_mul_f64 v[12:13], s[20:21], v[12:13]
	s_branch .LBB165_280
.LBB165_279:
	v_mov_b64_e32 v[12:13], 0
.LBB165_280:
	v_cvt_f32_f64_e32 v12, v[12:13]
	v_max_f32_e32 v13, v102, v102
	v_min_f32_e32 v12, v12, v13
	v_cvt_f64_f32_e32 v[12:13], v12
	v_lshl_add_u64 v[16:17], v[2:3], 3, v[8:9]
	global_store_dwordx2 v[16:17], v[12:13], off
	s_or_b64 exec, exec, s[16:17]
	s_and_b64 s[18:19], s[6:7], s[10:11]
	s_and_saveexec_b64 s[16:17], s[18:19]
	s_cbranch_execz .LBB165_272
.LBB165_281:
	s_and_b64 vcc, exec, s[0:1]
	s_cbranch_vccnz .LBB165_283
; %bb.282:
	v_lshl_add_u64 v[12:13], v[4:5], 3, v[10:11]
	flat_load_dwordx2 v[12:13], v[12:13]
	s_waitcnt vmcnt(0) lgkmcnt(0)
	v_mul_f64 v[12:13], s[20:21], v[12:13]
	s_branch .LBB165_284
.LBB165_283:
	v_mov_b64_e32 v[12:13], 0
.LBB165_284:
	v_cvt_f32_f64_e32 v12, v[12:13]
	v_max_f32_e32 v13, v101, v101
	v_min_f32_e32 v12, v12, v13
	v_cvt_f64_f32_e32 v[12:13], v12
	v_lshl_add_u64 v[16:17], v[4:5], 3, v[8:9]
	global_store_dwordx2 v[16:17], v[12:13], off
	s_or_b64 exec, exec, s[16:17]
	s_and_b64 s[16:17], s[8:9], s[10:11]
	s_and_saveexec_b64 s[10:11], s[16:17]
	s_cbranch_execz .LBB165_289
.LBB165_285:
	s_and_b64 vcc, exec, s[0:1]
	s_cbranch_vccnz .LBB165_287
; %bb.286:
	v_lshl_add_u64 v[10:11], v[6:7], 3, v[10:11]
	flat_load_dwordx2 v[10:11], v[10:11]
	s_waitcnt vmcnt(0) lgkmcnt(0)
	v_mul_f64 v[10:11], s[20:21], v[10:11]
	s_branch .LBB165_288
.LBB165_287:
	v_mov_b64_e32 v[10:11], 0
.LBB165_288:
	v_cvt_f32_f64_e32 v10, v[10:11]
	v_max_f32_e32 v11, v100, v100
	v_min_f32_e32 v10, v10, v11
	v_cvt_f64_f32_e32 v[10:11], v10
	v_lshl_add_u64 v[8:9], v[6:7], 3, v[8:9]
	global_store_dwordx2 v[8:9], v[10:11], off
.LBB165_289:
	s_or_b64 exec, exec, s[10:11]
	v_add_u32_e32 v12, 0x60, v14
	v_mad_i64_i32 v[8:9], s[16:17], v12, s29, 0
	v_cmp_gt_i32_e64 s[10:11], s13, v12
	v_lshl_add_u64 v[10:11], v[8:9], 3, s[22:23]
	v_mad_i64_i32 v[8:9], s[16:17], v12, s28, 0
	v_lshl_add_u64 v[8:9], v[8:9], 3, s[14:15]
	s_and_b64 s[18:19], s[2:3], s[10:11]
	s_and_saveexec_b64 s[16:17], s[18:19]
	s_cbranch_execnz .LBB165_293
; %bb.290:
	s_or_b64 exec, exec, s[16:17]
	s_and_b64 s[18:19], s[4:5], s[10:11]
	s_and_saveexec_b64 s[16:17], s[18:19]
	s_cbranch_execnz .LBB165_297
.LBB165_291:
	s_or_b64 exec, exec, s[16:17]
	s_and_b64 s[18:19], s[6:7], s[10:11]
	s_and_saveexec_b64 s[16:17], s[18:19]
	s_cbranch_execnz .LBB165_301
.LBB165_292:
	s_or_b64 exec, exec, s[16:17]
	s_and_b64 s[16:17], s[8:9], s[10:11]
	s_and_saveexec_b64 s[10:11], s[16:17]
	s_cbranch_execnz .LBB165_305
	s_branch .LBB165_309
.LBB165_293:
	s_and_b64 vcc, exec, s[0:1]
	s_cbranch_vccnz .LBB165_295
; %bb.294:
	v_lshl_add_u64 v[12:13], v[0:1], 3, v[10:11]
	flat_load_dwordx2 v[12:13], v[12:13]
	s_waitcnt vmcnt(0) lgkmcnt(0)
	v_mul_f64 v[12:13], s[20:21], v[12:13]
	s_branch .LBB165_296
.LBB165_295:
	v_mov_b64_e32 v[12:13], 0
.LBB165_296:
	v_cvt_f32_f64_e32 v12, v[12:13]
	v_max_f32_e32 v13, v99, v99
	v_min_f32_e32 v12, v12, v13
	v_cvt_f64_f32_e32 v[12:13], v12
	v_lshl_add_u64 v[16:17], v[0:1], 3, v[8:9]
	global_store_dwordx2 v[16:17], v[12:13], off
	s_or_b64 exec, exec, s[16:17]
	s_and_b64 s[18:19], s[4:5], s[10:11]
	s_and_saveexec_b64 s[16:17], s[18:19]
	s_cbranch_execz .LBB165_291
.LBB165_297:
	s_and_b64 vcc, exec, s[0:1]
	s_cbranch_vccnz .LBB165_299
; %bb.298:
	v_lshl_add_u64 v[12:13], v[2:3], 3, v[10:11]
	flat_load_dwordx2 v[12:13], v[12:13]
	s_waitcnt vmcnt(0) lgkmcnt(0)
	v_mul_f64 v[12:13], s[20:21], v[12:13]
	s_branch .LBB165_300
.LBB165_299:
	v_mov_b64_e32 v[12:13], 0
.LBB165_300:
	v_cvt_f32_f64_e32 v12, v[12:13]
	v_max_f32_e32 v13, v98, v98
	v_min_f32_e32 v12, v12, v13
	v_cvt_f64_f32_e32 v[12:13], v12
	v_lshl_add_u64 v[16:17], v[2:3], 3, v[8:9]
	global_store_dwordx2 v[16:17], v[12:13], off
	s_or_b64 exec, exec, s[16:17]
	s_and_b64 s[18:19], s[6:7], s[10:11]
	s_and_saveexec_b64 s[16:17], s[18:19]
	s_cbranch_execz .LBB165_292
.LBB165_301:
	s_and_b64 vcc, exec, s[0:1]
	s_cbranch_vccnz .LBB165_303
; %bb.302:
	v_lshl_add_u64 v[12:13], v[4:5], 3, v[10:11]
	flat_load_dwordx2 v[12:13], v[12:13]
	s_waitcnt vmcnt(0) lgkmcnt(0)
	v_mul_f64 v[12:13], s[20:21], v[12:13]
	s_branch .LBB165_304
.LBB165_303:
	v_mov_b64_e32 v[12:13], 0
.LBB165_304:
	v_cvt_f32_f64_e32 v12, v[12:13]
	v_max_f32_e32 v13, v97, v97
	v_min_f32_e32 v12, v12, v13
	v_cvt_f64_f32_e32 v[12:13], v12
	v_lshl_add_u64 v[16:17], v[4:5], 3, v[8:9]
	global_store_dwordx2 v[16:17], v[12:13], off
	s_or_b64 exec, exec, s[16:17]
	s_and_b64 s[16:17], s[8:9], s[10:11]
	s_and_saveexec_b64 s[10:11], s[16:17]
	s_cbranch_execz .LBB165_309
.LBB165_305:
	s_and_b64 vcc, exec, s[0:1]
	s_cbranch_vccnz .LBB165_307
; %bb.306:
	v_lshl_add_u64 v[10:11], v[6:7], 3, v[10:11]
	flat_load_dwordx2 v[10:11], v[10:11]
	s_waitcnt vmcnt(0) lgkmcnt(0)
	v_mul_f64 v[10:11], s[20:21], v[10:11]
	s_branch .LBB165_308
.LBB165_307:
	v_mov_b64_e32 v[10:11], 0
.LBB165_308:
	v_cvt_f32_f64_e32 v10, v[10:11]
	v_max_f32_e32 v11, v96, v96
	v_min_f32_e32 v10, v10, v11
	v_cvt_f64_f32_e32 v[10:11], v10
	v_lshl_add_u64 v[8:9], v[6:7], 3, v[8:9]
	global_store_dwordx2 v[8:9], v[10:11], off
.LBB165_309:
	s_or_b64 exec, exec, s[10:11]
	v_add_u32_e32 v12, 0x68, v14
	v_mad_i64_i32 v[8:9], s[16:17], v12, s29, 0
	v_cmp_gt_i32_e64 s[10:11], s13, v12
	v_lshl_add_u64 v[10:11], v[8:9], 3, s[22:23]
	v_mad_i64_i32 v[8:9], s[16:17], v12, s28, 0
	v_lshl_add_u64 v[8:9], v[8:9], 3, s[14:15]
	s_and_b64 s[18:19], s[2:3], s[10:11]
	s_and_saveexec_b64 s[16:17], s[18:19]
	s_cbranch_execnz .LBB165_313
; %bb.310:
	s_or_b64 exec, exec, s[16:17]
	s_and_b64 s[18:19], s[4:5], s[10:11]
	s_and_saveexec_b64 s[16:17], s[18:19]
	s_cbranch_execnz .LBB165_317
.LBB165_311:
	s_or_b64 exec, exec, s[16:17]
	s_and_b64 s[18:19], s[6:7], s[10:11]
	s_and_saveexec_b64 s[16:17], s[18:19]
	s_cbranch_execnz .LBB165_321
.LBB165_312:
	s_or_b64 exec, exec, s[16:17]
	s_and_b64 s[16:17], s[8:9], s[10:11]
	s_and_saveexec_b64 s[10:11], s[16:17]
	s_cbranch_execnz .LBB165_325
	s_branch .LBB165_329
.LBB165_313:
	s_and_b64 vcc, exec, s[0:1]
	s_cbranch_vccnz .LBB165_315
; %bb.314:
	v_lshl_add_u64 v[12:13], v[0:1], 3, v[10:11]
	flat_load_dwordx2 v[12:13], v[12:13]
	s_waitcnt vmcnt(0) lgkmcnt(0)
	v_mul_f64 v[12:13], s[20:21], v[12:13]
	s_branch .LBB165_316
.LBB165_315:
	v_mov_b64_e32 v[12:13], 0
.LBB165_316:
	v_cvt_f32_f64_e32 v12, v[12:13]
	v_max_f32_e32 v13, v95, v95
	v_min_f32_e32 v12, v12, v13
	v_cvt_f64_f32_e32 v[12:13], v12
	v_lshl_add_u64 v[16:17], v[0:1], 3, v[8:9]
	global_store_dwordx2 v[16:17], v[12:13], off
	s_or_b64 exec, exec, s[16:17]
	s_and_b64 s[18:19], s[4:5], s[10:11]
	s_and_saveexec_b64 s[16:17], s[18:19]
	s_cbranch_execz .LBB165_311
.LBB165_317:
	s_and_b64 vcc, exec, s[0:1]
	s_cbranch_vccnz .LBB165_319
; %bb.318:
	v_lshl_add_u64 v[12:13], v[2:3], 3, v[10:11]
	flat_load_dwordx2 v[12:13], v[12:13]
	s_waitcnt vmcnt(0) lgkmcnt(0)
	v_mul_f64 v[12:13], s[20:21], v[12:13]
	s_branch .LBB165_320
.LBB165_319:
	v_mov_b64_e32 v[12:13], 0
.LBB165_320:
	v_cvt_f32_f64_e32 v12, v[12:13]
	v_max_f32_e32 v13, v94, v94
	v_min_f32_e32 v12, v12, v13
	v_cvt_f64_f32_e32 v[12:13], v12
	v_lshl_add_u64 v[16:17], v[2:3], 3, v[8:9]
	global_store_dwordx2 v[16:17], v[12:13], off
	s_or_b64 exec, exec, s[16:17]
	s_and_b64 s[18:19], s[6:7], s[10:11]
	s_and_saveexec_b64 s[16:17], s[18:19]
	s_cbranch_execz .LBB165_312
.LBB165_321:
	s_and_b64 vcc, exec, s[0:1]
	s_cbranch_vccnz .LBB165_323
; %bb.322:
	v_lshl_add_u64 v[12:13], v[4:5], 3, v[10:11]
	flat_load_dwordx2 v[12:13], v[12:13]
	s_waitcnt vmcnt(0) lgkmcnt(0)
	v_mul_f64 v[12:13], s[20:21], v[12:13]
	s_branch .LBB165_324
.LBB165_323:
	v_mov_b64_e32 v[12:13], 0
.LBB165_324:
	v_cvt_f32_f64_e32 v12, v[12:13]
	v_max_f32_e32 v13, v93, v93
	v_min_f32_e32 v12, v12, v13
	v_cvt_f64_f32_e32 v[12:13], v12
	v_lshl_add_u64 v[16:17], v[4:5], 3, v[8:9]
	global_store_dwordx2 v[16:17], v[12:13], off
	s_or_b64 exec, exec, s[16:17]
	s_and_b64 s[16:17], s[8:9], s[10:11]
	s_and_saveexec_b64 s[10:11], s[16:17]
	s_cbranch_execz .LBB165_329
.LBB165_325:
	s_and_b64 vcc, exec, s[0:1]
	s_cbranch_vccnz .LBB165_327
; %bb.326:
	v_lshl_add_u64 v[10:11], v[6:7], 3, v[10:11]
	flat_load_dwordx2 v[10:11], v[10:11]
	s_waitcnt vmcnt(0) lgkmcnt(0)
	v_mul_f64 v[10:11], s[20:21], v[10:11]
	s_branch .LBB165_328
.LBB165_327:
	v_mov_b64_e32 v[10:11], 0
.LBB165_328:
	v_cvt_f32_f64_e32 v10, v[10:11]
	v_max_f32_e32 v11, v92, v92
	v_min_f32_e32 v10, v10, v11
	v_cvt_f64_f32_e32 v[10:11], v10
	v_lshl_add_u64 v[8:9], v[6:7], 3, v[8:9]
	global_store_dwordx2 v[8:9], v[10:11], off
.LBB165_329:
	s_or_b64 exec, exec, s[10:11]
	v_add_u32_e32 v12, 0x70, v14
	v_mad_i64_i32 v[8:9], s[16:17], v12, s29, 0
	v_cmp_gt_i32_e64 s[10:11], s13, v12
	v_lshl_add_u64 v[10:11], v[8:9], 3, s[22:23]
	v_mad_i64_i32 v[8:9], s[16:17], v12, s28, 0
	v_lshl_add_u64 v[8:9], v[8:9], 3, s[14:15]
	s_and_b64 s[18:19], s[2:3], s[10:11]
	s_and_saveexec_b64 s[16:17], s[18:19]
	s_cbranch_execnz .LBB165_333
; %bb.330:
	s_or_b64 exec, exec, s[16:17]
	s_and_b64 s[18:19], s[4:5], s[10:11]
	s_and_saveexec_b64 s[16:17], s[18:19]
	s_cbranch_execnz .LBB165_337
.LBB165_331:
	s_or_b64 exec, exec, s[16:17]
	s_and_b64 s[18:19], s[6:7], s[10:11]
	s_and_saveexec_b64 s[16:17], s[18:19]
	s_cbranch_execnz .LBB165_341
.LBB165_332:
	s_or_b64 exec, exec, s[16:17]
	s_and_b64 s[16:17], s[8:9], s[10:11]
	s_and_saveexec_b64 s[10:11], s[16:17]
	s_cbranch_execnz .LBB165_345
	s_branch .LBB165_349
.LBB165_333:
	s_and_b64 vcc, exec, s[0:1]
	s_cbranch_vccnz .LBB165_335
; %bb.334:
	v_lshl_add_u64 v[12:13], v[0:1], 3, v[10:11]
	flat_load_dwordx2 v[12:13], v[12:13]
	s_waitcnt vmcnt(0) lgkmcnt(0)
	v_mul_f64 v[12:13], s[20:21], v[12:13]
	v_cvt_f32_f64_e32 v12, v[12:13]
	s_branch .LBB165_336
.LBB165_335:
	v_mov_b32_e32 v12, 0
.LBB165_336:
	v_max_f32_e32 v13, v91, v91
	v_max_f32_e32 v12, v12, v12
	v_min_f32_e32 v12, v12, v13
	v_cvt_f64_f32_e32 v[12:13], v12
	v_lshl_add_u64 v[16:17], v[0:1], 3, v[8:9]
	global_store_dwordx2 v[16:17], v[12:13], off
	s_or_b64 exec, exec, s[16:17]
	s_and_b64 s[18:19], s[4:5], s[10:11]
	s_and_saveexec_b64 s[16:17], s[18:19]
	s_cbranch_execz .LBB165_331
.LBB165_337:
	s_and_b64 vcc, exec, s[0:1]
	s_cbranch_vccnz .LBB165_339
; %bb.338:
	v_lshl_add_u64 v[12:13], v[2:3], 3, v[10:11]
	flat_load_dwordx2 v[12:13], v[12:13]
	s_waitcnt vmcnt(0) lgkmcnt(0)
	v_mul_f64 v[12:13], s[20:21], v[12:13]
	v_cvt_f32_f64_e32 v12, v[12:13]
	s_branch .LBB165_340
.LBB165_339:
	v_mov_b32_e32 v12, 0
.LBB165_340:
	v_max_f32_e32 v13, v90, v90
	v_max_f32_e32 v12, v12, v12
	v_min_f32_e32 v12, v12, v13
	v_cvt_f64_f32_e32 v[12:13], v12
	v_lshl_add_u64 v[16:17], v[2:3], 3, v[8:9]
	global_store_dwordx2 v[16:17], v[12:13], off
	s_or_b64 exec, exec, s[16:17]
	s_and_b64 s[18:19], s[6:7], s[10:11]
	s_and_saveexec_b64 s[16:17], s[18:19]
	s_cbranch_execz .LBB165_332
.LBB165_341:
	s_and_b64 vcc, exec, s[0:1]
	s_cbranch_vccnz .LBB165_343
; %bb.342:
	v_lshl_add_u64 v[12:13], v[4:5], 3, v[10:11]
	flat_load_dwordx2 v[12:13], v[12:13]
	s_waitcnt vmcnt(0) lgkmcnt(0)
	v_mul_f64 v[12:13], s[20:21], v[12:13]
	v_cvt_f32_f64_e32 v12, v[12:13]
	s_branch .LBB165_344
.LBB165_343:
	v_mov_b32_e32 v12, 0
.LBB165_344:
	v_max_f32_e32 v13, v89, v89
	v_max_f32_e32 v12, v12, v12
	v_min_f32_e32 v12, v12, v13
	v_cvt_f64_f32_e32 v[12:13], v12
	v_lshl_add_u64 v[16:17], v[4:5], 3, v[8:9]
	global_store_dwordx2 v[16:17], v[12:13], off
	s_or_b64 exec, exec, s[16:17]
	s_and_b64 s[16:17], s[8:9], s[10:11]
	s_and_saveexec_b64 s[10:11], s[16:17]
	s_cbranch_execz .LBB165_349
.LBB165_345:
	s_and_b64 vcc, exec, s[0:1]
	s_cbranch_vccnz .LBB165_347
; %bb.346:
	v_lshl_add_u64 v[10:11], v[6:7], 3, v[10:11]
	flat_load_dwordx2 v[10:11], v[10:11]
	s_waitcnt vmcnt(0) lgkmcnt(0)
	v_mul_f64 v[10:11], s[20:21], v[10:11]
	v_cvt_f32_f64_e32 v10, v[10:11]
	s_branch .LBB165_348
.LBB165_347:
	v_mov_b32_e32 v10, 0
.LBB165_348:
	v_max_f32_e32 v11, v88, v88
	v_max_f32_e32 v10, v10, v10
	v_min_f32_e32 v10, v10, v11
	v_cvt_f64_f32_e32 v[10:11], v10
	v_lshl_add_u64 v[8:9], v[6:7], 3, v[8:9]
	global_store_dwordx2 v[8:9], v[10:11], off
.LBB165_349:
	s_or_b64 exec, exec, s[10:11]
	v_add_u32_e32 v12, 0x78, v14
	v_cmp_gt_i32_e64 s[10:11], s13, v12
	v_mad_i64_i32 v[8:9], s[12:13], v12, s29, 0
	v_lshl_add_u64 v[10:11], v[8:9], 3, s[22:23]
	v_mad_i64_i32 v[8:9], s[12:13], v12, s28, 0
	v_lshl_add_u64 v[8:9], v[8:9], 3, s[14:15]
	s_and_b64 s[12:13], s[2:3], s[10:11]
	s_and_saveexec_b64 s[2:3], s[12:13]
	s_cbranch_execnz .LBB165_354
; %bb.350:
	s_or_b64 exec, exec, s[2:3]
	s_and_b64 s[4:5], s[4:5], s[10:11]
	s_and_saveexec_b64 s[2:3], s[4:5]
	s_cbranch_execnz .LBB165_358
.LBB165_351:
	s_or_b64 exec, exec, s[2:3]
	s_and_b64 s[4:5], s[6:7], s[10:11]
	s_and_saveexec_b64 s[2:3], s[4:5]
	s_cbranch_execnz .LBB165_362
.LBB165_352:
	s_or_b64 exec, exec, s[2:3]
	s_and_b64 s[2:3], s[8:9], s[10:11]
	s_and_saveexec_b64 s[4:5], s[2:3]
	s_cbranch_execnz .LBB165_366
.LBB165_353:
	s_endpgm
.LBB165_354:
	s_and_b64 vcc, exec, s[0:1]
	s_cbranch_vccnz .LBB165_356
; %bb.355:
	v_lshl_add_u64 v[12:13], v[0:1], 3, v[10:11]
	flat_load_dwordx2 v[12:13], v[12:13]
	s_waitcnt vmcnt(0) lgkmcnt(0)
	v_mul_f64 v[12:13], s[20:21], v[12:13]
	v_cvt_f32_f64_e32 v12, v[12:13]
	s_branch .LBB165_357
.LBB165_356:
	v_mov_b32_e32 v12, 0
.LBB165_357:
	v_max_f32_e32 v13, v87, v87
	v_max_f32_e32 v12, v12, v12
	v_min_f32_e32 v12, v12, v13
	v_cvt_f64_f32_e32 v[12:13], v12
	v_lshl_add_u64 v[0:1], v[0:1], 3, v[8:9]
	global_store_dwordx2 v[0:1], v[12:13], off
	s_or_b64 exec, exec, s[2:3]
	s_and_b64 s[4:5], s[4:5], s[10:11]
	s_and_saveexec_b64 s[2:3], s[4:5]
	s_cbranch_execz .LBB165_351
.LBB165_358:
	s_and_b64 vcc, exec, s[0:1]
	s_cbranch_vccnz .LBB165_360
; %bb.359:
	v_lshl_add_u64 v[0:1], v[2:3], 3, v[10:11]
	flat_load_dwordx2 v[0:1], v[0:1]
	s_waitcnt vmcnt(0) lgkmcnt(0)
	v_mul_f64 v[0:1], s[20:21], v[0:1]
	v_cvt_f32_f64_e32 v0, v[0:1]
	s_branch .LBB165_361
.LBB165_360:
	v_mov_b32_e32 v0, 0
.LBB165_361:
	v_max_f32_e32 v1, v86, v86
	v_max_f32_e32 v0, v0, v0
	v_min_f32_e32 v0, v0, v1
	v_cvt_f64_f32_e32 v[0:1], v0
	v_lshl_add_u64 v[2:3], v[2:3], 3, v[8:9]
	global_store_dwordx2 v[2:3], v[0:1], off
	s_or_b64 exec, exec, s[2:3]
	s_and_b64 s[4:5], s[6:7], s[10:11]
	s_and_saveexec_b64 s[2:3], s[4:5]
	s_cbranch_execz .LBB165_352
.LBB165_362:
	s_and_b64 vcc, exec, s[0:1]
	s_cbranch_vccnz .LBB165_364
; %bb.363:
	v_lshl_add_u64 v[0:1], v[4:5], 3, v[10:11]
	flat_load_dwordx2 v[0:1], v[0:1]
	s_waitcnt vmcnt(0) lgkmcnt(0)
	v_mul_f64 v[0:1], s[20:21], v[0:1]
	v_cvt_f32_f64_e32 v0, v[0:1]
	s_branch .LBB165_365
.LBB165_364:
	v_mov_b32_e32 v0, 0
.LBB165_365:
	v_max_f32_e32 v1, v85, v85
	v_max_f32_e32 v0, v0, v0
	v_min_f32_e32 v0, v0, v1
	v_cvt_f64_f32_e32 v[0:1], v0
	v_lshl_add_u64 v[2:3], v[4:5], 3, v[8:9]
	global_store_dwordx2 v[2:3], v[0:1], off
	s_or_b64 exec, exec, s[2:3]
	s_and_b64 s[2:3], s[8:9], s[10:11]
	s_and_saveexec_b64 s[4:5], s[2:3]
	s_cbranch_execz .LBB165_353
.LBB165_366:
	s_and_b64 vcc, exec, s[0:1]
	s_cbranch_vccnz .LBB165_368
; %bb.367:
	v_lshl_add_u64 v[0:1], v[6:7], 3, v[10:11]
	flat_load_dwordx2 v[0:1], v[0:1]
	s_waitcnt vmcnt(0) lgkmcnt(0)
	v_mul_f64 v[0:1], s[20:21], v[0:1]
	v_cvt_f32_f64_e32 v0, v[0:1]
	s_branch .LBB165_369
.LBB165_368:
	v_mov_b32_e32 v0, 0
.LBB165_369:
	v_max_f32_e32 v1, v84, v84
	v_max_f32_e32 v0, v0, v0
	v_min_f32_e32 v0, v0, v1
	v_cvt_f64_f32_e32 v[0:1], v0
	v_lshl_add_u64 v[2:3], v[6:7], 3, v[8:9]
	global_store_dwordx2 v[2:3], v[0:1], off
	s_endpgm
	.section	.rodata,"a",@progbits
	.p2align	6, 0x0
	.amdhsa_kernel _ZN12_GLOBAL__N_120geam_min_plus_kernelId15HIP_vector_typeIdLj2EEdLi32ELi8ELi128ELi128ELi4ELi4ELi64ELi4ELi64ELc84ELc78ELb0ELb1ELb1EPKdS3_dEEviiiT16_PT17_ilS7_ilS5_S7_ilPT18_ili26rocblas_geam_ex_operation_
		.amdhsa_group_segment_fixed_size 16384
		.amdhsa_private_segment_fixed_size 0
		.amdhsa_kernarg_size 136
		.amdhsa_user_sgpr_count 2
		.amdhsa_user_sgpr_dispatch_ptr 0
		.amdhsa_user_sgpr_queue_ptr 0
		.amdhsa_user_sgpr_kernarg_segment_ptr 1
		.amdhsa_user_sgpr_dispatch_id 0
		.amdhsa_user_sgpr_kernarg_preload_length 0
		.amdhsa_user_sgpr_kernarg_preload_offset 0
		.amdhsa_user_sgpr_private_segment_size 0
		.amdhsa_uses_dynamic_stack 0
		.amdhsa_enable_private_segment 0
		.amdhsa_system_sgpr_workgroup_id_x 1
		.amdhsa_system_sgpr_workgroup_id_y 0
		.amdhsa_system_sgpr_workgroup_id_z 1
		.amdhsa_system_sgpr_workgroup_info 0
		.amdhsa_system_vgpr_workitem_id 1
		.amdhsa_next_free_vgpr 174
		.amdhsa_next_free_sgpr 42
		.amdhsa_accum_offset 176
		.amdhsa_reserve_vcc 1
		.amdhsa_float_round_mode_32 0
		.amdhsa_float_round_mode_16_64 0
		.amdhsa_float_denorm_mode_32 3
		.amdhsa_float_denorm_mode_16_64 3
		.amdhsa_dx10_clamp 1
		.amdhsa_ieee_mode 1
		.amdhsa_fp16_overflow 0
		.amdhsa_tg_split 0
		.amdhsa_exception_fp_ieee_invalid_op 0
		.amdhsa_exception_fp_denorm_src 0
		.amdhsa_exception_fp_ieee_div_zero 0
		.amdhsa_exception_fp_ieee_overflow 0
		.amdhsa_exception_fp_ieee_underflow 0
		.amdhsa_exception_fp_ieee_inexact 0
		.amdhsa_exception_int_div_zero 0
	.end_amdhsa_kernel
	.section	.text._ZN12_GLOBAL__N_120geam_min_plus_kernelId15HIP_vector_typeIdLj2EEdLi32ELi8ELi128ELi128ELi4ELi4ELi64ELi4ELi64ELc84ELc78ELb0ELb1ELb1EPKdS3_dEEviiiT16_PT17_ilS7_ilS5_S7_ilPT18_ili26rocblas_geam_ex_operation_,"axG",@progbits,_ZN12_GLOBAL__N_120geam_min_plus_kernelId15HIP_vector_typeIdLj2EEdLi32ELi8ELi128ELi128ELi4ELi4ELi64ELi4ELi64ELc84ELc78ELb0ELb1ELb1EPKdS3_dEEviiiT16_PT17_ilS7_ilS5_S7_ilPT18_ili26rocblas_geam_ex_operation_,comdat
.Lfunc_end165:
	.size	_ZN12_GLOBAL__N_120geam_min_plus_kernelId15HIP_vector_typeIdLj2EEdLi32ELi8ELi128ELi128ELi4ELi4ELi64ELi4ELi64ELc84ELc78ELb0ELb1ELb1EPKdS3_dEEviiiT16_PT17_ilS7_ilS5_S7_ilPT18_ili26rocblas_geam_ex_operation_, .Lfunc_end165-_ZN12_GLOBAL__N_120geam_min_plus_kernelId15HIP_vector_typeIdLj2EEdLi32ELi8ELi128ELi128ELi4ELi4ELi64ELi4ELi64ELc84ELc78ELb0ELb1ELb1EPKdS3_dEEviiiT16_PT17_ilS7_ilS5_S7_ilPT18_ili26rocblas_geam_ex_operation_
                                        ; -- End function
	.section	.AMDGPU.csdata,"",@progbits
; Kernel info:
; codeLenInByte = 19376
; NumSgprs: 48
; NumVgprs: 174
; NumAgprs: 0
; TotalNumVgprs: 174
; ScratchSize: 0
; MemoryBound: 0
; FloatMode: 240
; IeeeMode: 1
; LDSByteSize: 16384 bytes/workgroup (compile time only)
; SGPRBlocks: 5
; VGPRBlocks: 21
; NumSGPRsForWavesPerEU: 48
; NumVGPRsForWavesPerEU: 174
; AccumOffset: 176
; Occupancy: 2
; WaveLimiterHint : 0
; COMPUTE_PGM_RSRC2:SCRATCH_EN: 0
; COMPUTE_PGM_RSRC2:USER_SGPR: 2
; COMPUTE_PGM_RSRC2:TRAP_HANDLER: 0
; COMPUTE_PGM_RSRC2:TGID_X_EN: 1
; COMPUTE_PGM_RSRC2:TGID_Y_EN: 0
; COMPUTE_PGM_RSRC2:TGID_Z_EN: 1
; COMPUTE_PGM_RSRC2:TIDIG_COMP_CNT: 1
; COMPUTE_PGM_RSRC3_GFX90A:ACCUM_OFFSET: 43
; COMPUTE_PGM_RSRC3_GFX90A:TG_SPLIT: 0
	.section	.text._ZN12_GLOBAL__N_120geam_min_plus_kernelId15HIP_vector_typeIdLj2EEdLi32ELi8ELi128ELi128ELi4ELi4ELi64ELi4ELi64ELc84ELc78ELb1ELb1ELb1EdKddEEviiiT16_PT17_ilS6_ilS4_S6_ilPT18_ili26rocblas_geam_ex_operation_,"axG",@progbits,_ZN12_GLOBAL__N_120geam_min_plus_kernelId15HIP_vector_typeIdLj2EEdLi32ELi8ELi128ELi128ELi4ELi4ELi64ELi4ELi64ELc84ELc78ELb1ELb1ELb1EdKddEEviiiT16_PT17_ilS6_ilS4_S6_ilPT18_ili26rocblas_geam_ex_operation_,comdat
	.globl	_ZN12_GLOBAL__N_120geam_min_plus_kernelId15HIP_vector_typeIdLj2EEdLi32ELi8ELi128ELi128ELi4ELi4ELi64ELi4ELi64ELc84ELc78ELb1ELb1ELb1EdKddEEviiiT16_PT17_ilS6_ilS4_S6_ilPT18_ili26rocblas_geam_ex_operation_ ; -- Begin function _ZN12_GLOBAL__N_120geam_min_plus_kernelId15HIP_vector_typeIdLj2EEdLi32ELi8ELi128ELi128ELi4ELi4ELi64ELi4ELi64ELc84ELc78ELb1ELb1ELb1EdKddEEviiiT16_PT17_ilS6_ilS4_S6_ilPT18_ili26rocblas_geam_ex_operation_
	.p2align	8
	.type	_ZN12_GLOBAL__N_120geam_min_plus_kernelId15HIP_vector_typeIdLj2EEdLi32ELi8ELi128ELi128ELi4ELi4ELi64ELi4ELi64ELc84ELc78ELb1ELb1ELb1EdKddEEviiiT16_PT17_ilS6_ilS4_S6_ilPT18_ili26rocblas_geam_ex_operation_,@function
_ZN12_GLOBAL__N_120geam_min_plus_kernelId15HIP_vector_typeIdLj2EEdLi32ELi8ELi128ELi128ELi4ELi4ELi64ELi4ELi64ELc84ELc78ELb1ELb1ELb1EdKddEEviiiT16_PT17_ilS6_ilS4_S6_ilPT18_ili26rocblas_geam_ex_operation_: ; @_ZN12_GLOBAL__N_120geam_min_plus_kernelId15HIP_vector_typeIdLj2EEdLi32ELi8ELi128ELi128ELi4ELi4ELi64ELi4ELi64ELc84ELc78ELb1ELb1ELb1EdKddEEviiiT16_PT17_ilS6_ilS4_S6_ilPT18_ili26rocblas_geam_ex_operation_
; %bb.0:
	s_load_dwordx4 s[8:11], s[0:1], 0x10
	s_load_dwordx4 s[4:7], s[0:1], 0x28
	s_mov_b64 s[28:29], 0
	s_waitcnt lgkmcnt(0)
	v_cmp_eq_f64_e64 s[8:9], s[8:9], 0
	s_and_b64 vcc, exec, s[8:9]
	s_cbranch_vccnz .LBB166_2
; %bb.1:
	s_mul_i32 s5, s3, s5
	s_mul_hi_u32 s12, s3, s4
	s_add_i32 s5, s12, s5
	s_mul_i32 s4, s3, s4
	s_lshl_b64 s[4:5], s[4:5], 3
	s_add_u32 s28, s10, s4
	s_addc_u32 s29, s11, s5
.LBB166_2:
	s_load_dwordx4 s[12:15], s[0:1], 0x40
	s_load_dwordx2 s[4:5], s[0:1], 0x50
	s_andn2_b64 vcc, exec, s[8:9]
	s_cbranch_vccnz .LBB166_4
; %bb.3:
	s_mov_b32 s25, 0
	s_mov_b64 s[30:31], 0
	s_cbranch_execz .LBB166_5
	s_branch .LBB166_6
.LBB166_4:
                                        ; implicit-def: $sgpr30_sgpr31
                                        ; implicit-def: $sgpr24_sgpr25
.LBB166_5:
	s_waitcnt lgkmcnt(0)
	s_mul_i32 s8, s3, s13
	s_mul_hi_u32 s9, s3, s12
	s_add_i32 s9, s9, s8
	s_mul_i32 s8, s3, s12
	s_lshl_b64 s[8:9], s[8:9], 3
	s_add_u32 s30, s6, s8
	s_mov_b32 s25, 0
	s_addc_u32 s31, s7, s9
.LBB166_6:
	s_load_dwordx4 s[20:23], s[0:1], 0x60
	s_waitcnt lgkmcnt(0)
	v_cmp_eq_f64_e64 s[6:7], s[14:15], 0
	s_mov_b64 s[12:13], 0
	v_cmp_neq_f64_e64 s[26:27], s[14:15], 0
	s_and_b64 vcc, exec, s[6:7]
	s_cbranch_vccnz .LBB166_8
; %bb.7:
	s_mul_i32 s6, s3, s21
	s_mul_hi_u32 s7, s3, s20
	s_add_i32 s6, s7, s6
	s_mul_i32 s7, s25, s20
	s_add_i32 s7, s6, s7
	s_mul_i32 s6, s3, s20
	s_lshl_b64 s[6:7], s[6:7], 3
	s_add_u32 s12, s4, s6
	s_addc_u32 s13, s5, s7
.LBB166_8:
	s_load_dwordx4 s[16:19], s[0:1], 0x0
	s_load_dword s36, s[0:1], 0x20
	v_and_b32_e32 v150, 0x3ff, v0
	v_bfe_u32 v151, v0, 10, 10
	v_lshl_add_u32 v2, v151, 5, v150
	s_waitcnt lgkmcnt(0)
	s_add_i32 s4, s16, -1
	s_ashr_i32 s5, s4, 31
	s_lshr_b32 s5, s5, 25
	s_add_i32 s4, s4, s5
	s_ashr_i32 s4, s4, 7
	s_add_i32 s5, s4, 1
	v_cvt_f32_u32_e32 v1, s5
	s_not_b32 s4, s4
	v_lshrrev_b32_e32 v14, 2, v2
	v_and_b32_e32 v160, 3, v150
	v_rcp_iflag_f32_e32 v0, v1
	s_mov_b32 s6, -1
	v_cmp_le_i32_e32 vcc, s18, v160
	s_mov_b32 s7, 0x7fefffff
	v_mul_f32_e32 v0, 0x4f7ffffe, v0
	v_cvt_u32_f32_e32 v0, v0
	v_mov_b32_e32 v1, 0
	v_mov_b64_e32 v[2:3], s[6:7]
	v_readfirstlane_b32 s8, v0
	s_mul_i32 s4, s4, s8
	s_mul_hi_u32 s4, s8, s4
	s_add_i32 s8, s8, s4
	s_mul_hi_u32 s4, s2, s8
	s_mul_i32 s8, s4, s5
	s_sub_i32 s8, s2, s8
	s_add_i32 s9, s4, 1
	s_sub_i32 s10, s8, s5
	s_cmp_ge_u32 s8, s5
	s_cselect_b32 s4, s9, s4
	s_cselect_b32 s8, s10, s8
	s_add_i32 s9, s4, 1
	s_cmp_ge_u32 s8, s5
	s_cselect_b32 s8, s9, s4
	s_mul_i32 s4, s8, s5
	s_sub_i32 s2, s2, s4
	s_lshl_b32 s2, s2, 7
	v_add_u32_e32 v80, s2, v14
	v_cmp_le_i32_e64 s[10:11], s16, v80
	v_lshlrev_b32_e32 v0, 3, v160
	s_or_b64 s[4:5], vcc, s[10:11]
	v_lshl_add_u64 v[6:7], s[28:29], 0, v[0:1]
	s_xor_b64 s[20:21], s[4:5], -1
	s_and_saveexec_b64 s[4:5], s[20:21]
	s_cbranch_execz .LBB166_10
; %bb.9:
	v_mad_i64_i32 v[2:3], s[20:21], v80, s36, 0
	v_lshl_add_u64 v[2:3], v[2:3], 3, v[6:7]
	flat_load_dwordx2 v[2:3], v[2:3]
.LBB166_10:
	s_or_b64 exec, exec, s[4:5]
	v_add_u32_e32 v81, 64, v80
	v_cmp_le_i32_e64 s[4:5], s16, v81
	s_or_b64 s[20:21], vcc, s[4:5]
	s_xor_b64 s[20:21], s[20:21], -1
	v_mov_b64_e32 v[4:5], s[6:7]
	s_and_saveexec_b64 s[6:7], s[20:21]
	s_cbranch_execz .LBB166_12
; %bb.11:
	v_mad_i64_i32 v[4:5], s[20:21], v81, s36, 0
	v_lshl_add_u64 v[4:5], v[4:5], 3, v[6:7]
	flat_load_dwordx2 v[4:5], v[4:5]
.LBB166_12:
	s_or_b64 exec, exec, s[6:7]
	s_load_dword s37, s[0:1], 0x38
	s_lshl_b32 s24, s8, 7
	v_add_u32_e32 v82, s24, v14
	v_cmp_le_i32_e64 s[6:7], s17, v82
	s_mov_b32 s20, -1
	v_mov_b32_e32 v1, 0
	s_or_b64 s[8:9], vcc, s[6:7]
	s_mov_b32 s21, 0x7fefffff
	v_lshl_add_u64 v[8:9], s[30:31], 0, v[0:1]
	s_xor_b64 s[34:35], s[8:9], -1
	v_mov_b64_e32 v[10:11], s[20:21]
	s_and_saveexec_b64 s[8:9], s[34:35]
	s_cbranch_execz .LBB166_14
; %bb.13:
	s_waitcnt lgkmcnt(0)
	v_mad_i64_i32 v[10:11], s[34:35], v82, s37, 0
	v_lshl_add_u64 v[10:11], v[10:11], 3, v[8:9]
	flat_load_dwordx2 v[10:11], v[10:11]
.LBB166_14:
	s_or_b64 exec, exec, s[8:9]
	v_add_u32_e32 v83, 64, v82
	v_cmp_le_i32_e64 s[8:9], s17, v83
	s_or_b64 s[34:35], vcc, s[8:9]
	s_xor_b64 s[34:35], s[34:35], -1
	v_mov_b64_e32 v[12:13], s[20:21]
	s_and_saveexec_b64 s[20:21], s[34:35]
	s_cbranch_execz .LBB166_16
; %bb.15:
	s_waitcnt lgkmcnt(0)
	v_mad_i64_i32 v[12:13], s[34:35], v83, s37, 0
	v_lshl_add_u64 v[12:13], v[12:13], 3, v[8:9]
	flat_load_dwordx2 v[12:13], v[12:13]
.LBB166_16:
	s_or_b64 exec, exec, s[20:21]
	v_or_b32_e32 v1, 4, v160
	v_cmp_le_i32_e32 vcc, s18, v1
	s_or_b64 s[20:21], vcc, s[10:11]
	s_xor_b64 s[38:39], s[20:21], -1
	s_mov_b32 s20, -1
	s_mov_b32 s21, 0x7fefffff
	v_mov_b64_e32 v[72:73], s[20:21]
	s_and_saveexec_b64 s[34:35], s[38:39]
	s_cbranch_execz .LBB166_18
; %bb.17:
	v_mad_i64_i32 v[16:17], s[38:39], v80, s36, 0
	v_lshl_add_u64 v[16:17], v[16:17], 3, v[6:7]
	flat_load_dwordx2 v[72:73], v[16:17] offset:32
.LBB166_18:
	s_or_b64 exec, exec, s[34:35]
	s_or_b64 s[34:35], vcc, s[4:5]
	s_xor_b64 s[34:35], s[34:35], -1
	v_mov_b64_e32 v[74:75], s[20:21]
	s_and_saveexec_b64 s[20:21], s[34:35]
	s_cbranch_execz .LBB166_20
; %bb.19:
	v_mad_i64_i32 v[16:17], s[34:35], v81, s36, 0
	v_lshl_add_u64 v[6:7], v[16:17], 3, v[6:7]
	flat_load_dwordx2 v[74:75], v[6:7] offset:32
.LBB166_20:
	s_or_b64 exec, exec, s[20:21]
	s_or_b64 s[20:21], vcc, s[6:7]
	s_xor_b64 s[38:39], s[20:21], -1
	s_mov_b32 s20, -1
	s_mov_b32 s21, 0x7fefffff
	v_mov_b64_e32 v[76:77], s[20:21]
	s_and_saveexec_b64 s[34:35], s[38:39]
	s_cbranch_execz .LBB166_22
; %bb.21:
	s_waitcnt lgkmcnt(0)
	v_mad_i64_i32 v[6:7], s[38:39], v82, s37, 0
	v_lshl_add_u64 v[6:7], v[6:7], 3, v[8:9]
	flat_load_dwordx2 v[76:77], v[6:7] offset:32
.LBB166_22:
	s_or_b64 exec, exec, s[34:35]
	s_or_b64 s[34:35], vcc, s[8:9]
	s_xor_b64 s[34:35], s[34:35], -1
	v_mov_b64_e32 v[78:79], s[20:21]
	s_and_saveexec_b64 s[20:21], s[34:35]
	s_cbranch_execz .LBB166_24
; %bb.23:
	s_waitcnt lgkmcnt(0)
	v_mad_i64_i32 v[6:7], s[34:35], v83, s37, 0
	v_lshl_add_u64 v[6:7], v[6:7], 3, v[8:9]
	flat_load_dwordx2 v[78:79], v[6:7] offset:32
.LBB166_24:
	s_or_b64 exec, exec, s[20:21]
	v_lshl_or_b32 v161, v14, 5, v0
	v_add_u32_e32 v162, 0x2000, v161
	s_mov_b32 s19, 0
	s_mov_b64 s[20:21], -1
	v_mov_b32_e32 v94, 0x7f800000
	v_mov_b32_e32 v95, 0x7f800000
	;; [unrolled: 1-line block ×64, first 2 shown]
	s_waitcnt vmcnt(0) lgkmcnt(0)
	ds_write2st64_b64 v161, v[2:3], v[4:5] offset1:4
	ds_write2st64_b64 v161, v[10:11], v[12:13] offset0:16 offset1:20
	s_waitcnt lgkmcnt(0)
	s_barrier
.LBB166_25:                             ; =>This Inner Loop Header: Depth=1
	v_cndmask_b32_e64 v0, 0, 1, s[20:21]
	s_lshl_b32 s19, s19, 3
	v_cmp_ne_u32_e32 vcc, 1, v0
	v_lshl_add_u32 v0, v150, 5, s19
	ds_read_b128 v[12:15], v0
	ds_read_b128 v[8:11], v0 offset:1024
	ds_read_b128 v[4:7], v0 offset:2048
	;; [unrolled: 1-line block ×3, first 2 shown]
	v_lshl_add_u32 v16, v151, 5, s19
	ds_read_b128 v[84:87], v16 offset:8192
	ds_read_b128 v[88:91], v16 offset:8448
	ds_read_b128 v[68:71], v16 offset:8704
	ds_read_b128 v[64:67], v16 offset:8960
	ds_read_b128 v[60:63], v16 offset:9216
	ds_read_b128 v[56:59], v16 offset:9472
	ds_read_b128 v[52:55], v16 offset:9728
	ds_read_b128 v[48:51], v16 offset:9984
	ds_read_b128 v[44:47], v16 offset:10240
	ds_read_b128 v[40:43], v16 offset:10496
	ds_read_b128 v[36:39], v16 offset:10752
	ds_read_b128 v[32:35], v16 offset:11008
	ds_read_b128 v[28:31], v16 offset:11264
	ds_read_b128 v[24:27], v16 offset:11520
	ds_read_b128 v[20:23], v16 offset:11776
	ds_read_b128 v[16:19], v16 offset:12032
	s_waitcnt lgkmcnt(14)
	v_add_f64 v[92:93], v[14:15], v[86:87]
	v_add_f64 v[164:165], v[12:13], v[84:85]
	v_cvt_f32_f64_e32 v163, v[164:165]
	v_cvt_f32_f64_e32 v92, v[92:93]
	v_min3_f32 v159, v163, v92, v159
	v_add_f64 v[92:93], v[10:11], v[86:87]
	v_add_f64 v[164:165], v[8:9], v[84:85]
	v_cvt_f32_f64_e32 v163, v[164:165]
	v_cvt_f32_f64_e32 v92, v[92:93]
	v_min3_f32 v158, v163, v92, v158
	v_add_f64 v[92:93], v[6:7], v[86:87]
	v_add_f64 v[164:165], v[4:5], v[84:85]
	;; [unrolled: 1-line block ×4, first 2 shown]
	v_cvt_f32_f64_e32 v84, v[84:85]
	v_cvt_f32_f64_e32 v85, v[86:87]
	v_min3_f32 v156, v84, v85, v156
	v_add_f64 v[84:85], v[14:15], v[90:91]
	v_add_f64 v[86:87], v[12:13], v[88:89]
	v_cvt_f32_f64_e32 v86, v[86:87]
	v_cvt_f32_f64_e32 v84, v[84:85]
	v_min3_f32 v155, v86, v84, v155
	v_add_f64 v[84:85], v[10:11], v[90:91]
	v_add_f64 v[86:87], v[8:9], v[88:89]
	;; [unrolled: 5-line block ×4, first 2 shown]
	v_cvt_f32_f64_e32 v86, v[86:87]
	v_cvt_f32_f64_e32 v84, v[84:85]
	v_min3_f32 v152, v86, v84, v152
	s_waitcnt lgkmcnt(13)
	v_add_f64 v[84:85], v[14:15], v[70:71]
	v_add_f64 v[86:87], v[12:13], v[68:69]
	v_cvt_f32_f64_e32 v86, v[86:87]
	v_cvt_f32_f64_e32 v84, v[84:85]
	v_min3_f32 v149, v86, v84, v149
	v_add_f64 v[84:85], v[10:11], v[70:71]
	v_add_f64 v[86:87], v[8:9], v[68:69]
	v_cvt_f32_f64_e32 v86, v[86:87]
	v_cvt_f32_f64_e32 v84, v[84:85]
	v_min3_f32 v148, v86, v84, v148
	v_add_f64 v[84:85], v[6:7], v[70:71]
	v_add_f64 v[86:87], v[4:5], v[68:69]
	v_add_f64 v[70:71], v[2:3], v[70:71]
	v_add_f64 v[68:69], v[0:1], v[68:69]
	v_cvt_f32_f64_e32 v68, v[68:69]
	v_cvt_f32_f64_e32 v69, v[70:71]
	v_min3_f32 v146, v68, v69, v146
	s_waitcnt lgkmcnt(12)
	v_add_f64 v[68:69], v[14:15], v[66:67]
	v_add_f64 v[70:71], v[12:13], v[64:65]
	v_cvt_f32_f64_e32 v70, v[70:71]
	v_cvt_f32_f64_e32 v68, v[68:69]
	v_min3_f32 v145, v70, v68, v145
	v_add_f64 v[68:69], v[10:11], v[66:67]
	v_add_f64 v[70:71], v[8:9], v[64:65]
	v_cvt_f32_f64_e32 v70, v[70:71]
	v_cvt_f32_f64_e32 v68, v[68:69]
	v_min3_f32 v144, v70, v68, v144
	v_add_f64 v[68:69], v[6:7], v[66:67]
	v_add_f64 v[70:71], v[4:5], v[64:65]
	v_add_f64 v[66:67], v[2:3], v[66:67]
	v_add_f64 v[64:65], v[0:1], v[64:65]
	;; [unrolled: 18-line block ×13, first 2 shown]
	s_waitcnt lgkmcnt(0)
	v_add_f64 v[14:15], v[14:15], v[18:19]
	v_add_f64 v[12:13], v[12:13], v[16:17]
	v_add_f64 v[10:11], v[10:11], v[18:19]
	v_add_f64 v[8:9], v[8:9], v[16:17]
	v_add_f64 v[6:7], v[6:7], v[18:19]
	v_add_f64 v[4:5], v[4:5], v[16:17]
	v_add_f64 v[2:3], v[2:3], v[18:19]
	v_add_f64 v[0:1], v[0:1], v[16:17]
	v_cvt_f32_f64_e32 v163, v[164:165]
	v_cvt_f32_f64_e32 v92, v[92:93]
	;; [unrolled: 1-line block ×38, first 2 shown]
	v_min3_f32 v157, v163, v92, v157
	v_min3_f32 v147, v86, v84, v147
	;; [unrolled: 1-line block ×19, first 2 shown]
	s_mov_b32 s19, 2
	s_mov_b64 s[20:21], 0
	s_cbranch_vccz .LBB166_25
; %bb.26:
	s_cmp_gt_i32 s18, 8
	s_mov_b32 s19, 8
	ds_write2st64_b64 v161, v[72:73], v[74:75] offset0:8 offset1:12
	ds_write2st64_b64 v161, v[76:77], v[78:79] offset0:24 offset1:28
	s_waitcnt lgkmcnt(0)
	s_barrier
	s_cbranch_scc0 .LBB166_49
; %bb.27:
	v_mad_i64_i32 v[68:69], s[20:21], v80, s36, 0
	v_mad_i64_i32 v[70:71], s[20:21], v81, s36, 0
	;; [unrolled: 1-line block ×4, first 2 shown]
	s_mov_b32 s20, -1
	v_add_u32_e32 v163, 0x1000, v161
	v_add_u32_e32 v164, 0x3000, v161
	s_add_i32 s33, s18, -8
	s_mov_b32 s36, 0
	v_mov_b32_e32 v77, 0
	s_mov_b32 s21, 0x7fefffff
.LBB166_28:                             ; =>This Loop Header: Depth=1
                                        ;     Child Loop BB166_37 Depth 2
                                        ;     Child Loop BB166_47 Depth 2
	v_or_b32_e32 v76, s19, v160
	v_cmp_le_i32_e32 vcc, s18, v76
	v_lshl_add_u64 v[0:1], v[76:77], 3, s[28:29]
	s_or_b64 s[34:35], s[10:11], vcc
	s_xor_b64 s[38:39], s[34:35], -1
	v_mov_b64_e32 v[86:87], s[20:21]
	v_lshl_add_u64 v[78:79], v[68:69], 3, v[0:1]
	s_and_saveexec_b64 s[34:35], s[38:39]
	s_cbranch_execz .LBB166_30
; %bb.29:                               ;   in Loop: Header=BB166_28 Depth=1
	flat_load_dwordx2 v[86:87], v[78:79]
.LBB166_30:                             ;   in Loop: Header=BB166_28 Depth=1
	s_or_b64 exec, exec, s[34:35]
	s_or_b64 s[34:35], s[4:5], vcc
	s_xor_b64 s[38:39], s[34:35], -1
	v_mov_b64_e32 v[88:89], s[20:21]
	v_lshl_add_u64 v[80:81], v[70:71], 3, v[0:1]
	s_and_saveexec_b64 s[34:35], s[38:39]
	s_cbranch_execz .LBB166_32
; %bb.31:                               ;   in Loop: Header=BB166_28 Depth=1
	flat_load_dwordx2 v[88:89], v[80:81]
.LBB166_32:                             ;   in Loop: Header=BB166_28 Depth=1
	s_or_b64 exec, exec, s[34:35]
	v_lshl_add_u64 v[0:1], v[76:77], 3, s[30:31]
	s_or_b64 s[34:35], s[6:7], vcc
	s_xor_b64 s[38:39], s[34:35], -1
	v_mov_b64_e32 v[90:91], s[20:21]
	v_lshl_add_u64 v[82:83], v[72:73], 3, v[0:1]
	s_and_saveexec_b64 s[34:35], s[38:39]
	s_cbranch_execz .LBB166_34
; %bb.33:                               ;   in Loop: Header=BB166_28 Depth=1
	flat_load_dwordx2 v[90:91], v[82:83]
.LBB166_34:                             ;   in Loop: Header=BB166_28 Depth=1
	s_or_b64 exec, exec, s[34:35]
	s_or_b64 s[34:35], s[8:9], vcc
	s_xor_b64 s[38:39], s[34:35], -1
	v_mov_b64_e32 v[92:93], s[20:21]
	v_lshl_add_u64 v[84:85], v[74:75], 3, v[0:1]
	s_and_saveexec_b64 s[34:35], s[38:39]
	s_cbranch_execz .LBB166_36
; %bb.35:                               ;   in Loop: Header=BB166_28 Depth=1
	flat_load_dwordx2 v[92:93], v[84:85]
.LBB166_36:                             ;   in Loop: Header=BB166_28 Depth=1
	s_or_b64 exec, exec, s[34:35]
	s_mov_b32 s37, 0
	s_mov_b64 s[34:35], -1
.LBB166_37:                             ;   Parent Loop BB166_28 Depth=1
                                        ; =>  This Inner Loop Header: Depth=2
	v_cndmask_b32_e64 v0, 0, 1, s[34:35]
	s_lshl_b32 s34, s37, 3
	v_cmp_ne_u32_e32 vcc, 1, v0
	v_lshl_add_u32 v0, v150, 5, s34
	ds_read_b128 v[12:15], v0 offset:4096
	ds_read_b128 v[8:11], v0 offset:5120
	;; [unrolled: 1-line block ×4, first 2 shown]
	v_lshl_add_u32 v16, v151, 5, s34
	ds_read_b128 v[166:169], v16 offset:12288
	ds_read_b128 v[170:173], v16 offset:12544
	ds_read_b128 v[174:177], v16 offset:12800
	ds_read_b128 v[64:67], v16 offset:13056
	ds_read_b128 v[60:63], v16 offset:13312
	ds_read_b128 v[56:59], v16 offset:13568
	ds_read_b128 v[52:55], v16 offset:13824
	ds_read_b128 v[48:51], v16 offset:14080
	ds_read_b128 v[44:47], v16 offset:14336
	ds_read_b128 v[40:43], v16 offset:14592
	ds_read_b128 v[36:39], v16 offset:14848
	ds_read_b128 v[32:35], v16 offset:15104
	ds_read_b128 v[28:31], v16 offset:15360
	ds_read_b128 v[24:27], v16 offset:15616
	ds_read_b128 v[20:23], v16 offset:15872
	ds_read_b128 v[16:19], v16 offset:16128
	s_waitcnt lgkmcnt(0)
	v_add_f64 v[178:179], v[14:15], v[168:169]
	v_add_f64 v[180:181], v[12:13], v[166:167]
	v_cvt_f32_f64_e32 v165, v[180:181]
	v_cvt_f32_f64_e32 v178, v[178:179]
	v_min3_f32 v159, v165, v178, v159
	v_add_f64 v[178:179], v[10:11], v[168:169]
	v_add_f64 v[180:181], v[8:9], v[166:167]
	v_cvt_f32_f64_e32 v165, v[180:181]
	v_cvt_f32_f64_e32 v178, v[178:179]
	v_min3_f32 v158, v165, v178, v158
	v_add_f64 v[178:179], v[6:7], v[168:169]
	v_add_f64 v[180:181], v[4:5], v[166:167]
	v_cvt_f32_f64_e32 v165, v[180:181]
	v_cvt_f32_f64_e32 v178, v[178:179]
	v_add_f64 v[168:169], v[2:3], v[168:169]
	v_add_f64 v[166:167], v[0:1], v[166:167]
	v_min3_f32 v157, v165, v178, v157
	v_cvt_f32_f64_e32 v165, v[166:167]
	v_cvt_f32_f64_e32 v166, v[168:169]
	v_min3_f32 v156, v165, v166, v156
	v_add_f64 v[166:167], v[14:15], v[172:173]
	v_add_f64 v[168:169], v[12:13], v[170:171]
	v_cvt_f32_f64_e32 v165, v[168:169]
	v_cvt_f32_f64_e32 v166, v[166:167]
	v_min3_f32 v155, v165, v166, v155
	v_add_f64 v[166:167], v[10:11], v[172:173]
	v_add_f64 v[168:169], v[8:9], v[170:171]
	;; [unrolled: 5-line block ×11, first 2 shown]
	v_add_f64 v[66:67], v[2:3], v[66:67]
	v_add_f64 v[64:65], v[0:1], v[64:65]
	v_cvt_f32_f64_e32 v64, v[64:65]
	v_cvt_f32_f64_e32 v65, v[66:67]
	v_min3_f32 v142, v64, v65, v142
	v_add_f64 v[64:65], v[14:15], v[62:63]
	v_add_f64 v[66:67], v[12:13], v[60:61]
	v_cvt_f32_f64_e32 v66, v[66:67]
	v_cvt_f32_f64_e32 v64, v[64:65]
	v_min3_f32 v141, v66, v64, v141
	v_add_f64 v[64:65], v[10:11], v[62:63]
	v_add_f64 v[66:67], v[8:9], v[60:61]
	v_cvt_f32_f64_e32 v66, v[66:67]
	v_cvt_f32_f64_e32 v64, v[64:65]
	v_min3_f32 v140, v66, v64, v140
	v_add_f64 v[64:65], v[6:7], v[62:63]
	v_add_f64 v[66:67], v[4:5], v[60:61]
	v_add_f64 v[62:63], v[2:3], v[62:63]
	v_add_f64 v[60:61], v[0:1], v[60:61]
	v_cvt_f32_f64_e32 v60, v[60:61]
	v_cvt_f32_f64_e32 v61, v[62:63]
	v_min3_f32 v138, v60, v61, v138
	v_add_f64 v[60:61], v[14:15], v[58:59]
	v_add_f64 v[62:63], v[12:13], v[56:57]
	v_cvt_f32_f64_e32 v62, v[62:63]
	v_cvt_f32_f64_e32 v60, v[60:61]
	v_min3_f32 v137, v62, v60, v137
	v_add_f64 v[60:61], v[10:11], v[58:59]
	v_add_f64 v[62:63], v[8:9], v[56:57]
	v_cvt_f32_f64_e32 v62, v[62:63]
	v_cvt_f32_f64_e32 v60, v[60:61]
	v_min3_f32 v136, v62, v60, v136
	v_add_f64 v[60:61], v[6:7], v[58:59]
	v_add_f64 v[62:63], v[4:5], v[56:57]
	;; [unrolled: 17-line block ×11, first 2 shown]
	v_add_f64 v[22:23], v[2:3], v[22:23]
	v_add_f64 v[20:21], v[0:1], v[20:21]
	v_add_f64 v[14:15], v[14:15], v[18:19]
	v_add_f64 v[12:13], v[12:13], v[16:17]
	v_add_f64 v[10:11], v[10:11], v[18:19]
	v_add_f64 v[8:9], v[8:9], v[16:17]
	v_add_f64 v[6:7], v[6:7], v[18:19]
	v_add_f64 v[4:5], v[4:5], v[16:17]
	v_add_f64 v[2:3], v[2:3], v[18:19]
	v_add_f64 v[0:1], v[0:1], v[16:17]
	v_cvt_f32_f64_e32 v165, v[168:169]
	v_cvt_f32_f64_e32 v166, v[166:167]
	;; [unrolled: 1-line block ×34, first 2 shown]
	v_min3_f32 v143, v165, v166, v143
	v_min3_f32 v139, v66, v64, v139
	;; [unrolled: 1-line block ×17, first 2 shown]
	s_mov_b32 s37, 2
	s_mov_b64 s[34:35], 0
	s_cbranch_vccz .LBB166_37
; %bb.38:                               ;   in Loop: Header=BB166_28 Depth=1
	v_or_b32_e32 v0, 4, v76
	v_cmp_le_i32_e32 vcc, s18, v0
	s_or_b64 s[34:35], s[10:11], vcc
	s_waitcnt vmcnt(0)
	ds_write2st64_b64 v161, v[86:87], v[88:89] offset1:4
	ds_write2st64_b64 v162, v[90:91], v[92:93] offset1:4
	s_xor_b64 s[38:39], s[34:35], -1
	v_mov_b64_e32 v[86:87], s[20:21]
	s_waitcnt lgkmcnt(0)
	s_barrier
	s_and_saveexec_b64 s[34:35], s[38:39]
	s_cbranch_execz .LBB166_40
; %bb.39:                               ;   in Loop: Header=BB166_28 Depth=1
	flat_load_dwordx2 v[86:87], v[78:79] offset:32
.LBB166_40:                             ;   in Loop: Header=BB166_28 Depth=1
	s_or_b64 exec, exec, s[34:35]
	s_or_b64 s[34:35], s[4:5], vcc
	s_xor_b64 s[38:39], s[34:35], -1
	v_mov_b64_e32 v[78:79], s[20:21]
	s_and_saveexec_b64 s[34:35], s[38:39]
	s_cbranch_execz .LBB166_42
; %bb.41:                               ;   in Loop: Header=BB166_28 Depth=1
	flat_load_dwordx2 v[78:79], v[80:81] offset:32
.LBB166_42:                             ;   in Loop: Header=BB166_28 Depth=1
	s_or_b64 exec, exec, s[34:35]
	s_or_b64 s[34:35], s[6:7], vcc
	s_xor_b64 s[38:39], s[34:35], -1
	v_mov_b64_e32 v[80:81], s[20:21]
	;; [unrolled: 9-line block ×3, first 2 shown]
	s_and_saveexec_b64 s[34:35], s[38:39]
	s_cbranch_execz .LBB166_46
; %bb.45:                               ;   in Loop: Header=BB166_28 Depth=1
	flat_load_dwordx2 v[82:83], v[84:85] offset:32
.LBB166_46:                             ;   in Loop: Header=BB166_28 Depth=1
	s_or_b64 exec, exec, s[34:35]
	s_mov_b32 s37, 0
	s_mov_b64 s[34:35], -1
.LBB166_47:                             ;   Parent Loop BB166_28 Depth=1
                                        ; =>  This Inner Loop Header: Depth=2
	v_cndmask_b32_e64 v0, 0, 1, s[34:35]
	s_lshl_b32 s34, s37, 3
	v_cmp_ne_u32_e32 vcc, 1, v0
	v_lshl_add_u32 v0, v150, 5, s34
	ds_read_b128 v[12:15], v0
	ds_read_b128 v[8:11], v0 offset:1024
	ds_read_b128 v[4:7], v0 offset:2048
	;; [unrolled: 1-line block ×3, first 2 shown]
	v_lshl_add_u32 v16, v151, 5, s34
	ds_read_b128 v[88:91], v16 offset:8192
	ds_read_b128 v[166:169], v16 offset:8448
	;; [unrolled: 1-line block ×16, first 2 shown]
	s_waitcnt lgkmcnt(0)
	v_add_f64 v[84:85], v[14:15], v[90:91]
	v_add_f64 v[92:93], v[12:13], v[88:89]
	v_cvt_f32_f64_e32 v76, v[92:93]
	v_cvt_f32_f64_e32 v84, v[84:85]
	v_min3_f32 v159, v76, v84, v159
	v_add_f64 v[84:85], v[10:11], v[90:91]
	v_add_f64 v[92:93], v[8:9], v[88:89]
	v_cvt_f32_f64_e32 v76, v[92:93]
	v_cvt_f32_f64_e32 v84, v[84:85]
	v_min3_f32 v158, v76, v84, v158
	;; [unrolled: 5-line block ×14, first 2 shown]
	v_add_f64 v[84:85], v[6:7], v[66:67]
	v_add_f64 v[88:89], v[4:5], v[64:65]
	v_add_f64 v[66:67], v[2:3], v[66:67]
	v_add_f64 v[64:65], v[0:1], v[64:65]
	v_cvt_f32_f64_e32 v64, v[64:65]
	v_cvt_f32_f64_e32 v65, v[66:67]
	v_min3_f32 v142, v64, v65, v142
	v_add_f64 v[64:65], v[14:15], v[62:63]
	v_add_f64 v[66:67], v[12:13], v[60:61]
	v_cvt_f32_f64_e32 v66, v[66:67]
	v_cvt_f32_f64_e32 v64, v[64:65]
	v_min3_f32 v141, v66, v64, v141
	v_add_f64 v[64:65], v[10:11], v[62:63]
	v_add_f64 v[66:67], v[8:9], v[60:61]
	v_cvt_f32_f64_e32 v66, v[66:67]
	v_cvt_f32_f64_e32 v64, v[64:65]
	v_min3_f32 v140, v66, v64, v140
	v_add_f64 v[64:65], v[6:7], v[62:63]
	v_add_f64 v[66:67], v[4:5], v[60:61]
	v_add_f64 v[62:63], v[2:3], v[62:63]
	v_add_f64 v[60:61], v[0:1], v[60:61]
	v_cvt_f32_f64_e32 v60, v[60:61]
	v_cvt_f32_f64_e32 v61, v[62:63]
	v_min3_f32 v138, v60, v61, v138
	v_add_f64 v[60:61], v[14:15], v[58:59]
	v_add_f64 v[62:63], v[12:13], v[56:57]
	v_cvt_f32_f64_e32 v62, v[62:63]
	v_cvt_f32_f64_e32 v60, v[60:61]
	v_min3_f32 v137, v62, v60, v137
	v_add_f64 v[60:61], v[10:11], v[58:59]
	v_add_f64 v[62:63], v[8:9], v[56:57]
	v_cvt_f32_f64_e32 v62, v[62:63]
	v_cvt_f32_f64_e32 v60, v[60:61]
	v_min3_f32 v136, v62, v60, v136
	;; [unrolled: 17-line block ×11, first 2 shown]
	v_add_f64 v[24:25], v[6:7], v[22:23]
	v_add_f64 v[26:27], v[4:5], v[20:21]
	v_add_f64 v[22:23], v[2:3], v[22:23]
	v_add_f64 v[20:21], v[0:1], v[20:21]
	v_add_f64 v[14:15], v[14:15], v[18:19]
	v_add_f64 v[12:13], v[12:13], v[16:17]
	v_add_f64 v[10:11], v[10:11], v[18:19]
	v_add_f64 v[8:9], v[8:9], v[16:17]
	v_add_f64 v[6:7], v[6:7], v[18:19]
	v_add_f64 v[4:5], v[4:5], v[16:17]
	v_add_f64 v[2:3], v[2:3], v[18:19]
	v_add_f64 v[0:1], v[0:1], v[16:17]
	v_cvt_f32_f64_e32 v76, v[88:89]
	v_cvt_f32_f64_e32 v84, v[84:85]
	;; [unrolled: 1-line block ×34, first 2 shown]
	v_min3_f32 v143, v76, v84, v143
	v_min3_f32 v139, v66, v64, v139
	;; [unrolled: 1-line block ×17, first 2 shown]
	s_mov_b32 s37, 2
	s_mov_b64 s[34:35], 0
	s_cbranch_vccz .LBB166_47
; %bb.48:                               ;   in Loop: Header=BB166_28 Depth=1
	s_add_i32 s19, s19, 8
	s_add_i32 s36, s36, 8
	s_cmp_ge_i32 s36, s33
	s_waitcnt vmcnt(0)
	ds_write2st64_b64 v163, v[86:87], v[78:79] offset1:4
	ds_write2st64_b64 v164, v[80:81], v[82:83] offset1:4
	s_waitcnt lgkmcnt(0)
	s_barrier
	s_cbranch_scc0 .LBB166_28
.LBB166_49:
	s_mov_b32 s6, 0
	s_mov_b64 s[4:5], -1
.LBB166_50:                             ; =>This Inner Loop Header: Depth=1
	v_cndmask_b32_e64 v0, 0, 1, s[4:5]
	s_lshl_b32 s4, s6, 3
	v_cmp_ne_u32_e32 vcc, 1, v0
	v_lshl_add_u32 v0, v150, 5, s4
	ds_read_b128 v[12:15], v0 offset:4096
	ds_read_b128 v[8:11], v0 offset:5120
	;; [unrolled: 1-line block ×4, first 2 shown]
	v_lshl_add_u32 v16, v151, 5, s4
	ds_read_b128 v[68:71], v16 offset:12288
	ds_read_b128 v[72:75], v16 offset:12544
	;; [unrolled: 1-line block ×16, first 2 shown]
	s_waitcnt lgkmcnt(14)
	v_add_f64 v[80:81], v[14:15], v[70:71]
	v_add_f64 v[82:83], v[12:13], v[68:69]
	v_cvt_f32_f64_e32 v82, v[82:83]
	v_cvt_f32_f64_e32 v80, v[80:81]
	v_min3_f32 v159, v82, v80, v159
	v_add_f64 v[80:81], v[10:11], v[70:71]
	v_add_f64 v[82:83], v[8:9], v[68:69]
	v_cvt_f32_f64_e32 v82, v[82:83]
	v_cvt_f32_f64_e32 v80, v[80:81]
	v_min3_f32 v158, v82, v80, v158
	v_add_f64 v[80:81], v[6:7], v[70:71]
	v_add_f64 v[82:83], v[4:5], v[68:69]
	;; [unrolled: 1-line block ×4, first 2 shown]
	v_cvt_f32_f64_e32 v68, v[68:69]
	v_cvt_f32_f64_e32 v69, v[70:71]
	v_min3_f32 v156, v68, v69, v156
	v_add_f64 v[68:69], v[14:15], v[74:75]
	v_add_f64 v[70:71], v[12:13], v[72:73]
	v_cvt_f32_f64_e32 v70, v[70:71]
	v_cvt_f32_f64_e32 v68, v[68:69]
	v_min3_f32 v155, v70, v68, v155
	v_add_f64 v[68:69], v[10:11], v[74:75]
	v_add_f64 v[70:71], v[8:9], v[72:73]
	;; [unrolled: 5-line block ×4, first 2 shown]
	v_cvt_f32_f64_e32 v70, v[70:71]
	v_cvt_f32_f64_e32 v68, v[68:69]
	v_min3_f32 v152, v70, v68, v152
	s_waitcnt lgkmcnt(13)
	v_add_f64 v[68:69], v[14:15], v[78:79]
	v_add_f64 v[70:71], v[12:13], v[76:77]
	v_cvt_f32_f64_e32 v70, v[70:71]
	v_cvt_f32_f64_e32 v68, v[68:69]
	v_min3_f32 v149, v70, v68, v149
	v_add_f64 v[68:69], v[10:11], v[78:79]
	v_add_f64 v[70:71], v[8:9], v[76:77]
	v_cvt_f32_f64_e32 v70, v[70:71]
	v_cvt_f32_f64_e32 v68, v[68:69]
	v_min3_f32 v148, v70, v68, v148
	;; [unrolled: 5-line block ×4, first 2 shown]
	s_waitcnt lgkmcnt(12)
	v_add_f64 v[68:69], v[14:15], v[66:67]
	v_add_f64 v[70:71], v[12:13], v[64:65]
	v_cvt_f32_f64_e32 v70, v[70:71]
	v_cvt_f32_f64_e32 v68, v[68:69]
	v_min3_f32 v145, v70, v68, v145
	v_add_f64 v[68:69], v[10:11], v[66:67]
	v_add_f64 v[70:71], v[8:9], v[64:65]
	v_cvt_f32_f64_e32 v70, v[70:71]
	v_cvt_f32_f64_e32 v68, v[68:69]
	v_min3_f32 v144, v70, v68, v144
	v_add_f64 v[68:69], v[6:7], v[66:67]
	v_add_f64 v[70:71], v[4:5], v[64:65]
	v_add_f64 v[66:67], v[2:3], v[66:67]
	v_add_f64 v[64:65], v[0:1], v[64:65]
	v_cvt_f32_f64_e32 v64, v[64:65]
	v_cvt_f32_f64_e32 v65, v[66:67]
	v_min3_f32 v142, v64, v65, v142
	s_waitcnt lgkmcnt(11)
	v_add_f64 v[64:65], v[14:15], v[62:63]
	v_add_f64 v[66:67], v[12:13], v[60:61]
	v_cvt_f32_f64_e32 v66, v[66:67]
	v_cvt_f32_f64_e32 v64, v[64:65]
	v_min3_f32 v141, v66, v64, v141
	v_add_f64 v[64:65], v[10:11], v[62:63]
	v_add_f64 v[66:67], v[8:9], v[60:61]
	v_cvt_f32_f64_e32 v66, v[66:67]
	v_cvt_f32_f64_e32 v64, v[64:65]
	v_min3_f32 v140, v66, v64, v140
	v_add_f64 v[64:65], v[6:7], v[62:63]
	v_add_f64 v[66:67], v[4:5], v[60:61]
	v_add_f64 v[62:63], v[2:3], v[62:63]
	v_add_f64 v[60:61], v[0:1], v[60:61]
	v_cvt_f32_f64_e32 v60, v[60:61]
	v_cvt_f32_f64_e32 v61, v[62:63]
	v_min3_f32 v138, v60, v61, v138
	;; [unrolled: 18-line block ×11, first 2 shown]
	s_waitcnt lgkmcnt(1)
	v_add_f64 v[24:25], v[14:15], v[22:23]
	v_add_f64 v[26:27], v[12:13], v[20:21]
	v_cvt_f32_f64_e32 v26, v[26:27]
	v_cvt_f32_f64_e32 v24, v[24:25]
	v_min3_f32 v101, v26, v24, v101
	v_add_f64 v[24:25], v[10:11], v[22:23]
	v_add_f64 v[26:27], v[8:9], v[20:21]
	v_cvt_f32_f64_e32 v26, v[26:27]
	v_cvt_f32_f64_e32 v24, v[24:25]
	v_min3_f32 v100, v26, v24, v100
	v_add_f64 v[24:25], v[6:7], v[22:23]
	v_add_f64 v[26:27], v[4:5], v[20:21]
	;; [unrolled: 1-line block ×4, first 2 shown]
	s_waitcnt lgkmcnt(0)
	v_add_f64 v[14:15], v[14:15], v[18:19]
	v_add_f64 v[12:13], v[12:13], v[16:17]
	;; [unrolled: 1-line block ×8, first 2 shown]
	v_cvt_f32_f64_e32 v82, v[82:83]
	v_cvt_f32_f64_e32 v80, v[80:81]
	;; [unrolled: 1-line block ×36, first 2 shown]
	v_min3_f32 v157, v82, v80, v157
	v_min3_f32 v143, v70, v68, v143
	;; [unrolled: 1-line block ×18, first 2 shown]
	s_mov_b32 s6, 2
	s_mov_b64 s[4:5], 0
	s_cbranch_vccz .LBB166_50
; %bb.51:
	s_load_dwordx2 s[4:5], s[0:1], 0x78
	s_load_dword s29, s[0:1], 0x58
	s_load_dword s28, s[0:1], 0x70
	v_add_u32_e32 v14, s24, v151
	v_add_u32_e32 v0, s2, v150
	s_waitcnt lgkmcnt(0)
	s_mul_i32 s0, s3, s5
	s_mul_hi_u32 s1, s3, s4
	s_mul_i32 s5, s25, s4
	s_add_i32 s0, s1, s0
	s_add_i32 s1, s0, s5
	s_mul_i32 s0, s3, s4
	s_lshl_b64 s[0:1], s[0:1], 3
	s_add_u32 s18, s22, s0
	s_addc_u32 s19, s23, s1
	v_mad_i64_i32 v[2:3], s[0:1], v14, s29, 0
	v_lshl_add_u64 v[10:11], v[2:3], 3, s[12:13]
	v_mad_i64_i32 v[2:3], s[0:1], v14, s28, 0
	v_cmp_gt_i32_e64 s[2:3], s16, v0
	v_cmp_gt_i32_e64 s[10:11], s17, v14
	v_lshl_add_u64 v[8:9], v[2:3], 3, s[18:19]
	v_cndmask_b32_e64 v2, 0, 1, s[26:27]
	v_ashrrev_i32_e32 v1, 31, v0
	s_and_b64 s[6:7], s[2:3], s[10:11]
	v_cmp_ne_u32_e64 s[0:1], 1, v2
	s_and_saveexec_b64 s[4:5], s[6:7]
	s_cbranch_execz .LBB166_56
; %bb.52:
	s_and_b64 vcc, exec, s[0:1]
	s_cbranch_vccnz .LBB166_54
; %bb.53:
	v_lshl_add_u64 v[2:3], v[0:1], 3, v[10:11]
	flat_load_dwordx2 v[2:3], v[2:3]
	s_waitcnt vmcnt(0) lgkmcnt(0)
	v_mul_f64 v[2:3], v[2:3], s[14:15]
	s_branch .LBB166_55
.LBB166_54:
	v_mov_b64_e32 v[2:3], 0
.LBB166_55:
	v_cvt_f32_f64_e32 v2, v[2:3]
	v_max_f32_e32 v3, v159, v159
	v_min_f32_e32 v2, v2, v3
	v_cvt_f64_f32_e32 v[2:3], v2
	v_lshl_add_u64 v[4:5], v[0:1], 3, v[8:9]
	global_store_dwordx2 v[4:5], v[2:3], off
.LBB166_56:
	s_or_b64 exec, exec, s[4:5]
	v_add_u32_e32 v2, 32, v0
	v_cmp_gt_i32_e64 s[4:5], s16, v2
	v_ashrrev_i32_e32 v3, 31, v2
	s_and_b64 s[8:9], s[4:5], s[10:11]
	s_and_saveexec_b64 s[6:7], s[8:9]
	s_cbranch_execz .LBB166_61
; %bb.57:
	s_and_b64 vcc, exec, s[0:1]
	s_cbranch_vccnz .LBB166_59
; %bb.58:
	v_lshl_add_u64 v[4:5], v[2:3], 3, v[10:11]
	flat_load_dwordx2 v[4:5], v[4:5]
	s_waitcnt vmcnt(0) lgkmcnt(0)
	v_mul_f64 v[4:5], v[4:5], s[14:15]
	s_branch .LBB166_60
.LBB166_59:
	v_mov_b64_e32 v[4:5], 0
.LBB166_60:
	v_cvt_f32_f64_e32 v4, v[4:5]
	v_max_f32_e32 v5, v158, v158
	v_min_f32_e32 v4, v4, v5
	v_cvt_f64_f32_e32 v[4:5], v4
	v_lshl_add_u64 v[6:7], v[2:3], 3, v[8:9]
	global_store_dwordx2 v[6:7], v[4:5], off
.LBB166_61:
	s_or_b64 exec, exec, s[6:7]
	v_add_u32_e32 v4, 64, v0
	v_cmp_gt_i32_e64 s[6:7], s16, v4
	v_ashrrev_i32_e32 v5, 31, v4
	s_and_b64 s[20:21], s[6:7], s[10:11]
	;; [unrolled: 26-line block ×3, first 2 shown]
	s_and_saveexec_b64 s[10:11], s[20:21]
	s_cbranch_execz .LBB166_71
; %bb.67:
	s_and_b64 vcc, exec, s[0:1]
	s_cbranch_vccnz .LBB166_69
; %bb.68:
	v_lshl_add_u64 v[10:11], v[6:7], 3, v[10:11]
	flat_load_dwordx2 v[10:11], v[10:11]
	s_waitcnt vmcnt(0) lgkmcnt(0)
	v_mul_f64 v[10:11], v[10:11], s[14:15]
	s_branch .LBB166_70
.LBB166_69:
	v_mov_b64_e32 v[10:11], 0
.LBB166_70:
	v_cvt_f32_f64_e32 v10, v[10:11]
	v_max_f32_e32 v11, v156, v156
	v_min_f32_e32 v10, v10, v11
	v_cvt_f64_f32_e32 v[10:11], v10
	v_lshl_add_u64 v[8:9], v[6:7], 3, v[8:9]
	global_store_dwordx2 v[8:9], v[10:11], off
.LBB166_71:
	s_or_b64 exec, exec, s[10:11]
	v_add_u32_e32 v12, 8, v14
	v_mad_i64_i32 v[8:9], s[20:21], v12, s29, 0
	v_cmp_gt_i32_e64 s[10:11], s17, v12
	v_lshl_add_u64 v[10:11], v[8:9], 3, s[12:13]
	v_mad_i64_i32 v[8:9], s[20:21], v12, s28, 0
	v_lshl_add_u64 v[8:9], v[8:9], 3, s[18:19]
	s_and_b64 s[22:23], s[2:3], s[10:11]
	s_and_saveexec_b64 s[20:21], s[22:23]
	s_cbranch_execnz .LBB166_75
; %bb.72:
	s_or_b64 exec, exec, s[20:21]
	s_and_b64 s[22:23], s[4:5], s[10:11]
	s_and_saveexec_b64 s[20:21], s[22:23]
	s_cbranch_execnz .LBB166_79
.LBB166_73:
	s_or_b64 exec, exec, s[20:21]
	s_and_b64 s[22:23], s[6:7], s[10:11]
	s_and_saveexec_b64 s[20:21], s[22:23]
	s_cbranch_execnz .LBB166_83
.LBB166_74:
	s_or_b64 exec, exec, s[20:21]
	s_and_b64 s[20:21], s[8:9], s[10:11]
	s_and_saveexec_b64 s[10:11], s[20:21]
	s_cbranch_execnz .LBB166_87
	s_branch .LBB166_91
.LBB166_75:
	s_and_b64 vcc, exec, s[0:1]
	s_cbranch_vccnz .LBB166_77
; %bb.76:
	v_lshl_add_u64 v[12:13], v[0:1], 3, v[10:11]
	flat_load_dwordx2 v[12:13], v[12:13]
	s_waitcnt vmcnt(0) lgkmcnt(0)
	v_mul_f64 v[12:13], v[12:13], s[14:15]
	s_branch .LBB166_78
.LBB166_77:
	v_mov_b64_e32 v[12:13], 0
.LBB166_78:
	v_cvt_f32_f64_e32 v12, v[12:13]
	v_max_f32_e32 v13, v155, v155
	v_min_f32_e32 v12, v12, v13
	v_cvt_f64_f32_e32 v[12:13], v12
	v_lshl_add_u64 v[16:17], v[0:1], 3, v[8:9]
	global_store_dwordx2 v[16:17], v[12:13], off
	s_or_b64 exec, exec, s[20:21]
	s_and_b64 s[22:23], s[4:5], s[10:11]
	s_and_saveexec_b64 s[20:21], s[22:23]
	s_cbranch_execz .LBB166_73
.LBB166_79:
	s_and_b64 vcc, exec, s[0:1]
	s_cbranch_vccnz .LBB166_81
; %bb.80:
	v_lshl_add_u64 v[12:13], v[2:3], 3, v[10:11]
	flat_load_dwordx2 v[12:13], v[12:13]
	s_waitcnt vmcnt(0) lgkmcnt(0)
	v_mul_f64 v[12:13], v[12:13], s[14:15]
	s_branch .LBB166_82
.LBB166_81:
	v_mov_b64_e32 v[12:13], 0
.LBB166_82:
	v_cvt_f32_f64_e32 v12, v[12:13]
	v_max_f32_e32 v13, v154, v154
	v_min_f32_e32 v12, v12, v13
	v_cvt_f64_f32_e32 v[12:13], v12
	v_lshl_add_u64 v[16:17], v[2:3], 3, v[8:9]
	global_store_dwordx2 v[16:17], v[12:13], off
	s_or_b64 exec, exec, s[20:21]
	s_and_b64 s[22:23], s[6:7], s[10:11]
	s_and_saveexec_b64 s[20:21], s[22:23]
	s_cbranch_execz .LBB166_74
.LBB166_83:
	s_and_b64 vcc, exec, s[0:1]
	s_cbranch_vccnz .LBB166_85
; %bb.84:
	v_lshl_add_u64 v[12:13], v[4:5], 3, v[10:11]
	flat_load_dwordx2 v[12:13], v[12:13]
	s_waitcnt vmcnt(0) lgkmcnt(0)
	v_mul_f64 v[12:13], v[12:13], s[14:15]
	s_branch .LBB166_86
.LBB166_85:
	v_mov_b64_e32 v[12:13], 0
.LBB166_86:
	v_cvt_f32_f64_e32 v12, v[12:13]
	v_max_f32_e32 v13, v153, v153
	v_min_f32_e32 v12, v12, v13
	v_cvt_f64_f32_e32 v[12:13], v12
	v_lshl_add_u64 v[16:17], v[4:5], 3, v[8:9]
	global_store_dwordx2 v[16:17], v[12:13], off
	s_or_b64 exec, exec, s[20:21]
	s_and_b64 s[20:21], s[8:9], s[10:11]
	s_and_saveexec_b64 s[10:11], s[20:21]
	s_cbranch_execz .LBB166_91
.LBB166_87:
	s_and_b64 vcc, exec, s[0:1]
	s_cbranch_vccnz .LBB166_89
; %bb.88:
	v_lshl_add_u64 v[10:11], v[6:7], 3, v[10:11]
	flat_load_dwordx2 v[10:11], v[10:11]
	s_waitcnt vmcnt(0) lgkmcnt(0)
	v_mul_f64 v[10:11], v[10:11], s[14:15]
	s_branch .LBB166_90
.LBB166_89:
	v_mov_b64_e32 v[10:11], 0
.LBB166_90:
	v_cvt_f32_f64_e32 v10, v[10:11]
	v_max_f32_e32 v11, v152, v152
	v_min_f32_e32 v10, v10, v11
	v_cvt_f64_f32_e32 v[10:11], v10
	v_lshl_add_u64 v[8:9], v[6:7], 3, v[8:9]
	global_store_dwordx2 v[8:9], v[10:11], off
.LBB166_91:
	s_or_b64 exec, exec, s[10:11]
	v_add_u32_e32 v12, 16, v14
	v_mad_i64_i32 v[8:9], s[20:21], v12, s29, 0
	v_cmp_gt_i32_e64 s[10:11], s17, v12
	v_lshl_add_u64 v[10:11], v[8:9], 3, s[12:13]
	v_mad_i64_i32 v[8:9], s[20:21], v12, s28, 0
	v_lshl_add_u64 v[8:9], v[8:9], 3, s[18:19]
	s_and_b64 s[22:23], s[2:3], s[10:11]
	s_and_saveexec_b64 s[20:21], s[22:23]
	s_cbranch_execnz .LBB166_95
; %bb.92:
	s_or_b64 exec, exec, s[20:21]
	s_and_b64 s[22:23], s[4:5], s[10:11]
	s_and_saveexec_b64 s[20:21], s[22:23]
	s_cbranch_execnz .LBB166_99
.LBB166_93:
	s_or_b64 exec, exec, s[20:21]
	s_and_b64 s[22:23], s[6:7], s[10:11]
	s_and_saveexec_b64 s[20:21], s[22:23]
	s_cbranch_execnz .LBB166_103
.LBB166_94:
	s_or_b64 exec, exec, s[20:21]
	s_and_b64 s[20:21], s[8:9], s[10:11]
	s_and_saveexec_b64 s[10:11], s[20:21]
	s_cbranch_execnz .LBB166_107
	s_branch .LBB166_111
.LBB166_95:
	s_and_b64 vcc, exec, s[0:1]
	s_cbranch_vccnz .LBB166_97
; %bb.96:
	v_lshl_add_u64 v[12:13], v[0:1], 3, v[10:11]
	flat_load_dwordx2 v[12:13], v[12:13]
	s_waitcnt vmcnt(0) lgkmcnt(0)
	v_mul_f64 v[12:13], v[12:13], s[14:15]
	s_branch .LBB166_98
.LBB166_97:
	v_mov_b64_e32 v[12:13], 0
.LBB166_98:
	v_cvt_f32_f64_e32 v12, v[12:13]
	v_max_f32_e32 v13, v149, v149
	v_min_f32_e32 v12, v12, v13
	v_cvt_f64_f32_e32 v[12:13], v12
	v_lshl_add_u64 v[16:17], v[0:1], 3, v[8:9]
	global_store_dwordx2 v[16:17], v[12:13], off
	s_or_b64 exec, exec, s[20:21]
	s_and_b64 s[22:23], s[4:5], s[10:11]
	s_and_saveexec_b64 s[20:21], s[22:23]
	s_cbranch_execz .LBB166_93
.LBB166_99:
	s_and_b64 vcc, exec, s[0:1]
	s_cbranch_vccnz .LBB166_101
; %bb.100:
	v_lshl_add_u64 v[12:13], v[2:3], 3, v[10:11]
	flat_load_dwordx2 v[12:13], v[12:13]
	s_waitcnt vmcnt(0) lgkmcnt(0)
	v_mul_f64 v[12:13], v[12:13], s[14:15]
	s_branch .LBB166_102
.LBB166_101:
	v_mov_b64_e32 v[12:13], 0
.LBB166_102:
	v_cvt_f32_f64_e32 v12, v[12:13]
	v_max_f32_e32 v13, v148, v148
	v_min_f32_e32 v12, v12, v13
	v_cvt_f64_f32_e32 v[12:13], v12
	v_lshl_add_u64 v[16:17], v[2:3], 3, v[8:9]
	global_store_dwordx2 v[16:17], v[12:13], off
	s_or_b64 exec, exec, s[20:21]
	s_and_b64 s[22:23], s[6:7], s[10:11]
	s_and_saveexec_b64 s[20:21], s[22:23]
	s_cbranch_execz .LBB166_94
.LBB166_103:
	s_and_b64 vcc, exec, s[0:1]
	s_cbranch_vccnz .LBB166_105
; %bb.104:
	v_lshl_add_u64 v[12:13], v[4:5], 3, v[10:11]
	flat_load_dwordx2 v[12:13], v[12:13]
	s_waitcnt vmcnt(0) lgkmcnt(0)
	v_mul_f64 v[12:13], v[12:13], s[14:15]
	s_branch .LBB166_106
.LBB166_105:
	v_mov_b64_e32 v[12:13], 0
.LBB166_106:
	v_cvt_f32_f64_e32 v12, v[12:13]
	v_max_f32_e32 v13, v147, v147
	v_min_f32_e32 v12, v12, v13
	v_cvt_f64_f32_e32 v[12:13], v12
	v_lshl_add_u64 v[16:17], v[4:5], 3, v[8:9]
	global_store_dwordx2 v[16:17], v[12:13], off
	s_or_b64 exec, exec, s[20:21]
	s_and_b64 s[20:21], s[8:9], s[10:11]
	s_and_saveexec_b64 s[10:11], s[20:21]
	s_cbranch_execz .LBB166_111
.LBB166_107:
	s_and_b64 vcc, exec, s[0:1]
	s_cbranch_vccnz .LBB166_109
; %bb.108:
	v_lshl_add_u64 v[10:11], v[6:7], 3, v[10:11]
	flat_load_dwordx2 v[10:11], v[10:11]
	s_waitcnt vmcnt(0) lgkmcnt(0)
	v_mul_f64 v[10:11], v[10:11], s[14:15]
	s_branch .LBB166_110
.LBB166_109:
	v_mov_b64_e32 v[10:11], 0
.LBB166_110:
	v_cvt_f32_f64_e32 v10, v[10:11]
	v_max_f32_e32 v11, v146, v146
	v_min_f32_e32 v10, v10, v11
	v_cvt_f64_f32_e32 v[10:11], v10
	v_lshl_add_u64 v[8:9], v[6:7], 3, v[8:9]
	global_store_dwordx2 v[8:9], v[10:11], off
.LBB166_111:
	s_or_b64 exec, exec, s[10:11]
	v_add_u32_e32 v12, 24, v14
	v_mad_i64_i32 v[8:9], s[20:21], v12, s29, 0
	v_cmp_gt_i32_e64 s[10:11], s17, v12
	v_lshl_add_u64 v[10:11], v[8:9], 3, s[12:13]
	v_mad_i64_i32 v[8:9], s[20:21], v12, s28, 0
	v_lshl_add_u64 v[8:9], v[8:9], 3, s[18:19]
	s_and_b64 s[22:23], s[2:3], s[10:11]
	s_and_saveexec_b64 s[20:21], s[22:23]
	s_cbranch_execnz .LBB166_115
; %bb.112:
	s_or_b64 exec, exec, s[20:21]
	s_and_b64 s[22:23], s[4:5], s[10:11]
	s_and_saveexec_b64 s[20:21], s[22:23]
	s_cbranch_execnz .LBB166_119
.LBB166_113:
	s_or_b64 exec, exec, s[20:21]
	s_and_b64 s[22:23], s[6:7], s[10:11]
	s_and_saveexec_b64 s[20:21], s[22:23]
	s_cbranch_execnz .LBB166_123
.LBB166_114:
	s_or_b64 exec, exec, s[20:21]
	s_and_b64 s[20:21], s[8:9], s[10:11]
	s_and_saveexec_b64 s[10:11], s[20:21]
	s_cbranch_execnz .LBB166_127
	s_branch .LBB166_131
.LBB166_115:
	s_and_b64 vcc, exec, s[0:1]
	s_cbranch_vccnz .LBB166_117
; %bb.116:
	v_lshl_add_u64 v[12:13], v[0:1], 3, v[10:11]
	flat_load_dwordx2 v[12:13], v[12:13]
	s_waitcnt vmcnt(0) lgkmcnt(0)
	v_mul_f64 v[12:13], v[12:13], s[14:15]
	s_branch .LBB166_118
.LBB166_117:
	v_mov_b64_e32 v[12:13], 0
.LBB166_118:
	v_cvt_f32_f64_e32 v12, v[12:13]
	v_max_f32_e32 v13, v145, v145
	v_min_f32_e32 v12, v12, v13
	v_cvt_f64_f32_e32 v[12:13], v12
	v_lshl_add_u64 v[16:17], v[0:1], 3, v[8:9]
	global_store_dwordx2 v[16:17], v[12:13], off
	s_or_b64 exec, exec, s[20:21]
	s_and_b64 s[22:23], s[4:5], s[10:11]
	s_and_saveexec_b64 s[20:21], s[22:23]
	s_cbranch_execz .LBB166_113
.LBB166_119:
	s_and_b64 vcc, exec, s[0:1]
	s_cbranch_vccnz .LBB166_121
; %bb.120:
	v_lshl_add_u64 v[12:13], v[2:3], 3, v[10:11]
	flat_load_dwordx2 v[12:13], v[12:13]
	s_waitcnt vmcnt(0) lgkmcnt(0)
	v_mul_f64 v[12:13], v[12:13], s[14:15]
	s_branch .LBB166_122
.LBB166_121:
	v_mov_b64_e32 v[12:13], 0
.LBB166_122:
	v_cvt_f32_f64_e32 v12, v[12:13]
	v_max_f32_e32 v13, v144, v144
	v_min_f32_e32 v12, v12, v13
	v_cvt_f64_f32_e32 v[12:13], v12
	v_lshl_add_u64 v[16:17], v[2:3], 3, v[8:9]
	global_store_dwordx2 v[16:17], v[12:13], off
	s_or_b64 exec, exec, s[20:21]
	s_and_b64 s[22:23], s[6:7], s[10:11]
	s_and_saveexec_b64 s[20:21], s[22:23]
	s_cbranch_execz .LBB166_114
.LBB166_123:
	s_and_b64 vcc, exec, s[0:1]
	s_cbranch_vccnz .LBB166_125
; %bb.124:
	v_lshl_add_u64 v[12:13], v[4:5], 3, v[10:11]
	flat_load_dwordx2 v[12:13], v[12:13]
	s_waitcnt vmcnt(0) lgkmcnt(0)
	v_mul_f64 v[12:13], v[12:13], s[14:15]
	s_branch .LBB166_126
.LBB166_125:
	v_mov_b64_e32 v[12:13], 0
.LBB166_126:
	v_cvt_f32_f64_e32 v12, v[12:13]
	v_max_f32_e32 v13, v143, v143
	v_min_f32_e32 v12, v12, v13
	v_cvt_f64_f32_e32 v[12:13], v12
	v_lshl_add_u64 v[16:17], v[4:5], 3, v[8:9]
	global_store_dwordx2 v[16:17], v[12:13], off
	s_or_b64 exec, exec, s[20:21]
	s_and_b64 s[20:21], s[8:9], s[10:11]
	s_and_saveexec_b64 s[10:11], s[20:21]
	s_cbranch_execz .LBB166_131
.LBB166_127:
	s_and_b64 vcc, exec, s[0:1]
	s_cbranch_vccnz .LBB166_129
; %bb.128:
	v_lshl_add_u64 v[10:11], v[6:7], 3, v[10:11]
	flat_load_dwordx2 v[10:11], v[10:11]
	s_waitcnt vmcnt(0) lgkmcnt(0)
	v_mul_f64 v[10:11], v[10:11], s[14:15]
	s_branch .LBB166_130
.LBB166_129:
	v_mov_b64_e32 v[10:11], 0
.LBB166_130:
	v_cvt_f32_f64_e32 v10, v[10:11]
	v_max_f32_e32 v11, v142, v142
	v_min_f32_e32 v10, v10, v11
	v_cvt_f64_f32_e32 v[10:11], v10
	v_lshl_add_u64 v[8:9], v[6:7], 3, v[8:9]
	global_store_dwordx2 v[8:9], v[10:11], off
.LBB166_131:
	s_or_b64 exec, exec, s[10:11]
	v_add_u32_e32 v12, 32, v14
	v_mad_i64_i32 v[8:9], s[20:21], v12, s29, 0
	v_cmp_gt_i32_e64 s[10:11], s17, v12
	v_lshl_add_u64 v[10:11], v[8:9], 3, s[12:13]
	v_mad_i64_i32 v[8:9], s[20:21], v12, s28, 0
	v_lshl_add_u64 v[8:9], v[8:9], 3, s[18:19]
	s_and_b64 s[22:23], s[2:3], s[10:11]
	s_and_saveexec_b64 s[20:21], s[22:23]
	s_cbranch_execnz .LBB166_135
; %bb.132:
	s_or_b64 exec, exec, s[20:21]
	s_and_b64 s[22:23], s[4:5], s[10:11]
	s_and_saveexec_b64 s[20:21], s[22:23]
	s_cbranch_execnz .LBB166_139
.LBB166_133:
	s_or_b64 exec, exec, s[20:21]
	s_and_b64 s[22:23], s[6:7], s[10:11]
	s_and_saveexec_b64 s[20:21], s[22:23]
	s_cbranch_execnz .LBB166_143
.LBB166_134:
	s_or_b64 exec, exec, s[20:21]
	s_and_b64 s[20:21], s[8:9], s[10:11]
	s_and_saveexec_b64 s[10:11], s[20:21]
	s_cbranch_execnz .LBB166_147
	s_branch .LBB166_151
.LBB166_135:
	s_and_b64 vcc, exec, s[0:1]
	s_cbranch_vccnz .LBB166_137
; %bb.136:
	v_lshl_add_u64 v[12:13], v[0:1], 3, v[10:11]
	flat_load_dwordx2 v[12:13], v[12:13]
	s_waitcnt vmcnt(0) lgkmcnt(0)
	v_mul_f64 v[12:13], v[12:13], s[14:15]
	s_branch .LBB166_138
.LBB166_137:
	v_mov_b64_e32 v[12:13], 0
.LBB166_138:
	v_cvt_f32_f64_e32 v12, v[12:13]
	v_max_f32_e32 v13, v141, v141
	v_min_f32_e32 v12, v12, v13
	v_cvt_f64_f32_e32 v[12:13], v12
	v_lshl_add_u64 v[16:17], v[0:1], 3, v[8:9]
	global_store_dwordx2 v[16:17], v[12:13], off
	s_or_b64 exec, exec, s[20:21]
	s_and_b64 s[22:23], s[4:5], s[10:11]
	s_and_saveexec_b64 s[20:21], s[22:23]
	s_cbranch_execz .LBB166_133
.LBB166_139:
	s_and_b64 vcc, exec, s[0:1]
	s_cbranch_vccnz .LBB166_141
; %bb.140:
	v_lshl_add_u64 v[12:13], v[2:3], 3, v[10:11]
	flat_load_dwordx2 v[12:13], v[12:13]
	s_waitcnt vmcnt(0) lgkmcnt(0)
	v_mul_f64 v[12:13], v[12:13], s[14:15]
	s_branch .LBB166_142
.LBB166_141:
	v_mov_b64_e32 v[12:13], 0
.LBB166_142:
	v_cvt_f32_f64_e32 v12, v[12:13]
	v_max_f32_e32 v13, v140, v140
	v_min_f32_e32 v12, v12, v13
	v_cvt_f64_f32_e32 v[12:13], v12
	v_lshl_add_u64 v[16:17], v[2:3], 3, v[8:9]
	global_store_dwordx2 v[16:17], v[12:13], off
	s_or_b64 exec, exec, s[20:21]
	s_and_b64 s[22:23], s[6:7], s[10:11]
	s_and_saveexec_b64 s[20:21], s[22:23]
	s_cbranch_execz .LBB166_134
.LBB166_143:
	s_and_b64 vcc, exec, s[0:1]
	s_cbranch_vccnz .LBB166_145
; %bb.144:
	v_lshl_add_u64 v[12:13], v[4:5], 3, v[10:11]
	flat_load_dwordx2 v[12:13], v[12:13]
	s_waitcnt vmcnt(0) lgkmcnt(0)
	v_mul_f64 v[12:13], v[12:13], s[14:15]
	s_branch .LBB166_146
.LBB166_145:
	v_mov_b64_e32 v[12:13], 0
.LBB166_146:
	v_cvt_f32_f64_e32 v12, v[12:13]
	v_max_f32_e32 v13, v139, v139
	v_min_f32_e32 v12, v12, v13
	v_cvt_f64_f32_e32 v[12:13], v12
	v_lshl_add_u64 v[16:17], v[4:5], 3, v[8:9]
	global_store_dwordx2 v[16:17], v[12:13], off
	s_or_b64 exec, exec, s[20:21]
	s_and_b64 s[20:21], s[8:9], s[10:11]
	s_and_saveexec_b64 s[10:11], s[20:21]
	s_cbranch_execz .LBB166_151
.LBB166_147:
	s_and_b64 vcc, exec, s[0:1]
	s_cbranch_vccnz .LBB166_149
; %bb.148:
	v_lshl_add_u64 v[10:11], v[6:7], 3, v[10:11]
	flat_load_dwordx2 v[10:11], v[10:11]
	s_waitcnt vmcnt(0) lgkmcnt(0)
	v_mul_f64 v[10:11], v[10:11], s[14:15]
	s_branch .LBB166_150
.LBB166_149:
	v_mov_b64_e32 v[10:11], 0
.LBB166_150:
	v_cvt_f32_f64_e32 v10, v[10:11]
	v_max_f32_e32 v11, v138, v138
	v_min_f32_e32 v10, v10, v11
	v_cvt_f64_f32_e32 v[10:11], v10
	v_lshl_add_u64 v[8:9], v[6:7], 3, v[8:9]
	global_store_dwordx2 v[8:9], v[10:11], off
.LBB166_151:
	s_or_b64 exec, exec, s[10:11]
	v_add_u32_e32 v12, 40, v14
	v_mad_i64_i32 v[8:9], s[20:21], v12, s29, 0
	v_cmp_gt_i32_e64 s[10:11], s17, v12
	v_lshl_add_u64 v[10:11], v[8:9], 3, s[12:13]
	v_mad_i64_i32 v[8:9], s[20:21], v12, s28, 0
	v_lshl_add_u64 v[8:9], v[8:9], 3, s[18:19]
	s_and_b64 s[22:23], s[2:3], s[10:11]
	s_and_saveexec_b64 s[20:21], s[22:23]
	s_cbranch_execnz .LBB166_155
; %bb.152:
	s_or_b64 exec, exec, s[20:21]
	s_and_b64 s[22:23], s[4:5], s[10:11]
	s_and_saveexec_b64 s[20:21], s[22:23]
	s_cbranch_execnz .LBB166_159
.LBB166_153:
	s_or_b64 exec, exec, s[20:21]
	s_and_b64 s[22:23], s[6:7], s[10:11]
	s_and_saveexec_b64 s[20:21], s[22:23]
	s_cbranch_execnz .LBB166_163
.LBB166_154:
	s_or_b64 exec, exec, s[20:21]
	s_and_b64 s[20:21], s[8:9], s[10:11]
	s_and_saveexec_b64 s[10:11], s[20:21]
	s_cbranch_execnz .LBB166_167
	s_branch .LBB166_171
.LBB166_155:
	s_and_b64 vcc, exec, s[0:1]
	s_cbranch_vccnz .LBB166_157
; %bb.156:
	v_lshl_add_u64 v[12:13], v[0:1], 3, v[10:11]
	flat_load_dwordx2 v[12:13], v[12:13]
	s_waitcnt vmcnt(0) lgkmcnt(0)
	v_mul_f64 v[12:13], v[12:13], s[14:15]
	s_branch .LBB166_158
.LBB166_157:
	v_mov_b64_e32 v[12:13], 0
.LBB166_158:
	v_cvt_f32_f64_e32 v12, v[12:13]
	v_max_f32_e32 v13, v137, v137
	v_min_f32_e32 v12, v12, v13
	v_cvt_f64_f32_e32 v[12:13], v12
	v_lshl_add_u64 v[16:17], v[0:1], 3, v[8:9]
	global_store_dwordx2 v[16:17], v[12:13], off
	s_or_b64 exec, exec, s[20:21]
	s_and_b64 s[22:23], s[4:5], s[10:11]
	s_and_saveexec_b64 s[20:21], s[22:23]
	s_cbranch_execz .LBB166_153
.LBB166_159:
	s_and_b64 vcc, exec, s[0:1]
	s_cbranch_vccnz .LBB166_161
; %bb.160:
	v_lshl_add_u64 v[12:13], v[2:3], 3, v[10:11]
	flat_load_dwordx2 v[12:13], v[12:13]
	s_waitcnt vmcnt(0) lgkmcnt(0)
	v_mul_f64 v[12:13], v[12:13], s[14:15]
	s_branch .LBB166_162
.LBB166_161:
	v_mov_b64_e32 v[12:13], 0
.LBB166_162:
	v_cvt_f32_f64_e32 v12, v[12:13]
	v_max_f32_e32 v13, v136, v136
	v_min_f32_e32 v12, v12, v13
	v_cvt_f64_f32_e32 v[12:13], v12
	v_lshl_add_u64 v[16:17], v[2:3], 3, v[8:9]
	global_store_dwordx2 v[16:17], v[12:13], off
	s_or_b64 exec, exec, s[20:21]
	s_and_b64 s[22:23], s[6:7], s[10:11]
	s_and_saveexec_b64 s[20:21], s[22:23]
	s_cbranch_execz .LBB166_154
.LBB166_163:
	s_and_b64 vcc, exec, s[0:1]
	s_cbranch_vccnz .LBB166_165
; %bb.164:
	v_lshl_add_u64 v[12:13], v[4:5], 3, v[10:11]
	flat_load_dwordx2 v[12:13], v[12:13]
	s_waitcnt vmcnt(0) lgkmcnt(0)
	v_mul_f64 v[12:13], v[12:13], s[14:15]
	s_branch .LBB166_166
.LBB166_165:
	v_mov_b64_e32 v[12:13], 0
.LBB166_166:
	v_cvt_f32_f64_e32 v12, v[12:13]
	v_max_f32_e32 v13, v135, v135
	v_min_f32_e32 v12, v12, v13
	v_cvt_f64_f32_e32 v[12:13], v12
	v_lshl_add_u64 v[16:17], v[4:5], 3, v[8:9]
	global_store_dwordx2 v[16:17], v[12:13], off
	s_or_b64 exec, exec, s[20:21]
	s_and_b64 s[20:21], s[8:9], s[10:11]
	s_and_saveexec_b64 s[10:11], s[20:21]
	s_cbranch_execz .LBB166_171
.LBB166_167:
	s_and_b64 vcc, exec, s[0:1]
	s_cbranch_vccnz .LBB166_169
; %bb.168:
	v_lshl_add_u64 v[10:11], v[6:7], 3, v[10:11]
	flat_load_dwordx2 v[10:11], v[10:11]
	s_waitcnt vmcnt(0) lgkmcnt(0)
	v_mul_f64 v[10:11], v[10:11], s[14:15]
	s_branch .LBB166_170
.LBB166_169:
	v_mov_b64_e32 v[10:11], 0
.LBB166_170:
	v_cvt_f32_f64_e32 v10, v[10:11]
	v_max_f32_e32 v11, v134, v134
	v_min_f32_e32 v10, v10, v11
	v_cvt_f64_f32_e32 v[10:11], v10
	v_lshl_add_u64 v[8:9], v[6:7], 3, v[8:9]
	global_store_dwordx2 v[8:9], v[10:11], off
.LBB166_171:
	s_or_b64 exec, exec, s[10:11]
	v_add_u32_e32 v12, 48, v14
	v_mad_i64_i32 v[8:9], s[20:21], v12, s29, 0
	v_cmp_gt_i32_e64 s[10:11], s17, v12
	v_lshl_add_u64 v[10:11], v[8:9], 3, s[12:13]
	v_mad_i64_i32 v[8:9], s[20:21], v12, s28, 0
	v_lshl_add_u64 v[8:9], v[8:9], 3, s[18:19]
	s_and_b64 s[22:23], s[2:3], s[10:11]
	s_and_saveexec_b64 s[20:21], s[22:23]
	s_cbranch_execnz .LBB166_175
; %bb.172:
	s_or_b64 exec, exec, s[20:21]
	s_and_b64 s[22:23], s[4:5], s[10:11]
	s_and_saveexec_b64 s[20:21], s[22:23]
	s_cbranch_execnz .LBB166_179
.LBB166_173:
	s_or_b64 exec, exec, s[20:21]
	s_and_b64 s[22:23], s[6:7], s[10:11]
	s_and_saveexec_b64 s[20:21], s[22:23]
	s_cbranch_execnz .LBB166_183
.LBB166_174:
	s_or_b64 exec, exec, s[20:21]
	s_and_b64 s[20:21], s[8:9], s[10:11]
	s_and_saveexec_b64 s[10:11], s[20:21]
	s_cbranch_execnz .LBB166_187
	s_branch .LBB166_191
.LBB166_175:
	s_and_b64 vcc, exec, s[0:1]
	s_cbranch_vccnz .LBB166_177
; %bb.176:
	v_lshl_add_u64 v[12:13], v[0:1], 3, v[10:11]
	flat_load_dwordx2 v[12:13], v[12:13]
	s_waitcnt vmcnt(0) lgkmcnt(0)
	v_mul_f64 v[12:13], v[12:13], s[14:15]
	s_branch .LBB166_178
.LBB166_177:
	v_mov_b64_e32 v[12:13], 0
.LBB166_178:
	v_cvt_f32_f64_e32 v12, v[12:13]
	v_max_f32_e32 v13, v133, v133
	v_min_f32_e32 v12, v12, v13
	v_cvt_f64_f32_e32 v[12:13], v12
	v_lshl_add_u64 v[16:17], v[0:1], 3, v[8:9]
	global_store_dwordx2 v[16:17], v[12:13], off
	s_or_b64 exec, exec, s[20:21]
	s_and_b64 s[22:23], s[4:5], s[10:11]
	s_and_saveexec_b64 s[20:21], s[22:23]
	s_cbranch_execz .LBB166_173
.LBB166_179:
	s_and_b64 vcc, exec, s[0:1]
	s_cbranch_vccnz .LBB166_181
; %bb.180:
	v_lshl_add_u64 v[12:13], v[2:3], 3, v[10:11]
	flat_load_dwordx2 v[12:13], v[12:13]
	s_waitcnt vmcnt(0) lgkmcnt(0)
	v_mul_f64 v[12:13], v[12:13], s[14:15]
	s_branch .LBB166_182
.LBB166_181:
	v_mov_b64_e32 v[12:13], 0
.LBB166_182:
	v_cvt_f32_f64_e32 v12, v[12:13]
	v_max_f32_e32 v13, v132, v132
	v_min_f32_e32 v12, v12, v13
	v_cvt_f64_f32_e32 v[12:13], v12
	v_lshl_add_u64 v[16:17], v[2:3], 3, v[8:9]
	global_store_dwordx2 v[16:17], v[12:13], off
	s_or_b64 exec, exec, s[20:21]
	s_and_b64 s[22:23], s[6:7], s[10:11]
	s_and_saveexec_b64 s[20:21], s[22:23]
	s_cbranch_execz .LBB166_174
.LBB166_183:
	s_and_b64 vcc, exec, s[0:1]
	s_cbranch_vccnz .LBB166_185
; %bb.184:
	v_lshl_add_u64 v[12:13], v[4:5], 3, v[10:11]
	flat_load_dwordx2 v[12:13], v[12:13]
	s_waitcnt vmcnt(0) lgkmcnt(0)
	v_mul_f64 v[12:13], v[12:13], s[14:15]
	s_branch .LBB166_186
.LBB166_185:
	v_mov_b64_e32 v[12:13], 0
.LBB166_186:
	v_cvt_f32_f64_e32 v12, v[12:13]
	v_max_f32_e32 v13, v131, v131
	v_min_f32_e32 v12, v12, v13
	v_cvt_f64_f32_e32 v[12:13], v12
	v_lshl_add_u64 v[16:17], v[4:5], 3, v[8:9]
	global_store_dwordx2 v[16:17], v[12:13], off
	s_or_b64 exec, exec, s[20:21]
	s_and_b64 s[20:21], s[8:9], s[10:11]
	s_and_saveexec_b64 s[10:11], s[20:21]
	s_cbranch_execz .LBB166_191
.LBB166_187:
	s_and_b64 vcc, exec, s[0:1]
	s_cbranch_vccnz .LBB166_189
; %bb.188:
	v_lshl_add_u64 v[10:11], v[6:7], 3, v[10:11]
	flat_load_dwordx2 v[10:11], v[10:11]
	s_waitcnt vmcnt(0) lgkmcnt(0)
	v_mul_f64 v[10:11], v[10:11], s[14:15]
	s_branch .LBB166_190
.LBB166_189:
	v_mov_b64_e32 v[10:11], 0
.LBB166_190:
	v_cvt_f32_f64_e32 v10, v[10:11]
	v_max_f32_e32 v11, v130, v130
	v_min_f32_e32 v10, v10, v11
	v_cvt_f64_f32_e32 v[10:11], v10
	v_lshl_add_u64 v[8:9], v[6:7], 3, v[8:9]
	global_store_dwordx2 v[8:9], v[10:11], off
.LBB166_191:
	s_or_b64 exec, exec, s[10:11]
	v_add_u32_e32 v12, 56, v14
	v_mad_i64_i32 v[8:9], s[20:21], v12, s29, 0
	v_cmp_gt_i32_e64 s[10:11], s17, v12
	v_lshl_add_u64 v[10:11], v[8:9], 3, s[12:13]
	v_mad_i64_i32 v[8:9], s[20:21], v12, s28, 0
	v_lshl_add_u64 v[8:9], v[8:9], 3, s[18:19]
	s_and_b64 s[22:23], s[2:3], s[10:11]
	s_and_saveexec_b64 s[20:21], s[22:23]
	s_cbranch_execnz .LBB166_195
; %bb.192:
	s_or_b64 exec, exec, s[20:21]
	s_and_b64 s[22:23], s[4:5], s[10:11]
	s_and_saveexec_b64 s[20:21], s[22:23]
	s_cbranch_execnz .LBB166_199
.LBB166_193:
	s_or_b64 exec, exec, s[20:21]
	s_and_b64 s[22:23], s[6:7], s[10:11]
	s_and_saveexec_b64 s[20:21], s[22:23]
	s_cbranch_execnz .LBB166_203
.LBB166_194:
	s_or_b64 exec, exec, s[20:21]
	s_and_b64 s[20:21], s[8:9], s[10:11]
	s_and_saveexec_b64 s[10:11], s[20:21]
	s_cbranch_execnz .LBB166_207
	s_branch .LBB166_211
.LBB166_195:
	s_and_b64 vcc, exec, s[0:1]
	s_cbranch_vccnz .LBB166_197
; %bb.196:
	v_lshl_add_u64 v[12:13], v[0:1], 3, v[10:11]
	flat_load_dwordx2 v[12:13], v[12:13]
	s_waitcnt vmcnt(0) lgkmcnt(0)
	v_mul_f64 v[12:13], v[12:13], s[14:15]
	s_branch .LBB166_198
.LBB166_197:
	v_mov_b64_e32 v[12:13], 0
.LBB166_198:
	v_cvt_f32_f64_e32 v12, v[12:13]
	v_max_f32_e32 v13, v129, v129
	v_min_f32_e32 v12, v12, v13
	v_cvt_f64_f32_e32 v[12:13], v12
	v_lshl_add_u64 v[16:17], v[0:1], 3, v[8:9]
	global_store_dwordx2 v[16:17], v[12:13], off
	s_or_b64 exec, exec, s[20:21]
	s_and_b64 s[22:23], s[4:5], s[10:11]
	s_and_saveexec_b64 s[20:21], s[22:23]
	s_cbranch_execz .LBB166_193
.LBB166_199:
	s_and_b64 vcc, exec, s[0:1]
	s_cbranch_vccnz .LBB166_201
; %bb.200:
	v_lshl_add_u64 v[12:13], v[2:3], 3, v[10:11]
	flat_load_dwordx2 v[12:13], v[12:13]
	s_waitcnt vmcnt(0) lgkmcnt(0)
	v_mul_f64 v[12:13], v[12:13], s[14:15]
	s_branch .LBB166_202
.LBB166_201:
	v_mov_b64_e32 v[12:13], 0
.LBB166_202:
	v_cvt_f32_f64_e32 v12, v[12:13]
	v_max_f32_e32 v13, v128, v128
	v_min_f32_e32 v12, v12, v13
	v_cvt_f64_f32_e32 v[12:13], v12
	v_lshl_add_u64 v[16:17], v[2:3], 3, v[8:9]
	global_store_dwordx2 v[16:17], v[12:13], off
	s_or_b64 exec, exec, s[20:21]
	s_and_b64 s[22:23], s[6:7], s[10:11]
	s_and_saveexec_b64 s[20:21], s[22:23]
	s_cbranch_execz .LBB166_194
.LBB166_203:
	s_and_b64 vcc, exec, s[0:1]
	s_cbranch_vccnz .LBB166_205
; %bb.204:
	v_lshl_add_u64 v[12:13], v[4:5], 3, v[10:11]
	flat_load_dwordx2 v[12:13], v[12:13]
	s_waitcnt vmcnt(0) lgkmcnt(0)
	v_mul_f64 v[12:13], v[12:13], s[14:15]
	s_branch .LBB166_206
.LBB166_205:
	v_mov_b64_e32 v[12:13], 0
.LBB166_206:
	v_cvt_f32_f64_e32 v12, v[12:13]
	v_max_f32_e32 v13, v127, v127
	v_min_f32_e32 v12, v12, v13
	v_cvt_f64_f32_e32 v[12:13], v12
	v_lshl_add_u64 v[16:17], v[4:5], 3, v[8:9]
	global_store_dwordx2 v[16:17], v[12:13], off
	s_or_b64 exec, exec, s[20:21]
	s_and_b64 s[20:21], s[8:9], s[10:11]
	s_and_saveexec_b64 s[10:11], s[20:21]
	s_cbranch_execz .LBB166_211
.LBB166_207:
	s_and_b64 vcc, exec, s[0:1]
	s_cbranch_vccnz .LBB166_209
; %bb.208:
	v_lshl_add_u64 v[10:11], v[6:7], 3, v[10:11]
	flat_load_dwordx2 v[10:11], v[10:11]
	s_waitcnt vmcnt(0) lgkmcnt(0)
	v_mul_f64 v[10:11], v[10:11], s[14:15]
	s_branch .LBB166_210
.LBB166_209:
	v_mov_b64_e32 v[10:11], 0
.LBB166_210:
	v_cvt_f32_f64_e32 v10, v[10:11]
	v_max_f32_e32 v11, v126, v126
	v_min_f32_e32 v10, v10, v11
	v_cvt_f64_f32_e32 v[10:11], v10
	v_lshl_add_u64 v[8:9], v[6:7], 3, v[8:9]
	global_store_dwordx2 v[8:9], v[10:11], off
.LBB166_211:
	s_or_b64 exec, exec, s[10:11]
	v_add_u32_e32 v12, 64, v14
	v_mad_i64_i32 v[8:9], s[20:21], v12, s29, 0
	v_cmp_gt_i32_e64 s[10:11], s17, v12
	v_lshl_add_u64 v[10:11], v[8:9], 3, s[12:13]
	v_mad_i64_i32 v[8:9], s[20:21], v12, s28, 0
	v_lshl_add_u64 v[8:9], v[8:9], 3, s[18:19]
	s_and_b64 s[22:23], s[2:3], s[10:11]
	s_and_saveexec_b64 s[20:21], s[22:23]
	s_cbranch_execnz .LBB166_215
; %bb.212:
	s_or_b64 exec, exec, s[20:21]
	s_and_b64 s[22:23], s[4:5], s[10:11]
	s_and_saveexec_b64 s[20:21], s[22:23]
	s_cbranch_execnz .LBB166_219
.LBB166_213:
	s_or_b64 exec, exec, s[20:21]
	s_and_b64 s[22:23], s[6:7], s[10:11]
	s_and_saveexec_b64 s[20:21], s[22:23]
	s_cbranch_execnz .LBB166_223
.LBB166_214:
	s_or_b64 exec, exec, s[20:21]
	s_and_b64 s[20:21], s[8:9], s[10:11]
	s_and_saveexec_b64 s[10:11], s[20:21]
	s_cbranch_execnz .LBB166_227
	s_branch .LBB166_231
.LBB166_215:
	s_and_b64 vcc, exec, s[0:1]
	s_cbranch_vccnz .LBB166_217
; %bb.216:
	v_lshl_add_u64 v[12:13], v[0:1], 3, v[10:11]
	flat_load_dwordx2 v[12:13], v[12:13]
	s_waitcnt vmcnt(0) lgkmcnt(0)
	v_mul_f64 v[12:13], v[12:13], s[14:15]
	s_branch .LBB166_218
.LBB166_217:
	v_mov_b64_e32 v[12:13], 0
.LBB166_218:
	v_cvt_f32_f64_e32 v12, v[12:13]
	v_max_f32_e32 v13, v125, v125
	v_min_f32_e32 v12, v12, v13
	v_cvt_f64_f32_e32 v[12:13], v12
	v_lshl_add_u64 v[16:17], v[0:1], 3, v[8:9]
	global_store_dwordx2 v[16:17], v[12:13], off
	s_or_b64 exec, exec, s[20:21]
	s_and_b64 s[22:23], s[4:5], s[10:11]
	s_and_saveexec_b64 s[20:21], s[22:23]
	s_cbranch_execz .LBB166_213
.LBB166_219:
	s_and_b64 vcc, exec, s[0:1]
	s_cbranch_vccnz .LBB166_221
; %bb.220:
	v_lshl_add_u64 v[12:13], v[2:3], 3, v[10:11]
	flat_load_dwordx2 v[12:13], v[12:13]
	s_waitcnt vmcnt(0) lgkmcnt(0)
	v_mul_f64 v[12:13], v[12:13], s[14:15]
	s_branch .LBB166_222
.LBB166_221:
	v_mov_b64_e32 v[12:13], 0
.LBB166_222:
	v_cvt_f32_f64_e32 v12, v[12:13]
	v_max_f32_e32 v13, v124, v124
	v_min_f32_e32 v12, v12, v13
	v_cvt_f64_f32_e32 v[12:13], v12
	v_lshl_add_u64 v[16:17], v[2:3], 3, v[8:9]
	global_store_dwordx2 v[16:17], v[12:13], off
	s_or_b64 exec, exec, s[20:21]
	s_and_b64 s[22:23], s[6:7], s[10:11]
	s_and_saveexec_b64 s[20:21], s[22:23]
	s_cbranch_execz .LBB166_214
.LBB166_223:
	s_and_b64 vcc, exec, s[0:1]
	s_cbranch_vccnz .LBB166_225
; %bb.224:
	v_lshl_add_u64 v[12:13], v[4:5], 3, v[10:11]
	flat_load_dwordx2 v[12:13], v[12:13]
	s_waitcnt vmcnt(0) lgkmcnt(0)
	v_mul_f64 v[12:13], v[12:13], s[14:15]
	s_branch .LBB166_226
.LBB166_225:
	v_mov_b64_e32 v[12:13], 0
.LBB166_226:
	v_cvt_f32_f64_e32 v12, v[12:13]
	v_max_f32_e32 v13, v123, v123
	v_min_f32_e32 v12, v12, v13
	v_cvt_f64_f32_e32 v[12:13], v12
	v_lshl_add_u64 v[16:17], v[4:5], 3, v[8:9]
	global_store_dwordx2 v[16:17], v[12:13], off
	s_or_b64 exec, exec, s[20:21]
	s_and_b64 s[20:21], s[8:9], s[10:11]
	s_and_saveexec_b64 s[10:11], s[20:21]
	s_cbranch_execz .LBB166_231
.LBB166_227:
	s_and_b64 vcc, exec, s[0:1]
	s_cbranch_vccnz .LBB166_229
; %bb.228:
	v_lshl_add_u64 v[10:11], v[6:7], 3, v[10:11]
	flat_load_dwordx2 v[10:11], v[10:11]
	s_waitcnt vmcnt(0) lgkmcnt(0)
	v_mul_f64 v[10:11], v[10:11], s[14:15]
	s_branch .LBB166_230
.LBB166_229:
	v_mov_b64_e32 v[10:11], 0
.LBB166_230:
	v_cvt_f32_f64_e32 v10, v[10:11]
	v_max_f32_e32 v11, v122, v122
	v_min_f32_e32 v10, v10, v11
	v_cvt_f64_f32_e32 v[10:11], v10
	v_lshl_add_u64 v[8:9], v[6:7], 3, v[8:9]
	global_store_dwordx2 v[8:9], v[10:11], off
.LBB166_231:
	s_or_b64 exec, exec, s[10:11]
	v_add_u32_e32 v12, 0x48, v14
	v_mad_i64_i32 v[8:9], s[20:21], v12, s29, 0
	v_cmp_gt_i32_e64 s[10:11], s17, v12
	v_lshl_add_u64 v[10:11], v[8:9], 3, s[12:13]
	v_mad_i64_i32 v[8:9], s[20:21], v12, s28, 0
	v_lshl_add_u64 v[8:9], v[8:9], 3, s[18:19]
	s_and_b64 s[22:23], s[2:3], s[10:11]
	s_and_saveexec_b64 s[20:21], s[22:23]
	s_cbranch_execnz .LBB166_235
; %bb.232:
	s_or_b64 exec, exec, s[20:21]
	s_and_b64 s[22:23], s[4:5], s[10:11]
	s_and_saveexec_b64 s[20:21], s[22:23]
	s_cbranch_execnz .LBB166_239
.LBB166_233:
	s_or_b64 exec, exec, s[20:21]
	s_and_b64 s[22:23], s[6:7], s[10:11]
	s_and_saveexec_b64 s[20:21], s[22:23]
	s_cbranch_execnz .LBB166_243
.LBB166_234:
	s_or_b64 exec, exec, s[20:21]
	s_and_b64 s[20:21], s[8:9], s[10:11]
	s_and_saveexec_b64 s[10:11], s[20:21]
	s_cbranch_execnz .LBB166_247
	s_branch .LBB166_251
.LBB166_235:
	s_and_b64 vcc, exec, s[0:1]
	s_cbranch_vccnz .LBB166_237
; %bb.236:
	v_lshl_add_u64 v[12:13], v[0:1], 3, v[10:11]
	flat_load_dwordx2 v[12:13], v[12:13]
	s_waitcnt vmcnt(0) lgkmcnt(0)
	v_mul_f64 v[12:13], v[12:13], s[14:15]
	s_branch .LBB166_238
.LBB166_237:
	v_mov_b64_e32 v[12:13], 0
.LBB166_238:
	v_cvt_f32_f64_e32 v12, v[12:13]
	v_max_f32_e32 v13, v121, v121
	v_min_f32_e32 v12, v12, v13
	v_cvt_f64_f32_e32 v[12:13], v12
	v_lshl_add_u64 v[16:17], v[0:1], 3, v[8:9]
	global_store_dwordx2 v[16:17], v[12:13], off
	s_or_b64 exec, exec, s[20:21]
	s_and_b64 s[22:23], s[4:5], s[10:11]
	s_and_saveexec_b64 s[20:21], s[22:23]
	s_cbranch_execz .LBB166_233
.LBB166_239:
	s_and_b64 vcc, exec, s[0:1]
	s_cbranch_vccnz .LBB166_241
; %bb.240:
	v_lshl_add_u64 v[12:13], v[2:3], 3, v[10:11]
	flat_load_dwordx2 v[12:13], v[12:13]
	s_waitcnt vmcnt(0) lgkmcnt(0)
	v_mul_f64 v[12:13], v[12:13], s[14:15]
	s_branch .LBB166_242
.LBB166_241:
	v_mov_b64_e32 v[12:13], 0
.LBB166_242:
	v_cvt_f32_f64_e32 v12, v[12:13]
	v_max_f32_e32 v13, v120, v120
	v_min_f32_e32 v12, v12, v13
	v_cvt_f64_f32_e32 v[12:13], v12
	v_lshl_add_u64 v[16:17], v[2:3], 3, v[8:9]
	global_store_dwordx2 v[16:17], v[12:13], off
	s_or_b64 exec, exec, s[20:21]
	s_and_b64 s[22:23], s[6:7], s[10:11]
	s_and_saveexec_b64 s[20:21], s[22:23]
	s_cbranch_execz .LBB166_234
.LBB166_243:
	s_and_b64 vcc, exec, s[0:1]
	s_cbranch_vccnz .LBB166_245
; %bb.244:
	v_lshl_add_u64 v[12:13], v[4:5], 3, v[10:11]
	flat_load_dwordx2 v[12:13], v[12:13]
	s_waitcnt vmcnt(0) lgkmcnt(0)
	v_mul_f64 v[12:13], v[12:13], s[14:15]
	s_branch .LBB166_246
.LBB166_245:
	v_mov_b64_e32 v[12:13], 0
.LBB166_246:
	v_cvt_f32_f64_e32 v12, v[12:13]
	v_max_f32_e32 v13, v119, v119
	v_min_f32_e32 v12, v12, v13
	v_cvt_f64_f32_e32 v[12:13], v12
	v_lshl_add_u64 v[16:17], v[4:5], 3, v[8:9]
	global_store_dwordx2 v[16:17], v[12:13], off
	s_or_b64 exec, exec, s[20:21]
	s_and_b64 s[20:21], s[8:9], s[10:11]
	s_and_saveexec_b64 s[10:11], s[20:21]
	s_cbranch_execz .LBB166_251
.LBB166_247:
	s_and_b64 vcc, exec, s[0:1]
	s_cbranch_vccnz .LBB166_249
; %bb.248:
	v_lshl_add_u64 v[10:11], v[6:7], 3, v[10:11]
	flat_load_dwordx2 v[10:11], v[10:11]
	s_waitcnt vmcnt(0) lgkmcnt(0)
	v_mul_f64 v[10:11], v[10:11], s[14:15]
	s_branch .LBB166_250
.LBB166_249:
	v_mov_b64_e32 v[10:11], 0
.LBB166_250:
	v_cvt_f32_f64_e32 v10, v[10:11]
	v_max_f32_e32 v11, v118, v118
	v_min_f32_e32 v10, v10, v11
	v_cvt_f64_f32_e32 v[10:11], v10
	v_lshl_add_u64 v[8:9], v[6:7], 3, v[8:9]
	global_store_dwordx2 v[8:9], v[10:11], off
.LBB166_251:
	s_or_b64 exec, exec, s[10:11]
	v_add_u32_e32 v12, 0x50, v14
	v_mad_i64_i32 v[8:9], s[20:21], v12, s29, 0
	v_cmp_gt_i32_e64 s[10:11], s17, v12
	v_lshl_add_u64 v[10:11], v[8:9], 3, s[12:13]
	v_mad_i64_i32 v[8:9], s[20:21], v12, s28, 0
	v_lshl_add_u64 v[8:9], v[8:9], 3, s[18:19]
	s_and_b64 s[22:23], s[2:3], s[10:11]
	s_and_saveexec_b64 s[20:21], s[22:23]
	s_cbranch_execnz .LBB166_255
; %bb.252:
	s_or_b64 exec, exec, s[20:21]
	s_and_b64 s[22:23], s[4:5], s[10:11]
	s_and_saveexec_b64 s[20:21], s[22:23]
	s_cbranch_execnz .LBB166_259
.LBB166_253:
	s_or_b64 exec, exec, s[20:21]
	s_and_b64 s[22:23], s[6:7], s[10:11]
	s_and_saveexec_b64 s[20:21], s[22:23]
	s_cbranch_execnz .LBB166_263
.LBB166_254:
	s_or_b64 exec, exec, s[20:21]
	s_and_b64 s[20:21], s[8:9], s[10:11]
	s_and_saveexec_b64 s[10:11], s[20:21]
	s_cbranch_execnz .LBB166_267
	s_branch .LBB166_271
.LBB166_255:
	s_and_b64 vcc, exec, s[0:1]
	s_cbranch_vccnz .LBB166_257
; %bb.256:
	v_lshl_add_u64 v[12:13], v[0:1], 3, v[10:11]
	flat_load_dwordx2 v[12:13], v[12:13]
	s_waitcnt vmcnt(0) lgkmcnt(0)
	v_mul_f64 v[12:13], v[12:13], s[14:15]
	s_branch .LBB166_258
.LBB166_257:
	v_mov_b64_e32 v[12:13], 0
.LBB166_258:
	v_cvt_f32_f64_e32 v12, v[12:13]
	v_max_f32_e32 v13, v117, v117
	v_min_f32_e32 v12, v12, v13
	v_cvt_f64_f32_e32 v[12:13], v12
	v_lshl_add_u64 v[16:17], v[0:1], 3, v[8:9]
	global_store_dwordx2 v[16:17], v[12:13], off
	s_or_b64 exec, exec, s[20:21]
	s_and_b64 s[22:23], s[4:5], s[10:11]
	s_and_saveexec_b64 s[20:21], s[22:23]
	s_cbranch_execz .LBB166_253
.LBB166_259:
	s_and_b64 vcc, exec, s[0:1]
	s_cbranch_vccnz .LBB166_261
; %bb.260:
	v_lshl_add_u64 v[12:13], v[2:3], 3, v[10:11]
	flat_load_dwordx2 v[12:13], v[12:13]
	s_waitcnt vmcnt(0) lgkmcnt(0)
	v_mul_f64 v[12:13], v[12:13], s[14:15]
	s_branch .LBB166_262
.LBB166_261:
	v_mov_b64_e32 v[12:13], 0
.LBB166_262:
	v_cvt_f32_f64_e32 v12, v[12:13]
	v_max_f32_e32 v13, v116, v116
	v_min_f32_e32 v12, v12, v13
	v_cvt_f64_f32_e32 v[12:13], v12
	v_lshl_add_u64 v[16:17], v[2:3], 3, v[8:9]
	global_store_dwordx2 v[16:17], v[12:13], off
	s_or_b64 exec, exec, s[20:21]
	s_and_b64 s[22:23], s[6:7], s[10:11]
	s_and_saveexec_b64 s[20:21], s[22:23]
	s_cbranch_execz .LBB166_254
.LBB166_263:
	s_and_b64 vcc, exec, s[0:1]
	s_cbranch_vccnz .LBB166_265
; %bb.264:
	v_lshl_add_u64 v[12:13], v[4:5], 3, v[10:11]
	flat_load_dwordx2 v[12:13], v[12:13]
	s_waitcnt vmcnt(0) lgkmcnt(0)
	v_mul_f64 v[12:13], v[12:13], s[14:15]
	s_branch .LBB166_266
.LBB166_265:
	v_mov_b64_e32 v[12:13], 0
.LBB166_266:
	v_cvt_f32_f64_e32 v12, v[12:13]
	v_max_f32_e32 v13, v115, v115
	v_min_f32_e32 v12, v12, v13
	v_cvt_f64_f32_e32 v[12:13], v12
	v_lshl_add_u64 v[16:17], v[4:5], 3, v[8:9]
	global_store_dwordx2 v[16:17], v[12:13], off
	s_or_b64 exec, exec, s[20:21]
	s_and_b64 s[20:21], s[8:9], s[10:11]
	s_and_saveexec_b64 s[10:11], s[20:21]
	s_cbranch_execz .LBB166_271
.LBB166_267:
	s_and_b64 vcc, exec, s[0:1]
	s_cbranch_vccnz .LBB166_269
; %bb.268:
	v_lshl_add_u64 v[10:11], v[6:7], 3, v[10:11]
	flat_load_dwordx2 v[10:11], v[10:11]
	s_waitcnt vmcnt(0) lgkmcnt(0)
	v_mul_f64 v[10:11], v[10:11], s[14:15]
	s_branch .LBB166_270
.LBB166_269:
	v_mov_b64_e32 v[10:11], 0
.LBB166_270:
	v_cvt_f32_f64_e32 v10, v[10:11]
	v_max_f32_e32 v11, v114, v114
	v_min_f32_e32 v10, v10, v11
	v_cvt_f64_f32_e32 v[10:11], v10
	v_lshl_add_u64 v[8:9], v[6:7], 3, v[8:9]
	global_store_dwordx2 v[8:9], v[10:11], off
.LBB166_271:
	s_or_b64 exec, exec, s[10:11]
	v_add_u32_e32 v12, 0x58, v14
	v_mad_i64_i32 v[8:9], s[20:21], v12, s29, 0
	v_cmp_gt_i32_e64 s[10:11], s17, v12
	v_lshl_add_u64 v[10:11], v[8:9], 3, s[12:13]
	v_mad_i64_i32 v[8:9], s[20:21], v12, s28, 0
	v_lshl_add_u64 v[8:9], v[8:9], 3, s[18:19]
	s_and_b64 s[22:23], s[2:3], s[10:11]
	s_and_saveexec_b64 s[20:21], s[22:23]
	s_cbranch_execnz .LBB166_275
; %bb.272:
	s_or_b64 exec, exec, s[20:21]
	s_and_b64 s[22:23], s[4:5], s[10:11]
	s_and_saveexec_b64 s[20:21], s[22:23]
	s_cbranch_execnz .LBB166_279
.LBB166_273:
	s_or_b64 exec, exec, s[20:21]
	s_and_b64 s[22:23], s[6:7], s[10:11]
	s_and_saveexec_b64 s[20:21], s[22:23]
	s_cbranch_execnz .LBB166_283
.LBB166_274:
	s_or_b64 exec, exec, s[20:21]
	s_and_b64 s[20:21], s[8:9], s[10:11]
	s_and_saveexec_b64 s[10:11], s[20:21]
	s_cbranch_execnz .LBB166_287
	s_branch .LBB166_291
.LBB166_275:
	s_and_b64 vcc, exec, s[0:1]
	s_cbranch_vccnz .LBB166_277
; %bb.276:
	v_lshl_add_u64 v[12:13], v[0:1], 3, v[10:11]
	flat_load_dwordx2 v[12:13], v[12:13]
	s_waitcnt vmcnt(0) lgkmcnt(0)
	v_mul_f64 v[12:13], v[12:13], s[14:15]
	s_branch .LBB166_278
.LBB166_277:
	v_mov_b64_e32 v[12:13], 0
.LBB166_278:
	v_cvt_f32_f64_e32 v12, v[12:13]
	v_max_f32_e32 v13, v113, v113
	v_min_f32_e32 v12, v12, v13
	v_cvt_f64_f32_e32 v[12:13], v12
	v_lshl_add_u64 v[16:17], v[0:1], 3, v[8:9]
	global_store_dwordx2 v[16:17], v[12:13], off
	s_or_b64 exec, exec, s[20:21]
	s_and_b64 s[22:23], s[4:5], s[10:11]
	s_and_saveexec_b64 s[20:21], s[22:23]
	s_cbranch_execz .LBB166_273
.LBB166_279:
	s_and_b64 vcc, exec, s[0:1]
	s_cbranch_vccnz .LBB166_281
; %bb.280:
	v_lshl_add_u64 v[12:13], v[2:3], 3, v[10:11]
	flat_load_dwordx2 v[12:13], v[12:13]
	s_waitcnt vmcnt(0) lgkmcnt(0)
	v_mul_f64 v[12:13], v[12:13], s[14:15]
	s_branch .LBB166_282
.LBB166_281:
	v_mov_b64_e32 v[12:13], 0
.LBB166_282:
	v_cvt_f32_f64_e32 v12, v[12:13]
	v_max_f32_e32 v13, v112, v112
	v_min_f32_e32 v12, v12, v13
	v_cvt_f64_f32_e32 v[12:13], v12
	v_lshl_add_u64 v[16:17], v[2:3], 3, v[8:9]
	global_store_dwordx2 v[16:17], v[12:13], off
	s_or_b64 exec, exec, s[20:21]
	s_and_b64 s[22:23], s[6:7], s[10:11]
	s_and_saveexec_b64 s[20:21], s[22:23]
	s_cbranch_execz .LBB166_274
.LBB166_283:
	s_and_b64 vcc, exec, s[0:1]
	s_cbranch_vccnz .LBB166_285
; %bb.284:
	v_lshl_add_u64 v[12:13], v[4:5], 3, v[10:11]
	flat_load_dwordx2 v[12:13], v[12:13]
	s_waitcnt vmcnt(0) lgkmcnt(0)
	v_mul_f64 v[12:13], v[12:13], s[14:15]
	s_branch .LBB166_286
.LBB166_285:
	v_mov_b64_e32 v[12:13], 0
.LBB166_286:
	v_cvt_f32_f64_e32 v12, v[12:13]
	v_max_f32_e32 v13, v111, v111
	v_min_f32_e32 v12, v12, v13
	v_cvt_f64_f32_e32 v[12:13], v12
	v_lshl_add_u64 v[16:17], v[4:5], 3, v[8:9]
	global_store_dwordx2 v[16:17], v[12:13], off
	s_or_b64 exec, exec, s[20:21]
	s_and_b64 s[20:21], s[8:9], s[10:11]
	s_and_saveexec_b64 s[10:11], s[20:21]
	s_cbranch_execz .LBB166_291
.LBB166_287:
	s_and_b64 vcc, exec, s[0:1]
	s_cbranch_vccnz .LBB166_289
; %bb.288:
	v_lshl_add_u64 v[10:11], v[6:7], 3, v[10:11]
	flat_load_dwordx2 v[10:11], v[10:11]
	s_waitcnt vmcnt(0) lgkmcnt(0)
	v_mul_f64 v[10:11], v[10:11], s[14:15]
	s_branch .LBB166_290
.LBB166_289:
	v_mov_b64_e32 v[10:11], 0
.LBB166_290:
	v_cvt_f32_f64_e32 v10, v[10:11]
	v_max_f32_e32 v11, v110, v110
	v_min_f32_e32 v10, v10, v11
	v_cvt_f64_f32_e32 v[10:11], v10
	v_lshl_add_u64 v[8:9], v[6:7], 3, v[8:9]
	global_store_dwordx2 v[8:9], v[10:11], off
.LBB166_291:
	s_or_b64 exec, exec, s[10:11]
	v_add_u32_e32 v12, 0x60, v14
	v_mad_i64_i32 v[8:9], s[20:21], v12, s29, 0
	v_cmp_gt_i32_e64 s[10:11], s17, v12
	v_lshl_add_u64 v[10:11], v[8:9], 3, s[12:13]
	v_mad_i64_i32 v[8:9], s[20:21], v12, s28, 0
	v_lshl_add_u64 v[8:9], v[8:9], 3, s[18:19]
	s_and_b64 s[22:23], s[2:3], s[10:11]
	s_and_saveexec_b64 s[20:21], s[22:23]
	s_cbranch_execnz .LBB166_295
; %bb.292:
	s_or_b64 exec, exec, s[20:21]
	s_and_b64 s[22:23], s[4:5], s[10:11]
	s_and_saveexec_b64 s[20:21], s[22:23]
	s_cbranch_execnz .LBB166_299
.LBB166_293:
	s_or_b64 exec, exec, s[20:21]
	s_and_b64 s[22:23], s[6:7], s[10:11]
	s_and_saveexec_b64 s[20:21], s[22:23]
	s_cbranch_execnz .LBB166_303
.LBB166_294:
	s_or_b64 exec, exec, s[20:21]
	s_and_b64 s[20:21], s[8:9], s[10:11]
	s_and_saveexec_b64 s[10:11], s[20:21]
	s_cbranch_execnz .LBB166_307
	s_branch .LBB166_311
.LBB166_295:
	s_and_b64 vcc, exec, s[0:1]
	s_cbranch_vccnz .LBB166_297
; %bb.296:
	v_lshl_add_u64 v[12:13], v[0:1], 3, v[10:11]
	flat_load_dwordx2 v[12:13], v[12:13]
	s_waitcnt vmcnt(0) lgkmcnt(0)
	v_mul_f64 v[12:13], v[12:13], s[14:15]
	s_branch .LBB166_298
.LBB166_297:
	v_mov_b64_e32 v[12:13], 0
.LBB166_298:
	v_cvt_f32_f64_e32 v12, v[12:13]
	v_max_f32_e32 v13, v109, v109
	v_min_f32_e32 v12, v12, v13
	v_cvt_f64_f32_e32 v[12:13], v12
	v_lshl_add_u64 v[16:17], v[0:1], 3, v[8:9]
	global_store_dwordx2 v[16:17], v[12:13], off
	s_or_b64 exec, exec, s[20:21]
	s_and_b64 s[22:23], s[4:5], s[10:11]
	s_and_saveexec_b64 s[20:21], s[22:23]
	s_cbranch_execz .LBB166_293
.LBB166_299:
	s_and_b64 vcc, exec, s[0:1]
	s_cbranch_vccnz .LBB166_301
; %bb.300:
	v_lshl_add_u64 v[12:13], v[2:3], 3, v[10:11]
	flat_load_dwordx2 v[12:13], v[12:13]
	s_waitcnt vmcnt(0) lgkmcnt(0)
	v_mul_f64 v[12:13], v[12:13], s[14:15]
	s_branch .LBB166_302
.LBB166_301:
	v_mov_b64_e32 v[12:13], 0
.LBB166_302:
	v_cvt_f32_f64_e32 v12, v[12:13]
	v_max_f32_e32 v13, v108, v108
	v_min_f32_e32 v12, v12, v13
	v_cvt_f64_f32_e32 v[12:13], v12
	v_lshl_add_u64 v[16:17], v[2:3], 3, v[8:9]
	global_store_dwordx2 v[16:17], v[12:13], off
	s_or_b64 exec, exec, s[20:21]
	s_and_b64 s[22:23], s[6:7], s[10:11]
	s_and_saveexec_b64 s[20:21], s[22:23]
	s_cbranch_execz .LBB166_294
.LBB166_303:
	s_and_b64 vcc, exec, s[0:1]
	s_cbranch_vccnz .LBB166_305
; %bb.304:
	v_lshl_add_u64 v[12:13], v[4:5], 3, v[10:11]
	flat_load_dwordx2 v[12:13], v[12:13]
	s_waitcnt vmcnt(0) lgkmcnt(0)
	v_mul_f64 v[12:13], v[12:13], s[14:15]
	s_branch .LBB166_306
.LBB166_305:
	v_mov_b64_e32 v[12:13], 0
.LBB166_306:
	v_cvt_f32_f64_e32 v12, v[12:13]
	v_max_f32_e32 v13, v107, v107
	v_min_f32_e32 v12, v12, v13
	v_cvt_f64_f32_e32 v[12:13], v12
	v_lshl_add_u64 v[16:17], v[4:5], 3, v[8:9]
	global_store_dwordx2 v[16:17], v[12:13], off
	s_or_b64 exec, exec, s[20:21]
	s_and_b64 s[20:21], s[8:9], s[10:11]
	s_and_saveexec_b64 s[10:11], s[20:21]
	s_cbranch_execz .LBB166_311
.LBB166_307:
	s_and_b64 vcc, exec, s[0:1]
	s_cbranch_vccnz .LBB166_309
; %bb.308:
	v_lshl_add_u64 v[10:11], v[6:7], 3, v[10:11]
	flat_load_dwordx2 v[10:11], v[10:11]
	s_waitcnt vmcnt(0) lgkmcnt(0)
	v_mul_f64 v[10:11], v[10:11], s[14:15]
	s_branch .LBB166_310
.LBB166_309:
	v_mov_b64_e32 v[10:11], 0
.LBB166_310:
	v_cvt_f32_f64_e32 v10, v[10:11]
	v_max_f32_e32 v11, v106, v106
	v_min_f32_e32 v10, v10, v11
	v_cvt_f64_f32_e32 v[10:11], v10
	v_lshl_add_u64 v[8:9], v[6:7], 3, v[8:9]
	global_store_dwordx2 v[8:9], v[10:11], off
.LBB166_311:
	s_or_b64 exec, exec, s[10:11]
	v_add_u32_e32 v12, 0x68, v14
	v_mad_i64_i32 v[8:9], s[20:21], v12, s29, 0
	v_cmp_gt_i32_e64 s[10:11], s17, v12
	v_lshl_add_u64 v[10:11], v[8:9], 3, s[12:13]
	v_mad_i64_i32 v[8:9], s[20:21], v12, s28, 0
	v_lshl_add_u64 v[8:9], v[8:9], 3, s[18:19]
	s_and_b64 s[22:23], s[2:3], s[10:11]
	s_and_saveexec_b64 s[20:21], s[22:23]
	s_cbranch_execnz .LBB166_315
; %bb.312:
	s_or_b64 exec, exec, s[20:21]
	s_and_b64 s[22:23], s[4:5], s[10:11]
	s_and_saveexec_b64 s[20:21], s[22:23]
	s_cbranch_execnz .LBB166_319
.LBB166_313:
	s_or_b64 exec, exec, s[20:21]
	s_and_b64 s[22:23], s[6:7], s[10:11]
	s_and_saveexec_b64 s[20:21], s[22:23]
	s_cbranch_execnz .LBB166_323
.LBB166_314:
	s_or_b64 exec, exec, s[20:21]
	s_and_b64 s[20:21], s[8:9], s[10:11]
	s_and_saveexec_b64 s[10:11], s[20:21]
	s_cbranch_execnz .LBB166_327
	s_branch .LBB166_331
.LBB166_315:
	s_and_b64 vcc, exec, s[0:1]
	s_cbranch_vccnz .LBB166_317
; %bb.316:
	v_lshl_add_u64 v[12:13], v[0:1], 3, v[10:11]
	flat_load_dwordx2 v[12:13], v[12:13]
	s_waitcnt vmcnt(0) lgkmcnt(0)
	v_mul_f64 v[12:13], v[12:13], s[14:15]
	s_branch .LBB166_318
.LBB166_317:
	v_mov_b64_e32 v[12:13], 0
.LBB166_318:
	v_cvt_f32_f64_e32 v12, v[12:13]
	v_max_f32_e32 v13, v105, v105
	v_min_f32_e32 v12, v12, v13
	v_cvt_f64_f32_e32 v[12:13], v12
	v_lshl_add_u64 v[16:17], v[0:1], 3, v[8:9]
	global_store_dwordx2 v[16:17], v[12:13], off
	s_or_b64 exec, exec, s[20:21]
	s_and_b64 s[22:23], s[4:5], s[10:11]
	s_and_saveexec_b64 s[20:21], s[22:23]
	s_cbranch_execz .LBB166_313
.LBB166_319:
	s_and_b64 vcc, exec, s[0:1]
	s_cbranch_vccnz .LBB166_321
; %bb.320:
	v_lshl_add_u64 v[12:13], v[2:3], 3, v[10:11]
	flat_load_dwordx2 v[12:13], v[12:13]
	s_waitcnt vmcnt(0) lgkmcnt(0)
	v_mul_f64 v[12:13], v[12:13], s[14:15]
	s_branch .LBB166_322
.LBB166_321:
	v_mov_b64_e32 v[12:13], 0
.LBB166_322:
	v_cvt_f32_f64_e32 v12, v[12:13]
	v_max_f32_e32 v13, v104, v104
	v_min_f32_e32 v12, v12, v13
	v_cvt_f64_f32_e32 v[12:13], v12
	v_lshl_add_u64 v[16:17], v[2:3], 3, v[8:9]
	global_store_dwordx2 v[16:17], v[12:13], off
	s_or_b64 exec, exec, s[20:21]
	s_and_b64 s[22:23], s[6:7], s[10:11]
	s_and_saveexec_b64 s[20:21], s[22:23]
	s_cbranch_execz .LBB166_314
.LBB166_323:
	s_and_b64 vcc, exec, s[0:1]
	s_cbranch_vccnz .LBB166_325
; %bb.324:
	v_lshl_add_u64 v[12:13], v[4:5], 3, v[10:11]
	flat_load_dwordx2 v[12:13], v[12:13]
	s_waitcnt vmcnt(0) lgkmcnt(0)
	v_mul_f64 v[12:13], v[12:13], s[14:15]
	s_branch .LBB166_326
.LBB166_325:
	v_mov_b64_e32 v[12:13], 0
.LBB166_326:
	v_cvt_f32_f64_e32 v12, v[12:13]
	v_max_f32_e32 v13, v103, v103
	v_min_f32_e32 v12, v12, v13
	v_cvt_f64_f32_e32 v[12:13], v12
	v_lshl_add_u64 v[16:17], v[4:5], 3, v[8:9]
	global_store_dwordx2 v[16:17], v[12:13], off
	s_or_b64 exec, exec, s[20:21]
	s_and_b64 s[20:21], s[8:9], s[10:11]
	s_and_saveexec_b64 s[10:11], s[20:21]
	s_cbranch_execz .LBB166_331
.LBB166_327:
	s_and_b64 vcc, exec, s[0:1]
	s_cbranch_vccnz .LBB166_329
; %bb.328:
	v_lshl_add_u64 v[10:11], v[6:7], 3, v[10:11]
	flat_load_dwordx2 v[10:11], v[10:11]
	s_waitcnt vmcnt(0) lgkmcnt(0)
	v_mul_f64 v[10:11], v[10:11], s[14:15]
	s_branch .LBB166_330
.LBB166_329:
	v_mov_b64_e32 v[10:11], 0
.LBB166_330:
	v_cvt_f32_f64_e32 v10, v[10:11]
	v_max_f32_e32 v11, v102, v102
	v_min_f32_e32 v10, v10, v11
	v_cvt_f64_f32_e32 v[10:11], v10
	v_lshl_add_u64 v[8:9], v[6:7], 3, v[8:9]
	global_store_dwordx2 v[8:9], v[10:11], off
.LBB166_331:
	s_or_b64 exec, exec, s[10:11]
	v_add_u32_e32 v12, 0x70, v14
	v_mad_i64_i32 v[8:9], s[20:21], v12, s29, 0
	v_cmp_gt_i32_e64 s[10:11], s17, v12
	v_lshl_add_u64 v[10:11], v[8:9], 3, s[12:13]
	v_mad_i64_i32 v[8:9], s[20:21], v12, s28, 0
	v_lshl_add_u64 v[8:9], v[8:9], 3, s[18:19]
	s_and_b64 s[22:23], s[2:3], s[10:11]
	s_and_saveexec_b64 s[20:21], s[22:23]
	s_cbranch_execnz .LBB166_335
; %bb.332:
	s_or_b64 exec, exec, s[20:21]
	s_and_b64 s[22:23], s[4:5], s[10:11]
	s_and_saveexec_b64 s[20:21], s[22:23]
	s_cbranch_execnz .LBB166_339
.LBB166_333:
	s_or_b64 exec, exec, s[20:21]
	s_and_b64 s[22:23], s[6:7], s[10:11]
	s_and_saveexec_b64 s[20:21], s[22:23]
	s_cbranch_execnz .LBB166_343
.LBB166_334:
	s_or_b64 exec, exec, s[20:21]
	s_and_b64 s[20:21], s[8:9], s[10:11]
	s_and_saveexec_b64 s[10:11], s[20:21]
	s_cbranch_execnz .LBB166_347
	s_branch .LBB166_351
.LBB166_335:
	s_and_b64 vcc, exec, s[0:1]
	s_cbranch_vccnz .LBB166_337
; %bb.336:
	v_lshl_add_u64 v[12:13], v[0:1], 3, v[10:11]
	flat_load_dwordx2 v[12:13], v[12:13]
	s_waitcnt vmcnt(0) lgkmcnt(0)
	v_mul_f64 v[12:13], v[12:13], s[14:15]
	v_cvt_f32_f64_e32 v12, v[12:13]
	s_branch .LBB166_338
.LBB166_337:
	v_mov_b32_e32 v12, 0
.LBB166_338:
	v_max_f32_e32 v13, v101, v101
	v_max_f32_e32 v12, v12, v12
	v_min_f32_e32 v12, v12, v13
	v_cvt_f64_f32_e32 v[12:13], v12
	v_lshl_add_u64 v[16:17], v[0:1], 3, v[8:9]
	global_store_dwordx2 v[16:17], v[12:13], off
	s_or_b64 exec, exec, s[20:21]
	s_and_b64 s[22:23], s[4:5], s[10:11]
	s_and_saveexec_b64 s[20:21], s[22:23]
	s_cbranch_execz .LBB166_333
.LBB166_339:
	s_and_b64 vcc, exec, s[0:1]
	s_cbranch_vccnz .LBB166_341
; %bb.340:
	v_lshl_add_u64 v[12:13], v[2:3], 3, v[10:11]
	flat_load_dwordx2 v[12:13], v[12:13]
	s_waitcnt vmcnt(0) lgkmcnt(0)
	v_mul_f64 v[12:13], v[12:13], s[14:15]
	v_cvt_f32_f64_e32 v12, v[12:13]
	s_branch .LBB166_342
.LBB166_341:
	v_mov_b32_e32 v12, 0
.LBB166_342:
	v_max_f32_e32 v13, v100, v100
	v_max_f32_e32 v12, v12, v12
	v_min_f32_e32 v12, v12, v13
	v_cvt_f64_f32_e32 v[12:13], v12
	v_lshl_add_u64 v[16:17], v[2:3], 3, v[8:9]
	global_store_dwordx2 v[16:17], v[12:13], off
	s_or_b64 exec, exec, s[20:21]
	s_and_b64 s[22:23], s[6:7], s[10:11]
	s_and_saveexec_b64 s[20:21], s[22:23]
	s_cbranch_execz .LBB166_334
.LBB166_343:
	s_and_b64 vcc, exec, s[0:1]
	s_cbranch_vccnz .LBB166_345
; %bb.344:
	v_lshl_add_u64 v[12:13], v[4:5], 3, v[10:11]
	flat_load_dwordx2 v[12:13], v[12:13]
	s_waitcnt vmcnt(0) lgkmcnt(0)
	v_mul_f64 v[12:13], v[12:13], s[14:15]
	v_cvt_f32_f64_e32 v12, v[12:13]
	s_branch .LBB166_346
.LBB166_345:
	v_mov_b32_e32 v12, 0
.LBB166_346:
	v_max_f32_e32 v13, v99, v99
	v_max_f32_e32 v12, v12, v12
	v_min_f32_e32 v12, v12, v13
	v_cvt_f64_f32_e32 v[12:13], v12
	v_lshl_add_u64 v[16:17], v[4:5], 3, v[8:9]
	global_store_dwordx2 v[16:17], v[12:13], off
	s_or_b64 exec, exec, s[20:21]
	s_and_b64 s[20:21], s[8:9], s[10:11]
	s_and_saveexec_b64 s[10:11], s[20:21]
	s_cbranch_execz .LBB166_351
.LBB166_347:
	s_and_b64 vcc, exec, s[0:1]
	s_cbranch_vccnz .LBB166_349
; %bb.348:
	v_lshl_add_u64 v[10:11], v[6:7], 3, v[10:11]
	flat_load_dwordx2 v[10:11], v[10:11]
	s_waitcnt vmcnt(0) lgkmcnt(0)
	v_mul_f64 v[10:11], v[10:11], s[14:15]
	v_cvt_f32_f64_e32 v10, v[10:11]
	s_branch .LBB166_350
.LBB166_349:
	v_mov_b32_e32 v10, 0
.LBB166_350:
	v_max_f32_e32 v11, v98, v98
	v_max_f32_e32 v10, v10, v10
	v_min_f32_e32 v10, v10, v11
	v_cvt_f64_f32_e32 v[10:11], v10
	v_lshl_add_u64 v[8:9], v[6:7], 3, v[8:9]
	global_store_dwordx2 v[8:9], v[10:11], off
.LBB166_351:
	s_or_b64 exec, exec, s[10:11]
	v_add_u32_e32 v12, 0x78, v14
	v_cmp_gt_i32_e64 s[10:11], s17, v12
	v_mad_i64_i32 v[8:9], s[16:17], v12, s29, 0
	v_lshl_add_u64 v[10:11], v[8:9], 3, s[12:13]
	v_mad_i64_i32 v[8:9], s[12:13], v12, s28, 0
	v_lshl_add_u64 v[8:9], v[8:9], 3, s[18:19]
	s_and_b64 s[12:13], s[2:3], s[10:11]
	s_and_saveexec_b64 s[2:3], s[12:13]
	s_cbranch_execnz .LBB166_356
; %bb.352:
	s_or_b64 exec, exec, s[2:3]
	s_and_b64 s[4:5], s[4:5], s[10:11]
	s_and_saveexec_b64 s[2:3], s[4:5]
	s_cbranch_execnz .LBB166_360
.LBB166_353:
	s_or_b64 exec, exec, s[2:3]
	s_and_b64 s[4:5], s[6:7], s[10:11]
	s_and_saveexec_b64 s[2:3], s[4:5]
	s_cbranch_execnz .LBB166_364
.LBB166_354:
	s_or_b64 exec, exec, s[2:3]
	s_and_b64 s[2:3], s[8:9], s[10:11]
	s_and_saveexec_b64 s[4:5], s[2:3]
	s_cbranch_execnz .LBB166_368
.LBB166_355:
	s_endpgm
.LBB166_356:
	s_and_b64 vcc, exec, s[0:1]
	s_cbranch_vccnz .LBB166_358
; %bb.357:
	v_lshl_add_u64 v[12:13], v[0:1], 3, v[10:11]
	flat_load_dwordx2 v[12:13], v[12:13]
	s_waitcnt vmcnt(0) lgkmcnt(0)
	v_mul_f64 v[12:13], v[12:13], s[14:15]
	v_cvt_f32_f64_e32 v12, v[12:13]
	s_branch .LBB166_359
.LBB166_358:
	v_mov_b32_e32 v12, 0
.LBB166_359:
	v_max_f32_e32 v13, v97, v97
	v_max_f32_e32 v12, v12, v12
	v_min_f32_e32 v12, v12, v13
	v_cvt_f64_f32_e32 v[12:13], v12
	v_lshl_add_u64 v[0:1], v[0:1], 3, v[8:9]
	global_store_dwordx2 v[0:1], v[12:13], off
	s_or_b64 exec, exec, s[2:3]
	s_and_b64 s[4:5], s[4:5], s[10:11]
	s_and_saveexec_b64 s[2:3], s[4:5]
	s_cbranch_execz .LBB166_353
.LBB166_360:
	s_and_b64 vcc, exec, s[0:1]
	s_cbranch_vccnz .LBB166_362
; %bb.361:
	v_lshl_add_u64 v[0:1], v[2:3], 3, v[10:11]
	flat_load_dwordx2 v[0:1], v[0:1]
	s_waitcnt vmcnt(0) lgkmcnt(0)
	v_mul_f64 v[0:1], v[0:1], s[14:15]
	v_cvt_f32_f64_e32 v0, v[0:1]
	s_branch .LBB166_363
.LBB166_362:
	v_mov_b32_e32 v0, 0
.LBB166_363:
	v_max_f32_e32 v1, v96, v96
	v_max_f32_e32 v0, v0, v0
	v_min_f32_e32 v0, v0, v1
	v_cvt_f64_f32_e32 v[0:1], v0
	v_lshl_add_u64 v[2:3], v[2:3], 3, v[8:9]
	global_store_dwordx2 v[2:3], v[0:1], off
	s_or_b64 exec, exec, s[2:3]
	s_and_b64 s[4:5], s[6:7], s[10:11]
	s_and_saveexec_b64 s[2:3], s[4:5]
	s_cbranch_execz .LBB166_354
.LBB166_364:
	s_and_b64 vcc, exec, s[0:1]
	s_cbranch_vccnz .LBB166_366
; %bb.365:
	v_lshl_add_u64 v[0:1], v[4:5], 3, v[10:11]
	flat_load_dwordx2 v[0:1], v[0:1]
	s_waitcnt vmcnt(0) lgkmcnt(0)
	v_mul_f64 v[0:1], v[0:1], s[14:15]
	v_cvt_f32_f64_e32 v0, v[0:1]
	s_branch .LBB166_367
.LBB166_366:
	v_mov_b32_e32 v0, 0
.LBB166_367:
	v_max_f32_e32 v1, v95, v95
	v_max_f32_e32 v0, v0, v0
	v_min_f32_e32 v0, v0, v1
	v_cvt_f64_f32_e32 v[0:1], v0
	v_lshl_add_u64 v[2:3], v[4:5], 3, v[8:9]
	global_store_dwordx2 v[2:3], v[0:1], off
	s_or_b64 exec, exec, s[2:3]
	s_and_b64 s[2:3], s[8:9], s[10:11]
	s_and_saveexec_b64 s[4:5], s[2:3]
	s_cbranch_execz .LBB166_355
.LBB166_368:
	s_and_b64 vcc, exec, s[0:1]
	s_cbranch_vccnz .LBB166_370
; %bb.369:
	v_lshl_add_u64 v[0:1], v[6:7], 3, v[10:11]
	flat_load_dwordx2 v[0:1], v[0:1]
	s_waitcnt vmcnt(0) lgkmcnt(0)
	v_mul_f64 v[0:1], v[0:1], s[14:15]
	v_cvt_f32_f64_e32 v0, v[0:1]
	s_branch .LBB166_371
.LBB166_370:
	v_mov_b32_e32 v0, 0
.LBB166_371:
	v_max_f32_e32 v1, v94, v94
	v_max_f32_e32 v0, v0, v0
	v_min_f32_e32 v0, v0, v1
	v_cvt_f64_f32_e32 v[0:1], v0
	v_lshl_add_u64 v[2:3], v[6:7], 3, v[8:9]
	global_store_dwordx2 v[2:3], v[0:1], off
	s_endpgm
	.section	.rodata,"a",@progbits
	.p2align	6, 0x0
	.amdhsa_kernel _ZN12_GLOBAL__N_120geam_min_plus_kernelId15HIP_vector_typeIdLj2EEdLi32ELi8ELi128ELi128ELi4ELi4ELi64ELi4ELi64ELc84ELc78ELb1ELb1ELb1EdKddEEviiiT16_PT17_ilS6_ilS4_S6_ilPT18_ili26rocblas_geam_ex_operation_
		.amdhsa_group_segment_fixed_size 16384
		.amdhsa_private_segment_fixed_size 0
		.amdhsa_kernarg_size 136
		.amdhsa_user_sgpr_count 2
		.amdhsa_user_sgpr_dispatch_ptr 0
		.amdhsa_user_sgpr_queue_ptr 0
		.amdhsa_user_sgpr_kernarg_segment_ptr 1
		.amdhsa_user_sgpr_dispatch_id 0
		.amdhsa_user_sgpr_kernarg_preload_length 0
		.amdhsa_user_sgpr_kernarg_preload_offset 0
		.amdhsa_user_sgpr_private_segment_size 0
		.amdhsa_uses_dynamic_stack 0
		.amdhsa_enable_private_segment 0
		.amdhsa_system_sgpr_workgroup_id_x 1
		.amdhsa_system_sgpr_workgroup_id_y 0
		.amdhsa_system_sgpr_workgroup_id_z 1
		.amdhsa_system_sgpr_workgroup_info 0
		.amdhsa_system_vgpr_workitem_id 1
		.amdhsa_next_free_vgpr 182
		.amdhsa_next_free_sgpr 40
		.amdhsa_accum_offset 184
		.amdhsa_reserve_vcc 1
		.amdhsa_float_round_mode_32 0
		.amdhsa_float_round_mode_16_64 0
		.amdhsa_float_denorm_mode_32 3
		.amdhsa_float_denorm_mode_16_64 3
		.amdhsa_dx10_clamp 1
		.amdhsa_ieee_mode 1
		.amdhsa_fp16_overflow 0
		.amdhsa_tg_split 0
		.amdhsa_exception_fp_ieee_invalid_op 0
		.amdhsa_exception_fp_denorm_src 0
		.amdhsa_exception_fp_ieee_div_zero 0
		.amdhsa_exception_fp_ieee_overflow 0
		.amdhsa_exception_fp_ieee_underflow 0
		.amdhsa_exception_fp_ieee_inexact 0
		.amdhsa_exception_int_div_zero 0
	.end_amdhsa_kernel
	.section	.text._ZN12_GLOBAL__N_120geam_min_plus_kernelId15HIP_vector_typeIdLj2EEdLi32ELi8ELi128ELi128ELi4ELi4ELi64ELi4ELi64ELc84ELc78ELb1ELb1ELb1EdKddEEviiiT16_PT17_ilS6_ilS4_S6_ilPT18_ili26rocblas_geam_ex_operation_,"axG",@progbits,_ZN12_GLOBAL__N_120geam_min_plus_kernelId15HIP_vector_typeIdLj2EEdLi32ELi8ELi128ELi128ELi4ELi4ELi64ELi4ELi64ELc84ELc78ELb1ELb1ELb1EdKddEEviiiT16_PT17_ilS6_ilS4_S6_ilPT18_ili26rocblas_geam_ex_operation_,comdat
.Lfunc_end166:
	.size	_ZN12_GLOBAL__N_120geam_min_plus_kernelId15HIP_vector_typeIdLj2EEdLi32ELi8ELi128ELi128ELi4ELi4ELi64ELi4ELi64ELc84ELc78ELb1ELb1ELb1EdKddEEviiiT16_PT17_ilS6_ilS4_S6_ilPT18_ili26rocblas_geam_ex_operation_, .Lfunc_end166-_ZN12_GLOBAL__N_120geam_min_plus_kernelId15HIP_vector_typeIdLj2EEdLi32ELi8ELi128ELi128ELi4ELi4ELi64ELi4ELi64ELc84ELc78ELb1ELb1ELb1EdKddEEviiiT16_PT17_ilS6_ilS4_S6_ilPT18_ili26rocblas_geam_ex_operation_
                                        ; -- End function
	.section	.AMDGPU.csdata,"",@progbits
; Kernel info:
; codeLenInByte = 18744
; NumSgprs: 46
; NumVgprs: 182
; NumAgprs: 0
; TotalNumVgprs: 182
; ScratchSize: 0
; MemoryBound: 0
; FloatMode: 240
; IeeeMode: 1
; LDSByteSize: 16384 bytes/workgroup (compile time only)
; SGPRBlocks: 5
; VGPRBlocks: 22
; NumSGPRsForWavesPerEU: 46
; NumVGPRsForWavesPerEU: 182
; AccumOffset: 184
; Occupancy: 2
; WaveLimiterHint : 0
; COMPUTE_PGM_RSRC2:SCRATCH_EN: 0
; COMPUTE_PGM_RSRC2:USER_SGPR: 2
; COMPUTE_PGM_RSRC2:TRAP_HANDLER: 0
; COMPUTE_PGM_RSRC2:TGID_X_EN: 1
; COMPUTE_PGM_RSRC2:TGID_Y_EN: 0
; COMPUTE_PGM_RSRC2:TGID_Z_EN: 1
; COMPUTE_PGM_RSRC2:TIDIG_COMP_CNT: 1
; COMPUTE_PGM_RSRC3_GFX90A:ACCUM_OFFSET: 45
; COMPUTE_PGM_RSRC3_GFX90A:TG_SPLIT: 0
	.section	.text._ZN12_GLOBAL__N_120geam_min_plus_kernelId15HIP_vector_typeIdLj2EEdLi32ELi8ELi128ELi128ELi4ELi4ELi64ELi4ELi64ELc84ELc78ELb0ELb1ELb1EdKddEEviiiT16_PT17_ilS6_ilS4_S6_ilPT18_ili26rocblas_geam_ex_operation_,"axG",@progbits,_ZN12_GLOBAL__N_120geam_min_plus_kernelId15HIP_vector_typeIdLj2EEdLi32ELi8ELi128ELi128ELi4ELi4ELi64ELi4ELi64ELc84ELc78ELb0ELb1ELb1EdKddEEviiiT16_PT17_ilS6_ilS4_S6_ilPT18_ili26rocblas_geam_ex_operation_,comdat
	.globl	_ZN12_GLOBAL__N_120geam_min_plus_kernelId15HIP_vector_typeIdLj2EEdLi32ELi8ELi128ELi128ELi4ELi4ELi64ELi4ELi64ELc84ELc78ELb0ELb1ELb1EdKddEEviiiT16_PT17_ilS6_ilS4_S6_ilPT18_ili26rocblas_geam_ex_operation_ ; -- Begin function _ZN12_GLOBAL__N_120geam_min_plus_kernelId15HIP_vector_typeIdLj2EEdLi32ELi8ELi128ELi128ELi4ELi4ELi64ELi4ELi64ELc84ELc78ELb0ELb1ELb1EdKddEEviiiT16_PT17_ilS6_ilS4_S6_ilPT18_ili26rocblas_geam_ex_operation_
	.p2align	8
	.type	_ZN12_GLOBAL__N_120geam_min_plus_kernelId15HIP_vector_typeIdLj2EEdLi32ELi8ELi128ELi128ELi4ELi4ELi64ELi4ELi64ELc84ELc78ELb0ELb1ELb1EdKddEEviiiT16_PT17_ilS6_ilS4_S6_ilPT18_ili26rocblas_geam_ex_operation_,@function
_ZN12_GLOBAL__N_120geam_min_plus_kernelId15HIP_vector_typeIdLj2EEdLi32ELi8ELi128ELi128ELi4ELi4ELi64ELi4ELi64ELc84ELc78ELb0ELb1ELb1EdKddEEviiiT16_PT17_ilS6_ilS4_S6_ilPT18_ili26rocblas_geam_ex_operation_: ; @_ZN12_GLOBAL__N_120geam_min_plus_kernelId15HIP_vector_typeIdLj2EEdLi32ELi8ELi128ELi128ELi4ELi4ELi64ELi4ELi64ELc84ELc78ELb0ELb1ELb1EdKddEEviiiT16_PT17_ilS6_ilS4_S6_ilPT18_ili26rocblas_geam_ex_operation_
; %bb.0:
	s_load_dwordx4 s[24:27], s[0:1], 0x10
	s_load_dwordx4 s[4:7], s[0:1], 0x28
	s_mov_b64 s[34:35], 0
	s_waitcnt lgkmcnt(0)
	v_cmp_eq_f64_e64 s[8:9], s[24:25], 0
	s_and_b64 vcc, exec, s[8:9]
	s_cbranch_vccnz .LBB167_2
; %bb.1:
	s_mul_i32 s5, s3, s5
	s_mul_hi_u32 s10, s3, s4
	s_add_i32 s5, s10, s5
	s_mul_i32 s4, s3, s4
	s_lshl_b64 s[4:5], s[4:5], 3
	s_add_u32 s34, s26, s4
	s_addc_u32 s35, s27, s5
.LBB167_2:
	s_load_dwordx4 s[12:15], s[0:1], 0x40
	s_load_dwordx2 s[4:5], s[0:1], 0x50
	s_andn2_b64 vcc, exec, s[8:9]
	s_cbranch_vccnz .LBB167_4
; %bb.3:
	s_mov_b32 s29, 0
	s_mov_b64 s[36:37], 0
	s_cbranch_execz .LBB167_5
	s_branch .LBB167_6
.LBB167_4:
                                        ; implicit-def: $sgpr36_sgpr37
                                        ; implicit-def: $sgpr28_sgpr29
.LBB167_5:
	s_waitcnt lgkmcnt(0)
	s_mul_i32 s8, s3, s13
	s_mul_hi_u32 s9, s3, s12
	s_add_i32 s9, s9, s8
	s_mul_i32 s8, s3, s12
	s_lshl_b64 s[8:9], s[8:9], 3
	s_add_u32 s36, s6, s8
	s_mov_b32 s29, 0
	s_addc_u32 s37, s7, s9
.LBB167_6:
	s_load_dwordx4 s[20:23], s[0:1], 0x60
	s_waitcnt lgkmcnt(0)
	v_cmp_eq_f64_e64 s[6:7], s[14:15], 0
	s_mov_b64 s[26:27], 0
	v_cmp_neq_f64_e64 s[30:31], s[14:15], 0
	s_and_b64 vcc, exec, s[6:7]
	s_cbranch_vccnz .LBB167_8
; %bb.7:
	s_mul_i32 s6, s3, s21
	s_mul_hi_u32 s7, s3, s20
	s_add_i32 s6, s7, s6
	s_mul_i32 s7, s29, s20
	s_add_i32 s7, s6, s7
	s_mul_i32 s6, s3, s20
	s_lshl_b64 s[6:7], s[6:7], 3
	s_add_u32 s26, s4, s6
	s_addc_u32 s27, s5, s7
.LBB167_8:
	s_load_dwordx4 s[16:19], s[0:1], 0x0
	s_load_dword s39, s[0:1], 0x20
	v_and_b32_e32 v139, 0x3ff, v0
	v_bfe_u32 v140, v0, 10, 10
	v_and_b32_e32 v150, 3, v139
	s_waitcnt lgkmcnt(0)
	s_add_i32 s4, s16, -1
	s_ashr_i32 s5, s4, 31
	s_lshr_b32 s5, s5, 25
	s_add_i32 s4, s4, s5
	s_ashr_i32 s4, s4, 7
	s_add_i32 s5, s4, 1
	v_cvt_f32_u32_e32 v1, s5
	s_not_b32 s4, s4
	v_cmp_le_i32_e32 vcc, s18, v150
	v_cmp_eq_f64_e64 s[20:21], s[24:25], 0
	v_rcp_iflag_f32_e32 v0, v1
	v_lshl_add_u32 v1, v140, 5, v139
	v_lshrrev_b32_e32 v12, 2, v1
	v_mov_b32_e32 v2, 0x7fefffff
	v_mul_f32_e32 v0, 0x4f7ffffe, v0
	v_cvt_u32_f32_e32 v0, v0
	s_nop 0
	v_readfirstlane_b32 s6, v0
	s_mul_i32 s4, s4, s6
	s_mul_hi_u32 s4, s6, s4
	s_add_i32 s6, s6, s4
	s_mul_hi_u32 s4, s2, s6
	s_mul_i32 s6, s4, s5
	s_sub_i32 s6, s2, s6
	s_add_i32 s7, s4, 1
	s_sub_i32 s8, s6, s5
	s_cmp_ge_u32 s6, s5
	s_cselect_b32 s4, s7, s4
	s_cselect_b32 s6, s8, s6
	s_add_i32 s7, s4, 1
	s_cmp_ge_u32 s6, s5
	s_cselect_b32 s8, s7, s4
	s_mul_i32 s4, s8, s5
	s_sub_i32 s2, s2, s4
	s_lshl_b32 s2, s2, 7
	v_add_u32_e32 v80, s2, v12
	s_add_i32 s28, s18, -1
	v_cmp_le_i32_e64 s[10:11], s16, v80
	v_min_i32_e32 v4, s28, v150
	s_or_b64 s[4:5], vcc, s[10:11]
	v_ashrrev_i32_e32 v5, 31, v4
	s_or_b64 s[6:7], s[20:21], s[4:5]
	v_lshl_add_u64 v[6:7], v[4:5], 3, s[34:35]
	v_cndmask_b32_e64 v1, 0, v2, s[4:5]
	s_xor_b64 s[6:7], s[6:7], -1
	v_cndmask_b32_e64 v0, 0, -1, s[4:5]
	s_and_saveexec_b64 s[4:5], s[6:7]
	s_cbranch_execz .LBB167_10
; %bb.9:
	v_mad_i64_i32 v[0:1], s[6:7], v80, s39, 0
	v_lshl_add_u64 v[0:1], v[0:1], 3, v[6:7]
	flat_load_dwordx2 v[0:1], v[0:1]
	s_waitcnt vmcnt(0) lgkmcnt(0)
	v_mul_f64 v[0:1], v[0:1], s[24:25]
.LBB167_10:
	s_or_b64 exec, exec, s[4:5]
	v_add_u32_e32 v81, 64, v80
	v_cmp_le_i32_e64 s[4:5], s16, v81
	s_or_b64 s[6:7], vcc, s[4:5]
	s_or_b64 s[12:13], s[20:21], s[6:7]
	v_cndmask_b32_e64 v3, 0, v2, s[6:7]
	s_xor_b64 s[12:13], s[12:13], -1
	v_cndmask_b32_e64 v2, 0, -1, s[6:7]
	s_and_saveexec_b64 s[6:7], s[12:13]
	s_cbranch_execz .LBB167_12
; %bb.11:
	v_mad_i64_i32 v[2:3], s[12:13], v81, s39, 0
	v_lshl_add_u64 v[2:3], v[2:3], 3, v[6:7]
	flat_load_dwordx2 v[2:3], v[2:3]
	s_waitcnt vmcnt(0) lgkmcnt(0)
	v_mul_f64 v[2:3], v[2:3], s[24:25]
.LBB167_12:
	s_or_b64 exec, exec, s[6:7]
	s_lshl_b32 s19, s8, 7
	s_load_dword s40, s[0:1], 0x38
	v_add_u32_e32 v82, s19, v12
	v_cmp_le_i32_e64 s[6:7], s17, v82
	s_or_b64 s[8:9], vcc, s[6:7]
	v_mov_b32_e32 v6, 0x7fefffff
	s_or_b64 s[12:13], s[20:21], s[8:9]
	v_lshl_add_u64 v[8:9], v[4:5], 3, s[36:37]
	v_cndmask_b32_e64 v5, 0, v6, s[8:9]
	s_xor_b64 s[12:13], s[12:13], -1
	v_cndmask_b32_e64 v4, 0, -1, s[8:9]
	s_and_saveexec_b64 s[8:9], s[12:13]
	s_cbranch_execz .LBB167_14
; %bb.13:
	s_waitcnt lgkmcnt(0)
	v_mad_i64_i32 v[4:5], s[12:13], v82, s40, 0
	v_lshl_add_u64 v[4:5], v[4:5], 3, v[8:9]
	flat_load_dwordx2 v[4:5], v[4:5]
	s_waitcnt vmcnt(0) lgkmcnt(0)
	v_mul_f64 v[4:5], v[4:5], s[24:25]
.LBB167_14:
	s_or_b64 exec, exec, s[8:9]
	v_add_u32_e32 v83, 64, v82
	v_cmp_le_i32_e64 s[8:9], s17, v83
	s_or_b64 vcc, vcc, s[8:9]
	s_or_b64 s[12:13], s[20:21], vcc
	v_cndmask_b32_e32 v7, 0, v6, vcc
	s_xor_b64 s[42:43], s[12:13], -1
	v_cndmask_b32_e64 v6, 0, -1, vcc
	s_and_saveexec_b64 s[12:13], s[42:43]
	s_cbranch_execz .LBB167_16
; %bb.15:
	s_waitcnt lgkmcnt(0)
	v_mad_i64_i32 v[6:7], s[42:43], v83, s40, 0
	v_lshl_add_u64 v[6:7], v[6:7], 3, v[8:9]
	flat_load_dwordx2 v[6:7], v[6:7]
	s_waitcnt vmcnt(0) lgkmcnt(0)
	v_mul_f64 v[6:7], v[6:7], s[24:25]
.LBB167_16:
	s_or_b64 exec, exec, s[12:13]
	v_or_b32_e32 v8, 4, v150
	v_cmp_le_i32_e32 vcc, s18, v8
	v_min_i32_e32 v8, s28, v8
	s_or_b64 s[12:13], vcc, s[10:11]
	v_ashrrev_i32_e32 v9, 31, v8
	v_mov_b32_e32 v13, 0x7fefffff
	s_or_b64 s[42:43], s[20:21], s[12:13]
	v_lshl_add_u64 v[10:11], v[8:9], 3, s[34:35]
	v_cndmask_b32_e64 v73, 0, v13, s[12:13]
	s_xor_b64 s[42:43], s[42:43], -1
	v_cndmask_b32_e64 v72, 0, -1, s[12:13]
	s_and_saveexec_b64 s[12:13], s[42:43]
	s_cbranch_execz .LBB167_18
; %bb.17:
	v_mad_i64_i32 v[14:15], s[42:43], v80, s39, 0
	v_lshl_add_u64 v[14:15], v[14:15], 3, v[10:11]
	flat_load_dwordx2 v[14:15], v[14:15]
	s_waitcnt vmcnt(0) lgkmcnt(0)
	v_mul_f64 v[72:73], v[14:15], s[24:25]
.LBB167_18:
	s_or_b64 exec, exec, s[12:13]
	s_or_b64 s[12:13], vcc, s[4:5]
	s_or_b64 s[42:43], s[20:21], s[12:13]
	v_cndmask_b32_e64 v75, 0, v13, s[12:13]
	s_xor_b64 s[42:43], s[42:43], -1
	v_cndmask_b32_e64 v74, 0, -1, s[12:13]
	s_and_saveexec_b64 s[12:13], s[42:43]
	s_cbranch_execz .LBB167_20
; %bb.19:
	v_mad_i64_i32 v[14:15], s[42:43], v81, s39, 0
	v_lshl_add_u64 v[10:11], v[14:15], 3, v[10:11]
	flat_load_dwordx2 v[10:11], v[10:11]
	s_waitcnt vmcnt(0) lgkmcnt(0)
	v_mul_f64 v[74:75], v[10:11], s[24:25]
.LBB167_20:
	s_or_b64 exec, exec, s[12:13]
	s_or_b64 s[12:13], vcc, s[6:7]
	v_mov_b32_e32 v10, 0x7fefffff
	s_or_b64 s[42:43], s[20:21], s[12:13]
	v_lshl_add_u64 v[8:9], v[8:9], 3, s[36:37]
	v_cndmask_b32_e64 v77, 0, v10, s[12:13]
	s_xor_b64 s[42:43], s[42:43], -1
	v_cndmask_b32_e64 v76, 0, -1, s[12:13]
	s_and_saveexec_b64 s[12:13], s[42:43]
	s_cbranch_execz .LBB167_22
; %bb.21:
	s_waitcnt lgkmcnt(0)
	v_mad_i64_i32 v[14:15], s[42:43], v82, s40, 0
	v_lshl_add_u64 v[14:15], v[14:15], 3, v[8:9]
	flat_load_dwordx2 v[14:15], v[14:15]
	s_waitcnt vmcnt(0) lgkmcnt(0)
	v_mul_f64 v[76:77], v[14:15], s[24:25]
.LBB167_22:
	s_or_b64 exec, exec, s[12:13]
	s_or_b64 vcc, vcc, s[8:9]
	s_or_b64 s[12:13], s[20:21], vcc
	v_cndmask_b32_e32 v79, 0, v10, vcc
	s_xor_b64 s[42:43], s[12:13], -1
	s_mov_b32 s33, 0
	v_cndmask_b32_e64 v78, 0, -1, vcc
	s_and_saveexec_b64 s[12:13], s[42:43]
	s_cbranch_execz .LBB167_24
; %bb.23:
	s_waitcnt lgkmcnt(0)
	v_mad_i64_i32 v[10:11], s[42:43], v83, s40, 0
	v_lshl_add_u64 v[8:9], v[10:11], 3, v[8:9]
	flat_load_dwordx2 v[8:9], v[8:9]
	s_waitcnt vmcnt(0) lgkmcnt(0)
	v_mul_f64 v[78:79], v[8:9], s[24:25]
.LBB167_24:
	s_or_b64 exec, exec, s[12:13]
	v_lshlrev_b32_e32 v8, 3, v150
	v_lshl_or_b32 v151, v12, 5, v8
	v_add_u32_e32 v152, 0x2000, v151
	s_mov_b64 s[12:13], -1
	v_mov_b32_e32 v84, 0x7f800000
	v_mov_b32_e32 v85, 0x7f800000
	;; [unrolled: 1-line block ×64, first 2 shown]
	ds_write2st64_b64 v151, v[0:1], v[2:3] offset1:4
	ds_write2st64_b64 v151, v[4:5], v[6:7] offset0:16 offset1:20
	s_waitcnt lgkmcnt(0)
	s_barrier
.LBB167_25:                             ; =>This Inner Loop Header: Depth=1
	v_cndmask_b32_e64 v0, 0, 1, s[12:13]
	s_lshl_b32 s12, s33, 3
	v_cmp_ne_u32_e32 vcc, 1, v0
	v_lshl_add_u32 v0, v139, 5, s12
	ds_read_b128 v[12:15], v0
	ds_read_b128 v[8:11], v0 offset:1024
	ds_read_b128 v[4:7], v0 offset:2048
	;; [unrolled: 1-line block ×3, first 2 shown]
	v_lshl_add_u32 v16, v140, 5, s12
	ds_read_b128 v[154:157], v16 offset:8192
	ds_read_b128 v[158:161], v16 offset:8448
	;; [unrolled: 1-line block ×16, first 2 shown]
	s_waitcnt lgkmcnt(14)
	v_add_f64 v[162:163], v[14:15], v[156:157]
	v_add_f64 v[164:165], v[12:13], v[154:155]
	v_cvt_f32_f64_e32 v153, v[164:165]
	v_cvt_f32_f64_e32 v162, v[162:163]
	v_min3_f32 v149, v153, v162, v149
	v_add_f64 v[162:163], v[10:11], v[156:157]
	v_add_f64 v[164:165], v[8:9], v[154:155]
	v_cvt_f32_f64_e32 v153, v[164:165]
	v_cvt_f32_f64_e32 v162, v[162:163]
	v_min3_f32 v148, v153, v162, v148
	v_add_f64 v[162:163], v[6:7], v[156:157]
	v_add_f64 v[164:165], v[4:5], v[154:155]
	v_cvt_f32_f64_e32 v153, v[164:165]
	v_cvt_f32_f64_e32 v162, v[162:163]
	v_add_f64 v[156:157], v[2:3], v[156:157]
	v_add_f64 v[154:155], v[0:1], v[154:155]
	v_min3_f32 v147, v153, v162, v147
	v_cvt_f32_f64_e32 v153, v[154:155]
	v_cvt_f32_f64_e32 v154, v[156:157]
	v_min3_f32 v146, v153, v154, v146
	v_add_f64 v[154:155], v[14:15], v[160:161]
	v_add_f64 v[156:157], v[12:13], v[158:159]
	v_cvt_f32_f64_e32 v153, v[156:157]
	v_cvt_f32_f64_e32 v154, v[154:155]
	v_min3_f32 v145, v153, v154, v145
	v_add_f64 v[154:155], v[10:11], v[160:161]
	v_add_f64 v[156:157], v[8:9], v[158:159]
	;; [unrolled: 5-line block ×4, first 2 shown]
	v_cvt_f32_f64_e32 v153, v[156:157]
	v_cvt_f32_f64_e32 v154, v[154:155]
	v_min3_f32 v142, v153, v154, v142
	s_waitcnt lgkmcnt(13)
	v_add_f64 v[154:155], v[14:15], v[70:71]
	v_add_f64 v[156:157], v[12:13], v[68:69]
	v_cvt_f32_f64_e32 v153, v[156:157]
	v_cvt_f32_f64_e32 v154, v[154:155]
	v_min3_f32 v141, v153, v154, v141
	v_add_f64 v[154:155], v[10:11], v[70:71]
	v_add_f64 v[156:157], v[8:9], v[68:69]
	v_cvt_f32_f64_e32 v153, v[156:157]
	v_cvt_f32_f64_e32 v154, v[154:155]
	v_min3_f32 v138, v153, v154, v138
	v_add_f64 v[154:155], v[6:7], v[70:71]
	v_add_f64 v[156:157], v[4:5], v[68:69]
	v_add_f64 v[70:71], v[2:3], v[70:71]
	v_add_f64 v[68:69], v[0:1], v[68:69]
	v_cvt_f32_f64_e32 v68, v[68:69]
	v_cvt_f32_f64_e32 v69, v[70:71]
	v_min3_f32 v136, v68, v69, v136
	s_waitcnt lgkmcnt(12)
	v_add_f64 v[68:69], v[14:15], v[66:67]
	v_add_f64 v[70:71], v[12:13], v[64:65]
	v_cvt_f32_f64_e32 v70, v[70:71]
	v_cvt_f32_f64_e32 v68, v[68:69]
	v_min3_f32 v135, v70, v68, v135
	v_add_f64 v[68:69], v[10:11], v[66:67]
	v_add_f64 v[70:71], v[8:9], v[64:65]
	v_cvt_f32_f64_e32 v70, v[70:71]
	v_cvt_f32_f64_e32 v68, v[68:69]
	v_min3_f32 v134, v70, v68, v134
	v_add_f64 v[68:69], v[6:7], v[66:67]
	v_add_f64 v[70:71], v[4:5], v[64:65]
	v_add_f64 v[66:67], v[2:3], v[66:67]
	v_add_f64 v[64:65], v[0:1], v[64:65]
	;; [unrolled: 18-line block ×13, first 2 shown]
	s_waitcnt lgkmcnt(0)
	v_add_f64 v[14:15], v[14:15], v[18:19]
	v_add_f64 v[12:13], v[12:13], v[16:17]
	;; [unrolled: 1-line block ×8, first 2 shown]
	v_cvt_f32_f64_e32 v153, v[156:157]
	v_cvt_f32_f64_e32 v154, v[154:155]
	;; [unrolled: 1-line block ×36, first 2 shown]
	v_min3_f32 v137, v153, v154, v137
	v_min3_f32 v133, v70, v68, v133
	;; [unrolled: 1-line block ×18, first 2 shown]
	s_mov_b32 s33, 2
	s_mov_b64 s[12:13], 0
	s_cbranch_vccz .LBB167_25
; %bb.26:
	s_cmp_gt_i32 s18, 8
	s_mov_b32 s33, 8
	ds_write2st64_b64 v151, v[72:73], v[74:75] offset0:8 offset1:12
	ds_write2st64_b64 v151, v[76:77], v[78:79] offset0:24 offset1:28
	s_waitcnt lgkmcnt(0)
	s_barrier
	s_cbranch_scc0 .LBB167_49
; %bb.27:
	v_add_u32_e32 v153, 0x1000, v151
	v_add_u32_e32 v154, 0x3000, v151
	s_add_i32 s38, s18, -8
	v_mad_i64_i32 v[68:69], s[12:13], v80, s39, 0
	v_mad_i64_i32 v[70:71], s[12:13], v81, s39, 0
	;; [unrolled: 1-line block ×4, first 2 shown]
	s_mov_b32 s39, 0
	v_mov_b32_e32 v155, 0x7fefffff
.LBB167_28:                             ; =>This Loop Header: Depth=1
                                        ;     Child Loop BB167_37 Depth 2
                                        ;     Child Loop BB167_47 Depth 2
	v_or_b32_e32 v156, s33, v150
	v_cmp_le_i32_e32 vcc, s18, v156
	v_min_i32_e32 v0, s28, v156
	s_or_b64 s[12:13], s[10:11], vcc
	v_ashrrev_i32_e32 v1, 31, v0
	s_or_b64 s[40:41], s[20:21], s[12:13]
	v_lshl_add_u64 v[2:3], v[0:1], 3, s[34:35]
	v_cndmask_b32_e64 v77, 0, v155, s[12:13]
	s_xor_b64 s[40:41], s[40:41], -1
	v_cndmask_b32_e64 v76, 0, -1, s[12:13]
	s_and_saveexec_b64 s[12:13], s[40:41]
	s_cbranch_execz .LBB167_30
; %bb.29:                               ;   in Loop: Header=BB167_28 Depth=1
	v_lshl_add_u64 v[4:5], v[68:69], 3, v[2:3]
	flat_load_dwordx2 v[4:5], v[4:5]
	s_waitcnt vmcnt(0) lgkmcnt(0)
	v_mul_f64 v[76:77], v[4:5], s[24:25]
.LBB167_30:                             ;   in Loop: Header=BB167_28 Depth=1
	s_or_b64 exec, exec, s[12:13]
	s_or_b64 s[12:13], s[4:5], vcc
	s_or_b64 s[40:41], s[20:21], s[12:13]
	v_cndmask_b32_e64 v79, 0, v155, s[12:13]
	s_xor_b64 s[40:41], s[40:41], -1
	v_cndmask_b32_e64 v78, 0, -1, s[12:13]
	s_and_saveexec_b64 s[12:13], s[40:41]
	s_cbranch_execz .LBB167_32
; %bb.31:                               ;   in Loop: Header=BB167_28 Depth=1
	v_lshl_add_u64 v[2:3], v[70:71], 3, v[2:3]
	flat_load_dwordx2 v[2:3], v[2:3]
	s_waitcnt vmcnt(0) lgkmcnt(0)
	v_mul_f64 v[78:79], v[2:3], s[24:25]
.LBB167_32:                             ;   in Loop: Header=BB167_28 Depth=1
	s_or_b64 exec, exec, s[12:13]
	s_or_b64 s[12:13], s[6:7], vcc
	s_or_b64 s[40:41], s[20:21], s[12:13]
	v_lshl_add_u64 v[0:1], v[0:1], 3, s[36:37]
	v_cndmask_b32_e64 v81, 0, v155, s[12:13]
	s_xor_b64 s[40:41], s[40:41], -1
	v_cndmask_b32_e64 v80, 0, -1, s[12:13]
	s_and_saveexec_b64 s[12:13], s[40:41]
	s_cbranch_execz .LBB167_34
; %bb.33:                               ;   in Loop: Header=BB167_28 Depth=1
	v_lshl_add_u64 v[2:3], v[72:73], 3, v[0:1]
	flat_load_dwordx2 v[2:3], v[2:3]
	s_waitcnt vmcnt(0) lgkmcnt(0)
	v_mul_f64 v[80:81], v[2:3], s[24:25]
.LBB167_34:                             ;   in Loop: Header=BB167_28 Depth=1
	s_or_b64 exec, exec, s[12:13]
	s_or_b64 vcc, s[8:9], vcc
	s_or_b64 s[12:13], s[20:21], vcc
	v_cndmask_b32_e32 v83, 0, v155, vcc
	s_xor_b64 s[40:41], s[12:13], -1
	v_cndmask_b32_e64 v82, 0, -1, vcc
	s_and_saveexec_b64 s[12:13], s[40:41]
	s_cbranch_execz .LBB167_36
; %bb.35:                               ;   in Loop: Header=BB167_28 Depth=1
	v_lshl_add_u64 v[0:1], v[74:75], 3, v[0:1]
	flat_load_dwordx2 v[0:1], v[0:1]
	s_waitcnt vmcnt(0) lgkmcnt(0)
	v_mul_f64 v[82:83], v[0:1], s[24:25]
.LBB167_36:                             ;   in Loop: Header=BB167_28 Depth=1
	s_or_b64 exec, exec, s[12:13]
	s_mov_b32 s40, 0
	s_mov_b64 s[12:13], -1
.LBB167_37:                             ;   Parent Loop BB167_28 Depth=1
                                        ; =>  This Inner Loop Header: Depth=2
	v_cndmask_b32_e64 v0, 0, 1, s[12:13]
	s_lshl_b32 s12, s40, 3
	v_cmp_ne_u32_e32 vcc, 1, v0
	v_lshl_add_u32 v0, v139, 5, s12
	ds_read_b128 v[12:15], v0 offset:4096
	ds_read_b128 v[8:11], v0 offset:5120
	;; [unrolled: 1-line block ×4, first 2 shown]
	v_lshl_add_u32 v16, v140, 5, s12
	ds_read_b128 v[158:161], v16 offset:12288
	ds_read_b128 v[162:165], v16 offset:12544
	ds_read_b128 v[166:169], v16 offset:12800
	ds_read_b128 v[64:67], v16 offset:13056
	ds_read_b128 v[60:63], v16 offset:13312
	ds_read_b128 v[56:59], v16 offset:13568
	ds_read_b128 v[52:55], v16 offset:13824
	ds_read_b128 v[48:51], v16 offset:14080
	ds_read_b128 v[44:47], v16 offset:14336
	ds_read_b128 v[40:43], v16 offset:14592
	ds_read_b128 v[36:39], v16 offset:14848
	ds_read_b128 v[32:35], v16 offset:15104
	ds_read_b128 v[28:31], v16 offset:15360
	ds_read_b128 v[24:27], v16 offset:15616
	ds_read_b128 v[20:23], v16 offset:15872
	ds_read_b128 v[16:19], v16 offset:16128
	s_waitcnt lgkmcnt(14)
	v_add_f64 v[170:171], v[14:15], v[160:161]
	v_add_f64 v[172:173], v[12:13], v[158:159]
	v_cvt_f32_f64_e32 v157, v[172:173]
	v_cvt_f32_f64_e32 v170, v[170:171]
	v_min3_f32 v149, v157, v170, v149
	v_add_f64 v[170:171], v[10:11], v[160:161]
	v_add_f64 v[172:173], v[8:9], v[158:159]
	v_cvt_f32_f64_e32 v157, v[172:173]
	v_cvt_f32_f64_e32 v170, v[170:171]
	v_min3_f32 v148, v157, v170, v148
	v_add_f64 v[170:171], v[6:7], v[160:161]
	v_add_f64 v[172:173], v[4:5], v[158:159]
	v_cvt_f32_f64_e32 v157, v[172:173]
	v_cvt_f32_f64_e32 v170, v[170:171]
	v_add_f64 v[160:161], v[2:3], v[160:161]
	v_add_f64 v[158:159], v[0:1], v[158:159]
	v_min3_f32 v147, v157, v170, v147
	v_cvt_f32_f64_e32 v157, v[158:159]
	v_cvt_f32_f64_e32 v158, v[160:161]
	v_min3_f32 v146, v157, v158, v146
	v_add_f64 v[158:159], v[14:15], v[164:165]
	v_add_f64 v[160:161], v[12:13], v[162:163]
	v_cvt_f32_f64_e32 v157, v[160:161]
	v_cvt_f32_f64_e32 v158, v[158:159]
	v_min3_f32 v145, v157, v158, v145
	v_add_f64 v[158:159], v[10:11], v[164:165]
	v_add_f64 v[160:161], v[8:9], v[162:163]
	v_cvt_f32_f64_e32 v157, v[160:161]
	v_cvt_f32_f64_e32 v158, v[158:159]
	v_min3_f32 v144, v157, v158, v144
	v_add_f64 v[158:159], v[6:7], v[164:165]
	v_add_f64 v[160:161], v[4:5], v[162:163]
	v_cvt_f32_f64_e32 v157, v[160:161]
	v_cvt_f32_f64_e32 v158, v[158:159]
	v_min3_f32 v143, v157, v158, v143
	v_add_f64 v[158:159], v[2:3], v[164:165]
	v_add_f64 v[160:161], v[0:1], v[162:163]
	v_cvt_f32_f64_e32 v157, v[160:161]
	v_cvt_f32_f64_e32 v158, v[158:159]
	v_min3_f32 v142, v157, v158, v142
	s_waitcnt lgkmcnt(13)
	v_add_f64 v[158:159], v[14:15], v[168:169]
	v_add_f64 v[160:161], v[12:13], v[166:167]
	v_cvt_f32_f64_e32 v157, v[160:161]
	v_cvt_f32_f64_e32 v158, v[158:159]
	v_min3_f32 v141, v157, v158, v141
	v_add_f64 v[158:159], v[10:11], v[168:169]
	v_add_f64 v[160:161], v[8:9], v[166:167]
	v_cvt_f32_f64_e32 v157, v[160:161]
	v_cvt_f32_f64_e32 v158, v[158:159]
	v_min3_f32 v138, v157, v158, v138
	;; [unrolled: 5-line block ×4, first 2 shown]
	s_waitcnt lgkmcnt(12)
	v_add_f64 v[158:159], v[14:15], v[66:67]
	v_add_f64 v[160:161], v[12:13], v[64:65]
	v_cvt_f32_f64_e32 v157, v[160:161]
	v_cvt_f32_f64_e32 v158, v[158:159]
	v_min3_f32 v135, v157, v158, v135
	v_add_f64 v[158:159], v[10:11], v[66:67]
	v_add_f64 v[160:161], v[8:9], v[64:65]
	v_cvt_f32_f64_e32 v157, v[160:161]
	v_cvt_f32_f64_e32 v158, v[158:159]
	v_min3_f32 v134, v157, v158, v134
	v_add_f64 v[158:159], v[6:7], v[66:67]
	v_add_f64 v[160:161], v[4:5], v[64:65]
	v_add_f64 v[66:67], v[2:3], v[66:67]
	v_add_f64 v[64:65], v[0:1], v[64:65]
	v_cvt_f32_f64_e32 v64, v[64:65]
	v_cvt_f32_f64_e32 v65, v[66:67]
	v_min3_f32 v132, v64, v65, v132
	s_waitcnt lgkmcnt(11)
	v_add_f64 v[64:65], v[14:15], v[62:63]
	v_add_f64 v[66:67], v[12:13], v[60:61]
	v_cvt_f32_f64_e32 v66, v[66:67]
	v_cvt_f32_f64_e32 v64, v[64:65]
	v_min3_f32 v131, v66, v64, v131
	v_add_f64 v[64:65], v[10:11], v[62:63]
	v_add_f64 v[66:67], v[8:9], v[60:61]
	v_cvt_f32_f64_e32 v66, v[66:67]
	v_cvt_f32_f64_e32 v64, v[64:65]
	v_min3_f32 v130, v66, v64, v130
	v_add_f64 v[64:65], v[6:7], v[62:63]
	v_add_f64 v[66:67], v[4:5], v[60:61]
	v_add_f64 v[62:63], v[2:3], v[62:63]
	v_add_f64 v[60:61], v[0:1], v[60:61]
	v_cvt_f32_f64_e32 v60, v[60:61]
	v_cvt_f32_f64_e32 v61, v[62:63]
	v_min3_f32 v128, v60, v61, v128
	;; [unrolled: 18-line block ×11, first 2 shown]
	s_waitcnt lgkmcnt(1)
	v_add_f64 v[24:25], v[14:15], v[22:23]
	v_add_f64 v[26:27], v[12:13], v[20:21]
	v_cvt_f32_f64_e32 v26, v[26:27]
	v_cvt_f32_f64_e32 v24, v[24:25]
	v_min3_f32 v91, v26, v24, v91
	v_add_f64 v[24:25], v[10:11], v[22:23]
	v_add_f64 v[26:27], v[8:9], v[20:21]
	v_cvt_f32_f64_e32 v26, v[26:27]
	v_cvt_f32_f64_e32 v24, v[24:25]
	v_min3_f32 v90, v26, v24, v90
	v_add_f64 v[24:25], v[6:7], v[22:23]
	v_add_f64 v[26:27], v[4:5], v[20:21]
	;; [unrolled: 1-line block ×4, first 2 shown]
	s_waitcnt lgkmcnt(0)
	v_add_f64 v[14:15], v[14:15], v[18:19]
	v_add_f64 v[12:13], v[12:13], v[16:17]
	;; [unrolled: 1-line block ×8, first 2 shown]
	v_cvt_f32_f64_e32 v157, v[160:161]
	v_cvt_f32_f64_e32 v158, v[158:159]
	;; [unrolled: 1-line block ×34, first 2 shown]
	v_min3_f32 v133, v157, v158, v133
	v_min3_f32 v129, v66, v64, v129
	;; [unrolled: 1-line block ×17, first 2 shown]
	s_mov_b32 s40, 2
	s_mov_b64 s[12:13], 0
	s_cbranch_vccz .LBB167_37
; %bb.38:                               ;   in Loop: Header=BB167_28 Depth=1
	v_or_b32_e32 v0, 4, v156
	v_cmp_le_i32_e32 vcc, s18, v0
	v_min_i32_e32 v0, s28, v0
	s_or_b64 s[12:13], s[10:11], vcc
	v_ashrrev_i32_e32 v1, 31, v0
	s_or_b64 s[40:41], s[20:21], s[12:13]
	ds_write2st64_b64 v151, v[76:77], v[78:79] offset1:4
	ds_write2st64_b64 v152, v[80:81], v[82:83] offset1:4
	v_lshl_add_u64 v[2:3], v[0:1], 3, s[34:35]
	v_cndmask_b32_e64 v77, 0, v155, s[12:13]
	s_xor_b64 s[40:41], s[40:41], -1
	v_cndmask_b32_e64 v76, 0, -1, s[12:13]
	s_waitcnt lgkmcnt(0)
	s_barrier
	s_and_saveexec_b64 s[12:13], s[40:41]
	s_cbranch_execz .LBB167_40
; %bb.39:                               ;   in Loop: Header=BB167_28 Depth=1
	v_lshl_add_u64 v[4:5], v[68:69], 3, v[2:3]
	flat_load_dwordx2 v[4:5], v[4:5]
	s_waitcnt vmcnt(0) lgkmcnt(0)
	v_mul_f64 v[76:77], v[4:5], s[24:25]
.LBB167_40:                             ;   in Loop: Header=BB167_28 Depth=1
	s_or_b64 exec, exec, s[12:13]
	s_or_b64 s[12:13], s[4:5], vcc
	s_or_b64 s[40:41], s[20:21], s[12:13]
	v_cndmask_b32_e64 v79, 0, v155, s[12:13]
	s_xor_b64 s[40:41], s[40:41], -1
	v_cndmask_b32_e64 v78, 0, -1, s[12:13]
	s_and_saveexec_b64 s[12:13], s[40:41]
	s_cbranch_execz .LBB167_42
; %bb.41:                               ;   in Loop: Header=BB167_28 Depth=1
	v_lshl_add_u64 v[2:3], v[70:71], 3, v[2:3]
	flat_load_dwordx2 v[2:3], v[2:3]
	s_waitcnt vmcnt(0) lgkmcnt(0)
	v_mul_f64 v[78:79], v[2:3], s[24:25]
.LBB167_42:                             ;   in Loop: Header=BB167_28 Depth=1
	s_or_b64 exec, exec, s[12:13]
	s_or_b64 s[12:13], s[6:7], vcc
	s_or_b64 s[40:41], s[20:21], s[12:13]
	v_lshl_add_u64 v[0:1], v[0:1], 3, s[36:37]
	v_cndmask_b32_e64 v81, 0, v155, s[12:13]
	s_xor_b64 s[40:41], s[40:41], -1
	v_cndmask_b32_e64 v80, 0, -1, s[12:13]
	s_and_saveexec_b64 s[12:13], s[40:41]
	s_cbranch_execz .LBB167_44
; %bb.43:                               ;   in Loop: Header=BB167_28 Depth=1
	v_lshl_add_u64 v[2:3], v[72:73], 3, v[0:1]
	flat_load_dwordx2 v[2:3], v[2:3]
	s_waitcnt vmcnt(0) lgkmcnt(0)
	v_mul_f64 v[80:81], v[2:3], s[24:25]
.LBB167_44:                             ;   in Loop: Header=BB167_28 Depth=1
	s_or_b64 exec, exec, s[12:13]
	s_or_b64 vcc, s[8:9], vcc
	s_or_b64 s[12:13], s[20:21], vcc
	v_cndmask_b32_e32 v83, 0, v155, vcc
	s_xor_b64 s[40:41], s[12:13], -1
	v_cndmask_b32_e64 v82, 0, -1, vcc
	s_and_saveexec_b64 s[12:13], s[40:41]
	s_cbranch_execz .LBB167_46
; %bb.45:                               ;   in Loop: Header=BB167_28 Depth=1
	v_lshl_add_u64 v[0:1], v[74:75], 3, v[0:1]
	flat_load_dwordx2 v[0:1], v[0:1]
	s_waitcnt vmcnt(0) lgkmcnt(0)
	v_mul_f64 v[82:83], v[0:1], s[24:25]
.LBB167_46:                             ;   in Loop: Header=BB167_28 Depth=1
	s_or_b64 exec, exec, s[12:13]
	s_mov_b32 s40, 0
	s_mov_b64 s[12:13], -1
.LBB167_47:                             ;   Parent Loop BB167_28 Depth=1
                                        ; =>  This Inner Loop Header: Depth=2
	v_cndmask_b32_e64 v0, 0, 1, s[12:13]
	s_lshl_b32 s12, s40, 3
	v_cmp_ne_u32_e32 vcc, 1, v0
	v_lshl_add_u32 v0, v139, 5, s12
	ds_read_b128 v[12:15], v0
	ds_read_b128 v[8:11], v0 offset:1024
	ds_read_b128 v[4:7], v0 offset:2048
	;; [unrolled: 1-line block ×3, first 2 shown]
	v_lshl_add_u32 v16, v140, 5, s12
	ds_read_b128 v[156:159], v16 offset:8192
	ds_read_b128 v[160:163], v16 offset:8448
	;; [unrolled: 1-line block ×16, first 2 shown]
	s_waitcnt lgkmcnt(14)
	v_add_f64 v[168:169], v[14:15], v[158:159]
	v_add_f64 v[170:171], v[12:13], v[156:157]
	v_cvt_f32_f64_e32 v170, v[170:171]
	v_cvt_f32_f64_e32 v168, v[168:169]
	v_min3_f32 v149, v170, v168, v149
	v_add_f64 v[168:169], v[10:11], v[158:159]
	v_add_f64 v[170:171], v[8:9], v[156:157]
	v_cvt_f32_f64_e32 v170, v[170:171]
	v_cvt_f32_f64_e32 v168, v[168:169]
	v_min3_f32 v148, v170, v168, v148
	v_add_f64 v[168:169], v[6:7], v[158:159]
	v_add_f64 v[170:171], v[4:5], v[156:157]
	;; [unrolled: 1-line block ×4, first 2 shown]
	v_cvt_f32_f64_e32 v156, v[156:157]
	v_cvt_f32_f64_e32 v157, v[158:159]
	v_min3_f32 v146, v156, v157, v146
	v_add_f64 v[156:157], v[14:15], v[162:163]
	v_add_f64 v[158:159], v[12:13], v[160:161]
	v_cvt_f32_f64_e32 v158, v[158:159]
	v_cvt_f32_f64_e32 v156, v[156:157]
	v_min3_f32 v145, v158, v156, v145
	v_add_f64 v[156:157], v[10:11], v[162:163]
	v_add_f64 v[158:159], v[8:9], v[160:161]
	v_cvt_f32_f64_e32 v158, v[158:159]
	v_cvt_f32_f64_e32 v156, v[156:157]
	v_min3_f32 v144, v158, v156, v144
	v_add_f64 v[156:157], v[6:7], v[162:163]
	v_add_f64 v[158:159], v[4:5], v[160:161]
	v_cvt_f32_f64_e32 v158, v[158:159]
	v_cvt_f32_f64_e32 v156, v[156:157]
	v_min3_f32 v143, v158, v156, v143
	v_add_f64 v[156:157], v[2:3], v[162:163]
	v_add_f64 v[158:159], v[0:1], v[160:161]
	v_cvt_f32_f64_e32 v158, v[158:159]
	v_cvt_f32_f64_e32 v156, v[156:157]
	v_min3_f32 v142, v158, v156, v142
	s_waitcnt lgkmcnt(13)
	v_add_f64 v[156:157], v[14:15], v[166:167]
	v_add_f64 v[158:159], v[12:13], v[164:165]
	v_cvt_f32_f64_e32 v158, v[158:159]
	v_cvt_f32_f64_e32 v156, v[156:157]
	v_min3_f32 v141, v158, v156, v141
	v_add_f64 v[156:157], v[10:11], v[166:167]
	v_add_f64 v[158:159], v[8:9], v[164:165]
	v_cvt_f32_f64_e32 v158, v[158:159]
	v_cvt_f32_f64_e32 v156, v[156:157]
	v_min3_f32 v138, v158, v156, v138
	v_add_f64 v[156:157], v[6:7], v[166:167]
	v_add_f64 v[158:159], v[4:5], v[164:165]
	v_cvt_f32_f64_e32 v158, v[158:159]
	v_cvt_f32_f64_e32 v156, v[156:157]
	v_min3_f32 v137, v158, v156, v137
	v_add_f64 v[156:157], v[2:3], v[166:167]
	v_add_f64 v[158:159], v[0:1], v[164:165]
	v_cvt_f32_f64_e32 v158, v[158:159]
	v_cvt_f32_f64_e32 v156, v[156:157]
	v_min3_f32 v136, v158, v156, v136
	s_waitcnt lgkmcnt(12)
	v_add_f64 v[156:157], v[14:15], v[66:67]
	v_add_f64 v[158:159], v[12:13], v[64:65]
	v_cvt_f32_f64_e32 v158, v[158:159]
	v_cvt_f32_f64_e32 v156, v[156:157]
	v_min3_f32 v135, v158, v156, v135
	v_add_f64 v[156:157], v[10:11], v[66:67]
	v_add_f64 v[158:159], v[8:9], v[64:65]
	v_cvt_f32_f64_e32 v158, v[158:159]
	v_cvt_f32_f64_e32 v156, v[156:157]
	v_min3_f32 v134, v158, v156, v134
	v_add_f64 v[156:157], v[6:7], v[66:67]
	v_add_f64 v[158:159], v[4:5], v[64:65]
	v_add_f64 v[66:67], v[2:3], v[66:67]
	v_add_f64 v[64:65], v[0:1], v[64:65]
	v_cvt_f32_f64_e32 v64, v[64:65]
	v_cvt_f32_f64_e32 v65, v[66:67]
	v_min3_f32 v132, v64, v65, v132
	s_waitcnt lgkmcnt(11)
	v_add_f64 v[64:65], v[14:15], v[62:63]
	v_add_f64 v[66:67], v[12:13], v[60:61]
	v_cvt_f32_f64_e32 v66, v[66:67]
	v_cvt_f32_f64_e32 v64, v[64:65]
	v_min3_f32 v131, v66, v64, v131
	v_add_f64 v[64:65], v[10:11], v[62:63]
	v_add_f64 v[66:67], v[8:9], v[60:61]
	v_cvt_f32_f64_e32 v66, v[66:67]
	v_cvt_f32_f64_e32 v64, v[64:65]
	v_min3_f32 v130, v66, v64, v130
	v_add_f64 v[64:65], v[6:7], v[62:63]
	v_add_f64 v[66:67], v[4:5], v[60:61]
	v_add_f64 v[62:63], v[2:3], v[62:63]
	v_add_f64 v[60:61], v[0:1], v[60:61]
	v_cvt_f32_f64_e32 v60, v[60:61]
	v_cvt_f32_f64_e32 v61, v[62:63]
	v_min3_f32 v128, v60, v61, v128
	;; [unrolled: 18-line block ×11, first 2 shown]
	s_waitcnt lgkmcnt(1)
	v_add_f64 v[24:25], v[14:15], v[22:23]
	v_add_f64 v[26:27], v[12:13], v[20:21]
	v_cvt_f32_f64_e32 v26, v[26:27]
	v_cvt_f32_f64_e32 v24, v[24:25]
	v_min3_f32 v91, v26, v24, v91
	v_add_f64 v[24:25], v[10:11], v[22:23]
	v_add_f64 v[26:27], v[8:9], v[20:21]
	v_cvt_f32_f64_e32 v26, v[26:27]
	v_cvt_f32_f64_e32 v24, v[24:25]
	v_min3_f32 v90, v26, v24, v90
	v_add_f64 v[24:25], v[6:7], v[22:23]
	v_add_f64 v[26:27], v[4:5], v[20:21]
	;; [unrolled: 1-line block ×4, first 2 shown]
	s_waitcnt lgkmcnt(0)
	v_add_f64 v[14:15], v[14:15], v[18:19]
	v_add_f64 v[12:13], v[12:13], v[16:17]
	;; [unrolled: 1-line block ×8, first 2 shown]
	v_cvt_f32_f64_e32 v170, v[170:171]
	v_cvt_f32_f64_e32 v168, v[168:169]
	;; [unrolled: 1-line block ×36, first 2 shown]
	v_min3_f32 v147, v170, v168, v147
	v_min3_f32 v133, v158, v156, v133
	;; [unrolled: 1-line block ×18, first 2 shown]
	s_mov_b32 s40, 2
	s_mov_b64 s[12:13], 0
	s_cbranch_vccz .LBB167_47
; %bb.48:                               ;   in Loop: Header=BB167_28 Depth=1
	s_add_i32 s33, s33, 8
	s_add_i32 s39, s39, 8
	s_cmp_ge_i32 s39, s38
	ds_write2st64_b64 v153, v[76:77], v[78:79] offset1:4
	ds_write2st64_b64 v154, v[80:81], v[82:83] offset1:4
	s_waitcnt lgkmcnt(0)
	s_barrier
	s_cbranch_scc0 .LBB167_28
.LBB167_49:
	s_mov_b32 s6, 0
	s_mov_b64 s[4:5], -1
.LBB167_50:                             ; =>This Inner Loop Header: Depth=1
	v_cndmask_b32_e64 v0, 0, 1, s[4:5]
	s_lshl_b32 s4, s6, 3
	v_cmp_ne_u32_e32 vcc, 1, v0
	v_lshl_add_u32 v0, v139, 5, s4
	ds_read_b128 v[12:15], v0 offset:4096
	ds_read_b128 v[8:11], v0 offset:5120
	;; [unrolled: 1-line block ×4, first 2 shown]
	v_lshl_add_u32 v16, v140, 5, s4
	ds_read_b128 v[68:71], v16 offset:12288
	ds_read_b128 v[72:75], v16 offset:12544
	;; [unrolled: 1-line block ×16, first 2 shown]
	s_waitcnt lgkmcnt(14)
	v_add_f64 v[80:81], v[14:15], v[70:71]
	v_add_f64 v[82:83], v[12:13], v[68:69]
	v_cvt_f32_f64_e32 v82, v[82:83]
	v_cvt_f32_f64_e32 v80, v[80:81]
	v_min3_f32 v149, v82, v80, v149
	v_add_f64 v[80:81], v[10:11], v[70:71]
	v_add_f64 v[82:83], v[8:9], v[68:69]
	v_cvt_f32_f64_e32 v82, v[82:83]
	v_cvt_f32_f64_e32 v80, v[80:81]
	v_min3_f32 v148, v82, v80, v148
	v_add_f64 v[80:81], v[6:7], v[70:71]
	v_add_f64 v[82:83], v[4:5], v[68:69]
	;; [unrolled: 1-line block ×4, first 2 shown]
	v_cvt_f32_f64_e32 v68, v[68:69]
	v_cvt_f32_f64_e32 v69, v[70:71]
	v_min3_f32 v146, v68, v69, v146
	v_add_f64 v[68:69], v[14:15], v[74:75]
	v_add_f64 v[70:71], v[12:13], v[72:73]
	v_cvt_f32_f64_e32 v70, v[70:71]
	v_cvt_f32_f64_e32 v68, v[68:69]
	v_min3_f32 v145, v70, v68, v145
	v_add_f64 v[68:69], v[10:11], v[74:75]
	v_add_f64 v[70:71], v[8:9], v[72:73]
	;; [unrolled: 5-line block ×4, first 2 shown]
	v_cvt_f32_f64_e32 v70, v[70:71]
	v_cvt_f32_f64_e32 v68, v[68:69]
	v_min3_f32 v142, v70, v68, v142
	s_waitcnt lgkmcnt(13)
	v_add_f64 v[68:69], v[14:15], v[78:79]
	v_add_f64 v[70:71], v[12:13], v[76:77]
	v_cvt_f32_f64_e32 v70, v[70:71]
	v_cvt_f32_f64_e32 v68, v[68:69]
	v_min3_f32 v141, v70, v68, v141
	v_add_f64 v[68:69], v[10:11], v[78:79]
	v_add_f64 v[70:71], v[8:9], v[76:77]
	v_cvt_f32_f64_e32 v70, v[70:71]
	v_cvt_f32_f64_e32 v68, v[68:69]
	v_min3_f32 v138, v70, v68, v138
	;; [unrolled: 5-line block ×4, first 2 shown]
	s_waitcnt lgkmcnt(12)
	v_add_f64 v[68:69], v[14:15], v[66:67]
	v_add_f64 v[70:71], v[12:13], v[64:65]
	v_cvt_f32_f64_e32 v70, v[70:71]
	v_cvt_f32_f64_e32 v68, v[68:69]
	v_min3_f32 v135, v70, v68, v135
	v_add_f64 v[68:69], v[10:11], v[66:67]
	v_add_f64 v[70:71], v[8:9], v[64:65]
	v_cvt_f32_f64_e32 v70, v[70:71]
	v_cvt_f32_f64_e32 v68, v[68:69]
	v_min3_f32 v134, v70, v68, v134
	v_add_f64 v[68:69], v[6:7], v[66:67]
	v_add_f64 v[70:71], v[4:5], v[64:65]
	v_add_f64 v[66:67], v[2:3], v[66:67]
	v_add_f64 v[64:65], v[0:1], v[64:65]
	v_cvt_f32_f64_e32 v64, v[64:65]
	v_cvt_f32_f64_e32 v65, v[66:67]
	v_min3_f32 v132, v64, v65, v132
	s_waitcnt lgkmcnt(11)
	v_add_f64 v[64:65], v[14:15], v[62:63]
	v_add_f64 v[66:67], v[12:13], v[60:61]
	v_cvt_f32_f64_e32 v66, v[66:67]
	v_cvt_f32_f64_e32 v64, v[64:65]
	v_min3_f32 v131, v66, v64, v131
	v_add_f64 v[64:65], v[10:11], v[62:63]
	v_add_f64 v[66:67], v[8:9], v[60:61]
	v_cvt_f32_f64_e32 v66, v[66:67]
	v_cvt_f32_f64_e32 v64, v[64:65]
	v_min3_f32 v130, v66, v64, v130
	v_add_f64 v[64:65], v[6:7], v[62:63]
	v_add_f64 v[66:67], v[4:5], v[60:61]
	v_add_f64 v[62:63], v[2:3], v[62:63]
	v_add_f64 v[60:61], v[0:1], v[60:61]
	v_cvt_f32_f64_e32 v60, v[60:61]
	v_cvt_f32_f64_e32 v61, v[62:63]
	v_min3_f32 v128, v60, v61, v128
	;; [unrolled: 18-line block ×11, first 2 shown]
	s_waitcnt lgkmcnt(1)
	v_add_f64 v[24:25], v[14:15], v[22:23]
	v_add_f64 v[26:27], v[12:13], v[20:21]
	v_cvt_f32_f64_e32 v26, v[26:27]
	v_cvt_f32_f64_e32 v24, v[24:25]
	v_min3_f32 v91, v26, v24, v91
	v_add_f64 v[24:25], v[10:11], v[22:23]
	v_add_f64 v[26:27], v[8:9], v[20:21]
	v_cvt_f32_f64_e32 v26, v[26:27]
	v_cvt_f32_f64_e32 v24, v[24:25]
	v_min3_f32 v90, v26, v24, v90
	v_add_f64 v[24:25], v[6:7], v[22:23]
	v_add_f64 v[26:27], v[4:5], v[20:21]
	;; [unrolled: 1-line block ×4, first 2 shown]
	s_waitcnt lgkmcnt(0)
	v_add_f64 v[14:15], v[14:15], v[18:19]
	v_add_f64 v[12:13], v[12:13], v[16:17]
	;; [unrolled: 1-line block ×8, first 2 shown]
	v_cvt_f32_f64_e32 v82, v[82:83]
	v_cvt_f32_f64_e32 v80, v[80:81]
	;; [unrolled: 1-line block ×36, first 2 shown]
	v_min3_f32 v147, v82, v80, v147
	v_min3_f32 v133, v70, v68, v133
	;; [unrolled: 1-line block ×18, first 2 shown]
	s_mov_b32 s6, 2
	s_mov_b64 s[4:5], 0
	s_cbranch_vccz .LBB167_50
; %bb.51:
	s_load_dwordx2 s[4:5], s[0:1], 0x78
	s_load_dword s21, s[0:1], 0x58
	s_load_dword s20, s[0:1], 0x70
	v_add_u32_e32 v14, s19, v140
	v_add_u32_e32 v0, s2, v139
	s_waitcnt lgkmcnt(0)
	s_mul_i32 s0, s3, s5
	s_mul_hi_u32 s1, s3, s4
	s_mul_i32 s5, s29, s4
	s_add_i32 s0, s1, s0
	s_add_i32 s1, s0, s5
	s_mul_i32 s0, s3, s4
	s_lshl_b64 s[0:1], s[0:1], 3
	s_add_u32 s12, s22, s0
	s_addc_u32 s13, s23, s1
	v_mad_i64_i32 v[2:3], s[0:1], v14, s21, 0
	v_lshl_add_u64 v[10:11], v[2:3], 3, s[26:27]
	v_mad_i64_i32 v[2:3], s[0:1], v14, s20, 0
	v_cmp_gt_i32_e64 s[2:3], s16, v0
	v_cmp_gt_i32_e64 s[10:11], s17, v14
	v_lshl_add_u64 v[8:9], v[2:3], 3, s[12:13]
	v_cndmask_b32_e64 v2, 0, 1, s[30:31]
	v_ashrrev_i32_e32 v1, 31, v0
	s_and_b64 s[6:7], s[2:3], s[10:11]
	v_cmp_ne_u32_e64 s[0:1], 1, v2
	s_and_saveexec_b64 s[4:5], s[6:7]
	s_cbranch_execz .LBB167_56
; %bb.52:
	s_and_b64 vcc, exec, s[0:1]
	s_cbranch_vccnz .LBB167_54
; %bb.53:
	v_lshl_add_u64 v[2:3], v[0:1], 3, v[10:11]
	flat_load_dwordx2 v[2:3], v[2:3]
	s_waitcnt vmcnt(0) lgkmcnt(0)
	v_mul_f64 v[2:3], v[2:3], s[14:15]
	s_branch .LBB167_55
.LBB167_54:
	v_mov_b64_e32 v[2:3], 0
.LBB167_55:
	v_cvt_f32_f64_e32 v2, v[2:3]
	v_max_f32_e32 v3, v149, v149
	v_min_f32_e32 v2, v2, v3
	v_cvt_f64_f32_e32 v[2:3], v2
	v_lshl_add_u64 v[4:5], v[0:1], 3, v[8:9]
	global_store_dwordx2 v[4:5], v[2:3], off
.LBB167_56:
	s_or_b64 exec, exec, s[4:5]
	v_add_u32_e32 v2, 32, v0
	v_cmp_gt_i32_e64 s[4:5], s16, v2
	v_ashrrev_i32_e32 v3, 31, v2
	s_and_b64 s[8:9], s[4:5], s[10:11]
	s_and_saveexec_b64 s[6:7], s[8:9]
	s_cbranch_execz .LBB167_61
; %bb.57:
	s_and_b64 vcc, exec, s[0:1]
	s_cbranch_vccnz .LBB167_59
; %bb.58:
	v_lshl_add_u64 v[4:5], v[2:3], 3, v[10:11]
	flat_load_dwordx2 v[4:5], v[4:5]
	s_waitcnt vmcnt(0) lgkmcnt(0)
	v_mul_f64 v[4:5], v[4:5], s[14:15]
	s_branch .LBB167_60
.LBB167_59:
	v_mov_b64_e32 v[4:5], 0
.LBB167_60:
	v_cvt_f32_f64_e32 v4, v[4:5]
	v_max_f32_e32 v5, v148, v148
	v_min_f32_e32 v4, v4, v5
	v_cvt_f64_f32_e32 v[4:5], v4
	v_lshl_add_u64 v[6:7], v[2:3], 3, v[8:9]
	global_store_dwordx2 v[6:7], v[4:5], off
.LBB167_61:
	s_or_b64 exec, exec, s[6:7]
	v_add_u32_e32 v4, 64, v0
	v_cmp_gt_i32_e64 s[6:7], s16, v4
	v_ashrrev_i32_e32 v5, 31, v4
	s_and_b64 s[18:19], s[6:7], s[10:11]
	;; [unrolled: 26-line block ×3, first 2 shown]
	s_and_saveexec_b64 s[10:11], s[18:19]
	s_cbranch_execz .LBB167_71
; %bb.67:
	s_and_b64 vcc, exec, s[0:1]
	s_cbranch_vccnz .LBB167_69
; %bb.68:
	v_lshl_add_u64 v[10:11], v[6:7], 3, v[10:11]
	flat_load_dwordx2 v[10:11], v[10:11]
	s_waitcnt vmcnt(0) lgkmcnt(0)
	v_mul_f64 v[10:11], v[10:11], s[14:15]
	s_branch .LBB167_70
.LBB167_69:
	v_mov_b64_e32 v[10:11], 0
.LBB167_70:
	v_cvt_f32_f64_e32 v10, v[10:11]
	v_max_f32_e32 v11, v146, v146
	v_min_f32_e32 v10, v10, v11
	v_cvt_f64_f32_e32 v[10:11], v10
	v_lshl_add_u64 v[8:9], v[6:7], 3, v[8:9]
	global_store_dwordx2 v[8:9], v[10:11], off
.LBB167_71:
	s_or_b64 exec, exec, s[10:11]
	v_add_u32_e32 v12, 8, v14
	v_mad_i64_i32 v[8:9], s[18:19], v12, s21, 0
	v_cmp_gt_i32_e64 s[10:11], s17, v12
	v_lshl_add_u64 v[10:11], v[8:9], 3, s[26:27]
	v_mad_i64_i32 v[8:9], s[18:19], v12, s20, 0
	v_lshl_add_u64 v[8:9], v[8:9], 3, s[12:13]
	s_and_b64 s[22:23], s[2:3], s[10:11]
	s_and_saveexec_b64 s[18:19], s[22:23]
	s_cbranch_execnz .LBB167_75
; %bb.72:
	s_or_b64 exec, exec, s[18:19]
	s_and_b64 s[22:23], s[4:5], s[10:11]
	s_and_saveexec_b64 s[18:19], s[22:23]
	s_cbranch_execnz .LBB167_79
.LBB167_73:
	s_or_b64 exec, exec, s[18:19]
	s_and_b64 s[22:23], s[6:7], s[10:11]
	s_and_saveexec_b64 s[18:19], s[22:23]
	s_cbranch_execnz .LBB167_83
.LBB167_74:
	s_or_b64 exec, exec, s[18:19]
	s_and_b64 s[18:19], s[8:9], s[10:11]
	s_and_saveexec_b64 s[10:11], s[18:19]
	s_cbranch_execnz .LBB167_87
	s_branch .LBB167_91
.LBB167_75:
	s_and_b64 vcc, exec, s[0:1]
	s_cbranch_vccnz .LBB167_77
; %bb.76:
	v_lshl_add_u64 v[12:13], v[0:1], 3, v[10:11]
	flat_load_dwordx2 v[12:13], v[12:13]
	s_waitcnt vmcnt(0) lgkmcnt(0)
	v_mul_f64 v[12:13], v[12:13], s[14:15]
	s_branch .LBB167_78
.LBB167_77:
	v_mov_b64_e32 v[12:13], 0
.LBB167_78:
	v_cvt_f32_f64_e32 v12, v[12:13]
	v_max_f32_e32 v13, v145, v145
	v_min_f32_e32 v12, v12, v13
	v_cvt_f64_f32_e32 v[12:13], v12
	v_lshl_add_u64 v[16:17], v[0:1], 3, v[8:9]
	global_store_dwordx2 v[16:17], v[12:13], off
	s_or_b64 exec, exec, s[18:19]
	s_and_b64 s[22:23], s[4:5], s[10:11]
	s_and_saveexec_b64 s[18:19], s[22:23]
	s_cbranch_execz .LBB167_73
.LBB167_79:
	s_and_b64 vcc, exec, s[0:1]
	s_cbranch_vccnz .LBB167_81
; %bb.80:
	v_lshl_add_u64 v[12:13], v[2:3], 3, v[10:11]
	flat_load_dwordx2 v[12:13], v[12:13]
	s_waitcnt vmcnt(0) lgkmcnt(0)
	v_mul_f64 v[12:13], v[12:13], s[14:15]
	s_branch .LBB167_82
.LBB167_81:
	v_mov_b64_e32 v[12:13], 0
.LBB167_82:
	v_cvt_f32_f64_e32 v12, v[12:13]
	v_max_f32_e32 v13, v144, v144
	v_min_f32_e32 v12, v12, v13
	v_cvt_f64_f32_e32 v[12:13], v12
	v_lshl_add_u64 v[16:17], v[2:3], 3, v[8:9]
	global_store_dwordx2 v[16:17], v[12:13], off
	s_or_b64 exec, exec, s[18:19]
	s_and_b64 s[22:23], s[6:7], s[10:11]
	s_and_saveexec_b64 s[18:19], s[22:23]
	s_cbranch_execz .LBB167_74
.LBB167_83:
	s_and_b64 vcc, exec, s[0:1]
	s_cbranch_vccnz .LBB167_85
; %bb.84:
	v_lshl_add_u64 v[12:13], v[4:5], 3, v[10:11]
	flat_load_dwordx2 v[12:13], v[12:13]
	s_waitcnt vmcnt(0) lgkmcnt(0)
	v_mul_f64 v[12:13], v[12:13], s[14:15]
	s_branch .LBB167_86
.LBB167_85:
	v_mov_b64_e32 v[12:13], 0
.LBB167_86:
	v_cvt_f32_f64_e32 v12, v[12:13]
	v_max_f32_e32 v13, v143, v143
	v_min_f32_e32 v12, v12, v13
	v_cvt_f64_f32_e32 v[12:13], v12
	v_lshl_add_u64 v[16:17], v[4:5], 3, v[8:9]
	global_store_dwordx2 v[16:17], v[12:13], off
	s_or_b64 exec, exec, s[18:19]
	s_and_b64 s[18:19], s[8:9], s[10:11]
	s_and_saveexec_b64 s[10:11], s[18:19]
	s_cbranch_execz .LBB167_91
.LBB167_87:
	s_and_b64 vcc, exec, s[0:1]
	s_cbranch_vccnz .LBB167_89
; %bb.88:
	v_lshl_add_u64 v[10:11], v[6:7], 3, v[10:11]
	flat_load_dwordx2 v[10:11], v[10:11]
	s_waitcnt vmcnt(0) lgkmcnt(0)
	v_mul_f64 v[10:11], v[10:11], s[14:15]
	s_branch .LBB167_90
.LBB167_89:
	v_mov_b64_e32 v[10:11], 0
.LBB167_90:
	v_cvt_f32_f64_e32 v10, v[10:11]
	v_max_f32_e32 v11, v142, v142
	v_min_f32_e32 v10, v10, v11
	v_cvt_f64_f32_e32 v[10:11], v10
	v_lshl_add_u64 v[8:9], v[6:7], 3, v[8:9]
	global_store_dwordx2 v[8:9], v[10:11], off
.LBB167_91:
	s_or_b64 exec, exec, s[10:11]
	v_add_u32_e32 v12, 16, v14
	v_mad_i64_i32 v[8:9], s[18:19], v12, s21, 0
	v_cmp_gt_i32_e64 s[10:11], s17, v12
	v_lshl_add_u64 v[10:11], v[8:9], 3, s[26:27]
	v_mad_i64_i32 v[8:9], s[18:19], v12, s20, 0
	v_lshl_add_u64 v[8:9], v[8:9], 3, s[12:13]
	s_and_b64 s[22:23], s[2:3], s[10:11]
	s_and_saveexec_b64 s[18:19], s[22:23]
	s_cbranch_execnz .LBB167_95
; %bb.92:
	s_or_b64 exec, exec, s[18:19]
	s_and_b64 s[22:23], s[4:5], s[10:11]
	s_and_saveexec_b64 s[18:19], s[22:23]
	s_cbranch_execnz .LBB167_99
.LBB167_93:
	s_or_b64 exec, exec, s[18:19]
	s_and_b64 s[22:23], s[6:7], s[10:11]
	s_and_saveexec_b64 s[18:19], s[22:23]
	s_cbranch_execnz .LBB167_103
.LBB167_94:
	s_or_b64 exec, exec, s[18:19]
	s_and_b64 s[18:19], s[8:9], s[10:11]
	s_and_saveexec_b64 s[10:11], s[18:19]
	s_cbranch_execnz .LBB167_107
	s_branch .LBB167_111
.LBB167_95:
	s_and_b64 vcc, exec, s[0:1]
	s_cbranch_vccnz .LBB167_97
; %bb.96:
	v_lshl_add_u64 v[12:13], v[0:1], 3, v[10:11]
	flat_load_dwordx2 v[12:13], v[12:13]
	s_waitcnt vmcnt(0) lgkmcnt(0)
	v_mul_f64 v[12:13], v[12:13], s[14:15]
	s_branch .LBB167_98
.LBB167_97:
	v_mov_b64_e32 v[12:13], 0
.LBB167_98:
	v_cvt_f32_f64_e32 v12, v[12:13]
	v_max_f32_e32 v13, v141, v141
	v_min_f32_e32 v12, v12, v13
	v_cvt_f64_f32_e32 v[12:13], v12
	v_lshl_add_u64 v[16:17], v[0:1], 3, v[8:9]
	global_store_dwordx2 v[16:17], v[12:13], off
	s_or_b64 exec, exec, s[18:19]
	s_and_b64 s[22:23], s[4:5], s[10:11]
	s_and_saveexec_b64 s[18:19], s[22:23]
	s_cbranch_execz .LBB167_93
.LBB167_99:
	s_and_b64 vcc, exec, s[0:1]
	s_cbranch_vccnz .LBB167_101
; %bb.100:
	v_lshl_add_u64 v[12:13], v[2:3], 3, v[10:11]
	flat_load_dwordx2 v[12:13], v[12:13]
	s_waitcnt vmcnt(0) lgkmcnt(0)
	v_mul_f64 v[12:13], v[12:13], s[14:15]
	s_branch .LBB167_102
.LBB167_101:
	v_mov_b64_e32 v[12:13], 0
.LBB167_102:
	v_cvt_f32_f64_e32 v12, v[12:13]
	v_max_f32_e32 v13, v138, v138
	v_min_f32_e32 v12, v12, v13
	v_cvt_f64_f32_e32 v[12:13], v12
	v_lshl_add_u64 v[16:17], v[2:3], 3, v[8:9]
	global_store_dwordx2 v[16:17], v[12:13], off
	s_or_b64 exec, exec, s[18:19]
	s_and_b64 s[22:23], s[6:7], s[10:11]
	s_and_saveexec_b64 s[18:19], s[22:23]
	s_cbranch_execz .LBB167_94
.LBB167_103:
	s_and_b64 vcc, exec, s[0:1]
	s_cbranch_vccnz .LBB167_105
; %bb.104:
	v_lshl_add_u64 v[12:13], v[4:5], 3, v[10:11]
	flat_load_dwordx2 v[12:13], v[12:13]
	s_waitcnt vmcnt(0) lgkmcnt(0)
	v_mul_f64 v[12:13], v[12:13], s[14:15]
	s_branch .LBB167_106
.LBB167_105:
	v_mov_b64_e32 v[12:13], 0
.LBB167_106:
	v_cvt_f32_f64_e32 v12, v[12:13]
	v_max_f32_e32 v13, v137, v137
	v_min_f32_e32 v12, v12, v13
	v_cvt_f64_f32_e32 v[12:13], v12
	v_lshl_add_u64 v[16:17], v[4:5], 3, v[8:9]
	global_store_dwordx2 v[16:17], v[12:13], off
	s_or_b64 exec, exec, s[18:19]
	s_and_b64 s[18:19], s[8:9], s[10:11]
	s_and_saveexec_b64 s[10:11], s[18:19]
	s_cbranch_execz .LBB167_111
.LBB167_107:
	s_and_b64 vcc, exec, s[0:1]
	s_cbranch_vccnz .LBB167_109
; %bb.108:
	v_lshl_add_u64 v[10:11], v[6:7], 3, v[10:11]
	flat_load_dwordx2 v[10:11], v[10:11]
	s_waitcnt vmcnt(0) lgkmcnt(0)
	v_mul_f64 v[10:11], v[10:11], s[14:15]
	s_branch .LBB167_110
.LBB167_109:
	v_mov_b64_e32 v[10:11], 0
.LBB167_110:
	v_cvt_f32_f64_e32 v10, v[10:11]
	v_max_f32_e32 v11, v136, v136
	v_min_f32_e32 v10, v10, v11
	v_cvt_f64_f32_e32 v[10:11], v10
	v_lshl_add_u64 v[8:9], v[6:7], 3, v[8:9]
	global_store_dwordx2 v[8:9], v[10:11], off
.LBB167_111:
	s_or_b64 exec, exec, s[10:11]
	v_add_u32_e32 v12, 24, v14
	v_mad_i64_i32 v[8:9], s[18:19], v12, s21, 0
	v_cmp_gt_i32_e64 s[10:11], s17, v12
	v_lshl_add_u64 v[10:11], v[8:9], 3, s[26:27]
	v_mad_i64_i32 v[8:9], s[18:19], v12, s20, 0
	v_lshl_add_u64 v[8:9], v[8:9], 3, s[12:13]
	s_and_b64 s[22:23], s[2:3], s[10:11]
	s_and_saveexec_b64 s[18:19], s[22:23]
	s_cbranch_execnz .LBB167_115
; %bb.112:
	s_or_b64 exec, exec, s[18:19]
	s_and_b64 s[22:23], s[4:5], s[10:11]
	s_and_saveexec_b64 s[18:19], s[22:23]
	s_cbranch_execnz .LBB167_119
.LBB167_113:
	s_or_b64 exec, exec, s[18:19]
	s_and_b64 s[22:23], s[6:7], s[10:11]
	s_and_saveexec_b64 s[18:19], s[22:23]
	s_cbranch_execnz .LBB167_123
.LBB167_114:
	s_or_b64 exec, exec, s[18:19]
	s_and_b64 s[18:19], s[8:9], s[10:11]
	s_and_saveexec_b64 s[10:11], s[18:19]
	s_cbranch_execnz .LBB167_127
	s_branch .LBB167_131
.LBB167_115:
	s_and_b64 vcc, exec, s[0:1]
	s_cbranch_vccnz .LBB167_117
; %bb.116:
	v_lshl_add_u64 v[12:13], v[0:1], 3, v[10:11]
	flat_load_dwordx2 v[12:13], v[12:13]
	s_waitcnt vmcnt(0) lgkmcnt(0)
	v_mul_f64 v[12:13], v[12:13], s[14:15]
	s_branch .LBB167_118
.LBB167_117:
	v_mov_b64_e32 v[12:13], 0
.LBB167_118:
	v_cvt_f32_f64_e32 v12, v[12:13]
	v_max_f32_e32 v13, v135, v135
	v_min_f32_e32 v12, v12, v13
	v_cvt_f64_f32_e32 v[12:13], v12
	v_lshl_add_u64 v[16:17], v[0:1], 3, v[8:9]
	global_store_dwordx2 v[16:17], v[12:13], off
	s_or_b64 exec, exec, s[18:19]
	s_and_b64 s[22:23], s[4:5], s[10:11]
	s_and_saveexec_b64 s[18:19], s[22:23]
	s_cbranch_execz .LBB167_113
.LBB167_119:
	s_and_b64 vcc, exec, s[0:1]
	s_cbranch_vccnz .LBB167_121
; %bb.120:
	v_lshl_add_u64 v[12:13], v[2:3], 3, v[10:11]
	flat_load_dwordx2 v[12:13], v[12:13]
	s_waitcnt vmcnt(0) lgkmcnt(0)
	v_mul_f64 v[12:13], v[12:13], s[14:15]
	s_branch .LBB167_122
.LBB167_121:
	v_mov_b64_e32 v[12:13], 0
.LBB167_122:
	v_cvt_f32_f64_e32 v12, v[12:13]
	v_max_f32_e32 v13, v134, v134
	v_min_f32_e32 v12, v12, v13
	v_cvt_f64_f32_e32 v[12:13], v12
	v_lshl_add_u64 v[16:17], v[2:3], 3, v[8:9]
	global_store_dwordx2 v[16:17], v[12:13], off
	s_or_b64 exec, exec, s[18:19]
	s_and_b64 s[22:23], s[6:7], s[10:11]
	s_and_saveexec_b64 s[18:19], s[22:23]
	s_cbranch_execz .LBB167_114
.LBB167_123:
	s_and_b64 vcc, exec, s[0:1]
	s_cbranch_vccnz .LBB167_125
; %bb.124:
	v_lshl_add_u64 v[12:13], v[4:5], 3, v[10:11]
	flat_load_dwordx2 v[12:13], v[12:13]
	s_waitcnt vmcnt(0) lgkmcnt(0)
	v_mul_f64 v[12:13], v[12:13], s[14:15]
	s_branch .LBB167_126
.LBB167_125:
	v_mov_b64_e32 v[12:13], 0
.LBB167_126:
	v_cvt_f32_f64_e32 v12, v[12:13]
	v_max_f32_e32 v13, v133, v133
	v_min_f32_e32 v12, v12, v13
	v_cvt_f64_f32_e32 v[12:13], v12
	v_lshl_add_u64 v[16:17], v[4:5], 3, v[8:9]
	global_store_dwordx2 v[16:17], v[12:13], off
	s_or_b64 exec, exec, s[18:19]
	s_and_b64 s[18:19], s[8:9], s[10:11]
	s_and_saveexec_b64 s[10:11], s[18:19]
	s_cbranch_execz .LBB167_131
.LBB167_127:
	s_and_b64 vcc, exec, s[0:1]
	s_cbranch_vccnz .LBB167_129
; %bb.128:
	v_lshl_add_u64 v[10:11], v[6:7], 3, v[10:11]
	flat_load_dwordx2 v[10:11], v[10:11]
	s_waitcnt vmcnt(0) lgkmcnt(0)
	v_mul_f64 v[10:11], v[10:11], s[14:15]
	s_branch .LBB167_130
.LBB167_129:
	v_mov_b64_e32 v[10:11], 0
.LBB167_130:
	v_cvt_f32_f64_e32 v10, v[10:11]
	v_max_f32_e32 v11, v132, v132
	v_min_f32_e32 v10, v10, v11
	v_cvt_f64_f32_e32 v[10:11], v10
	v_lshl_add_u64 v[8:9], v[6:7], 3, v[8:9]
	global_store_dwordx2 v[8:9], v[10:11], off
.LBB167_131:
	s_or_b64 exec, exec, s[10:11]
	v_add_u32_e32 v12, 32, v14
	v_mad_i64_i32 v[8:9], s[18:19], v12, s21, 0
	v_cmp_gt_i32_e64 s[10:11], s17, v12
	v_lshl_add_u64 v[10:11], v[8:9], 3, s[26:27]
	v_mad_i64_i32 v[8:9], s[18:19], v12, s20, 0
	v_lshl_add_u64 v[8:9], v[8:9], 3, s[12:13]
	s_and_b64 s[22:23], s[2:3], s[10:11]
	s_and_saveexec_b64 s[18:19], s[22:23]
	s_cbranch_execnz .LBB167_135
; %bb.132:
	s_or_b64 exec, exec, s[18:19]
	s_and_b64 s[22:23], s[4:5], s[10:11]
	s_and_saveexec_b64 s[18:19], s[22:23]
	s_cbranch_execnz .LBB167_139
.LBB167_133:
	s_or_b64 exec, exec, s[18:19]
	s_and_b64 s[22:23], s[6:7], s[10:11]
	s_and_saveexec_b64 s[18:19], s[22:23]
	s_cbranch_execnz .LBB167_143
.LBB167_134:
	s_or_b64 exec, exec, s[18:19]
	s_and_b64 s[18:19], s[8:9], s[10:11]
	s_and_saveexec_b64 s[10:11], s[18:19]
	s_cbranch_execnz .LBB167_147
	s_branch .LBB167_151
.LBB167_135:
	s_and_b64 vcc, exec, s[0:1]
	s_cbranch_vccnz .LBB167_137
; %bb.136:
	v_lshl_add_u64 v[12:13], v[0:1], 3, v[10:11]
	flat_load_dwordx2 v[12:13], v[12:13]
	s_waitcnt vmcnt(0) lgkmcnt(0)
	v_mul_f64 v[12:13], v[12:13], s[14:15]
	s_branch .LBB167_138
.LBB167_137:
	v_mov_b64_e32 v[12:13], 0
.LBB167_138:
	v_cvt_f32_f64_e32 v12, v[12:13]
	v_max_f32_e32 v13, v131, v131
	v_min_f32_e32 v12, v12, v13
	v_cvt_f64_f32_e32 v[12:13], v12
	v_lshl_add_u64 v[16:17], v[0:1], 3, v[8:9]
	global_store_dwordx2 v[16:17], v[12:13], off
	s_or_b64 exec, exec, s[18:19]
	s_and_b64 s[22:23], s[4:5], s[10:11]
	s_and_saveexec_b64 s[18:19], s[22:23]
	s_cbranch_execz .LBB167_133
.LBB167_139:
	s_and_b64 vcc, exec, s[0:1]
	s_cbranch_vccnz .LBB167_141
; %bb.140:
	v_lshl_add_u64 v[12:13], v[2:3], 3, v[10:11]
	flat_load_dwordx2 v[12:13], v[12:13]
	s_waitcnt vmcnt(0) lgkmcnt(0)
	v_mul_f64 v[12:13], v[12:13], s[14:15]
	s_branch .LBB167_142
.LBB167_141:
	v_mov_b64_e32 v[12:13], 0
.LBB167_142:
	v_cvt_f32_f64_e32 v12, v[12:13]
	v_max_f32_e32 v13, v130, v130
	v_min_f32_e32 v12, v12, v13
	v_cvt_f64_f32_e32 v[12:13], v12
	v_lshl_add_u64 v[16:17], v[2:3], 3, v[8:9]
	global_store_dwordx2 v[16:17], v[12:13], off
	s_or_b64 exec, exec, s[18:19]
	s_and_b64 s[22:23], s[6:7], s[10:11]
	s_and_saveexec_b64 s[18:19], s[22:23]
	s_cbranch_execz .LBB167_134
.LBB167_143:
	s_and_b64 vcc, exec, s[0:1]
	s_cbranch_vccnz .LBB167_145
; %bb.144:
	v_lshl_add_u64 v[12:13], v[4:5], 3, v[10:11]
	flat_load_dwordx2 v[12:13], v[12:13]
	s_waitcnt vmcnt(0) lgkmcnt(0)
	v_mul_f64 v[12:13], v[12:13], s[14:15]
	s_branch .LBB167_146
.LBB167_145:
	v_mov_b64_e32 v[12:13], 0
.LBB167_146:
	v_cvt_f32_f64_e32 v12, v[12:13]
	v_max_f32_e32 v13, v129, v129
	v_min_f32_e32 v12, v12, v13
	v_cvt_f64_f32_e32 v[12:13], v12
	v_lshl_add_u64 v[16:17], v[4:5], 3, v[8:9]
	global_store_dwordx2 v[16:17], v[12:13], off
	s_or_b64 exec, exec, s[18:19]
	s_and_b64 s[18:19], s[8:9], s[10:11]
	s_and_saveexec_b64 s[10:11], s[18:19]
	s_cbranch_execz .LBB167_151
.LBB167_147:
	s_and_b64 vcc, exec, s[0:1]
	s_cbranch_vccnz .LBB167_149
; %bb.148:
	v_lshl_add_u64 v[10:11], v[6:7], 3, v[10:11]
	flat_load_dwordx2 v[10:11], v[10:11]
	s_waitcnt vmcnt(0) lgkmcnt(0)
	v_mul_f64 v[10:11], v[10:11], s[14:15]
	s_branch .LBB167_150
.LBB167_149:
	v_mov_b64_e32 v[10:11], 0
.LBB167_150:
	v_cvt_f32_f64_e32 v10, v[10:11]
	v_max_f32_e32 v11, v128, v128
	v_min_f32_e32 v10, v10, v11
	v_cvt_f64_f32_e32 v[10:11], v10
	v_lshl_add_u64 v[8:9], v[6:7], 3, v[8:9]
	global_store_dwordx2 v[8:9], v[10:11], off
.LBB167_151:
	s_or_b64 exec, exec, s[10:11]
	v_add_u32_e32 v12, 40, v14
	v_mad_i64_i32 v[8:9], s[18:19], v12, s21, 0
	v_cmp_gt_i32_e64 s[10:11], s17, v12
	v_lshl_add_u64 v[10:11], v[8:9], 3, s[26:27]
	v_mad_i64_i32 v[8:9], s[18:19], v12, s20, 0
	v_lshl_add_u64 v[8:9], v[8:9], 3, s[12:13]
	s_and_b64 s[22:23], s[2:3], s[10:11]
	s_and_saveexec_b64 s[18:19], s[22:23]
	s_cbranch_execnz .LBB167_155
; %bb.152:
	s_or_b64 exec, exec, s[18:19]
	s_and_b64 s[22:23], s[4:5], s[10:11]
	s_and_saveexec_b64 s[18:19], s[22:23]
	s_cbranch_execnz .LBB167_159
.LBB167_153:
	s_or_b64 exec, exec, s[18:19]
	s_and_b64 s[22:23], s[6:7], s[10:11]
	s_and_saveexec_b64 s[18:19], s[22:23]
	s_cbranch_execnz .LBB167_163
.LBB167_154:
	s_or_b64 exec, exec, s[18:19]
	s_and_b64 s[18:19], s[8:9], s[10:11]
	s_and_saveexec_b64 s[10:11], s[18:19]
	s_cbranch_execnz .LBB167_167
	s_branch .LBB167_171
.LBB167_155:
	s_and_b64 vcc, exec, s[0:1]
	s_cbranch_vccnz .LBB167_157
; %bb.156:
	v_lshl_add_u64 v[12:13], v[0:1], 3, v[10:11]
	flat_load_dwordx2 v[12:13], v[12:13]
	s_waitcnt vmcnt(0) lgkmcnt(0)
	v_mul_f64 v[12:13], v[12:13], s[14:15]
	s_branch .LBB167_158
.LBB167_157:
	v_mov_b64_e32 v[12:13], 0
.LBB167_158:
	v_cvt_f32_f64_e32 v12, v[12:13]
	v_max_f32_e32 v13, v127, v127
	v_min_f32_e32 v12, v12, v13
	v_cvt_f64_f32_e32 v[12:13], v12
	v_lshl_add_u64 v[16:17], v[0:1], 3, v[8:9]
	global_store_dwordx2 v[16:17], v[12:13], off
	s_or_b64 exec, exec, s[18:19]
	s_and_b64 s[22:23], s[4:5], s[10:11]
	s_and_saveexec_b64 s[18:19], s[22:23]
	s_cbranch_execz .LBB167_153
.LBB167_159:
	s_and_b64 vcc, exec, s[0:1]
	s_cbranch_vccnz .LBB167_161
; %bb.160:
	v_lshl_add_u64 v[12:13], v[2:3], 3, v[10:11]
	flat_load_dwordx2 v[12:13], v[12:13]
	s_waitcnt vmcnt(0) lgkmcnt(0)
	v_mul_f64 v[12:13], v[12:13], s[14:15]
	s_branch .LBB167_162
.LBB167_161:
	v_mov_b64_e32 v[12:13], 0
.LBB167_162:
	v_cvt_f32_f64_e32 v12, v[12:13]
	v_max_f32_e32 v13, v126, v126
	v_min_f32_e32 v12, v12, v13
	v_cvt_f64_f32_e32 v[12:13], v12
	v_lshl_add_u64 v[16:17], v[2:3], 3, v[8:9]
	global_store_dwordx2 v[16:17], v[12:13], off
	s_or_b64 exec, exec, s[18:19]
	s_and_b64 s[22:23], s[6:7], s[10:11]
	s_and_saveexec_b64 s[18:19], s[22:23]
	s_cbranch_execz .LBB167_154
.LBB167_163:
	s_and_b64 vcc, exec, s[0:1]
	s_cbranch_vccnz .LBB167_165
; %bb.164:
	v_lshl_add_u64 v[12:13], v[4:5], 3, v[10:11]
	flat_load_dwordx2 v[12:13], v[12:13]
	s_waitcnt vmcnt(0) lgkmcnt(0)
	v_mul_f64 v[12:13], v[12:13], s[14:15]
	s_branch .LBB167_166
.LBB167_165:
	v_mov_b64_e32 v[12:13], 0
.LBB167_166:
	v_cvt_f32_f64_e32 v12, v[12:13]
	v_max_f32_e32 v13, v125, v125
	v_min_f32_e32 v12, v12, v13
	v_cvt_f64_f32_e32 v[12:13], v12
	v_lshl_add_u64 v[16:17], v[4:5], 3, v[8:9]
	global_store_dwordx2 v[16:17], v[12:13], off
	s_or_b64 exec, exec, s[18:19]
	s_and_b64 s[18:19], s[8:9], s[10:11]
	s_and_saveexec_b64 s[10:11], s[18:19]
	s_cbranch_execz .LBB167_171
.LBB167_167:
	s_and_b64 vcc, exec, s[0:1]
	s_cbranch_vccnz .LBB167_169
; %bb.168:
	v_lshl_add_u64 v[10:11], v[6:7], 3, v[10:11]
	flat_load_dwordx2 v[10:11], v[10:11]
	s_waitcnt vmcnt(0) lgkmcnt(0)
	v_mul_f64 v[10:11], v[10:11], s[14:15]
	s_branch .LBB167_170
.LBB167_169:
	v_mov_b64_e32 v[10:11], 0
.LBB167_170:
	v_cvt_f32_f64_e32 v10, v[10:11]
	v_max_f32_e32 v11, v124, v124
	v_min_f32_e32 v10, v10, v11
	v_cvt_f64_f32_e32 v[10:11], v10
	v_lshl_add_u64 v[8:9], v[6:7], 3, v[8:9]
	global_store_dwordx2 v[8:9], v[10:11], off
.LBB167_171:
	s_or_b64 exec, exec, s[10:11]
	v_add_u32_e32 v12, 48, v14
	v_mad_i64_i32 v[8:9], s[18:19], v12, s21, 0
	v_cmp_gt_i32_e64 s[10:11], s17, v12
	v_lshl_add_u64 v[10:11], v[8:9], 3, s[26:27]
	v_mad_i64_i32 v[8:9], s[18:19], v12, s20, 0
	v_lshl_add_u64 v[8:9], v[8:9], 3, s[12:13]
	s_and_b64 s[22:23], s[2:3], s[10:11]
	s_and_saveexec_b64 s[18:19], s[22:23]
	s_cbranch_execnz .LBB167_175
; %bb.172:
	s_or_b64 exec, exec, s[18:19]
	s_and_b64 s[22:23], s[4:5], s[10:11]
	s_and_saveexec_b64 s[18:19], s[22:23]
	s_cbranch_execnz .LBB167_179
.LBB167_173:
	s_or_b64 exec, exec, s[18:19]
	s_and_b64 s[22:23], s[6:7], s[10:11]
	s_and_saveexec_b64 s[18:19], s[22:23]
	s_cbranch_execnz .LBB167_183
.LBB167_174:
	s_or_b64 exec, exec, s[18:19]
	s_and_b64 s[18:19], s[8:9], s[10:11]
	s_and_saveexec_b64 s[10:11], s[18:19]
	s_cbranch_execnz .LBB167_187
	s_branch .LBB167_191
.LBB167_175:
	s_and_b64 vcc, exec, s[0:1]
	s_cbranch_vccnz .LBB167_177
; %bb.176:
	v_lshl_add_u64 v[12:13], v[0:1], 3, v[10:11]
	flat_load_dwordx2 v[12:13], v[12:13]
	s_waitcnt vmcnt(0) lgkmcnt(0)
	v_mul_f64 v[12:13], v[12:13], s[14:15]
	s_branch .LBB167_178
.LBB167_177:
	v_mov_b64_e32 v[12:13], 0
.LBB167_178:
	v_cvt_f32_f64_e32 v12, v[12:13]
	v_max_f32_e32 v13, v123, v123
	v_min_f32_e32 v12, v12, v13
	v_cvt_f64_f32_e32 v[12:13], v12
	v_lshl_add_u64 v[16:17], v[0:1], 3, v[8:9]
	global_store_dwordx2 v[16:17], v[12:13], off
	s_or_b64 exec, exec, s[18:19]
	s_and_b64 s[22:23], s[4:5], s[10:11]
	s_and_saveexec_b64 s[18:19], s[22:23]
	s_cbranch_execz .LBB167_173
.LBB167_179:
	s_and_b64 vcc, exec, s[0:1]
	s_cbranch_vccnz .LBB167_181
; %bb.180:
	v_lshl_add_u64 v[12:13], v[2:3], 3, v[10:11]
	flat_load_dwordx2 v[12:13], v[12:13]
	s_waitcnt vmcnt(0) lgkmcnt(0)
	v_mul_f64 v[12:13], v[12:13], s[14:15]
	s_branch .LBB167_182
.LBB167_181:
	v_mov_b64_e32 v[12:13], 0
.LBB167_182:
	v_cvt_f32_f64_e32 v12, v[12:13]
	v_max_f32_e32 v13, v122, v122
	v_min_f32_e32 v12, v12, v13
	v_cvt_f64_f32_e32 v[12:13], v12
	v_lshl_add_u64 v[16:17], v[2:3], 3, v[8:9]
	global_store_dwordx2 v[16:17], v[12:13], off
	s_or_b64 exec, exec, s[18:19]
	s_and_b64 s[22:23], s[6:7], s[10:11]
	s_and_saveexec_b64 s[18:19], s[22:23]
	s_cbranch_execz .LBB167_174
.LBB167_183:
	s_and_b64 vcc, exec, s[0:1]
	s_cbranch_vccnz .LBB167_185
; %bb.184:
	v_lshl_add_u64 v[12:13], v[4:5], 3, v[10:11]
	flat_load_dwordx2 v[12:13], v[12:13]
	s_waitcnt vmcnt(0) lgkmcnt(0)
	v_mul_f64 v[12:13], v[12:13], s[14:15]
	s_branch .LBB167_186
.LBB167_185:
	v_mov_b64_e32 v[12:13], 0
.LBB167_186:
	v_cvt_f32_f64_e32 v12, v[12:13]
	v_max_f32_e32 v13, v121, v121
	v_min_f32_e32 v12, v12, v13
	v_cvt_f64_f32_e32 v[12:13], v12
	v_lshl_add_u64 v[16:17], v[4:5], 3, v[8:9]
	global_store_dwordx2 v[16:17], v[12:13], off
	s_or_b64 exec, exec, s[18:19]
	s_and_b64 s[18:19], s[8:9], s[10:11]
	s_and_saveexec_b64 s[10:11], s[18:19]
	s_cbranch_execz .LBB167_191
.LBB167_187:
	s_and_b64 vcc, exec, s[0:1]
	s_cbranch_vccnz .LBB167_189
; %bb.188:
	v_lshl_add_u64 v[10:11], v[6:7], 3, v[10:11]
	flat_load_dwordx2 v[10:11], v[10:11]
	s_waitcnt vmcnt(0) lgkmcnt(0)
	v_mul_f64 v[10:11], v[10:11], s[14:15]
	s_branch .LBB167_190
.LBB167_189:
	v_mov_b64_e32 v[10:11], 0
.LBB167_190:
	v_cvt_f32_f64_e32 v10, v[10:11]
	v_max_f32_e32 v11, v120, v120
	v_min_f32_e32 v10, v10, v11
	v_cvt_f64_f32_e32 v[10:11], v10
	v_lshl_add_u64 v[8:9], v[6:7], 3, v[8:9]
	global_store_dwordx2 v[8:9], v[10:11], off
.LBB167_191:
	s_or_b64 exec, exec, s[10:11]
	v_add_u32_e32 v12, 56, v14
	v_mad_i64_i32 v[8:9], s[18:19], v12, s21, 0
	v_cmp_gt_i32_e64 s[10:11], s17, v12
	v_lshl_add_u64 v[10:11], v[8:9], 3, s[26:27]
	v_mad_i64_i32 v[8:9], s[18:19], v12, s20, 0
	v_lshl_add_u64 v[8:9], v[8:9], 3, s[12:13]
	s_and_b64 s[22:23], s[2:3], s[10:11]
	s_and_saveexec_b64 s[18:19], s[22:23]
	s_cbranch_execnz .LBB167_195
; %bb.192:
	s_or_b64 exec, exec, s[18:19]
	s_and_b64 s[22:23], s[4:5], s[10:11]
	s_and_saveexec_b64 s[18:19], s[22:23]
	s_cbranch_execnz .LBB167_199
.LBB167_193:
	s_or_b64 exec, exec, s[18:19]
	s_and_b64 s[22:23], s[6:7], s[10:11]
	s_and_saveexec_b64 s[18:19], s[22:23]
	s_cbranch_execnz .LBB167_203
.LBB167_194:
	s_or_b64 exec, exec, s[18:19]
	s_and_b64 s[18:19], s[8:9], s[10:11]
	s_and_saveexec_b64 s[10:11], s[18:19]
	s_cbranch_execnz .LBB167_207
	s_branch .LBB167_211
.LBB167_195:
	s_and_b64 vcc, exec, s[0:1]
	s_cbranch_vccnz .LBB167_197
; %bb.196:
	v_lshl_add_u64 v[12:13], v[0:1], 3, v[10:11]
	flat_load_dwordx2 v[12:13], v[12:13]
	s_waitcnt vmcnt(0) lgkmcnt(0)
	v_mul_f64 v[12:13], v[12:13], s[14:15]
	s_branch .LBB167_198
.LBB167_197:
	v_mov_b64_e32 v[12:13], 0
.LBB167_198:
	v_cvt_f32_f64_e32 v12, v[12:13]
	v_max_f32_e32 v13, v119, v119
	v_min_f32_e32 v12, v12, v13
	v_cvt_f64_f32_e32 v[12:13], v12
	v_lshl_add_u64 v[16:17], v[0:1], 3, v[8:9]
	global_store_dwordx2 v[16:17], v[12:13], off
	s_or_b64 exec, exec, s[18:19]
	s_and_b64 s[22:23], s[4:5], s[10:11]
	s_and_saveexec_b64 s[18:19], s[22:23]
	s_cbranch_execz .LBB167_193
.LBB167_199:
	s_and_b64 vcc, exec, s[0:1]
	s_cbranch_vccnz .LBB167_201
; %bb.200:
	v_lshl_add_u64 v[12:13], v[2:3], 3, v[10:11]
	flat_load_dwordx2 v[12:13], v[12:13]
	s_waitcnt vmcnt(0) lgkmcnt(0)
	v_mul_f64 v[12:13], v[12:13], s[14:15]
	s_branch .LBB167_202
.LBB167_201:
	v_mov_b64_e32 v[12:13], 0
.LBB167_202:
	v_cvt_f32_f64_e32 v12, v[12:13]
	v_max_f32_e32 v13, v118, v118
	v_min_f32_e32 v12, v12, v13
	v_cvt_f64_f32_e32 v[12:13], v12
	v_lshl_add_u64 v[16:17], v[2:3], 3, v[8:9]
	global_store_dwordx2 v[16:17], v[12:13], off
	s_or_b64 exec, exec, s[18:19]
	s_and_b64 s[22:23], s[6:7], s[10:11]
	s_and_saveexec_b64 s[18:19], s[22:23]
	s_cbranch_execz .LBB167_194
.LBB167_203:
	s_and_b64 vcc, exec, s[0:1]
	s_cbranch_vccnz .LBB167_205
; %bb.204:
	v_lshl_add_u64 v[12:13], v[4:5], 3, v[10:11]
	flat_load_dwordx2 v[12:13], v[12:13]
	s_waitcnt vmcnt(0) lgkmcnt(0)
	v_mul_f64 v[12:13], v[12:13], s[14:15]
	s_branch .LBB167_206
.LBB167_205:
	v_mov_b64_e32 v[12:13], 0
.LBB167_206:
	v_cvt_f32_f64_e32 v12, v[12:13]
	v_max_f32_e32 v13, v117, v117
	v_min_f32_e32 v12, v12, v13
	v_cvt_f64_f32_e32 v[12:13], v12
	v_lshl_add_u64 v[16:17], v[4:5], 3, v[8:9]
	global_store_dwordx2 v[16:17], v[12:13], off
	s_or_b64 exec, exec, s[18:19]
	s_and_b64 s[18:19], s[8:9], s[10:11]
	s_and_saveexec_b64 s[10:11], s[18:19]
	s_cbranch_execz .LBB167_211
.LBB167_207:
	s_and_b64 vcc, exec, s[0:1]
	s_cbranch_vccnz .LBB167_209
; %bb.208:
	v_lshl_add_u64 v[10:11], v[6:7], 3, v[10:11]
	flat_load_dwordx2 v[10:11], v[10:11]
	s_waitcnt vmcnt(0) lgkmcnt(0)
	v_mul_f64 v[10:11], v[10:11], s[14:15]
	s_branch .LBB167_210
.LBB167_209:
	v_mov_b64_e32 v[10:11], 0
.LBB167_210:
	v_cvt_f32_f64_e32 v10, v[10:11]
	v_max_f32_e32 v11, v116, v116
	v_min_f32_e32 v10, v10, v11
	v_cvt_f64_f32_e32 v[10:11], v10
	v_lshl_add_u64 v[8:9], v[6:7], 3, v[8:9]
	global_store_dwordx2 v[8:9], v[10:11], off
.LBB167_211:
	s_or_b64 exec, exec, s[10:11]
	v_add_u32_e32 v12, 64, v14
	v_mad_i64_i32 v[8:9], s[18:19], v12, s21, 0
	v_cmp_gt_i32_e64 s[10:11], s17, v12
	v_lshl_add_u64 v[10:11], v[8:9], 3, s[26:27]
	v_mad_i64_i32 v[8:9], s[18:19], v12, s20, 0
	v_lshl_add_u64 v[8:9], v[8:9], 3, s[12:13]
	s_and_b64 s[22:23], s[2:3], s[10:11]
	s_and_saveexec_b64 s[18:19], s[22:23]
	s_cbranch_execnz .LBB167_215
; %bb.212:
	s_or_b64 exec, exec, s[18:19]
	s_and_b64 s[22:23], s[4:5], s[10:11]
	s_and_saveexec_b64 s[18:19], s[22:23]
	s_cbranch_execnz .LBB167_219
.LBB167_213:
	s_or_b64 exec, exec, s[18:19]
	s_and_b64 s[22:23], s[6:7], s[10:11]
	s_and_saveexec_b64 s[18:19], s[22:23]
	s_cbranch_execnz .LBB167_223
.LBB167_214:
	s_or_b64 exec, exec, s[18:19]
	s_and_b64 s[18:19], s[8:9], s[10:11]
	s_and_saveexec_b64 s[10:11], s[18:19]
	s_cbranch_execnz .LBB167_227
	s_branch .LBB167_231
.LBB167_215:
	s_and_b64 vcc, exec, s[0:1]
	s_cbranch_vccnz .LBB167_217
; %bb.216:
	v_lshl_add_u64 v[12:13], v[0:1], 3, v[10:11]
	flat_load_dwordx2 v[12:13], v[12:13]
	s_waitcnt vmcnt(0) lgkmcnt(0)
	v_mul_f64 v[12:13], v[12:13], s[14:15]
	s_branch .LBB167_218
.LBB167_217:
	v_mov_b64_e32 v[12:13], 0
.LBB167_218:
	v_cvt_f32_f64_e32 v12, v[12:13]
	v_max_f32_e32 v13, v115, v115
	v_min_f32_e32 v12, v12, v13
	v_cvt_f64_f32_e32 v[12:13], v12
	v_lshl_add_u64 v[16:17], v[0:1], 3, v[8:9]
	global_store_dwordx2 v[16:17], v[12:13], off
	s_or_b64 exec, exec, s[18:19]
	s_and_b64 s[22:23], s[4:5], s[10:11]
	s_and_saveexec_b64 s[18:19], s[22:23]
	s_cbranch_execz .LBB167_213
.LBB167_219:
	s_and_b64 vcc, exec, s[0:1]
	s_cbranch_vccnz .LBB167_221
; %bb.220:
	v_lshl_add_u64 v[12:13], v[2:3], 3, v[10:11]
	flat_load_dwordx2 v[12:13], v[12:13]
	s_waitcnt vmcnt(0) lgkmcnt(0)
	v_mul_f64 v[12:13], v[12:13], s[14:15]
	s_branch .LBB167_222
.LBB167_221:
	v_mov_b64_e32 v[12:13], 0
.LBB167_222:
	v_cvt_f32_f64_e32 v12, v[12:13]
	v_max_f32_e32 v13, v114, v114
	v_min_f32_e32 v12, v12, v13
	v_cvt_f64_f32_e32 v[12:13], v12
	v_lshl_add_u64 v[16:17], v[2:3], 3, v[8:9]
	global_store_dwordx2 v[16:17], v[12:13], off
	s_or_b64 exec, exec, s[18:19]
	s_and_b64 s[22:23], s[6:7], s[10:11]
	s_and_saveexec_b64 s[18:19], s[22:23]
	s_cbranch_execz .LBB167_214
.LBB167_223:
	s_and_b64 vcc, exec, s[0:1]
	s_cbranch_vccnz .LBB167_225
; %bb.224:
	v_lshl_add_u64 v[12:13], v[4:5], 3, v[10:11]
	flat_load_dwordx2 v[12:13], v[12:13]
	s_waitcnt vmcnt(0) lgkmcnt(0)
	v_mul_f64 v[12:13], v[12:13], s[14:15]
	s_branch .LBB167_226
.LBB167_225:
	v_mov_b64_e32 v[12:13], 0
.LBB167_226:
	v_cvt_f32_f64_e32 v12, v[12:13]
	v_max_f32_e32 v13, v113, v113
	v_min_f32_e32 v12, v12, v13
	v_cvt_f64_f32_e32 v[12:13], v12
	v_lshl_add_u64 v[16:17], v[4:5], 3, v[8:9]
	global_store_dwordx2 v[16:17], v[12:13], off
	s_or_b64 exec, exec, s[18:19]
	s_and_b64 s[18:19], s[8:9], s[10:11]
	s_and_saveexec_b64 s[10:11], s[18:19]
	s_cbranch_execz .LBB167_231
.LBB167_227:
	s_and_b64 vcc, exec, s[0:1]
	s_cbranch_vccnz .LBB167_229
; %bb.228:
	v_lshl_add_u64 v[10:11], v[6:7], 3, v[10:11]
	flat_load_dwordx2 v[10:11], v[10:11]
	s_waitcnt vmcnt(0) lgkmcnt(0)
	v_mul_f64 v[10:11], v[10:11], s[14:15]
	s_branch .LBB167_230
.LBB167_229:
	v_mov_b64_e32 v[10:11], 0
.LBB167_230:
	v_cvt_f32_f64_e32 v10, v[10:11]
	v_max_f32_e32 v11, v112, v112
	v_min_f32_e32 v10, v10, v11
	v_cvt_f64_f32_e32 v[10:11], v10
	v_lshl_add_u64 v[8:9], v[6:7], 3, v[8:9]
	global_store_dwordx2 v[8:9], v[10:11], off
.LBB167_231:
	s_or_b64 exec, exec, s[10:11]
	v_add_u32_e32 v12, 0x48, v14
	v_mad_i64_i32 v[8:9], s[18:19], v12, s21, 0
	v_cmp_gt_i32_e64 s[10:11], s17, v12
	v_lshl_add_u64 v[10:11], v[8:9], 3, s[26:27]
	v_mad_i64_i32 v[8:9], s[18:19], v12, s20, 0
	v_lshl_add_u64 v[8:9], v[8:9], 3, s[12:13]
	s_and_b64 s[22:23], s[2:3], s[10:11]
	s_and_saveexec_b64 s[18:19], s[22:23]
	s_cbranch_execnz .LBB167_235
; %bb.232:
	s_or_b64 exec, exec, s[18:19]
	s_and_b64 s[22:23], s[4:5], s[10:11]
	s_and_saveexec_b64 s[18:19], s[22:23]
	s_cbranch_execnz .LBB167_239
.LBB167_233:
	s_or_b64 exec, exec, s[18:19]
	s_and_b64 s[22:23], s[6:7], s[10:11]
	s_and_saveexec_b64 s[18:19], s[22:23]
	s_cbranch_execnz .LBB167_243
.LBB167_234:
	s_or_b64 exec, exec, s[18:19]
	s_and_b64 s[18:19], s[8:9], s[10:11]
	s_and_saveexec_b64 s[10:11], s[18:19]
	s_cbranch_execnz .LBB167_247
	s_branch .LBB167_251
.LBB167_235:
	s_and_b64 vcc, exec, s[0:1]
	s_cbranch_vccnz .LBB167_237
; %bb.236:
	v_lshl_add_u64 v[12:13], v[0:1], 3, v[10:11]
	flat_load_dwordx2 v[12:13], v[12:13]
	s_waitcnt vmcnt(0) lgkmcnt(0)
	v_mul_f64 v[12:13], v[12:13], s[14:15]
	s_branch .LBB167_238
.LBB167_237:
	v_mov_b64_e32 v[12:13], 0
.LBB167_238:
	v_cvt_f32_f64_e32 v12, v[12:13]
	v_max_f32_e32 v13, v111, v111
	v_min_f32_e32 v12, v12, v13
	v_cvt_f64_f32_e32 v[12:13], v12
	v_lshl_add_u64 v[16:17], v[0:1], 3, v[8:9]
	global_store_dwordx2 v[16:17], v[12:13], off
	s_or_b64 exec, exec, s[18:19]
	s_and_b64 s[22:23], s[4:5], s[10:11]
	s_and_saveexec_b64 s[18:19], s[22:23]
	s_cbranch_execz .LBB167_233
.LBB167_239:
	s_and_b64 vcc, exec, s[0:1]
	s_cbranch_vccnz .LBB167_241
; %bb.240:
	v_lshl_add_u64 v[12:13], v[2:3], 3, v[10:11]
	flat_load_dwordx2 v[12:13], v[12:13]
	s_waitcnt vmcnt(0) lgkmcnt(0)
	v_mul_f64 v[12:13], v[12:13], s[14:15]
	s_branch .LBB167_242
.LBB167_241:
	v_mov_b64_e32 v[12:13], 0
.LBB167_242:
	v_cvt_f32_f64_e32 v12, v[12:13]
	v_max_f32_e32 v13, v110, v110
	v_min_f32_e32 v12, v12, v13
	v_cvt_f64_f32_e32 v[12:13], v12
	v_lshl_add_u64 v[16:17], v[2:3], 3, v[8:9]
	global_store_dwordx2 v[16:17], v[12:13], off
	s_or_b64 exec, exec, s[18:19]
	s_and_b64 s[22:23], s[6:7], s[10:11]
	s_and_saveexec_b64 s[18:19], s[22:23]
	s_cbranch_execz .LBB167_234
.LBB167_243:
	s_and_b64 vcc, exec, s[0:1]
	s_cbranch_vccnz .LBB167_245
; %bb.244:
	v_lshl_add_u64 v[12:13], v[4:5], 3, v[10:11]
	flat_load_dwordx2 v[12:13], v[12:13]
	s_waitcnt vmcnt(0) lgkmcnt(0)
	v_mul_f64 v[12:13], v[12:13], s[14:15]
	s_branch .LBB167_246
.LBB167_245:
	v_mov_b64_e32 v[12:13], 0
.LBB167_246:
	v_cvt_f32_f64_e32 v12, v[12:13]
	v_max_f32_e32 v13, v109, v109
	v_min_f32_e32 v12, v12, v13
	v_cvt_f64_f32_e32 v[12:13], v12
	v_lshl_add_u64 v[16:17], v[4:5], 3, v[8:9]
	global_store_dwordx2 v[16:17], v[12:13], off
	s_or_b64 exec, exec, s[18:19]
	s_and_b64 s[18:19], s[8:9], s[10:11]
	s_and_saveexec_b64 s[10:11], s[18:19]
	s_cbranch_execz .LBB167_251
.LBB167_247:
	s_and_b64 vcc, exec, s[0:1]
	s_cbranch_vccnz .LBB167_249
; %bb.248:
	v_lshl_add_u64 v[10:11], v[6:7], 3, v[10:11]
	flat_load_dwordx2 v[10:11], v[10:11]
	s_waitcnt vmcnt(0) lgkmcnt(0)
	v_mul_f64 v[10:11], v[10:11], s[14:15]
	s_branch .LBB167_250
.LBB167_249:
	v_mov_b64_e32 v[10:11], 0
.LBB167_250:
	v_cvt_f32_f64_e32 v10, v[10:11]
	v_max_f32_e32 v11, v108, v108
	v_min_f32_e32 v10, v10, v11
	v_cvt_f64_f32_e32 v[10:11], v10
	v_lshl_add_u64 v[8:9], v[6:7], 3, v[8:9]
	global_store_dwordx2 v[8:9], v[10:11], off
.LBB167_251:
	s_or_b64 exec, exec, s[10:11]
	v_add_u32_e32 v12, 0x50, v14
	v_mad_i64_i32 v[8:9], s[18:19], v12, s21, 0
	v_cmp_gt_i32_e64 s[10:11], s17, v12
	v_lshl_add_u64 v[10:11], v[8:9], 3, s[26:27]
	v_mad_i64_i32 v[8:9], s[18:19], v12, s20, 0
	v_lshl_add_u64 v[8:9], v[8:9], 3, s[12:13]
	s_and_b64 s[22:23], s[2:3], s[10:11]
	s_and_saveexec_b64 s[18:19], s[22:23]
	s_cbranch_execnz .LBB167_255
; %bb.252:
	s_or_b64 exec, exec, s[18:19]
	s_and_b64 s[22:23], s[4:5], s[10:11]
	s_and_saveexec_b64 s[18:19], s[22:23]
	s_cbranch_execnz .LBB167_259
.LBB167_253:
	s_or_b64 exec, exec, s[18:19]
	s_and_b64 s[22:23], s[6:7], s[10:11]
	s_and_saveexec_b64 s[18:19], s[22:23]
	s_cbranch_execnz .LBB167_263
.LBB167_254:
	s_or_b64 exec, exec, s[18:19]
	s_and_b64 s[18:19], s[8:9], s[10:11]
	s_and_saveexec_b64 s[10:11], s[18:19]
	s_cbranch_execnz .LBB167_267
	s_branch .LBB167_271
.LBB167_255:
	s_and_b64 vcc, exec, s[0:1]
	s_cbranch_vccnz .LBB167_257
; %bb.256:
	v_lshl_add_u64 v[12:13], v[0:1], 3, v[10:11]
	flat_load_dwordx2 v[12:13], v[12:13]
	s_waitcnt vmcnt(0) lgkmcnt(0)
	v_mul_f64 v[12:13], v[12:13], s[14:15]
	s_branch .LBB167_258
.LBB167_257:
	v_mov_b64_e32 v[12:13], 0
.LBB167_258:
	v_cvt_f32_f64_e32 v12, v[12:13]
	v_max_f32_e32 v13, v107, v107
	v_min_f32_e32 v12, v12, v13
	v_cvt_f64_f32_e32 v[12:13], v12
	v_lshl_add_u64 v[16:17], v[0:1], 3, v[8:9]
	global_store_dwordx2 v[16:17], v[12:13], off
	s_or_b64 exec, exec, s[18:19]
	s_and_b64 s[22:23], s[4:5], s[10:11]
	s_and_saveexec_b64 s[18:19], s[22:23]
	s_cbranch_execz .LBB167_253
.LBB167_259:
	s_and_b64 vcc, exec, s[0:1]
	s_cbranch_vccnz .LBB167_261
; %bb.260:
	v_lshl_add_u64 v[12:13], v[2:3], 3, v[10:11]
	flat_load_dwordx2 v[12:13], v[12:13]
	s_waitcnt vmcnt(0) lgkmcnt(0)
	v_mul_f64 v[12:13], v[12:13], s[14:15]
	s_branch .LBB167_262
.LBB167_261:
	v_mov_b64_e32 v[12:13], 0
.LBB167_262:
	v_cvt_f32_f64_e32 v12, v[12:13]
	v_max_f32_e32 v13, v106, v106
	v_min_f32_e32 v12, v12, v13
	v_cvt_f64_f32_e32 v[12:13], v12
	v_lshl_add_u64 v[16:17], v[2:3], 3, v[8:9]
	global_store_dwordx2 v[16:17], v[12:13], off
	s_or_b64 exec, exec, s[18:19]
	s_and_b64 s[22:23], s[6:7], s[10:11]
	s_and_saveexec_b64 s[18:19], s[22:23]
	s_cbranch_execz .LBB167_254
.LBB167_263:
	s_and_b64 vcc, exec, s[0:1]
	s_cbranch_vccnz .LBB167_265
; %bb.264:
	v_lshl_add_u64 v[12:13], v[4:5], 3, v[10:11]
	flat_load_dwordx2 v[12:13], v[12:13]
	s_waitcnt vmcnt(0) lgkmcnt(0)
	v_mul_f64 v[12:13], v[12:13], s[14:15]
	s_branch .LBB167_266
.LBB167_265:
	v_mov_b64_e32 v[12:13], 0
.LBB167_266:
	v_cvt_f32_f64_e32 v12, v[12:13]
	v_max_f32_e32 v13, v105, v105
	v_min_f32_e32 v12, v12, v13
	v_cvt_f64_f32_e32 v[12:13], v12
	v_lshl_add_u64 v[16:17], v[4:5], 3, v[8:9]
	global_store_dwordx2 v[16:17], v[12:13], off
	s_or_b64 exec, exec, s[18:19]
	s_and_b64 s[18:19], s[8:9], s[10:11]
	s_and_saveexec_b64 s[10:11], s[18:19]
	s_cbranch_execz .LBB167_271
.LBB167_267:
	s_and_b64 vcc, exec, s[0:1]
	s_cbranch_vccnz .LBB167_269
; %bb.268:
	v_lshl_add_u64 v[10:11], v[6:7], 3, v[10:11]
	flat_load_dwordx2 v[10:11], v[10:11]
	s_waitcnt vmcnt(0) lgkmcnt(0)
	v_mul_f64 v[10:11], v[10:11], s[14:15]
	s_branch .LBB167_270
.LBB167_269:
	v_mov_b64_e32 v[10:11], 0
.LBB167_270:
	v_cvt_f32_f64_e32 v10, v[10:11]
	v_max_f32_e32 v11, v104, v104
	v_min_f32_e32 v10, v10, v11
	v_cvt_f64_f32_e32 v[10:11], v10
	v_lshl_add_u64 v[8:9], v[6:7], 3, v[8:9]
	global_store_dwordx2 v[8:9], v[10:11], off
.LBB167_271:
	s_or_b64 exec, exec, s[10:11]
	v_add_u32_e32 v12, 0x58, v14
	v_mad_i64_i32 v[8:9], s[18:19], v12, s21, 0
	v_cmp_gt_i32_e64 s[10:11], s17, v12
	v_lshl_add_u64 v[10:11], v[8:9], 3, s[26:27]
	v_mad_i64_i32 v[8:9], s[18:19], v12, s20, 0
	v_lshl_add_u64 v[8:9], v[8:9], 3, s[12:13]
	s_and_b64 s[22:23], s[2:3], s[10:11]
	s_and_saveexec_b64 s[18:19], s[22:23]
	s_cbranch_execnz .LBB167_275
; %bb.272:
	s_or_b64 exec, exec, s[18:19]
	s_and_b64 s[22:23], s[4:5], s[10:11]
	s_and_saveexec_b64 s[18:19], s[22:23]
	s_cbranch_execnz .LBB167_279
.LBB167_273:
	s_or_b64 exec, exec, s[18:19]
	s_and_b64 s[22:23], s[6:7], s[10:11]
	s_and_saveexec_b64 s[18:19], s[22:23]
	s_cbranch_execnz .LBB167_283
.LBB167_274:
	s_or_b64 exec, exec, s[18:19]
	s_and_b64 s[18:19], s[8:9], s[10:11]
	s_and_saveexec_b64 s[10:11], s[18:19]
	s_cbranch_execnz .LBB167_287
	s_branch .LBB167_291
.LBB167_275:
	s_and_b64 vcc, exec, s[0:1]
	s_cbranch_vccnz .LBB167_277
; %bb.276:
	v_lshl_add_u64 v[12:13], v[0:1], 3, v[10:11]
	flat_load_dwordx2 v[12:13], v[12:13]
	s_waitcnt vmcnt(0) lgkmcnt(0)
	v_mul_f64 v[12:13], v[12:13], s[14:15]
	s_branch .LBB167_278
.LBB167_277:
	v_mov_b64_e32 v[12:13], 0
.LBB167_278:
	v_cvt_f32_f64_e32 v12, v[12:13]
	v_max_f32_e32 v13, v103, v103
	v_min_f32_e32 v12, v12, v13
	v_cvt_f64_f32_e32 v[12:13], v12
	v_lshl_add_u64 v[16:17], v[0:1], 3, v[8:9]
	global_store_dwordx2 v[16:17], v[12:13], off
	s_or_b64 exec, exec, s[18:19]
	s_and_b64 s[22:23], s[4:5], s[10:11]
	s_and_saveexec_b64 s[18:19], s[22:23]
	s_cbranch_execz .LBB167_273
.LBB167_279:
	s_and_b64 vcc, exec, s[0:1]
	s_cbranch_vccnz .LBB167_281
; %bb.280:
	v_lshl_add_u64 v[12:13], v[2:3], 3, v[10:11]
	flat_load_dwordx2 v[12:13], v[12:13]
	s_waitcnt vmcnt(0) lgkmcnt(0)
	v_mul_f64 v[12:13], v[12:13], s[14:15]
	s_branch .LBB167_282
.LBB167_281:
	v_mov_b64_e32 v[12:13], 0
.LBB167_282:
	v_cvt_f32_f64_e32 v12, v[12:13]
	v_max_f32_e32 v13, v102, v102
	v_min_f32_e32 v12, v12, v13
	v_cvt_f64_f32_e32 v[12:13], v12
	v_lshl_add_u64 v[16:17], v[2:3], 3, v[8:9]
	global_store_dwordx2 v[16:17], v[12:13], off
	s_or_b64 exec, exec, s[18:19]
	s_and_b64 s[22:23], s[6:7], s[10:11]
	s_and_saveexec_b64 s[18:19], s[22:23]
	s_cbranch_execz .LBB167_274
.LBB167_283:
	s_and_b64 vcc, exec, s[0:1]
	s_cbranch_vccnz .LBB167_285
; %bb.284:
	v_lshl_add_u64 v[12:13], v[4:5], 3, v[10:11]
	flat_load_dwordx2 v[12:13], v[12:13]
	s_waitcnt vmcnt(0) lgkmcnt(0)
	v_mul_f64 v[12:13], v[12:13], s[14:15]
	s_branch .LBB167_286
.LBB167_285:
	v_mov_b64_e32 v[12:13], 0
.LBB167_286:
	v_cvt_f32_f64_e32 v12, v[12:13]
	v_max_f32_e32 v13, v101, v101
	v_min_f32_e32 v12, v12, v13
	v_cvt_f64_f32_e32 v[12:13], v12
	v_lshl_add_u64 v[16:17], v[4:5], 3, v[8:9]
	global_store_dwordx2 v[16:17], v[12:13], off
	s_or_b64 exec, exec, s[18:19]
	s_and_b64 s[18:19], s[8:9], s[10:11]
	s_and_saveexec_b64 s[10:11], s[18:19]
	s_cbranch_execz .LBB167_291
.LBB167_287:
	s_and_b64 vcc, exec, s[0:1]
	s_cbranch_vccnz .LBB167_289
; %bb.288:
	v_lshl_add_u64 v[10:11], v[6:7], 3, v[10:11]
	flat_load_dwordx2 v[10:11], v[10:11]
	s_waitcnt vmcnt(0) lgkmcnt(0)
	v_mul_f64 v[10:11], v[10:11], s[14:15]
	s_branch .LBB167_290
.LBB167_289:
	v_mov_b64_e32 v[10:11], 0
.LBB167_290:
	v_cvt_f32_f64_e32 v10, v[10:11]
	v_max_f32_e32 v11, v100, v100
	v_min_f32_e32 v10, v10, v11
	v_cvt_f64_f32_e32 v[10:11], v10
	v_lshl_add_u64 v[8:9], v[6:7], 3, v[8:9]
	global_store_dwordx2 v[8:9], v[10:11], off
.LBB167_291:
	s_or_b64 exec, exec, s[10:11]
	v_add_u32_e32 v12, 0x60, v14
	v_mad_i64_i32 v[8:9], s[18:19], v12, s21, 0
	v_cmp_gt_i32_e64 s[10:11], s17, v12
	v_lshl_add_u64 v[10:11], v[8:9], 3, s[26:27]
	v_mad_i64_i32 v[8:9], s[18:19], v12, s20, 0
	v_lshl_add_u64 v[8:9], v[8:9], 3, s[12:13]
	s_and_b64 s[22:23], s[2:3], s[10:11]
	s_and_saveexec_b64 s[18:19], s[22:23]
	s_cbranch_execnz .LBB167_295
; %bb.292:
	s_or_b64 exec, exec, s[18:19]
	s_and_b64 s[22:23], s[4:5], s[10:11]
	s_and_saveexec_b64 s[18:19], s[22:23]
	s_cbranch_execnz .LBB167_299
.LBB167_293:
	s_or_b64 exec, exec, s[18:19]
	s_and_b64 s[22:23], s[6:7], s[10:11]
	s_and_saveexec_b64 s[18:19], s[22:23]
	s_cbranch_execnz .LBB167_303
.LBB167_294:
	s_or_b64 exec, exec, s[18:19]
	s_and_b64 s[18:19], s[8:9], s[10:11]
	s_and_saveexec_b64 s[10:11], s[18:19]
	s_cbranch_execnz .LBB167_307
	s_branch .LBB167_311
.LBB167_295:
	s_and_b64 vcc, exec, s[0:1]
	s_cbranch_vccnz .LBB167_297
; %bb.296:
	v_lshl_add_u64 v[12:13], v[0:1], 3, v[10:11]
	flat_load_dwordx2 v[12:13], v[12:13]
	s_waitcnt vmcnt(0) lgkmcnt(0)
	v_mul_f64 v[12:13], v[12:13], s[14:15]
	s_branch .LBB167_298
.LBB167_297:
	v_mov_b64_e32 v[12:13], 0
.LBB167_298:
	v_cvt_f32_f64_e32 v12, v[12:13]
	v_max_f32_e32 v13, v99, v99
	v_min_f32_e32 v12, v12, v13
	v_cvt_f64_f32_e32 v[12:13], v12
	v_lshl_add_u64 v[16:17], v[0:1], 3, v[8:9]
	global_store_dwordx2 v[16:17], v[12:13], off
	s_or_b64 exec, exec, s[18:19]
	s_and_b64 s[22:23], s[4:5], s[10:11]
	s_and_saveexec_b64 s[18:19], s[22:23]
	s_cbranch_execz .LBB167_293
.LBB167_299:
	s_and_b64 vcc, exec, s[0:1]
	s_cbranch_vccnz .LBB167_301
; %bb.300:
	v_lshl_add_u64 v[12:13], v[2:3], 3, v[10:11]
	flat_load_dwordx2 v[12:13], v[12:13]
	s_waitcnt vmcnt(0) lgkmcnt(0)
	v_mul_f64 v[12:13], v[12:13], s[14:15]
	s_branch .LBB167_302
.LBB167_301:
	v_mov_b64_e32 v[12:13], 0
.LBB167_302:
	v_cvt_f32_f64_e32 v12, v[12:13]
	v_max_f32_e32 v13, v98, v98
	v_min_f32_e32 v12, v12, v13
	v_cvt_f64_f32_e32 v[12:13], v12
	v_lshl_add_u64 v[16:17], v[2:3], 3, v[8:9]
	global_store_dwordx2 v[16:17], v[12:13], off
	s_or_b64 exec, exec, s[18:19]
	s_and_b64 s[22:23], s[6:7], s[10:11]
	s_and_saveexec_b64 s[18:19], s[22:23]
	s_cbranch_execz .LBB167_294
.LBB167_303:
	s_and_b64 vcc, exec, s[0:1]
	s_cbranch_vccnz .LBB167_305
; %bb.304:
	v_lshl_add_u64 v[12:13], v[4:5], 3, v[10:11]
	flat_load_dwordx2 v[12:13], v[12:13]
	s_waitcnt vmcnt(0) lgkmcnt(0)
	v_mul_f64 v[12:13], v[12:13], s[14:15]
	s_branch .LBB167_306
.LBB167_305:
	v_mov_b64_e32 v[12:13], 0
.LBB167_306:
	v_cvt_f32_f64_e32 v12, v[12:13]
	v_max_f32_e32 v13, v97, v97
	v_min_f32_e32 v12, v12, v13
	v_cvt_f64_f32_e32 v[12:13], v12
	v_lshl_add_u64 v[16:17], v[4:5], 3, v[8:9]
	global_store_dwordx2 v[16:17], v[12:13], off
	s_or_b64 exec, exec, s[18:19]
	s_and_b64 s[18:19], s[8:9], s[10:11]
	s_and_saveexec_b64 s[10:11], s[18:19]
	s_cbranch_execz .LBB167_311
.LBB167_307:
	s_and_b64 vcc, exec, s[0:1]
	s_cbranch_vccnz .LBB167_309
; %bb.308:
	v_lshl_add_u64 v[10:11], v[6:7], 3, v[10:11]
	flat_load_dwordx2 v[10:11], v[10:11]
	s_waitcnt vmcnt(0) lgkmcnt(0)
	v_mul_f64 v[10:11], v[10:11], s[14:15]
	s_branch .LBB167_310
.LBB167_309:
	v_mov_b64_e32 v[10:11], 0
.LBB167_310:
	v_cvt_f32_f64_e32 v10, v[10:11]
	v_max_f32_e32 v11, v96, v96
	v_min_f32_e32 v10, v10, v11
	v_cvt_f64_f32_e32 v[10:11], v10
	v_lshl_add_u64 v[8:9], v[6:7], 3, v[8:9]
	global_store_dwordx2 v[8:9], v[10:11], off
.LBB167_311:
	s_or_b64 exec, exec, s[10:11]
	v_add_u32_e32 v12, 0x68, v14
	v_mad_i64_i32 v[8:9], s[18:19], v12, s21, 0
	v_cmp_gt_i32_e64 s[10:11], s17, v12
	v_lshl_add_u64 v[10:11], v[8:9], 3, s[26:27]
	v_mad_i64_i32 v[8:9], s[18:19], v12, s20, 0
	v_lshl_add_u64 v[8:9], v[8:9], 3, s[12:13]
	s_and_b64 s[22:23], s[2:3], s[10:11]
	s_and_saveexec_b64 s[18:19], s[22:23]
	s_cbranch_execnz .LBB167_315
; %bb.312:
	s_or_b64 exec, exec, s[18:19]
	s_and_b64 s[22:23], s[4:5], s[10:11]
	s_and_saveexec_b64 s[18:19], s[22:23]
	s_cbranch_execnz .LBB167_319
.LBB167_313:
	s_or_b64 exec, exec, s[18:19]
	s_and_b64 s[22:23], s[6:7], s[10:11]
	s_and_saveexec_b64 s[18:19], s[22:23]
	s_cbranch_execnz .LBB167_323
.LBB167_314:
	s_or_b64 exec, exec, s[18:19]
	s_and_b64 s[18:19], s[8:9], s[10:11]
	s_and_saveexec_b64 s[10:11], s[18:19]
	s_cbranch_execnz .LBB167_327
	s_branch .LBB167_331
.LBB167_315:
	s_and_b64 vcc, exec, s[0:1]
	s_cbranch_vccnz .LBB167_317
; %bb.316:
	v_lshl_add_u64 v[12:13], v[0:1], 3, v[10:11]
	flat_load_dwordx2 v[12:13], v[12:13]
	s_waitcnt vmcnt(0) lgkmcnt(0)
	v_mul_f64 v[12:13], v[12:13], s[14:15]
	s_branch .LBB167_318
.LBB167_317:
	v_mov_b64_e32 v[12:13], 0
.LBB167_318:
	v_cvt_f32_f64_e32 v12, v[12:13]
	v_max_f32_e32 v13, v95, v95
	v_min_f32_e32 v12, v12, v13
	v_cvt_f64_f32_e32 v[12:13], v12
	v_lshl_add_u64 v[16:17], v[0:1], 3, v[8:9]
	global_store_dwordx2 v[16:17], v[12:13], off
	s_or_b64 exec, exec, s[18:19]
	s_and_b64 s[22:23], s[4:5], s[10:11]
	s_and_saveexec_b64 s[18:19], s[22:23]
	s_cbranch_execz .LBB167_313
.LBB167_319:
	s_and_b64 vcc, exec, s[0:1]
	s_cbranch_vccnz .LBB167_321
; %bb.320:
	v_lshl_add_u64 v[12:13], v[2:3], 3, v[10:11]
	flat_load_dwordx2 v[12:13], v[12:13]
	s_waitcnt vmcnt(0) lgkmcnt(0)
	v_mul_f64 v[12:13], v[12:13], s[14:15]
	s_branch .LBB167_322
.LBB167_321:
	v_mov_b64_e32 v[12:13], 0
.LBB167_322:
	v_cvt_f32_f64_e32 v12, v[12:13]
	v_max_f32_e32 v13, v94, v94
	v_min_f32_e32 v12, v12, v13
	v_cvt_f64_f32_e32 v[12:13], v12
	v_lshl_add_u64 v[16:17], v[2:3], 3, v[8:9]
	global_store_dwordx2 v[16:17], v[12:13], off
	s_or_b64 exec, exec, s[18:19]
	s_and_b64 s[22:23], s[6:7], s[10:11]
	s_and_saveexec_b64 s[18:19], s[22:23]
	s_cbranch_execz .LBB167_314
.LBB167_323:
	s_and_b64 vcc, exec, s[0:1]
	s_cbranch_vccnz .LBB167_325
; %bb.324:
	v_lshl_add_u64 v[12:13], v[4:5], 3, v[10:11]
	flat_load_dwordx2 v[12:13], v[12:13]
	s_waitcnt vmcnt(0) lgkmcnt(0)
	v_mul_f64 v[12:13], v[12:13], s[14:15]
	s_branch .LBB167_326
.LBB167_325:
	v_mov_b64_e32 v[12:13], 0
.LBB167_326:
	v_cvt_f32_f64_e32 v12, v[12:13]
	v_max_f32_e32 v13, v93, v93
	v_min_f32_e32 v12, v12, v13
	v_cvt_f64_f32_e32 v[12:13], v12
	v_lshl_add_u64 v[16:17], v[4:5], 3, v[8:9]
	global_store_dwordx2 v[16:17], v[12:13], off
	s_or_b64 exec, exec, s[18:19]
	s_and_b64 s[18:19], s[8:9], s[10:11]
	s_and_saveexec_b64 s[10:11], s[18:19]
	s_cbranch_execz .LBB167_331
.LBB167_327:
	s_and_b64 vcc, exec, s[0:1]
	s_cbranch_vccnz .LBB167_329
; %bb.328:
	v_lshl_add_u64 v[10:11], v[6:7], 3, v[10:11]
	flat_load_dwordx2 v[10:11], v[10:11]
	s_waitcnt vmcnt(0) lgkmcnt(0)
	v_mul_f64 v[10:11], v[10:11], s[14:15]
	s_branch .LBB167_330
.LBB167_329:
	v_mov_b64_e32 v[10:11], 0
.LBB167_330:
	v_cvt_f32_f64_e32 v10, v[10:11]
	v_max_f32_e32 v11, v92, v92
	v_min_f32_e32 v10, v10, v11
	v_cvt_f64_f32_e32 v[10:11], v10
	v_lshl_add_u64 v[8:9], v[6:7], 3, v[8:9]
	global_store_dwordx2 v[8:9], v[10:11], off
.LBB167_331:
	s_or_b64 exec, exec, s[10:11]
	v_add_u32_e32 v12, 0x70, v14
	v_mad_i64_i32 v[8:9], s[18:19], v12, s21, 0
	v_cmp_gt_i32_e64 s[10:11], s17, v12
	v_lshl_add_u64 v[10:11], v[8:9], 3, s[26:27]
	v_mad_i64_i32 v[8:9], s[18:19], v12, s20, 0
	v_lshl_add_u64 v[8:9], v[8:9], 3, s[12:13]
	s_and_b64 s[22:23], s[2:3], s[10:11]
	s_and_saveexec_b64 s[18:19], s[22:23]
	s_cbranch_execnz .LBB167_335
; %bb.332:
	s_or_b64 exec, exec, s[18:19]
	s_and_b64 s[22:23], s[4:5], s[10:11]
	s_and_saveexec_b64 s[18:19], s[22:23]
	s_cbranch_execnz .LBB167_339
.LBB167_333:
	s_or_b64 exec, exec, s[18:19]
	s_and_b64 s[22:23], s[6:7], s[10:11]
	s_and_saveexec_b64 s[18:19], s[22:23]
	s_cbranch_execnz .LBB167_343
.LBB167_334:
	s_or_b64 exec, exec, s[18:19]
	s_and_b64 s[18:19], s[8:9], s[10:11]
	s_and_saveexec_b64 s[10:11], s[18:19]
	s_cbranch_execnz .LBB167_347
	s_branch .LBB167_351
.LBB167_335:
	s_and_b64 vcc, exec, s[0:1]
	s_cbranch_vccnz .LBB167_337
; %bb.336:
	v_lshl_add_u64 v[12:13], v[0:1], 3, v[10:11]
	flat_load_dwordx2 v[12:13], v[12:13]
	s_waitcnt vmcnt(0) lgkmcnt(0)
	v_mul_f64 v[12:13], v[12:13], s[14:15]
	v_cvt_f32_f64_e32 v12, v[12:13]
	s_branch .LBB167_338
.LBB167_337:
	v_mov_b32_e32 v12, 0
.LBB167_338:
	v_max_f32_e32 v13, v91, v91
	v_max_f32_e32 v12, v12, v12
	v_min_f32_e32 v12, v12, v13
	v_cvt_f64_f32_e32 v[12:13], v12
	v_lshl_add_u64 v[16:17], v[0:1], 3, v[8:9]
	global_store_dwordx2 v[16:17], v[12:13], off
	s_or_b64 exec, exec, s[18:19]
	s_and_b64 s[22:23], s[4:5], s[10:11]
	s_and_saveexec_b64 s[18:19], s[22:23]
	s_cbranch_execz .LBB167_333
.LBB167_339:
	s_and_b64 vcc, exec, s[0:1]
	s_cbranch_vccnz .LBB167_341
; %bb.340:
	v_lshl_add_u64 v[12:13], v[2:3], 3, v[10:11]
	flat_load_dwordx2 v[12:13], v[12:13]
	s_waitcnt vmcnt(0) lgkmcnt(0)
	v_mul_f64 v[12:13], v[12:13], s[14:15]
	v_cvt_f32_f64_e32 v12, v[12:13]
	s_branch .LBB167_342
.LBB167_341:
	v_mov_b32_e32 v12, 0
.LBB167_342:
	v_max_f32_e32 v13, v90, v90
	v_max_f32_e32 v12, v12, v12
	v_min_f32_e32 v12, v12, v13
	v_cvt_f64_f32_e32 v[12:13], v12
	v_lshl_add_u64 v[16:17], v[2:3], 3, v[8:9]
	global_store_dwordx2 v[16:17], v[12:13], off
	s_or_b64 exec, exec, s[18:19]
	s_and_b64 s[22:23], s[6:7], s[10:11]
	s_and_saveexec_b64 s[18:19], s[22:23]
	s_cbranch_execz .LBB167_334
.LBB167_343:
	s_and_b64 vcc, exec, s[0:1]
	s_cbranch_vccnz .LBB167_345
; %bb.344:
	v_lshl_add_u64 v[12:13], v[4:5], 3, v[10:11]
	flat_load_dwordx2 v[12:13], v[12:13]
	s_waitcnt vmcnt(0) lgkmcnt(0)
	v_mul_f64 v[12:13], v[12:13], s[14:15]
	v_cvt_f32_f64_e32 v12, v[12:13]
	s_branch .LBB167_346
.LBB167_345:
	v_mov_b32_e32 v12, 0
.LBB167_346:
	v_max_f32_e32 v13, v89, v89
	v_max_f32_e32 v12, v12, v12
	v_min_f32_e32 v12, v12, v13
	v_cvt_f64_f32_e32 v[12:13], v12
	v_lshl_add_u64 v[16:17], v[4:5], 3, v[8:9]
	global_store_dwordx2 v[16:17], v[12:13], off
	s_or_b64 exec, exec, s[18:19]
	s_and_b64 s[18:19], s[8:9], s[10:11]
	s_and_saveexec_b64 s[10:11], s[18:19]
	s_cbranch_execz .LBB167_351
.LBB167_347:
	s_and_b64 vcc, exec, s[0:1]
	s_cbranch_vccnz .LBB167_349
; %bb.348:
	v_lshl_add_u64 v[10:11], v[6:7], 3, v[10:11]
	flat_load_dwordx2 v[10:11], v[10:11]
	s_waitcnt vmcnt(0) lgkmcnt(0)
	v_mul_f64 v[10:11], v[10:11], s[14:15]
	v_cvt_f32_f64_e32 v10, v[10:11]
	s_branch .LBB167_350
.LBB167_349:
	v_mov_b32_e32 v10, 0
.LBB167_350:
	v_max_f32_e32 v11, v88, v88
	v_max_f32_e32 v10, v10, v10
	v_min_f32_e32 v10, v10, v11
	v_cvt_f64_f32_e32 v[10:11], v10
	v_lshl_add_u64 v[8:9], v[6:7], 3, v[8:9]
	global_store_dwordx2 v[8:9], v[10:11], off
.LBB167_351:
	s_or_b64 exec, exec, s[10:11]
	v_add_u32_e32 v12, 0x78, v14
	v_cmp_gt_i32_e64 s[10:11], s17, v12
	v_mad_i64_i32 v[8:9], s[16:17], v12, s21, 0
	v_lshl_add_u64 v[10:11], v[8:9], 3, s[26:27]
	v_mad_i64_i32 v[8:9], s[16:17], v12, s20, 0
	v_lshl_add_u64 v[8:9], v[8:9], 3, s[12:13]
	s_and_b64 s[12:13], s[2:3], s[10:11]
	s_and_saveexec_b64 s[2:3], s[12:13]
	s_cbranch_execnz .LBB167_356
; %bb.352:
	s_or_b64 exec, exec, s[2:3]
	s_and_b64 s[4:5], s[4:5], s[10:11]
	s_and_saveexec_b64 s[2:3], s[4:5]
	s_cbranch_execnz .LBB167_360
.LBB167_353:
	s_or_b64 exec, exec, s[2:3]
	s_and_b64 s[4:5], s[6:7], s[10:11]
	s_and_saveexec_b64 s[2:3], s[4:5]
	s_cbranch_execnz .LBB167_364
.LBB167_354:
	s_or_b64 exec, exec, s[2:3]
	s_and_b64 s[2:3], s[8:9], s[10:11]
	s_and_saveexec_b64 s[4:5], s[2:3]
	s_cbranch_execnz .LBB167_368
.LBB167_355:
	s_endpgm
.LBB167_356:
	s_and_b64 vcc, exec, s[0:1]
	s_cbranch_vccnz .LBB167_358
; %bb.357:
	v_lshl_add_u64 v[12:13], v[0:1], 3, v[10:11]
	flat_load_dwordx2 v[12:13], v[12:13]
	s_waitcnt vmcnt(0) lgkmcnt(0)
	v_mul_f64 v[12:13], v[12:13], s[14:15]
	v_cvt_f32_f64_e32 v12, v[12:13]
	s_branch .LBB167_359
.LBB167_358:
	v_mov_b32_e32 v12, 0
.LBB167_359:
	v_max_f32_e32 v13, v87, v87
	v_max_f32_e32 v12, v12, v12
	v_min_f32_e32 v12, v12, v13
	v_cvt_f64_f32_e32 v[12:13], v12
	v_lshl_add_u64 v[0:1], v[0:1], 3, v[8:9]
	global_store_dwordx2 v[0:1], v[12:13], off
	s_or_b64 exec, exec, s[2:3]
	s_and_b64 s[4:5], s[4:5], s[10:11]
	s_and_saveexec_b64 s[2:3], s[4:5]
	s_cbranch_execz .LBB167_353
.LBB167_360:
	s_and_b64 vcc, exec, s[0:1]
	s_cbranch_vccnz .LBB167_362
; %bb.361:
	v_lshl_add_u64 v[0:1], v[2:3], 3, v[10:11]
	flat_load_dwordx2 v[0:1], v[0:1]
	s_waitcnt vmcnt(0) lgkmcnt(0)
	v_mul_f64 v[0:1], v[0:1], s[14:15]
	v_cvt_f32_f64_e32 v0, v[0:1]
	s_branch .LBB167_363
.LBB167_362:
	v_mov_b32_e32 v0, 0
.LBB167_363:
	v_max_f32_e32 v1, v86, v86
	v_max_f32_e32 v0, v0, v0
	v_min_f32_e32 v0, v0, v1
	v_cvt_f64_f32_e32 v[0:1], v0
	v_lshl_add_u64 v[2:3], v[2:3], 3, v[8:9]
	global_store_dwordx2 v[2:3], v[0:1], off
	s_or_b64 exec, exec, s[2:3]
	s_and_b64 s[4:5], s[6:7], s[10:11]
	s_and_saveexec_b64 s[2:3], s[4:5]
	s_cbranch_execz .LBB167_354
.LBB167_364:
	s_and_b64 vcc, exec, s[0:1]
	s_cbranch_vccnz .LBB167_366
; %bb.365:
	v_lshl_add_u64 v[0:1], v[4:5], 3, v[10:11]
	flat_load_dwordx2 v[0:1], v[0:1]
	s_waitcnt vmcnt(0) lgkmcnt(0)
	v_mul_f64 v[0:1], v[0:1], s[14:15]
	v_cvt_f32_f64_e32 v0, v[0:1]
	s_branch .LBB167_367
.LBB167_366:
	v_mov_b32_e32 v0, 0
.LBB167_367:
	v_max_f32_e32 v1, v85, v85
	v_max_f32_e32 v0, v0, v0
	v_min_f32_e32 v0, v0, v1
	v_cvt_f64_f32_e32 v[0:1], v0
	v_lshl_add_u64 v[2:3], v[4:5], 3, v[8:9]
	global_store_dwordx2 v[2:3], v[0:1], off
	s_or_b64 exec, exec, s[2:3]
	s_and_b64 s[2:3], s[8:9], s[10:11]
	s_and_saveexec_b64 s[4:5], s[2:3]
	s_cbranch_execz .LBB167_355
.LBB167_368:
	s_and_b64 vcc, exec, s[0:1]
	s_cbranch_vccnz .LBB167_370
; %bb.369:
	v_lshl_add_u64 v[0:1], v[6:7], 3, v[10:11]
	flat_load_dwordx2 v[0:1], v[0:1]
	s_waitcnt vmcnt(0) lgkmcnt(0)
	v_mul_f64 v[0:1], v[0:1], s[14:15]
	v_cvt_f32_f64_e32 v0, v[0:1]
	s_branch .LBB167_371
.LBB167_370:
	v_mov_b32_e32 v0, 0
.LBB167_371:
	v_max_f32_e32 v1, v84, v84
	v_max_f32_e32 v0, v0, v0
	v_min_f32_e32 v0, v0, v1
	v_cvt_f64_f32_e32 v[0:1], v0
	v_lshl_add_u64 v[2:3], v[6:7], 3, v[8:9]
	global_store_dwordx2 v[2:3], v[0:1], off
	s_endpgm
	.section	.rodata,"a",@progbits
	.p2align	6, 0x0
	.amdhsa_kernel _ZN12_GLOBAL__N_120geam_min_plus_kernelId15HIP_vector_typeIdLj2EEdLi32ELi8ELi128ELi128ELi4ELi4ELi64ELi4ELi64ELc84ELc78ELb0ELb1ELb1EdKddEEviiiT16_PT17_ilS6_ilS4_S6_ilPT18_ili26rocblas_geam_ex_operation_
		.amdhsa_group_segment_fixed_size 16384
		.amdhsa_private_segment_fixed_size 0
		.amdhsa_kernarg_size 136
		.amdhsa_user_sgpr_count 2
		.amdhsa_user_sgpr_dispatch_ptr 0
		.amdhsa_user_sgpr_queue_ptr 0
		.amdhsa_user_sgpr_kernarg_segment_ptr 1
		.amdhsa_user_sgpr_dispatch_id 0
		.amdhsa_user_sgpr_kernarg_preload_length 0
		.amdhsa_user_sgpr_kernarg_preload_offset 0
		.amdhsa_user_sgpr_private_segment_size 0
		.amdhsa_uses_dynamic_stack 0
		.amdhsa_enable_private_segment 0
		.amdhsa_system_sgpr_workgroup_id_x 1
		.amdhsa_system_sgpr_workgroup_id_y 0
		.amdhsa_system_sgpr_workgroup_id_z 1
		.amdhsa_system_sgpr_workgroup_info 0
		.amdhsa_system_vgpr_workitem_id 1
		.amdhsa_next_free_vgpr 174
		.amdhsa_next_free_sgpr 44
		.amdhsa_accum_offset 176
		.amdhsa_reserve_vcc 1
		.amdhsa_float_round_mode_32 0
		.amdhsa_float_round_mode_16_64 0
		.amdhsa_float_denorm_mode_32 3
		.amdhsa_float_denorm_mode_16_64 3
		.amdhsa_dx10_clamp 1
		.amdhsa_ieee_mode 1
		.amdhsa_fp16_overflow 0
		.amdhsa_tg_split 0
		.amdhsa_exception_fp_ieee_invalid_op 0
		.amdhsa_exception_fp_denorm_src 0
		.amdhsa_exception_fp_ieee_div_zero 0
		.amdhsa_exception_fp_ieee_overflow 0
		.amdhsa_exception_fp_ieee_underflow 0
		.amdhsa_exception_fp_ieee_inexact 0
		.amdhsa_exception_int_div_zero 0
	.end_amdhsa_kernel
	.section	.text._ZN12_GLOBAL__N_120geam_min_plus_kernelId15HIP_vector_typeIdLj2EEdLi32ELi8ELi128ELi128ELi4ELi4ELi64ELi4ELi64ELc84ELc78ELb0ELb1ELb1EdKddEEviiiT16_PT17_ilS6_ilS4_S6_ilPT18_ili26rocblas_geam_ex_operation_,"axG",@progbits,_ZN12_GLOBAL__N_120geam_min_plus_kernelId15HIP_vector_typeIdLj2EEdLi32ELi8ELi128ELi128ELi4ELi4ELi64ELi4ELi64ELc84ELc78ELb0ELb1ELb1EdKddEEviiiT16_PT17_ilS6_ilS4_S6_ilPT18_ili26rocblas_geam_ex_operation_,comdat
.Lfunc_end167:
	.size	_ZN12_GLOBAL__N_120geam_min_plus_kernelId15HIP_vector_typeIdLj2EEdLi32ELi8ELi128ELi128ELi4ELi4ELi64ELi4ELi64ELc84ELc78ELb0ELb1ELb1EdKddEEviiiT16_PT17_ilS6_ilS4_S6_ilPT18_ili26rocblas_geam_ex_operation_, .Lfunc_end167-_ZN12_GLOBAL__N_120geam_min_plus_kernelId15HIP_vector_typeIdLj2EEdLi32ELi8ELi128ELi128ELi4ELi4ELi64ELi4ELi64ELc84ELc78ELb0ELb1ELb1EdKddEEviiiT16_PT17_ilS6_ilS4_S6_ilPT18_ili26rocblas_geam_ex_operation_
                                        ; -- End function
	.section	.AMDGPU.csdata,"",@progbits
; Kernel info:
; codeLenInByte = 19356
; NumSgprs: 50
; NumVgprs: 174
; NumAgprs: 0
; TotalNumVgprs: 174
; ScratchSize: 0
; MemoryBound: 0
; FloatMode: 240
; IeeeMode: 1
; LDSByteSize: 16384 bytes/workgroup (compile time only)
; SGPRBlocks: 6
; VGPRBlocks: 21
; NumSGPRsForWavesPerEU: 50
; NumVGPRsForWavesPerEU: 174
; AccumOffset: 176
; Occupancy: 2
; WaveLimiterHint : 0
; COMPUTE_PGM_RSRC2:SCRATCH_EN: 0
; COMPUTE_PGM_RSRC2:USER_SGPR: 2
; COMPUTE_PGM_RSRC2:TRAP_HANDLER: 0
; COMPUTE_PGM_RSRC2:TGID_X_EN: 1
; COMPUTE_PGM_RSRC2:TGID_Y_EN: 0
; COMPUTE_PGM_RSRC2:TGID_Z_EN: 1
; COMPUTE_PGM_RSRC2:TIDIG_COMP_CNT: 1
; COMPUTE_PGM_RSRC3_GFX90A:ACCUM_OFFSET: 43
; COMPUTE_PGM_RSRC3_GFX90A:TG_SPLIT: 0
	.section	.text._ZN12_GLOBAL__N_120geam_min_plus_kernelId15HIP_vector_typeIdLj2EEdLi8ELi32ELi64ELi256ELi4ELi64ELi4ELi64ELi4ELc78ELc84ELb0ELb0ELb1EPKdS3_dEEviiiT16_PT17_ilS7_ilS5_S7_ilPT18_ili26rocblas_geam_ex_operation_,"axG",@progbits,_ZN12_GLOBAL__N_120geam_min_plus_kernelId15HIP_vector_typeIdLj2EEdLi8ELi32ELi64ELi256ELi4ELi64ELi4ELi64ELi4ELc78ELc84ELb0ELb0ELb1EPKdS3_dEEviiiT16_PT17_ilS7_ilS5_S7_ilPT18_ili26rocblas_geam_ex_operation_,comdat
	.globl	_ZN12_GLOBAL__N_120geam_min_plus_kernelId15HIP_vector_typeIdLj2EEdLi8ELi32ELi64ELi256ELi4ELi64ELi4ELi64ELi4ELc78ELc84ELb0ELb0ELb1EPKdS3_dEEviiiT16_PT17_ilS7_ilS5_S7_ilPT18_ili26rocblas_geam_ex_operation_ ; -- Begin function _ZN12_GLOBAL__N_120geam_min_plus_kernelId15HIP_vector_typeIdLj2EEdLi8ELi32ELi64ELi256ELi4ELi64ELi4ELi64ELi4ELc78ELc84ELb0ELb0ELb1EPKdS3_dEEviiiT16_PT17_ilS7_ilS5_S7_ilPT18_ili26rocblas_geam_ex_operation_
	.p2align	8
	.type	_ZN12_GLOBAL__N_120geam_min_plus_kernelId15HIP_vector_typeIdLj2EEdLi8ELi32ELi64ELi256ELi4ELi64ELi4ELi64ELi4ELc78ELc84ELb0ELb0ELb1EPKdS3_dEEviiiT16_PT17_ilS7_ilS5_S7_ilPT18_ili26rocblas_geam_ex_operation_,@function
_ZN12_GLOBAL__N_120geam_min_plus_kernelId15HIP_vector_typeIdLj2EEdLi8ELi32ELi64ELi256ELi4ELi64ELi4ELi64ELi4ELc78ELc84ELb0ELb0ELb1EPKdS3_dEEviiiT16_PT17_ilS7_ilS5_S7_ilPT18_ili26rocblas_geam_ex_operation_: ; @_ZN12_GLOBAL__N_120geam_min_plus_kernelId15HIP_vector_typeIdLj2EEdLi8ELi32ELi64ELi256ELi4ELi64ELi4ELi64ELi4ELc78ELc84ELb0ELb0ELb1EPKdS3_dEEviiiT16_PT17_ilS7_ilS5_S7_ilPT18_ili26rocblas_geam_ex_operation_
; %bb.0:
	s_load_dwordx4 s[12:15], s[0:1], 0x10
	s_load_dwordx4 s[4:7], s[0:1], 0x28
	s_mov_b32 s18, s3
	s_mov_b32 s19, 0
	s_lshl_b64 s[16:17], s[18:19], 3
	s_waitcnt lgkmcnt(0)
	s_add_u32 s12, s12, s16
	s_load_dwordx4 s[8:11], s[0:1], 0x40
	s_addc_u32 s13, s13, s17
	s_load_dwordx2 s[20:21], s[12:13], 0x0
	s_load_dwordx2 s[28:29], s[0:1], 0x50
	s_mov_b64 s[22:23], 0
	s_mov_b64 s[24:25], 0
	s_waitcnt lgkmcnt(0)
	s_add_u32 s10, s10, s16
	v_cmp_eq_f64_e64 s[26:27], s[20:21], 0
	s_addc_u32 s11, s11, s17
	v_cmp_neq_f64_e64 s[12:13], s[20:21], 0
	s_and_b64 vcc, exec, s[26:27]
	s_cbranch_vccnz .LBB168_2
; %bb.1:
	s_mul_i32 s3, s18, s5
	s_mul_hi_u32 s5, s18, s4
	s_add_i32 s5, s5, s3
	s_mul_i32 s4, s18, s4
	s_lshl_b64 s[4:5], s[4:5], 3
	s_add_u32 s24, s14, s4
	s_addc_u32 s25, s15, s5
.LBB168_2:
	s_load_dwordx2 s[10:11], s[10:11], 0x0
	v_cndmask_b32_e64 v1, 0, 1, s[12:13]
	v_cmp_ne_u32_e64 s[4:5], 1, v1
	s_andn2_b64 vcc, exec, s[12:13]
	s_cbranch_vccnz .LBB168_4
; %bb.3:
	s_mul_i32 s3, s18, s9
	s_mul_hi_u32 s9, s18, s8
	s_add_i32 s9, s9, s3
	s_mul_i32 s8, s18, s8
	s_lshl_b64 s[8:9], s[8:9], 3
	s_add_u32 s22, s6, s8
	s_addc_u32 s23, s7, s9
.LBB168_4:
	s_load_dwordx4 s[12:15], s[0:1], 0x60
	s_waitcnt lgkmcnt(0)
	v_cmp_eq_f64_e64 s[6:7], s[10:11], 0
	s_and_b64 s[8:9], exec, s[6:7]
	s_mov_b64 s[16:17], 0
	s_mov_b64 vcc, s[8:9]
	s_cbranch_vccnz .LBB168_6
; %bb.5:
	s_mul_i32 s3, s18, s13
	s_mul_hi_u32 s6, s18, s12
	s_add_i32 s7, s6, s3
	s_mul_i32 s6, s18, s12
	s_lshl_b64 s[6:7], s[6:7], 3
	s_add_u32 s16, s28, s6
	s_addc_u32 s17, s29, s7
.LBB168_6:
	s_load_dword s3, s[0:1], 0x0
	s_load_dword s28, s[0:1], 0x20
	v_and_b32_e32 v131, 0x3ff, v0
	v_bfe_u32 v132, v0, 10, 10
	v_cndmask_b32_e64 v0, 0, 1, s[26:27]
	s_waitcnt lgkmcnt(0)
	s_add_i32 s3, s3, -1
	s_ashr_i32 s6, s3, 31
	s_lshr_b32 s6, s6, 26
	s_add_i32 s3, s3, s6
	s_ashr_i32 s3, s3, 6
	s_add_i32 s12, s3, 1
	v_cvt_f32_u32_e32 v1, s12
	v_cmp_ne_u32_e64 s[6:7], 1, v0
	s_not_b32 s3, s3
	s_ashr_i32 s29, s28, 31
	v_rcp_iflag_f32_e32 v1, v1
	v_lshl_add_u32 v2, v132, 3, v131
	v_and_b32_e32 v144, 63, v2
	v_lshrrev_b32_e32 v60, 6, v2
	v_mul_f32_e32 v0, 0x4f7ffffe, v1
	v_cvt_u32_f32_e32 v0, v0
	s_nop 0
	v_readfirstlane_b32 s13, v0
	s_mul_i32 s3, s3, s13
	s_mul_hi_u32 s3, s13, s3
	s_add_i32 s13, s13, s3
	s_mul_hi_u32 s3, s2, s13
	s_mul_i32 s13, s3, s12
	s_sub_i32 s13, s2, s13
	s_add_i32 s19, s3, 1
	s_sub_i32 s30, s13, s12
	s_cmp_ge_u32 s13, s12
	s_cselect_b32 s3, s19, s3
	s_cselect_b32 s13, s30, s13
	s_add_i32 s19, s3, 1
	s_cmp_ge_u32 s13, s12
	s_cselect_b32 s30, s19, s3
	s_mul_i32 s3, s30, s12
	s_sub_i32 s2, s2, s3
	s_andn2_b64 vcc, exec, s[26:27]
	s_lshl_b32 s19, s2, 6
	s_cbranch_vccnz .LBB168_9
; %bb.7:
	v_mov_b32_e32 v3, 0
	s_mov_b64 s[2:3], 0
	v_or_b32_e32 v66, s19, v144
	v_ashrrev_i32_e32 v67, 31, v66
	s_cbranch_execz .LBB168_10
; %bb.8:
	v_mov_b64_e32 v[0:1], s[2:3]
	s_branch .LBB168_11
.LBB168_9:
                                        ; implicit-def: $sgpr2_sgpr3
                                        ; implicit-def: $vgpr2_vgpr3
	v_or_b32_e32 v66, s19, v144
	v_ashrrev_i32_e32 v67, 31, v66
.LBB168_10:
	v_mad_i64_i32 v[0:1], s[2:3], s28, v60, 0
	v_lshl_add_u64 v[0:1], v[0:1], 3, s[24:25]
	v_lshl_add_u64 v[0:1], v[66:67], 3, v[0:1]
	flat_load_dwordx2 v[0:1], v[0:1]
	v_mov_b32_e32 v3, 0
	s_waitcnt vmcnt(0) lgkmcnt(0)
	v_mul_f64 v[0:1], s[20:21], v[0:1]
.LBB168_11:
	s_load_dword s13, s[0:1], 0x38
	s_lshl_b32 s12, s30, 8
	v_or_b32_e32 v62, s12, v144
	s_and_b64 vcc, exec, s[4:5]
	v_ashrrev_i32_e32 v63, 31, v62
	s_waitcnt lgkmcnt(0)
	s_ashr_i32 s26, s13, 31
	v_mul_lo_u32 v4, v3, s13
	v_mul_lo_u32 v5, v60, s26
	v_mad_u64_u32 v[2:3], s[2:3], v60, s13, 0
	v_add3_u32 v3, v3, v5, v4
	v_lshl_add_u64 v[6:7], v[2:3], 3, s[22:23]
	s_cbranch_vccnz .LBB168_16
; %bb.12:
	v_lshl_add_u64 v[2:3], v[62:63], 3, v[6:7]
	flat_load_dwordx2 v[4:5], v[2:3]
	flat_load_dwordx2 v[8:9], v[2:3] offset:512
	s_waitcnt vmcnt(0) lgkmcnt(0)
	v_mul_f64 v[2:3], s[20:21], v[4:5]
	v_mul_f64 v[4:5], s[20:21], v[8:9]
	s_and_b64 vcc, exec, s[4:5]
	s_cbranch_vccnz .LBB168_17
.LBB168_13:
	v_lshl_add_u64 v[6:7], v[62:63], 3, v[6:7]
	flat_load_dwordx2 v[8:9], v[6:7] offset:1024
	flat_load_dwordx2 v[10:11], v[6:7] offset:1536
	s_waitcnt vmcnt(0) lgkmcnt(0)
	v_mul_f64 v[6:7], s[20:21], v[8:9]
	v_mul_f64 v[8:9], s[20:21], v[10:11]
	s_and_b64 vcc, exec, s[6:7]
	v_add_u32_e32 v64, 4, v60
	s_cbranch_vccnz .LBB168_18
.LBB168_14:
	v_mov_b32_e32 v11, 0
	s_mov_b64 s[2:3], 0
	s_cbranch_execz .LBB168_19
; %bb.15:
	v_mov_b64_e32 v[68:69], s[2:3]
	s_branch .LBB168_20
.LBB168_16:
	v_mov_b64_e32 v[2:3], 0
	v_mov_b64_e32 v[4:5], 0
	s_and_b64 vcc, exec, s[4:5]
	s_cbranch_vccz .LBB168_13
.LBB168_17:
	v_mov_b64_e32 v[6:7], 0
	v_mov_b64_e32 v[8:9], 0
	s_and_b64 vcc, exec, s[6:7]
	v_add_u32_e32 v64, 4, v60
	s_cbranch_vccz .LBB168_14
.LBB168_18:
                                        ; implicit-def: $sgpr2_sgpr3
                                        ; implicit-def: $vgpr10_vgpr11
.LBB168_19:
	v_mad_i64_i32 v[10:11], s[2:3], s28, v64, 0
	v_lshl_add_u64 v[10:11], v[10:11], 3, s[24:25]
	v_lshl_add_u64 v[10:11], v[66:67], 3, v[10:11]
	flat_load_dwordx2 v[12:13], v[10:11]
	v_mov_b32_e32 v11, 0
	s_waitcnt vmcnt(0) lgkmcnt(0)
	v_mul_f64 v[68:69], s[20:21], v[12:13]
.LBB168_20:
	v_mul_lo_u32 v12, v11, s13
	v_mul_lo_u32 v13, v64, s26
	v_mad_u64_u32 v[10:11], s[2:3], v64, s13, 0
	v_add3_u32 v11, v11, v13, v12
	s_and_b64 vcc, exec, s[4:5]
	v_lshl_add_u64 v[10:11], v[10:11], 3, s[22:23]
	s_cbranch_vccnz .LBB168_23
; %bb.21:
	v_lshl_add_u64 v[12:13], v[62:63], 3, v[10:11]
	flat_load_dwordx2 v[14:15], v[12:13]
	flat_load_dwordx2 v[16:17], v[12:13] offset:512
	s_waitcnt vmcnt(0) lgkmcnt(0)
	v_mul_f64 v[70:71], s[20:21], v[14:15]
	v_mul_f64 v[72:73], s[20:21], v[16:17]
	s_and_b64 vcc, exec, s[4:5]
	s_cbranch_vccnz .LBB168_24
.LBB168_22:
	v_lshl_add_u64 v[10:11], v[62:63], 3, v[10:11]
	flat_load_dwordx2 v[12:13], v[10:11] offset:1024
	flat_load_dwordx2 v[14:15], v[10:11] offset:1536
	s_waitcnt vmcnt(0) lgkmcnt(0)
	v_mul_f64 v[74:75], s[20:21], v[12:13]
	v_mul_f64 v[76:77], s[20:21], v[14:15]
	s_branch .LBB168_25
.LBB168_23:
	v_mov_b64_e32 v[70:71], 0
	v_mov_b64_e32 v[72:73], 0
	s_and_b64 vcc, exec, s[4:5]
	s_cbranch_vccz .LBB168_22
.LBB168_24:
	v_mov_b64_e32 v[74:75], 0
	v_mov_b64_e32 v[76:77], 0
.LBB168_25:
	v_lshlrev_b32_e32 v10, 3, v60
	v_lshl_add_u32 v142, v144, 5, v10
	v_or_b32_e32 v143, 0x4000, v142
	s_mov_b32 s6, 0
	s_mov_b64 s[2:3], -1
	v_mov_b32_e32 v61, 0x7f800000
	v_mov_b32_e32 v65, 0x7f800000
	;; [unrolled: 1-line block ×64, first 2 shown]
	ds_write_b64 v142, v[0:1] offset:16384
	ds_write2st64_b64 v142, v[2:3], v[4:5] offset1:4
	ds_write2st64_b64 v142, v[6:7], v[8:9] offset0:8 offset1:12
	s_waitcnt lgkmcnt(0)
	s_barrier
.LBB168_26:                             ; =>This Inner Loop Header: Depth=1
	v_cndmask_b32_e64 v0, 0, 1, s[2:3]
	s_lshl_b32 s2, s6, 3
	v_cmp_ne_u32_e32 vcc, 1, v0
	v_lshl_add_u32 v0, v131, 5, s2
	v_lshl_add_u32 v20, v132, 5, s2
	ds_read_b128 v[32:35], v0 offset:16384
	ds_read_b128 v[28:31], v0 offset:16640
	;; [unrolled: 1-line block ×8, first 2 shown]
	ds_read_b128 v[146:149], v20
	ds_read_b128 v[56:59], v20 offset:1024
	ds_read_b128 v[52:55], v20 offset:2048
	;; [unrolled: 1-line block ×7, first 2 shown]
	s_waitcnt lgkmcnt(7)
	v_add_f64 v[150:151], v[34:35], v[148:149]
	v_add_f64 v[152:153], v[32:33], v[146:147]
	v_cvt_f32_f64_e32 v145, v[152:153]
	v_cvt_f32_f64_e32 v150, v[150:151]
	v_min3_f32 v141, v145, v150, v141
	v_add_f64 v[150:151], v[30:31], v[148:149]
	v_add_f64 v[152:153], v[28:29], v[146:147]
	v_cvt_f32_f64_e32 v145, v[152:153]
	v_cvt_f32_f64_e32 v150, v[150:151]
	v_min3_f32 v140, v145, v150, v140
	;; [unrolled: 5-line block ×6, first 2 shown]
	v_add_f64 v[150:151], v[6:7], v[148:149]
	v_add_f64 v[152:153], v[4:5], v[146:147]
	v_cvt_f32_f64_e32 v145, v[152:153]
	v_cvt_f32_f64_e32 v150, v[150:151]
	v_add_f64 v[148:149], v[2:3], v[148:149]
	v_add_f64 v[146:147], v[0:1], v[146:147]
	v_min3_f32 v135, v145, v150, v135
	v_cvt_f32_f64_e32 v145, v[146:147]
	v_cvt_f32_f64_e32 v146, v[148:149]
	v_min3_f32 v134, v145, v146, v134
	s_waitcnt lgkmcnt(6)
	v_add_f64 v[146:147], v[34:35], v[58:59]
	v_add_f64 v[148:149], v[32:33], v[56:57]
	v_cvt_f32_f64_e32 v145, v[148:149]
	v_cvt_f32_f64_e32 v146, v[146:147]
	v_min3_f32 v133, v145, v146, v133
	v_add_f64 v[146:147], v[30:31], v[58:59]
	v_add_f64 v[148:149], v[28:29], v[56:57]
	v_cvt_f32_f64_e32 v145, v[148:149]
	v_cvt_f32_f64_e32 v146, v[146:147]
	v_min3_f32 v130, v145, v146, v130
	v_add_f64 v[146:147], v[26:27], v[58:59]
	v_add_f64 v[148:149], v[24:25], v[56:57]
	v_cvt_f32_f64_e32 v145, v[148:149]
	v_cvt_f32_f64_e32 v146, v[146:147]
	v_min3_f32 v129, v145, v146, v129
	v_add_f64 v[146:147], v[18:19], v[58:59]
	v_add_f64 v[148:149], v[16:17], v[56:57]
	v_cvt_f32_f64_e32 v145, v[148:149]
	v_cvt_f32_f64_e32 v146, v[146:147]
	v_min3_f32 v128, v145, v146, v128
	v_add_f64 v[146:147], v[14:15], v[58:59]
	v_add_f64 v[148:149], v[12:13], v[56:57]
	v_cvt_f32_f64_e32 v145, v[148:149]
	v_cvt_f32_f64_e32 v146, v[146:147]
	v_min3_f32 v127, v145, v146, v127
	v_add_f64 v[146:147], v[10:11], v[58:59]
	v_add_f64 v[148:149], v[8:9], v[56:57]
	v_cvt_f32_f64_e32 v145, v[148:149]
	v_cvt_f32_f64_e32 v146, v[146:147]
	v_min3_f32 v126, v145, v146, v126
	v_add_f64 v[146:147], v[6:7], v[58:59]
	v_add_f64 v[148:149], v[4:5], v[56:57]
	v_add_f64 v[58:59], v[2:3], v[58:59]
	v_add_f64 v[56:57], v[0:1], v[56:57]
	v_cvt_f32_f64_e32 v56, v[56:57]
	v_cvt_f32_f64_e32 v57, v[58:59]
	v_min3_f32 v124, v56, v57, v124
	s_waitcnt lgkmcnt(5)
	v_add_f64 v[56:57], v[34:35], v[54:55]
	v_add_f64 v[58:59], v[32:33], v[52:53]
	v_cvt_f32_f64_e32 v58, v[58:59]
	v_cvt_f32_f64_e32 v56, v[56:57]
	v_min3_f32 v123, v58, v56, v123
	v_add_f64 v[56:57], v[30:31], v[54:55]
	v_add_f64 v[58:59], v[28:29], v[52:53]
	v_cvt_f32_f64_e32 v58, v[58:59]
	v_cvt_f32_f64_e32 v56, v[56:57]
	v_min3_f32 v122, v58, v56, v122
	v_add_f64 v[56:57], v[26:27], v[54:55]
	v_add_f64 v[58:59], v[24:25], v[52:53]
	v_cvt_f32_f64_e32 v58, v[58:59]
	v_cvt_f32_f64_e32 v56, v[56:57]
	v_min3_f32 v121, v58, v56, v121
	v_add_f64 v[56:57], v[18:19], v[54:55]
	v_add_f64 v[58:59], v[16:17], v[52:53]
	v_cvt_f32_f64_e32 v58, v[58:59]
	v_cvt_f32_f64_e32 v56, v[56:57]
	v_min3_f32 v120, v58, v56, v120
	v_add_f64 v[56:57], v[14:15], v[54:55]
	v_add_f64 v[58:59], v[12:13], v[52:53]
	v_cvt_f32_f64_e32 v58, v[58:59]
	v_cvt_f32_f64_e32 v56, v[56:57]
	v_min3_f32 v119, v58, v56, v119
	v_add_f64 v[56:57], v[10:11], v[54:55]
	v_add_f64 v[58:59], v[8:9], v[52:53]
	v_cvt_f32_f64_e32 v58, v[58:59]
	v_cvt_f32_f64_e32 v56, v[56:57]
	v_min3_f32 v118, v58, v56, v118
	v_add_f64 v[56:57], v[6:7], v[54:55]
	v_add_f64 v[58:59], v[4:5], v[52:53]
	v_add_f64 v[54:55], v[2:3], v[54:55]
	v_add_f64 v[52:53], v[0:1], v[52:53]
	;; [unrolled: 38-line block ×6, first 2 shown]
	s_waitcnt lgkmcnt(0)
	v_add_f64 v[34:35], v[34:35], v[22:23]
	v_add_f64 v[32:33], v[32:33], v[20:21]
	;; [unrolled: 1-line block ×16, first 2 shown]
	v_cvt_f32_f64_e32 v145, v[148:149]
	v_cvt_f32_f64_e32 v146, v[146:147]
	;; [unrolled: 1-line block ×30, first 2 shown]
	v_min3_f32 v125, v145, v146, v125
	v_min3_f32 v117, v58, v56, v117
	;; [unrolled: 1-line block ×15, first 2 shown]
	s_mov_b32 s6, 2
	s_mov_b64 s[2:3], 0
	s_cbranch_vccz .LBB168_26
; %bb.27:
	s_load_dword s7, s[0:1], 0x8
	v_lshlrev_b32_e32 v0, 5, v144
	v_lshl_add_u32 v0, v60, 3, v0
	s_mov_b32 s6, 8
	ds_write_b64 v0, v[68:69] offset:18432
	ds_write2st64_b64 v0, v[70:71], v[72:73] offset0:16 offset1:20
	ds_write2st64_b64 v0, v[74:75], v[76:77] offset0:24 offset1:28
	s_waitcnt lgkmcnt(0)
	s_cmp_gt_i32 s7, 8
	s_barrier
	s_cbranch_scc0 .LBB168_50
; %bb.28:
	v_add_u32_e32 v144, 0x4800, v0
	v_or_b32_e32 v145, 0x2000, v0
	s_add_i32 s7, s7, -8
	v_lshl_add_u64 v[66:67], v[66:67], 3, s[24:25]
	s_mov_b32 s24, 0
.LBB168_29:                             ; =>This Loop Header: Depth=1
                                        ;     Child Loop BB168_38 Depth 2
                                        ;     Child Loop BB168_48 Depth 2
	s_and_b64 vcc, exec, s[4:5]
	v_add_u32_e32 v0, s6, v60
	s_cbranch_vccnz .LBB168_31
; %bb.30:                               ;   in Loop: Header=BB168_29 Depth=1
	v_mad_u64_u32 v[2:3], s[2:3], v0, s28, 0
	v_mov_b32_e32 v4, v3
	v_mad_u64_u32 v[4:5], s[2:3], v0, s29, v[4:5]
	v_mov_b32_e32 v3, v4
	v_lshl_add_u64 v[2:3], v[2:3], 3, v[66:67]
	flat_load_dwordx2 v[2:3], v[2:3]
	s_waitcnt vmcnt(0) lgkmcnt(0)
	v_mul_f64 v[68:69], s[20:21], v[2:3]
	s_branch .LBB168_32
.LBB168_31:                             ;   in Loop: Header=BB168_29 Depth=1
	v_mov_b64_e32 v[68:69], 0
.LBB168_32:                             ;   in Loop: Header=BB168_29 Depth=1
	v_mad_u64_u32 v[2:3], s[2:3], v0, s13, 0
	v_mov_b32_e32 v4, v3
	v_mad_u64_u32 v[0:1], s[2:3], v0, s26, v[4:5]
	v_mov_b32_e32 v3, v0
	v_lshl_add_u64 v[0:1], v[2:3], 3, s[22:23]
	s_and_b64 vcc, exec, s[4:5]
	v_lshl_add_u64 v[0:1], v[62:63], 3, v[0:1]
	s_cbranch_vccnz .LBB168_35
; %bb.33:                               ;   in Loop: Header=BB168_29 Depth=1
	flat_load_dwordx2 v[2:3], v[0:1]
	flat_load_dwordx2 v[4:5], v[0:1] offset:512
	s_waitcnt vmcnt(0) lgkmcnt(0)
	v_mul_f64 v[70:71], s[20:21], v[2:3]
	v_mul_f64 v[72:73], s[20:21], v[4:5]
	s_and_b64 vcc, exec, s[4:5]
	s_cbranch_vccnz .LBB168_36
.LBB168_34:                             ;   in Loop: Header=BB168_29 Depth=1
	flat_load_dwordx2 v[2:3], v[0:1] offset:1024
	flat_load_dwordx2 v[4:5], v[0:1] offset:1536
	s_waitcnt vmcnt(0) lgkmcnt(0)
	v_mul_f64 v[74:75], s[20:21], v[2:3]
	v_mul_f64 v[76:77], s[20:21], v[4:5]
	s_branch .LBB168_37
.LBB168_35:                             ;   in Loop: Header=BB168_29 Depth=1
	v_mov_b64_e32 v[70:71], 0
	v_mov_b64_e32 v[72:73], 0
	s_and_b64 vcc, exec, s[4:5]
	s_cbranch_vccz .LBB168_34
.LBB168_36:                             ;   in Loop: Header=BB168_29 Depth=1
	v_mov_b64_e32 v[74:75], 0
	v_mov_b64_e32 v[76:77], 0
.LBB168_37:                             ;   in Loop: Header=BB168_29 Depth=1
	s_mov_b32 s25, 0
	s_mov_b64 s[2:3], -1
.LBB168_38:                             ;   Parent Loop BB168_29 Depth=1
                                        ; =>  This Inner Loop Header: Depth=2
	v_cndmask_b32_e64 v0, 0, 1, s[2:3]
	s_lshl_b32 s2, s25, 3
	v_cmp_ne_u32_e32 vcc, 1, v0
	v_lshl_add_u32 v0, v131, 5, s2
	v_lshl_add_u32 v20, v132, 5, s2
	ds_read_b128 v[32:35], v0 offset:18432
	ds_read_b128 v[28:31], v0 offset:18688
	;; [unrolled: 1-line block ×16, first 2 shown]
	s_waitcnt lgkmcnt(7)
	v_add_f64 v[150:151], v[34:35], v[148:149]
	v_add_f64 v[152:153], v[32:33], v[146:147]
	v_cvt_f32_f64_e32 v152, v[152:153]
	v_cvt_f32_f64_e32 v150, v[150:151]
	v_min3_f32 v141, v152, v150, v141
	v_add_f64 v[150:151], v[30:31], v[148:149]
	v_add_f64 v[152:153], v[28:29], v[146:147]
	v_cvt_f32_f64_e32 v152, v[152:153]
	v_cvt_f32_f64_e32 v150, v[150:151]
	v_min3_f32 v140, v152, v150, v140
	v_add_f64 v[150:151], v[26:27], v[148:149]
	v_add_f64 v[152:153], v[24:25], v[146:147]
	v_cvt_f32_f64_e32 v152, v[152:153]
	v_cvt_f32_f64_e32 v150, v[150:151]
	v_min3_f32 v139, v152, v150, v139
	v_add_f64 v[150:151], v[18:19], v[148:149]
	v_add_f64 v[152:153], v[16:17], v[146:147]
	v_cvt_f32_f64_e32 v152, v[152:153]
	v_cvt_f32_f64_e32 v150, v[150:151]
	v_min3_f32 v138, v152, v150, v138
	v_add_f64 v[150:151], v[14:15], v[148:149]
	v_add_f64 v[152:153], v[12:13], v[146:147]
	v_cvt_f32_f64_e32 v152, v[152:153]
	v_cvt_f32_f64_e32 v150, v[150:151]
	v_min3_f32 v137, v152, v150, v137
	v_add_f64 v[150:151], v[10:11], v[148:149]
	v_add_f64 v[152:153], v[8:9], v[146:147]
	v_cvt_f32_f64_e32 v152, v[152:153]
	v_cvt_f32_f64_e32 v150, v[150:151]
	v_min3_f32 v136, v152, v150, v136
	v_add_f64 v[150:151], v[6:7], v[148:149]
	v_add_f64 v[152:153], v[4:5], v[146:147]
	v_add_f64 v[148:149], v[2:3], v[148:149]
	v_add_f64 v[146:147], v[0:1], v[146:147]
	v_cvt_f32_f64_e32 v146, v[146:147]
	v_cvt_f32_f64_e32 v147, v[148:149]
	v_min3_f32 v134, v146, v147, v134
	s_waitcnt lgkmcnt(6)
	v_add_f64 v[146:147], v[34:35], v[58:59]
	v_add_f64 v[148:149], v[32:33], v[56:57]
	v_cvt_f32_f64_e32 v148, v[148:149]
	v_cvt_f32_f64_e32 v146, v[146:147]
	v_min3_f32 v133, v148, v146, v133
	v_add_f64 v[146:147], v[30:31], v[58:59]
	v_add_f64 v[148:149], v[28:29], v[56:57]
	v_cvt_f32_f64_e32 v148, v[148:149]
	v_cvt_f32_f64_e32 v146, v[146:147]
	v_min3_f32 v130, v148, v146, v130
	v_add_f64 v[146:147], v[26:27], v[58:59]
	v_add_f64 v[148:149], v[24:25], v[56:57]
	v_cvt_f32_f64_e32 v148, v[148:149]
	v_cvt_f32_f64_e32 v146, v[146:147]
	v_min3_f32 v129, v148, v146, v129
	v_add_f64 v[146:147], v[18:19], v[58:59]
	v_add_f64 v[148:149], v[16:17], v[56:57]
	v_cvt_f32_f64_e32 v148, v[148:149]
	v_cvt_f32_f64_e32 v146, v[146:147]
	v_min3_f32 v128, v148, v146, v128
	v_add_f64 v[146:147], v[14:15], v[58:59]
	v_add_f64 v[148:149], v[12:13], v[56:57]
	v_cvt_f32_f64_e32 v148, v[148:149]
	v_cvt_f32_f64_e32 v146, v[146:147]
	v_min3_f32 v127, v148, v146, v127
	v_add_f64 v[146:147], v[10:11], v[58:59]
	v_add_f64 v[148:149], v[8:9], v[56:57]
	v_cvt_f32_f64_e32 v148, v[148:149]
	v_cvt_f32_f64_e32 v146, v[146:147]
	v_min3_f32 v126, v148, v146, v126
	v_add_f64 v[146:147], v[6:7], v[58:59]
	v_add_f64 v[148:149], v[4:5], v[56:57]
	v_add_f64 v[58:59], v[2:3], v[58:59]
	v_add_f64 v[56:57], v[0:1], v[56:57]
	v_cvt_f32_f64_e32 v56, v[56:57]
	v_cvt_f32_f64_e32 v57, v[58:59]
	v_min3_f32 v124, v56, v57, v124
	;; [unrolled: 38-line block ×6, first 2 shown]
	s_waitcnt lgkmcnt(1)
	v_add_f64 v[40:41], v[34:35], v[38:39]
	v_add_f64 v[42:43], v[32:33], v[36:37]
	v_cvt_f32_f64_e32 v42, v[42:43]
	v_cvt_f32_f64_e32 v40, v[40:41]
	v_min3_f32 v91, v42, v40, v91
	v_add_f64 v[40:41], v[30:31], v[38:39]
	v_add_f64 v[42:43], v[28:29], v[36:37]
	v_cvt_f32_f64_e32 v42, v[42:43]
	v_cvt_f32_f64_e32 v40, v[40:41]
	v_min3_f32 v90, v42, v40, v90
	;; [unrolled: 5-line block ×6, first 2 shown]
	v_add_f64 v[40:41], v[6:7], v[38:39]
	v_add_f64 v[42:43], v[4:5], v[36:37]
	;; [unrolled: 1-line block ×4, first 2 shown]
	s_waitcnt lgkmcnt(0)
	v_add_f64 v[34:35], v[34:35], v[22:23]
	v_add_f64 v[32:33], v[32:33], v[20:21]
	;; [unrolled: 1-line block ×16, first 2 shown]
	v_cvt_f32_f64_e32 v152, v[152:153]
	v_cvt_f32_f64_e32 v150, v[150:151]
	;; [unrolled: 1-line block ×32, first 2 shown]
	v_min3_f32 v135, v152, v150, v135
	v_min3_f32 v125, v148, v146, v125
	;; [unrolled: 1-line block ×16, first 2 shown]
	s_mov_b32 s25, 2
	s_mov_b64 s[2:3], 0
	s_cbranch_vccz .LBB168_38
; %bb.39:                               ;   in Loop: Header=BB168_29 Depth=1
	s_and_b64 vcc, exec, s[4:5]
	v_add_u32_e32 v0, s6, v64
	ds_write_b64 v143, v[68:69]
	ds_write2st64_b64 v142, v[70:71], v[72:73] offset1:4
	ds_write2st64_b64 v142, v[74:75], v[76:77] offset0:8 offset1:12
	s_waitcnt lgkmcnt(0)
	s_barrier
	s_cbranch_vccnz .LBB168_41
; %bb.40:                               ;   in Loop: Header=BB168_29 Depth=1
	v_mad_u64_u32 v[2:3], s[2:3], v0, s28, 0
	v_mov_b32_e32 v4, v3
	v_mad_u64_u32 v[4:5], s[2:3], v0, s29, v[4:5]
	v_mov_b32_e32 v3, v4
	v_lshl_add_u64 v[2:3], v[2:3], 3, v[66:67]
	flat_load_dwordx2 v[2:3], v[2:3]
	s_waitcnt vmcnt(0) lgkmcnt(0)
	v_mul_f64 v[68:69], s[20:21], v[2:3]
	s_branch .LBB168_42
.LBB168_41:                             ;   in Loop: Header=BB168_29 Depth=1
	v_mov_b64_e32 v[68:69], 0
.LBB168_42:                             ;   in Loop: Header=BB168_29 Depth=1
	v_mad_u64_u32 v[2:3], s[2:3], v0, s13, 0
	v_mov_b32_e32 v4, v3
	v_mad_u64_u32 v[0:1], s[2:3], v0, s26, v[4:5]
	v_mov_b32_e32 v3, v0
	v_lshl_add_u64 v[0:1], v[2:3], 3, s[22:23]
	s_and_b64 vcc, exec, s[4:5]
	v_lshl_add_u64 v[0:1], v[62:63], 3, v[0:1]
	s_cbranch_vccnz .LBB168_45
; %bb.43:                               ;   in Loop: Header=BB168_29 Depth=1
	flat_load_dwordx2 v[2:3], v[0:1]
	flat_load_dwordx2 v[4:5], v[0:1] offset:512
	s_waitcnt vmcnt(0) lgkmcnt(0)
	v_mul_f64 v[70:71], s[20:21], v[2:3]
	v_mul_f64 v[72:73], s[20:21], v[4:5]
	s_and_b64 vcc, exec, s[4:5]
	s_cbranch_vccnz .LBB168_46
.LBB168_44:                             ;   in Loop: Header=BB168_29 Depth=1
	flat_load_dwordx2 v[2:3], v[0:1] offset:1024
	flat_load_dwordx2 v[4:5], v[0:1] offset:1536
	s_waitcnt vmcnt(0) lgkmcnt(0)
	v_mul_f64 v[74:75], s[20:21], v[2:3]
	v_mul_f64 v[76:77], s[20:21], v[4:5]
	s_branch .LBB168_47
.LBB168_45:                             ;   in Loop: Header=BB168_29 Depth=1
	v_mov_b64_e32 v[70:71], 0
	v_mov_b64_e32 v[72:73], 0
	s_and_b64 vcc, exec, s[4:5]
	s_cbranch_vccz .LBB168_44
.LBB168_46:                             ;   in Loop: Header=BB168_29 Depth=1
	v_mov_b64_e32 v[74:75], 0
	v_mov_b64_e32 v[76:77], 0
.LBB168_47:                             ;   in Loop: Header=BB168_29 Depth=1
	s_mov_b32 s25, 0
	s_mov_b64 s[2:3], -1
.LBB168_48:                             ;   Parent Loop BB168_29 Depth=1
                                        ; =>  This Inner Loop Header: Depth=2
	v_cndmask_b32_e64 v0, 0, 1, s[2:3]
	s_lshl_b32 s2, s25, 3
	v_cmp_ne_u32_e32 vcc, 1, v0
	v_lshl_add_u32 v0, v131, 5, s2
	v_lshl_add_u32 v20, v132, 5, s2
	ds_read_b128 v[32:35], v0 offset:16384
	ds_read_b128 v[28:31], v0 offset:16640
	;; [unrolled: 1-line block ×8, first 2 shown]
	ds_read_b128 v[146:149], v20
	ds_read_b128 v[56:59], v20 offset:1024
	ds_read_b128 v[52:55], v20 offset:2048
	;; [unrolled: 1-line block ×7, first 2 shown]
	s_waitcnt lgkmcnt(7)
	v_add_f64 v[150:151], v[34:35], v[148:149]
	v_add_f64 v[152:153], v[32:33], v[146:147]
	v_cvt_f32_f64_e32 v152, v[152:153]
	v_cvt_f32_f64_e32 v150, v[150:151]
	v_min3_f32 v141, v152, v150, v141
	v_add_f64 v[150:151], v[30:31], v[148:149]
	v_add_f64 v[152:153], v[28:29], v[146:147]
	v_cvt_f32_f64_e32 v152, v[152:153]
	v_cvt_f32_f64_e32 v150, v[150:151]
	v_min3_f32 v140, v152, v150, v140
	v_add_f64 v[150:151], v[26:27], v[148:149]
	v_add_f64 v[152:153], v[24:25], v[146:147]
	v_cvt_f32_f64_e32 v152, v[152:153]
	v_cvt_f32_f64_e32 v150, v[150:151]
	v_min3_f32 v139, v152, v150, v139
	v_add_f64 v[150:151], v[18:19], v[148:149]
	v_add_f64 v[152:153], v[16:17], v[146:147]
	v_cvt_f32_f64_e32 v152, v[152:153]
	v_cvt_f32_f64_e32 v150, v[150:151]
	v_min3_f32 v138, v152, v150, v138
	v_add_f64 v[150:151], v[14:15], v[148:149]
	v_add_f64 v[152:153], v[12:13], v[146:147]
	v_cvt_f32_f64_e32 v152, v[152:153]
	v_cvt_f32_f64_e32 v150, v[150:151]
	v_min3_f32 v137, v152, v150, v137
	v_add_f64 v[150:151], v[10:11], v[148:149]
	v_add_f64 v[152:153], v[8:9], v[146:147]
	v_cvt_f32_f64_e32 v152, v[152:153]
	v_cvt_f32_f64_e32 v150, v[150:151]
	v_min3_f32 v136, v152, v150, v136
	v_add_f64 v[150:151], v[6:7], v[148:149]
	v_add_f64 v[152:153], v[4:5], v[146:147]
	v_add_f64 v[148:149], v[2:3], v[148:149]
	v_add_f64 v[146:147], v[0:1], v[146:147]
	v_cvt_f32_f64_e32 v146, v[146:147]
	v_cvt_f32_f64_e32 v147, v[148:149]
	v_min3_f32 v134, v146, v147, v134
	s_waitcnt lgkmcnt(6)
	v_add_f64 v[146:147], v[34:35], v[58:59]
	v_add_f64 v[148:149], v[32:33], v[56:57]
	v_cvt_f32_f64_e32 v148, v[148:149]
	v_cvt_f32_f64_e32 v146, v[146:147]
	v_min3_f32 v133, v148, v146, v133
	v_add_f64 v[146:147], v[30:31], v[58:59]
	v_add_f64 v[148:149], v[28:29], v[56:57]
	v_cvt_f32_f64_e32 v148, v[148:149]
	v_cvt_f32_f64_e32 v146, v[146:147]
	v_min3_f32 v130, v148, v146, v130
	v_add_f64 v[146:147], v[26:27], v[58:59]
	v_add_f64 v[148:149], v[24:25], v[56:57]
	v_cvt_f32_f64_e32 v148, v[148:149]
	v_cvt_f32_f64_e32 v146, v[146:147]
	v_min3_f32 v129, v148, v146, v129
	v_add_f64 v[146:147], v[18:19], v[58:59]
	v_add_f64 v[148:149], v[16:17], v[56:57]
	v_cvt_f32_f64_e32 v148, v[148:149]
	v_cvt_f32_f64_e32 v146, v[146:147]
	v_min3_f32 v128, v148, v146, v128
	v_add_f64 v[146:147], v[14:15], v[58:59]
	v_add_f64 v[148:149], v[12:13], v[56:57]
	v_cvt_f32_f64_e32 v148, v[148:149]
	v_cvt_f32_f64_e32 v146, v[146:147]
	v_min3_f32 v127, v148, v146, v127
	v_add_f64 v[146:147], v[10:11], v[58:59]
	v_add_f64 v[148:149], v[8:9], v[56:57]
	v_cvt_f32_f64_e32 v148, v[148:149]
	v_cvt_f32_f64_e32 v146, v[146:147]
	v_min3_f32 v126, v148, v146, v126
	v_add_f64 v[146:147], v[6:7], v[58:59]
	v_add_f64 v[148:149], v[4:5], v[56:57]
	v_add_f64 v[58:59], v[2:3], v[58:59]
	v_add_f64 v[56:57], v[0:1], v[56:57]
	v_cvt_f32_f64_e32 v56, v[56:57]
	v_cvt_f32_f64_e32 v57, v[58:59]
	v_min3_f32 v124, v56, v57, v124
	s_waitcnt lgkmcnt(5)
	v_add_f64 v[56:57], v[34:35], v[54:55]
	v_add_f64 v[58:59], v[32:33], v[52:53]
	v_cvt_f32_f64_e32 v58, v[58:59]
	v_cvt_f32_f64_e32 v56, v[56:57]
	v_min3_f32 v123, v58, v56, v123
	v_add_f64 v[56:57], v[30:31], v[54:55]
	v_add_f64 v[58:59], v[28:29], v[52:53]
	v_cvt_f32_f64_e32 v58, v[58:59]
	v_cvt_f32_f64_e32 v56, v[56:57]
	v_min3_f32 v122, v58, v56, v122
	v_add_f64 v[56:57], v[26:27], v[54:55]
	v_add_f64 v[58:59], v[24:25], v[52:53]
	v_cvt_f32_f64_e32 v58, v[58:59]
	v_cvt_f32_f64_e32 v56, v[56:57]
	v_min3_f32 v121, v58, v56, v121
	v_add_f64 v[56:57], v[18:19], v[54:55]
	v_add_f64 v[58:59], v[16:17], v[52:53]
	v_cvt_f32_f64_e32 v58, v[58:59]
	v_cvt_f32_f64_e32 v56, v[56:57]
	v_min3_f32 v120, v58, v56, v120
	v_add_f64 v[56:57], v[14:15], v[54:55]
	v_add_f64 v[58:59], v[12:13], v[52:53]
	v_cvt_f32_f64_e32 v58, v[58:59]
	v_cvt_f32_f64_e32 v56, v[56:57]
	v_min3_f32 v119, v58, v56, v119
	v_add_f64 v[56:57], v[10:11], v[54:55]
	v_add_f64 v[58:59], v[8:9], v[52:53]
	v_cvt_f32_f64_e32 v58, v[58:59]
	v_cvt_f32_f64_e32 v56, v[56:57]
	v_min3_f32 v118, v58, v56, v118
	v_add_f64 v[56:57], v[6:7], v[54:55]
	v_add_f64 v[58:59], v[4:5], v[52:53]
	v_add_f64 v[54:55], v[2:3], v[54:55]
	v_add_f64 v[52:53], v[0:1], v[52:53]
	v_cvt_f32_f64_e32 v52, v[52:53]
	v_cvt_f32_f64_e32 v53, v[54:55]
	v_min3_f32 v116, v52, v53, v116
	s_waitcnt lgkmcnt(4)
	v_add_f64 v[52:53], v[34:35], v[50:51]
	v_add_f64 v[54:55], v[32:33], v[48:49]
	v_cvt_f32_f64_e32 v54, v[54:55]
	v_cvt_f32_f64_e32 v52, v[52:53]
	v_min3_f32 v115, v54, v52, v115
	v_add_f64 v[52:53], v[30:31], v[50:51]
	v_add_f64 v[54:55], v[28:29], v[48:49]
	v_cvt_f32_f64_e32 v54, v[54:55]
	v_cvt_f32_f64_e32 v52, v[52:53]
	v_min3_f32 v114, v54, v52, v114
	v_add_f64 v[52:53], v[26:27], v[50:51]
	v_add_f64 v[54:55], v[24:25], v[48:49]
	v_cvt_f32_f64_e32 v54, v[54:55]
	v_cvt_f32_f64_e32 v52, v[52:53]
	v_min3_f32 v113, v54, v52, v113
	v_add_f64 v[52:53], v[18:19], v[50:51]
	v_add_f64 v[54:55], v[16:17], v[48:49]
	v_cvt_f32_f64_e32 v54, v[54:55]
	v_cvt_f32_f64_e32 v52, v[52:53]
	v_min3_f32 v112, v54, v52, v112
	v_add_f64 v[52:53], v[14:15], v[50:51]
	v_add_f64 v[54:55], v[12:13], v[48:49]
	v_cvt_f32_f64_e32 v54, v[54:55]
	v_cvt_f32_f64_e32 v52, v[52:53]
	v_min3_f32 v111, v54, v52, v111
	v_add_f64 v[52:53], v[10:11], v[50:51]
	v_add_f64 v[54:55], v[8:9], v[48:49]
	v_cvt_f32_f64_e32 v54, v[54:55]
	v_cvt_f32_f64_e32 v52, v[52:53]
	v_min3_f32 v110, v54, v52, v110
	v_add_f64 v[52:53], v[6:7], v[50:51]
	v_add_f64 v[54:55], v[4:5], v[48:49]
	v_add_f64 v[50:51], v[2:3], v[50:51]
	v_add_f64 v[48:49], v[0:1], v[48:49]
	v_cvt_f32_f64_e32 v48, v[48:49]
	v_cvt_f32_f64_e32 v49, v[50:51]
	v_min3_f32 v108, v48, v49, v108
	s_waitcnt lgkmcnt(3)
	v_add_f64 v[48:49], v[34:35], v[46:47]
	v_add_f64 v[50:51], v[32:33], v[44:45]
	v_cvt_f32_f64_e32 v50, v[50:51]
	v_cvt_f32_f64_e32 v48, v[48:49]
	v_min3_f32 v107, v50, v48, v107
	v_add_f64 v[48:49], v[30:31], v[46:47]
	v_add_f64 v[50:51], v[28:29], v[44:45]
	v_cvt_f32_f64_e32 v50, v[50:51]
	v_cvt_f32_f64_e32 v48, v[48:49]
	v_min3_f32 v106, v50, v48, v106
	v_add_f64 v[48:49], v[26:27], v[46:47]
	v_add_f64 v[50:51], v[24:25], v[44:45]
	v_cvt_f32_f64_e32 v50, v[50:51]
	v_cvt_f32_f64_e32 v48, v[48:49]
	v_min3_f32 v105, v50, v48, v105
	v_add_f64 v[48:49], v[18:19], v[46:47]
	v_add_f64 v[50:51], v[16:17], v[44:45]
	v_cvt_f32_f64_e32 v50, v[50:51]
	v_cvt_f32_f64_e32 v48, v[48:49]
	v_min3_f32 v104, v50, v48, v104
	v_add_f64 v[48:49], v[14:15], v[46:47]
	v_add_f64 v[50:51], v[12:13], v[44:45]
	v_cvt_f32_f64_e32 v50, v[50:51]
	v_cvt_f32_f64_e32 v48, v[48:49]
	v_min3_f32 v103, v50, v48, v103
	v_add_f64 v[48:49], v[10:11], v[46:47]
	v_add_f64 v[50:51], v[8:9], v[44:45]
	v_cvt_f32_f64_e32 v50, v[50:51]
	v_cvt_f32_f64_e32 v48, v[48:49]
	v_min3_f32 v102, v50, v48, v102
	v_add_f64 v[48:49], v[6:7], v[46:47]
	v_add_f64 v[50:51], v[4:5], v[44:45]
	v_add_f64 v[46:47], v[2:3], v[46:47]
	v_add_f64 v[44:45], v[0:1], v[44:45]
	v_cvt_f32_f64_e32 v44, v[44:45]
	v_cvt_f32_f64_e32 v45, v[46:47]
	v_min3_f32 v100, v44, v45, v100
	s_waitcnt lgkmcnt(2)
	v_add_f64 v[44:45], v[34:35], v[42:43]
	v_add_f64 v[46:47], v[32:33], v[40:41]
	v_cvt_f32_f64_e32 v46, v[46:47]
	v_cvt_f32_f64_e32 v44, v[44:45]
	v_min3_f32 v99, v46, v44, v99
	v_add_f64 v[44:45], v[30:31], v[42:43]
	v_add_f64 v[46:47], v[28:29], v[40:41]
	v_cvt_f32_f64_e32 v46, v[46:47]
	v_cvt_f32_f64_e32 v44, v[44:45]
	v_min3_f32 v98, v46, v44, v98
	v_add_f64 v[44:45], v[26:27], v[42:43]
	v_add_f64 v[46:47], v[24:25], v[40:41]
	v_cvt_f32_f64_e32 v46, v[46:47]
	v_cvt_f32_f64_e32 v44, v[44:45]
	v_min3_f32 v97, v46, v44, v97
	v_add_f64 v[44:45], v[18:19], v[42:43]
	v_add_f64 v[46:47], v[16:17], v[40:41]
	v_cvt_f32_f64_e32 v46, v[46:47]
	v_cvt_f32_f64_e32 v44, v[44:45]
	v_min3_f32 v96, v46, v44, v96
	v_add_f64 v[44:45], v[14:15], v[42:43]
	v_add_f64 v[46:47], v[12:13], v[40:41]
	v_cvt_f32_f64_e32 v46, v[46:47]
	v_cvt_f32_f64_e32 v44, v[44:45]
	v_min3_f32 v95, v46, v44, v95
	v_add_f64 v[44:45], v[10:11], v[42:43]
	v_add_f64 v[46:47], v[8:9], v[40:41]
	v_cvt_f32_f64_e32 v46, v[46:47]
	v_cvt_f32_f64_e32 v44, v[44:45]
	v_min3_f32 v94, v46, v44, v94
	v_add_f64 v[44:45], v[6:7], v[42:43]
	v_add_f64 v[46:47], v[4:5], v[40:41]
	v_add_f64 v[42:43], v[2:3], v[42:43]
	v_add_f64 v[40:41], v[0:1], v[40:41]
	v_cvt_f32_f64_e32 v40, v[40:41]
	v_cvt_f32_f64_e32 v41, v[42:43]
	v_min3_f32 v92, v40, v41, v92
	s_waitcnt lgkmcnt(1)
	v_add_f64 v[40:41], v[34:35], v[38:39]
	v_add_f64 v[42:43], v[32:33], v[36:37]
	v_cvt_f32_f64_e32 v42, v[42:43]
	v_cvt_f32_f64_e32 v40, v[40:41]
	v_min3_f32 v91, v42, v40, v91
	v_add_f64 v[40:41], v[30:31], v[38:39]
	v_add_f64 v[42:43], v[28:29], v[36:37]
	v_cvt_f32_f64_e32 v42, v[42:43]
	v_cvt_f32_f64_e32 v40, v[40:41]
	v_min3_f32 v90, v42, v40, v90
	;; [unrolled: 5-line block ×6, first 2 shown]
	v_add_f64 v[40:41], v[6:7], v[38:39]
	v_add_f64 v[42:43], v[4:5], v[36:37]
	;; [unrolled: 1-line block ×4, first 2 shown]
	s_waitcnt lgkmcnt(0)
	v_add_f64 v[34:35], v[34:35], v[22:23]
	v_add_f64 v[32:33], v[32:33], v[20:21]
	;; [unrolled: 1-line block ×16, first 2 shown]
	v_cvt_f32_f64_e32 v152, v[152:153]
	v_cvt_f32_f64_e32 v150, v[150:151]
	v_cvt_f32_f64_e32 v148, v[148:149]
	v_cvt_f32_f64_e32 v146, v[146:147]
	v_cvt_f32_f64_e32 v58, v[58:59]
	v_cvt_f32_f64_e32 v56, v[56:57]
	v_cvt_f32_f64_e32 v54, v[54:55]
	v_cvt_f32_f64_e32 v52, v[52:53]
	v_cvt_f32_f64_e32 v50, v[50:51]
	v_cvt_f32_f64_e32 v48, v[48:49]
	v_cvt_f32_f64_e32 v46, v[46:47]
	v_cvt_f32_f64_e32 v44, v[44:45]
	v_cvt_f32_f64_e32 v42, v[42:43]
	v_cvt_f32_f64_e32 v40, v[40:41]
	v_cvt_f32_f64_e32 v36, v[36:37]
	v_cvt_f32_f64_e32 v37, v[38:39]
	v_cvt_f32_f64_e32 v32, v[32:33]
	v_cvt_f32_f64_e32 v33, v[34:35]
	v_cvt_f32_f64_e32 v28, v[28:29]
	v_cvt_f32_f64_e32 v29, v[30:31]
	v_cvt_f32_f64_e32 v24, v[24:25]
	v_cvt_f32_f64_e32 v25, v[26:27]
	v_cvt_f32_f64_e32 v16, v[16:17]
	v_cvt_f32_f64_e32 v17, v[18:19]
	v_cvt_f32_f64_e32 v12, v[12:13]
	v_cvt_f32_f64_e32 v13, v[14:15]
	v_cvt_f32_f64_e32 v8, v[8:9]
	v_cvt_f32_f64_e32 v9, v[10:11]
	v_cvt_f32_f64_e32 v4, v[4:5]
	v_cvt_f32_f64_e32 v5, v[6:7]
	v_cvt_f32_f64_e32 v0, v[0:1]
	v_cvt_f32_f64_e32 v1, v[2:3]
	v_min3_f32 v135, v152, v150, v135
	v_min3_f32 v125, v148, v146, v125
	;; [unrolled: 1-line block ×16, first 2 shown]
	s_mov_b32 s25, 2
	s_mov_b64 s[2:3], 0
	s_cbranch_vccz .LBB168_48
; %bb.49:                               ;   in Loop: Header=BB168_29 Depth=1
	s_add_i32 s6, s6, 8
	s_add_i32 s24, s24, 8
	s_cmp_ge_i32 s24, s7
	ds_write_b64 v144, v[68:69]
	ds_write2st64_b64 v145, v[70:71], v[72:73] offset1:4
	ds_write2st64_b64 v145, v[74:75], v[76:77] offset0:8 offset1:12
	s_waitcnt lgkmcnt(0)
	s_barrier
	s_cbranch_scc0 .LBB168_29
.LBB168_50:
	s_mov_b32 s4, 0
	s_mov_b64 s[2:3], -1
.LBB168_51:                             ; =>This Inner Loop Header: Depth=1
	v_cndmask_b32_e64 v0, 0, 1, s[2:3]
	s_lshl_b32 s2, s4, 3
	v_cmp_ne_u32_e32 vcc, 1, v0
	v_lshl_add_u32 v0, v131, 5, s2
	v_lshl_add_u32 v20, v132, 5, s2
	ds_read_b128 v[32:35], v0 offset:18432
	ds_read_b128 v[28:31], v0 offset:18688
	;; [unrolled: 1-line block ×16, first 2 shown]
	s_waitcnt lgkmcnt(7)
	v_add_f64 v[62:63], v[34:35], v[68:69]
	v_add_f64 v[70:71], v[32:33], v[66:67]
	v_cvt_f32_f64_e32 v60, v[70:71]
	v_cvt_f32_f64_e32 v62, v[62:63]
	v_min3_f32 v141, v60, v62, v141
	v_add_f64 v[62:63], v[30:31], v[68:69]
	v_add_f64 v[70:71], v[28:29], v[66:67]
	v_cvt_f32_f64_e32 v60, v[70:71]
	v_cvt_f32_f64_e32 v62, v[62:63]
	v_min3_f32 v140, v60, v62, v140
	;; [unrolled: 5-line block ×8, first 2 shown]
	s_waitcnt lgkmcnt(6)
	v_add_f64 v[62:63], v[34:35], v[58:59]
	v_add_f64 v[66:67], v[32:33], v[56:57]
	v_cvt_f32_f64_e32 v60, v[66:67]
	v_cvt_f32_f64_e32 v62, v[62:63]
	v_min3_f32 v133, v60, v62, v133
	v_add_f64 v[62:63], v[30:31], v[58:59]
	v_add_f64 v[66:67], v[28:29], v[56:57]
	v_cvt_f32_f64_e32 v60, v[66:67]
	v_cvt_f32_f64_e32 v62, v[62:63]
	v_min3_f32 v130, v60, v62, v130
	v_add_f64 v[62:63], v[26:27], v[58:59]
	v_add_f64 v[66:67], v[24:25], v[56:57]
	v_cvt_f32_f64_e32 v60, v[66:67]
	v_cvt_f32_f64_e32 v62, v[62:63]
	v_min3_f32 v129, v60, v62, v129
	v_add_f64 v[62:63], v[18:19], v[58:59]
	v_add_f64 v[66:67], v[16:17], v[56:57]
	v_cvt_f32_f64_e32 v60, v[66:67]
	v_cvt_f32_f64_e32 v62, v[62:63]
	v_min3_f32 v128, v60, v62, v128
	v_add_f64 v[62:63], v[14:15], v[58:59]
	v_add_f64 v[66:67], v[12:13], v[56:57]
	v_cvt_f32_f64_e32 v60, v[66:67]
	v_cvt_f32_f64_e32 v62, v[62:63]
	v_min3_f32 v127, v60, v62, v127
	v_add_f64 v[62:63], v[10:11], v[58:59]
	v_add_f64 v[66:67], v[8:9], v[56:57]
	v_cvt_f32_f64_e32 v60, v[66:67]
	v_cvt_f32_f64_e32 v62, v[62:63]
	v_min3_f32 v126, v60, v62, v126
	v_add_f64 v[62:63], v[6:7], v[58:59]
	v_add_f64 v[66:67], v[4:5], v[56:57]
	v_add_f64 v[58:59], v[2:3], v[58:59]
	v_add_f64 v[56:57], v[0:1], v[56:57]
	v_cvt_f32_f64_e32 v56, v[56:57]
	v_cvt_f32_f64_e32 v57, v[58:59]
	v_min3_f32 v124, v56, v57, v124
	s_waitcnt lgkmcnt(5)
	v_add_f64 v[56:57], v[34:35], v[54:55]
	v_add_f64 v[58:59], v[32:33], v[52:53]
	v_cvt_f32_f64_e32 v58, v[58:59]
	v_cvt_f32_f64_e32 v56, v[56:57]
	v_min3_f32 v123, v58, v56, v123
	v_add_f64 v[56:57], v[30:31], v[54:55]
	v_add_f64 v[58:59], v[28:29], v[52:53]
	v_cvt_f32_f64_e32 v58, v[58:59]
	v_cvt_f32_f64_e32 v56, v[56:57]
	v_min3_f32 v122, v58, v56, v122
	v_add_f64 v[56:57], v[26:27], v[54:55]
	v_add_f64 v[58:59], v[24:25], v[52:53]
	v_cvt_f32_f64_e32 v58, v[58:59]
	v_cvt_f32_f64_e32 v56, v[56:57]
	v_min3_f32 v121, v58, v56, v121
	v_add_f64 v[56:57], v[18:19], v[54:55]
	v_add_f64 v[58:59], v[16:17], v[52:53]
	v_cvt_f32_f64_e32 v58, v[58:59]
	v_cvt_f32_f64_e32 v56, v[56:57]
	v_min3_f32 v120, v58, v56, v120
	v_add_f64 v[56:57], v[14:15], v[54:55]
	v_add_f64 v[58:59], v[12:13], v[52:53]
	v_cvt_f32_f64_e32 v58, v[58:59]
	v_cvt_f32_f64_e32 v56, v[56:57]
	v_min3_f32 v119, v58, v56, v119
	v_add_f64 v[56:57], v[10:11], v[54:55]
	v_add_f64 v[58:59], v[8:9], v[52:53]
	v_cvt_f32_f64_e32 v58, v[58:59]
	v_cvt_f32_f64_e32 v56, v[56:57]
	v_min3_f32 v118, v58, v56, v118
	v_add_f64 v[56:57], v[6:7], v[54:55]
	v_add_f64 v[58:59], v[4:5], v[52:53]
	v_add_f64 v[54:55], v[2:3], v[54:55]
	v_add_f64 v[52:53], v[0:1], v[52:53]
	v_cvt_f32_f64_e32 v52, v[52:53]
	v_cvt_f32_f64_e32 v53, v[54:55]
	v_min3_f32 v116, v52, v53, v116
	;; [unrolled: 38-line block ×5, first 2 shown]
	s_waitcnt lgkmcnt(1)
	v_add_f64 v[40:41], v[34:35], v[38:39]
	v_add_f64 v[42:43], v[32:33], v[36:37]
	v_cvt_f32_f64_e32 v42, v[42:43]
	v_cvt_f32_f64_e32 v40, v[40:41]
	v_min3_f32 v91, v42, v40, v91
	v_add_f64 v[40:41], v[30:31], v[38:39]
	v_add_f64 v[42:43], v[28:29], v[36:37]
	v_cvt_f32_f64_e32 v42, v[42:43]
	v_cvt_f32_f64_e32 v40, v[40:41]
	v_min3_f32 v90, v42, v40, v90
	;; [unrolled: 5-line block ×6, first 2 shown]
	v_add_f64 v[40:41], v[6:7], v[38:39]
	v_add_f64 v[42:43], v[4:5], v[36:37]
	;; [unrolled: 1-line block ×4, first 2 shown]
	s_waitcnt lgkmcnt(0)
	v_add_f64 v[34:35], v[34:35], v[22:23]
	v_add_f64 v[32:33], v[32:33], v[20:21]
	;; [unrolled: 1-line block ×16, first 2 shown]
	v_cvt_f32_f64_e32 v60, v[66:67]
	v_cvt_f32_f64_e32 v62, v[62:63]
	v_cvt_f32_f64_e32 v58, v[58:59]
	v_cvt_f32_f64_e32 v56, v[56:57]
	v_cvt_f32_f64_e32 v54, v[54:55]
	v_cvt_f32_f64_e32 v52, v[52:53]
	v_cvt_f32_f64_e32 v50, v[50:51]
	v_cvt_f32_f64_e32 v48, v[48:49]
	v_cvt_f32_f64_e32 v46, v[46:47]
	v_cvt_f32_f64_e32 v44, v[44:45]
	v_cvt_f32_f64_e32 v42, v[42:43]
	v_cvt_f32_f64_e32 v40, v[40:41]
	v_cvt_f32_f64_e32 v36, v[36:37]
	v_cvt_f32_f64_e32 v37, v[38:39]
	v_cvt_f32_f64_e32 v32, v[32:33]
	v_cvt_f32_f64_e32 v33, v[34:35]
	v_cvt_f32_f64_e32 v28, v[28:29]
	v_cvt_f32_f64_e32 v29, v[30:31]
	v_cvt_f32_f64_e32 v24, v[24:25]
	v_cvt_f32_f64_e32 v25, v[26:27]
	v_cvt_f32_f64_e32 v16, v[16:17]
	v_cvt_f32_f64_e32 v17, v[18:19]
	v_cvt_f32_f64_e32 v12, v[12:13]
	v_cvt_f32_f64_e32 v13, v[14:15]
	v_cvt_f32_f64_e32 v8, v[8:9]
	v_cvt_f32_f64_e32 v9, v[10:11]
	v_cvt_f32_f64_e32 v4, v[4:5]
	v_cvt_f32_f64_e32 v5, v[6:7]
	v_cvt_f32_f64_e32 v0, v[0:1]
	v_cvt_f32_f64_e32 v1, v[2:3]
	v_min3_f32 v125, v60, v62, v125
	v_min3_f32 v117, v58, v56, v117
	;; [unrolled: 1-line block ×15, first 2 shown]
	s_mov_b32 s4, 2
	s_mov_b64 s[2:3], 0
	s_cbranch_vccz .LBB168_51
; %bb.52:
	s_load_dwordx2 s[2:3], s[0:1], 0x78
	s_load_dword s6, s[0:1], 0x58
	s_load_dword s7, s[0:1], 0x70
	v_add_u32_e32 v8, s19, v131
	v_add_u32_e32 v30, s12, v132
	s_waitcnt lgkmcnt(0)
	s_mul_i32 s1, s18, s3
	s_mul_hi_u32 s3, s18, s2
	s_mul_i32 s0, s18, s2
	s_add_i32 s1, s3, s1
	s_lshl_b64 s[0:1], s[0:1], 3
	s_add_u32 s0, s14, s0
	s_addc_u32 s1, s15, s1
	v_add_u32_e32 v0, 8, v8
	v_mad_i64_i32 v[2:3], s[2:3], v30, s7, 0
	v_ashrrev_i32_e32 v9, 31, v8
	v_ashrrev_i32_e32 v1, 31, v0
	v_lshl_add_u64 v[24:25], v[2:3], 3, s[0:1]
	v_mad_i64_i32 v[2:3], s[2:3], v30, s6, 0
	v_max_f32_e32 v4, v141, v141
	s_mov_b64 vcc, s[8:9]
	s_cbranch_vccz .LBB168_55
; %bb.53:
	v_min_f32_e32 v5, 0, v4
	v_cvt_f64_f32_e32 v[6:7], v5
	v_lshl_add_u64 v[10:11], v[8:9], 3, v[24:25]
	global_store_dwordx2 v[10:11], v[6:7], off
	s_mov_b64 s[2:3], 0
	v_lshl_add_u64 v[26:27], v[2:3], 3, s[16:17]
	v_lshlrev_b64 v[12:13], 3, v[8:9]
	s_cbranch_execz .LBB168_56
; %bb.54:
	v_mov_b64_e32 v[4:5], s[2:3]
	s_branch .LBB168_57
.LBB168_55:
                                        ; implicit-def: $sgpr2_sgpr3
	v_lshl_add_u64 v[26:27], v[2:3], 3, s[16:17]
	v_lshlrev_b64 v[12:13], 3, v[8:9]
.LBB168_56:
	v_lshl_add_u64 v[2:3], v[26:27], 0, v[12:13]
	flat_load_dwordx2 v[2:3], v[2:3]
	v_lshl_add_u64 v[6:7], v[24:25], 0, v[12:13]
	s_waitcnt vmcnt(0) lgkmcnt(0)
	v_mul_f64 v[2:3], s[10:11], v[2:3]
	v_cvt_f32_f64_e32 v2, v[2:3]
	v_min_f32_e32 v2, v2, v4
	v_cvt_f64_f32_e32 v[2:3], v2
	global_store_dwordx2 v[6:7], v[2:3], off
	v_lshl_add_u64 v[2:3], v[0:1], 3, v[26:27]
	flat_load_dwordx2 v[2:3], v[2:3]
	s_waitcnt vmcnt(0) lgkmcnt(0)
	v_mul_f64 v[4:5], s[10:11], v[2:3]
.LBB168_57:
	v_cvt_f32_f64_e32 v4, v[4:5]
	v_max_f32_e32 v5, v140, v140
	v_min_f32_e32 v4, v4, v5
	v_add_u32_e32 v10, 16, v8
	v_add_u32_e32 v2, 24, v8
	v_cvt_f64_f32_e32 v[4:5], v4
	v_lshl_add_u64 v[6:7], v[0:1], 3, v[24:25]
	v_ashrrev_i32_e32 v11, 31, v10
	v_ashrrev_i32_e32 v3, 31, v2
	global_store_dwordx2 v[6:7], v[4:5], off
	v_max_f32_e32 v4, v139, v139
	s_mov_b64 vcc, s[8:9]
	s_cbranch_vccz .LBB168_60
; %bb.58:
	v_min_f32_e32 v5, 0, v4
	v_cvt_f64_f32_e32 v[6:7], v5
	v_lshl_add_u64 v[14:15], v[10:11], 3, v[24:25]
	global_store_dwordx2 v[14:15], v[6:7], off
	s_mov_b64 s[2:3], 0
	v_lshlrev_b64 v[16:17], 3, v[10:11]
	s_cbranch_execz .LBB168_61
; %bb.59:
	v_mov_b64_e32 v[6:7], s[2:3]
	s_branch .LBB168_62
.LBB168_60:
                                        ; implicit-def: $sgpr2_sgpr3
	v_lshlrev_b64 v[16:17], 3, v[10:11]
.LBB168_61:
	v_lshl_add_u64 v[6:7], v[26:27], 0, v[16:17]
	flat_load_dwordx2 v[6:7], v[6:7]
	v_lshl_add_u64 v[14:15], v[24:25], 0, v[16:17]
	s_waitcnt vmcnt(0) lgkmcnt(0)
	v_mul_f64 v[6:7], s[10:11], v[6:7]
	v_cvt_f32_f64_e32 v5, v[6:7]
	v_min_f32_e32 v4, v5, v4
	v_cvt_f64_f32_e32 v[4:5], v4
	global_store_dwordx2 v[14:15], v[4:5], off
	v_lshl_add_u64 v[4:5], v[2:3], 3, v[26:27]
	flat_load_dwordx2 v[4:5], v[4:5]
	s_waitcnt vmcnt(0) lgkmcnt(0)
	v_mul_f64 v[6:7], s[10:11], v[4:5]
.LBB168_62:
	v_cvt_f32_f64_e32 v6, v[6:7]
	v_max_f32_e32 v7, v138, v138
	v_min_f32_e32 v6, v6, v7
	v_add_u32_e32 v14, 32, v8
	v_add_u32_e32 v4, 40, v8
	v_cvt_f64_f32_e32 v[6:7], v6
	v_lshl_add_u64 v[18:19], v[2:3], 3, v[24:25]
	v_ashrrev_i32_e32 v15, 31, v14
	v_ashrrev_i32_e32 v5, 31, v4
	global_store_dwordx2 v[18:19], v[6:7], off
	v_max_f32_e32 v6, v137, v137
	s_mov_b64 vcc, s[8:9]
	s_cbranch_vccz .LBB168_65
; %bb.63:
	v_min_f32_e32 v7, 0, v6
	v_cvt_f64_f32_e32 v[18:19], v7
	v_lshl_add_u64 v[20:21], v[14:15], 3, v[24:25]
	global_store_dwordx2 v[20:21], v[18:19], off
	s_mov_b64 s[2:3], 0
	v_lshlrev_b64 v[20:21], 3, v[14:15]
	s_cbranch_execz .LBB168_66
; %bb.64:
	v_mov_b64_e32 v[22:23], s[2:3]
	s_branch .LBB168_67
.LBB168_65:
                                        ; implicit-def: $sgpr2_sgpr3
	v_lshlrev_b64 v[20:21], 3, v[14:15]
.LBB168_66:
	v_lshl_add_u64 v[18:19], v[26:27], 0, v[20:21]
	flat_load_dwordx2 v[18:19], v[18:19]
	v_lshl_add_u64 v[22:23], v[24:25], 0, v[20:21]
	s_waitcnt vmcnt(0) lgkmcnt(0)
	v_mul_f64 v[18:19], s[10:11], v[18:19]
	v_cvt_f32_f64_e32 v7, v[18:19]
	v_min_f32_e32 v6, v7, v6
	v_cvt_f64_f32_e32 v[6:7], v6
	global_store_dwordx2 v[22:23], v[6:7], off
	v_lshl_add_u64 v[6:7], v[4:5], 3, v[26:27]
	flat_load_dwordx2 v[6:7], v[6:7]
	s_waitcnt vmcnt(0) lgkmcnt(0)
	v_mul_f64 v[22:23], s[10:11], v[6:7]
.LBB168_67:
	v_cvt_f32_f64_e32 v22, v[22:23]
	v_max_f32_e32 v23, v136, v136
	v_min_f32_e32 v22, v22, v23
	v_add_u32_e32 v18, 48, v8
	v_add_u32_e32 v6, 56, v8
	v_cvt_f64_f32_e32 v[22:23], v22
	v_lshl_add_u64 v[28:29], v[4:5], 3, v[24:25]
	v_ashrrev_i32_e32 v19, 31, v18
	v_ashrrev_i32_e32 v7, 31, v6
	global_store_dwordx2 v[28:29], v[22:23], off
	v_max_f32_e32 v28, v135, v135
	s_mov_b64 vcc, s[8:9]
	s_cbranch_vccz .LBB168_70
; %bb.68:
	v_min_f32_e32 v22, 0, v28
	v_cvt_f64_f32_e32 v[22:23], v22
	v_lshl_add_u64 v[32:33], v[18:19], 3, v[24:25]
	global_store_dwordx2 v[32:33], v[22:23], off
	s_mov_b64 s[2:3], 0
	v_lshlrev_b64 v[22:23], 3, v[18:19]
	s_cbranch_execz .LBB168_71
; %bb.69:
	v_mov_b64_e32 v[26:27], s[2:3]
	s_branch .LBB168_72
.LBB168_70:
                                        ; implicit-def: $sgpr2_sgpr3
	v_lshlrev_b64 v[22:23], 3, v[18:19]
.LBB168_71:
	v_lshl_add_u64 v[32:33], v[26:27], 0, v[22:23]
	flat_load_dwordx2 v[32:33], v[32:33]
	v_lshl_add_u64 v[34:35], v[24:25], 0, v[22:23]
	v_lshl_add_u64 v[26:27], v[6:7], 3, v[26:27]
	s_waitcnt vmcnt(0) lgkmcnt(0)
	v_mul_f64 v[32:33], s[10:11], v[32:33]
	v_cvt_f32_f64_e32 v29, v[32:33]
	v_min_f32_e32 v28, v29, v28
	v_cvt_f64_f32_e32 v[28:29], v28
	global_store_dwordx2 v[34:35], v[28:29], off
	flat_load_dwordx2 v[26:27], v[26:27]
	s_waitcnt vmcnt(0) lgkmcnt(0)
	v_mul_f64 v[26:27], s[10:11], v[26:27]
.LBB168_72:
	v_cvt_f32_f64_e32 v26, v[26:27]
	v_max_f32_e32 v27, v134, v134
	v_min_f32_e32 v26, v26, v27
	v_cvt_f64_f32_e32 v[26:27], v26
	v_lshl_add_u64 v[24:25], v[6:7], 3, v[24:25]
	global_store_dwordx2 v[24:25], v[26:27], off
	v_add_u32_e32 v26, 32, v30
	v_mad_i64_i32 v[24:25], s[2:3], v26, s7, 0
	v_lshl_add_u64 v[24:25], v[24:25], 3, s[0:1]
	v_mad_i64_i32 v[26:27], s[2:3], v26, s6, 0
	v_max_f32_e32 v28, v133, v133
	s_mov_b64 vcc, s[8:9]
	s_cbranch_vccz .LBB168_75
; %bb.73:
	v_min_f32_e32 v29, 0, v28
	v_cvt_f64_f32_e32 v[32:33], v29
	v_lshl_add_u64 v[34:35], v[8:9], 3, v[24:25]
	global_store_dwordx2 v[34:35], v[32:33], off
	s_mov_b64 s[2:3], 0
	v_lshl_add_u64 v[26:27], v[26:27], 3, s[16:17]
	s_cbranch_execz .LBB168_76
; %bb.74:
	v_mov_b64_e32 v[28:29], s[2:3]
	s_branch .LBB168_77
.LBB168_75:
                                        ; implicit-def: $sgpr2_sgpr3
	v_lshl_add_u64 v[26:27], v[26:27], 3, s[16:17]
.LBB168_76:
	v_lshl_add_u64 v[32:33], v[26:27], 0, v[12:13]
	flat_load_dwordx2 v[32:33], v[32:33]
	v_lshl_add_u64 v[34:35], v[24:25], 0, v[12:13]
	s_waitcnt vmcnt(0) lgkmcnt(0)
	v_mul_f64 v[32:33], s[10:11], v[32:33]
	v_cvt_f32_f64_e32 v29, v[32:33]
	v_min_f32_e32 v28, v29, v28
	v_cvt_f64_f32_e32 v[28:29], v28
	global_store_dwordx2 v[34:35], v[28:29], off
	v_lshl_add_u64 v[28:29], v[0:1], 3, v[26:27]
	flat_load_dwordx2 v[28:29], v[28:29]
	s_waitcnt vmcnt(0) lgkmcnt(0)
	v_mul_f64 v[28:29], s[10:11], v[28:29]
.LBB168_77:
	v_cvt_f32_f64_e32 v28, v[28:29]
	v_max_f32_e32 v29, v130, v130
	v_min_f32_e32 v28, v28, v29
	v_cvt_f64_f32_e32 v[28:29], v28
	v_lshl_add_u64 v[32:33], v[0:1], 3, v[24:25]
	global_store_dwordx2 v[32:33], v[28:29], off
	v_max_f32_e32 v28, v129, v129
	s_mov_b64 vcc, s[8:9]
	s_cbranch_vccz .LBB168_80
; %bb.78:
	v_min_f32_e32 v29, 0, v28
	v_cvt_f64_f32_e32 v[32:33], v29
	v_lshl_add_u64 v[34:35], v[10:11], 3, v[24:25]
	global_store_dwordx2 v[34:35], v[32:33], off
	s_mov_b64 s[2:3], 0
	s_cbranch_execz .LBB168_81
; %bb.79:
	v_mov_b64_e32 v[28:29], s[2:3]
	s_branch .LBB168_82
.LBB168_80:
                                        ; implicit-def: $sgpr2_sgpr3
.LBB168_81:
	v_lshl_add_u64 v[32:33], v[26:27], 0, v[16:17]
	flat_load_dwordx2 v[32:33], v[32:33]
	v_lshl_add_u64 v[34:35], v[24:25], 0, v[16:17]
	s_waitcnt vmcnt(0) lgkmcnt(0)
	v_mul_f64 v[32:33], s[10:11], v[32:33]
	v_cvt_f32_f64_e32 v29, v[32:33]
	v_min_f32_e32 v28, v29, v28
	v_cvt_f64_f32_e32 v[28:29], v28
	global_store_dwordx2 v[34:35], v[28:29], off
	v_lshl_add_u64 v[28:29], v[2:3], 3, v[26:27]
	flat_load_dwordx2 v[28:29], v[28:29]
	s_waitcnt vmcnt(0) lgkmcnt(0)
	v_mul_f64 v[28:29], s[10:11], v[28:29]
.LBB168_82:
	v_cvt_f32_f64_e32 v28, v[28:29]
	v_max_f32_e32 v29, v128, v128
	v_min_f32_e32 v28, v28, v29
	v_cvt_f64_f32_e32 v[28:29], v28
	v_lshl_add_u64 v[32:33], v[2:3], 3, v[24:25]
	global_store_dwordx2 v[32:33], v[28:29], off
	v_max_f32_e32 v28, v127, v127
	s_mov_b64 vcc, s[8:9]
	s_cbranch_vccz .LBB168_85
; %bb.83:
	v_min_f32_e32 v29, 0, v28
	v_cvt_f64_f32_e32 v[32:33], v29
	v_lshl_add_u64 v[34:35], v[14:15], 3, v[24:25]
	global_store_dwordx2 v[34:35], v[32:33], off
	s_mov_b64 s[2:3], 0
	s_cbranch_execz .LBB168_86
; %bb.84:
	v_mov_b64_e32 v[28:29], s[2:3]
	s_branch .LBB168_87
.LBB168_85:
                                        ; implicit-def: $sgpr2_sgpr3
.LBB168_86:
	v_lshl_add_u64 v[32:33], v[26:27], 0, v[20:21]
	flat_load_dwordx2 v[32:33], v[32:33]
	v_lshl_add_u64 v[34:35], v[24:25], 0, v[20:21]
	s_waitcnt vmcnt(0) lgkmcnt(0)
	v_mul_f64 v[32:33], s[10:11], v[32:33]
	v_cvt_f32_f64_e32 v29, v[32:33]
	v_min_f32_e32 v28, v29, v28
	v_cvt_f64_f32_e32 v[28:29], v28
	global_store_dwordx2 v[34:35], v[28:29], off
	v_lshl_add_u64 v[28:29], v[4:5], 3, v[26:27]
	flat_load_dwordx2 v[28:29], v[28:29]
	s_waitcnt vmcnt(0) lgkmcnt(0)
	v_mul_f64 v[28:29], s[10:11], v[28:29]
.LBB168_87:
	v_cvt_f32_f64_e32 v28, v[28:29]
	v_max_f32_e32 v29, v126, v126
	v_min_f32_e32 v28, v28, v29
	v_cvt_f64_f32_e32 v[28:29], v28
	v_lshl_add_u64 v[32:33], v[4:5], 3, v[24:25]
	global_store_dwordx2 v[32:33], v[28:29], off
	v_max_f32_e32 v28, v125, v125
	s_mov_b64 vcc, s[8:9]
	s_cbranch_vccz .LBB168_90
; %bb.88:
	v_min_f32_e32 v29, 0, v28
	v_cvt_f64_f32_e32 v[32:33], v29
	v_lshl_add_u64 v[34:35], v[18:19], 3, v[24:25]
	global_store_dwordx2 v[34:35], v[32:33], off
	s_mov_b64 s[2:3], 0
	s_cbranch_execz .LBB168_91
; %bb.89:
	v_mov_b64_e32 v[26:27], s[2:3]
	s_branch .LBB168_92
.LBB168_90:
                                        ; implicit-def: $sgpr2_sgpr3
.LBB168_91:
	v_lshl_add_u64 v[32:33], v[26:27], 0, v[22:23]
	flat_load_dwordx2 v[32:33], v[32:33]
	v_lshl_add_u64 v[34:35], v[24:25], 0, v[22:23]
	v_lshl_add_u64 v[26:27], v[6:7], 3, v[26:27]
	s_waitcnt vmcnt(0) lgkmcnt(0)
	v_mul_f64 v[32:33], s[10:11], v[32:33]
	v_cvt_f32_f64_e32 v29, v[32:33]
	v_min_f32_e32 v28, v29, v28
	v_cvt_f64_f32_e32 v[28:29], v28
	global_store_dwordx2 v[34:35], v[28:29], off
	flat_load_dwordx2 v[26:27], v[26:27]
	s_waitcnt vmcnt(0) lgkmcnt(0)
	v_mul_f64 v[26:27], s[10:11], v[26:27]
.LBB168_92:
	v_cvt_f32_f64_e32 v26, v[26:27]
	v_max_f32_e32 v27, v124, v124
	v_min_f32_e32 v26, v26, v27
	v_cvt_f64_f32_e32 v[26:27], v26
	v_lshl_add_u64 v[24:25], v[6:7], 3, v[24:25]
	global_store_dwordx2 v[24:25], v[26:27], off
	v_add_u32_e32 v26, 64, v30
	v_mad_i64_i32 v[24:25], s[2:3], v26, s7, 0
	v_lshl_add_u64 v[24:25], v[24:25], 3, s[0:1]
	v_mad_i64_i32 v[26:27], s[2:3], v26, s6, 0
	v_max_f32_e32 v28, v123, v123
	s_mov_b64 vcc, s[8:9]
	s_cbranch_vccz .LBB168_95
; %bb.93:
	v_min_f32_e32 v29, 0, v28
	v_cvt_f64_f32_e32 v[32:33], v29
	v_lshl_add_u64 v[34:35], v[8:9], 3, v[24:25]
	global_store_dwordx2 v[34:35], v[32:33], off
	s_mov_b64 s[2:3], 0
	v_lshl_add_u64 v[26:27], v[26:27], 3, s[16:17]
	s_cbranch_execz .LBB168_96
; %bb.94:
	v_mov_b64_e32 v[28:29], s[2:3]
	s_branch .LBB168_97
.LBB168_95:
                                        ; implicit-def: $sgpr2_sgpr3
	v_lshl_add_u64 v[26:27], v[26:27], 3, s[16:17]
.LBB168_96:
	v_lshl_add_u64 v[32:33], v[26:27], 0, v[12:13]
	flat_load_dwordx2 v[32:33], v[32:33]
	v_lshl_add_u64 v[34:35], v[24:25], 0, v[12:13]
	s_waitcnt vmcnt(0) lgkmcnt(0)
	v_mul_f64 v[32:33], s[10:11], v[32:33]
	v_cvt_f32_f64_e32 v29, v[32:33]
	v_min_f32_e32 v28, v29, v28
	v_cvt_f64_f32_e32 v[28:29], v28
	global_store_dwordx2 v[34:35], v[28:29], off
	v_lshl_add_u64 v[28:29], v[0:1], 3, v[26:27]
	flat_load_dwordx2 v[28:29], v[28:29]
	s_waitcnt vmcnt(0) lgkmcnt(0)
	v_mul_f64 v[28:29], s[10:11], v[28:29]
.LBB168_97:
	v_cvt_f32_f64_e32 v28, v[28:29]
	v_max_f32_e32 v29, v122, v122
	v_min_f32_e32 v28, v28, v29
	v_cvt_f64_f32_e32 v[28:29], v28
	v_lshl_add_u64 v[32:33], v[0:1], 3, v[24:25]
	global_store_dwordx2 v[32:33], v[28:29], off
	v_max_f32_e32 v28, v121, v121
	s_mov_b64 vcc, s[8:9]
	s_cbranch_vccz .LBB168_100
; %bb.98:
	v_min_f32_e32 v29, 0, v28
	v_cvt_f64_f32_e32 v[32:33], v29
	v_lshl_add_u64 v[34:35], v[10:11], 3, v[24:25]
	global_store_dwordx2 v[34:35], v[32:33], off
	s_mov_b64 s[2:3], 0
	s_cbranch_execz .LBB168_101
; %bb.99:
	v_mov_b64_e32 v[28:29], s[2:3]
	s_branch .LBB168_102
.LBB168_100:
                                        ; implicit-def: $sgpr2_sgpr3
.LBB168_101:
	v_lshl_add_u64 v[32:33], v[26:27], 0, v[16:17]
	flat_load_dwordx2 v[32:33], v[32:33]
	v_lshl_add_u64 v[34:35], v[24:25], 0, v[16:17]
	s_waitcnt vmcnt(0) lgkmcnt(0)
	v_mul_f64 v[32:33], s[10:11], v[32:33]
	v_cvt_f32_f64_e32 v29, v[32:33]
	v_min_f32_e32 v28, v29, v28
	v_cvt_f64_f32_e32 v[28:29], v28
	global_store_dwordx2 v[34:35], v[28:29], off
	v_lshl_add_u64 v[28:29], v[2:3], 3, v[26:27]
	flat_load_dwordx2 v[28:29], v[28:29]
	s_waitcnt vmcnt(0) lgkmcnt(0)
	v_mul_f64 v[28:29], s[10:11], v[28:29]
.LBB168_102:
	v_cvt_f32_f64_e32 v28, v[28:29]
	v_max_f32_e32 v29, v120, v120
	v_min_f32_e32 v28, v28, v29
	v_cvt_f64_f32_e32 v[28:29], v28
	v_lshl_add_u64 v[32:33], v[2:3], 3, v[24:25]
	global_store_dwordx2 v[32:33], v[28:29], off
	v_max_f32_e32 v28, v119, v119
	s_mov_b64 vcc, s[8:9]
	s_cbranch_vccz .LBB168_105
; %bb.103:
	v_min_f32_e32 v29, 0, v28
	v_cvt_f64_f32_e32 v[32:33], v29
	v_lshl_add_u64 v[34:35], v[14:15], 3, v[24:25]
	global_store_dwordx2 v[34:35], v[32:33], off
	s_mov_b64 s[2:3], 0
	s_cbranch_execz .LBB168_106
; %bb.104:
	v_mov_b64_e32 v[28:29], s[2:3]
	s_branch .LBB168_107
.LBB168_105:
                                        ; implicit-def: $sgpr2_sgpr3
.LBB168_106:
	v_lshl_add_u64 v[32:33], v[26:27], 0, v[20:21]
	flat_load_dwordx2 v[32:33], v[32:33]
	v_lshl_add_u64 v[34:35], v[24:25], 0, v[20:21]
	s_waitcnt vmcnt(0) lgkmcnt(0)
	v_mul_f64 v[32:33], s[10:11], v[32:33]
	v_cvt_f32_f64_e32 v29, v[32:33]
	v_min_f32_e32 v28, v29, v28
	v_cvt_f64_f32_e32 v[28:29], v28
	global_store_dwordx2 v[34:35], v[28:29], off
	v_lshl_add_u64 v[28:29], v[4:5], 3, v[26:27]
	flat_load_dwordx2 v[28:29], v[28:29]
	s_waitcnt vmcnt(0) lgkmcnt(0)
	v_mul_f64 v[28:29], s[10:11], v[28:29]
.LBB168_107:
	v_cvt_f32_f64_e32 v28, v[28:29]
	v_max_f32_e32 v29, v118, v118
	v_min_f32_e32 v28, v28, v29
	v_cvt_f64_f32_e32 v[28:29], v28
	v_lshl_add_u64 v[32:33], v[4:5], 3, v[24:25]
	global_store_dwordx2 v[32:33], v[28:29], off
	v_max_f32_e32 v28, v117, v117
	s_mov_b64 vcc, s[8:9]
	s_cbranch_vccz .LBB168_110
; %bb.108:
	v_min_f32_e32 v29, 0, v28
	v_cvt_f64_f32_e32 v[32:33], v29
	v_lshl_add_u64 v[34:35], v[18:19], 3, v[24:25]
	global_store_dwordx2 v[34:35], v[32:33], off
	s_mov_b64 s[2:3], 0
	s_cbranch_execz .LBB168_111
; %bb.109:
	v_mov_b64_e32 v[26:27], s[2:3]
	s_branch .LBB168_112
.LBB168_110:
                                        ; implicit-def: $sgpr2_sgpr3
.LBB168_111:
	v_lshl_add_u64 v[32:33], v[26:27], 0, v[22:23]
	flat_load_dwordx2 v[32:33], v[32:33]
	v_lshl_add_u64 v[34:35], v[24:25], 0, v[22:23]
	v_lshl_add_u64 v[26:27], v[6:7], 3, v[26:27]
	s_waitcnt vmcnt(0) lgkmcnt(0)
	v_mul_f64 v[32:33], s[10:11], v[32:33]
	v_cvt_f32_f64_e32 v29, v[32:33]
	v_min_f32_e32 v28, v29, v28
	v_cvt_f64_f32_e32 v[28:29], v28
	global_store_dwordx2 v[34:35], v[28:29], off
	flat_load_dwordx2 v[26:27], v[26:27]
	s_waitcnt vmcnt(0) lgkmcnt(0)
	v_mul_f64 v[26:27], s[10:11], v[26:27]
.LBB168_112:
	v_cvt_f32_f64_e32 v26, v[26:27]
	v_max_f32_e32 v27, v116, v116
	v_min_f32_e32 v26, v26, v27
	v_cvt_f64_f32_e32 v[26:27], v26
	v_lshl_add_u64 v[24:25], v[6:7], 3, v[24:25]
	global_store_dwordx2 v[24:25], v[26:27], off
	v_add_u32_e32 v26, 0x60, v30
	v_mad_i64_i32 v[24:25], s[2:3], v26, s7, 0
	v_lshl_add_u64 v[24:25], v[24:25], 3, s[0:1]
	v_mad_i64_i32 v[26:27], s[2:3], v26, s6, 0
	v_max_f32_e32 v28, v115, v115
	s_mov_b64 vcc, s[8:9]
	s_cbranch_vccz .LBB168_115
; %bb.113:
	v_min_f32_e32 v29, 0, v28
	v_cvt_f64_f32_e32 v[32:33], v29
	v_lshl_add_u64 v[34:35], v[8:9], 3, v[24:25]
	global_store_dwordx2 v[34:35], v[32:33], off
	s_mov_b64 s[2:3], 0
	v_lshl_add_u64 v[26:27], v[26:27], 3, s[16:17]
	s_cbranch_execz .LBB168_116
; %bb.114:
	v_mov_b64_e32 v[28:29], s[2:3]
	s_branch .LBB168_117
.LBB168_115:
                                        ; implicit-def: $sgpr2_sgpr3
	v_lshl_add_u64 v[26:27], v[26:27], 3, s[16:17]
.LBB168_116:
	v_lshl_add_u64 v[32:33], v[26:27], 0, v[12:13]
	flat_load_dwordx2 v[32:33], v[32:33]
	v_lshl_add_u64 v[34:35], v[24:25], 0, v[12:13]
	s_waitcnt vmcnt(0) lgkmcnt(0)
	v_mul_f64 v[32:33], s[10:11], v[32:33]
	v_cvt_f32_f64_e32 v29, v[32:33]
	v_min_f32_e32 v28, v29, v28
	v_cvt_f64_f32_e32 v[28:29], v28
	global_store_dwordx2 v[34:35], v[28:29], off
	v_lshl_add_u64 v[28:29], v[0:1], 3, v[26:27]
	flat_load_dwordx2 v[28:29], v[28:29]
	s_waitcnt vmcnt(0) lgkmcnt(0)
	v_mul_f64 v[28:29], s[10:11], v[28:29]
.LBB168_117:
	v_cvt_f32_f64_e32 v28, v[28:29]
	v_max_f32_e32 v29, v114, v114
	v_min_f32_e32 v28, v28, v29
	v_cvt_f64_f32_e32 v[28:29], v28
	v_lshl_add_u64 v[32:33], v[0:1], 3, v[24:25]
	global_store_dwordx2 v[32:33], v[28:29], off
	v_max_f32_e32 v28, v113, v113
	s_mov_b64 vcc, s[8:9]
	s_cbranch_vccz .LBB168_120
; %bb.118:
	v_min_f32_e32 v29, 0, v28
	v_cvt_f64_f32_e32 v[32:33], v29
	v_lshl_add_u64 v[34:35], v[10:11], 3, v[24:25]
	global_store_dwordx2 v[34:35], v[32:33], off
	s_mov_b64 s[2:3], 0
	s_cbranch_execz .LBB168_121
; %bb.119:
	v_mov_b64_e32 v[28:29], s[2:3]
	s_branch .LBB168_122
.LBB168_120:
                                        ; implicit-def: $sgpr2_sgpr3
.LBB168_121:
	v_lshl_add_u64 v[32:33], v[26:27], 0, v[16:17]
	flat_load_dwordx2 v[32:33], v[32:33]
	v_lshl_add_u64 v[34:35], v[24:25], 0, v[16:17]
	s_waitcnt vmcnt(0) lgkmcnt(0)
	v_mul_f64 v[32:33], s[10:11], v[32:33]
	v_cvt_f32_f64_e32 v29, v[32:33]
	v_min_f32_e32 v28, v29, v28
	v_cvt_f64_f32_e32 v[28:29], v28
	global_store_dwordx2 v[34:35], v[28:29], off
	v_lshl_add_u64 v[28:29], v[2:3], 3, v[26:27]
	flat_load_dwordx2 v[28:29], v[28:29]
	s_waitcnt vmcnt(0) lgkmcnt(0)
	v_mul_f64 v[28:29], s[10:11], v[28:29]
.LBB168_122:
	v_cvt_f32_f64_e32 v28, v[28:29]
	v_max_f32_e32 v29, v112, v112
	v_min_f32_e32 v28, v28, v29
	v_cvt_f64_f32_e32 v[28:29], v28
	v_lshl_add_u64 v[32:33], v[2:3], 3, v[24:25]
	global_store_dwordx2 v[32:33], v[28:29], off
	v_max_f32_e32 v28, v111, v111
	s_mov_b64 vcc, s[8:9]
	s_cbranch_vccz .LBB168_125
; %bb.123:
	v_min_f32_e32 v29, 0, v28
	v_cvt_f64_f32_e32 v[32:33], v29
	v_lshl_add_u64 v[34:35], v[14:15], 3, v[24:25]
	global_store_dwordx2 v[34:35], v[32:33], off
	s_mov_b64 s[2:3], 0
	s_cbranch_execz .LBB168_126
; %bb.124:
	v_mov_b64_e32 v[28:29], s[2:3]
	s_branch .LBB168_127
.LBB168_125:
                                        ; implicit-def: $sgpr2_sgpr3
.LBB168_126:
	v_lshl_add_u64 v[32:33], v[26:27], 0, v[20:21]
	flat_load_dwordx2 v[32:33], v[32:33]
	v_lshl_add_u64 v[34:35], v[24:25], 0, v[20:21]
	s_waitcnt vmcnt(0) lgkmcnt(0)
	v_mul_f64 v[32:33], s[10:11], v[32:33]
	v_cvt_f32_f64_e32 v29, v[32:33]
	v_min_f32_e32 v28, v29, v28
	v_cvt_f64_f32_e32 v[28:29], v28
	global_store_dwordx2 v[34:35], v[28:29], off
	v_lshl_add_u64 v[28:29], v[4:5], 3, v[26:27]
	flat_load_dwordx2 v[28:29], v[28:29]
	s_waitcnt vmcnt(0) lgkmcnt(0)
	v_mul_f64 v[28:29], s[10:11], v[28:29]
.LBB168_127:
	v_cvt_f32_f64_e32 v28, v[28:29]
	v_max_f32_e32 v29, v110, v110
	v_min_f32_e32 v28, v28, v29
	v_cvt_f64_f32_e32 v[28:29], v28
	v_lshl_add_u64 v[32:33], v[4:5], 3, v[24:25]
	global_store_dwordx2 v[32:33], v[28:29], off
	v_max_f32_e32 v28, v109, v109
	s_mov_b64 vcc, s[8:9]
	s_cbranch_vccz .LBB168_130
; %bb.128:
	v_min_f32_e32 v29, 0, v28
	v_cvt_f64_f32_e32 v[32:33], v29
	v_lshl_add_u64 v[34:35], v[18:19], 3, v[24:25]
	global_store_dwordx2 v[34:35], v[32:33], off
	s_mov_b64 s[2:3], 0
	s_cbranch_execz .LBB168_131
; %bb.129:
	v_mov_b64_e32 v[26:27], s[2:3]
	s_branch .LBB168_132
.LBB168_130:
                                        ; implicit-def: $sgpr2_sgpr3
.LBB168_131:
	v_lshl_add_u64 v[32:33], v[26:27], 0, v[22:23]
	flat_load_dwordx2 v[32:33], v[32:33]
	v_lshl_add_u64 v[34:35], v[24:25], 0, v[22:23]
	v_lshl_add_u64 v[26:27], v[6:7], 3, v[26:27]
	s_waitcnt vmcnt(0) lgkmcnt(0)
	v_mul_f64 v[32:33], s[10:11], v[32:33]
	v_cvt_f32_f64_e32 v29, v[32:33]
	v_min_f32_e32 v28, v29, v28
	v_cvt_f64_f32_e32 v[28:29], v28
	global_store_dwordx2 v[34:35], v[28:29], off
	flat_load_dwordx2 v[26:27], v[26:27]
	s_waitcnt vmcnt(0) lgkmcnt(0)
	v_mul_f64 v[26:27], s[10:11], v[26:27]
.LBB168_132:
	v_cvt_f32_f64_e32 v26, v[26:27]
	v_max_f32_e32 v27, v108, v108
	v_min_f32_e32 v26, v26, v27
	v_cvt_f64_f32_e32 v[26:27], v26
	v_lshl_add_u64 v[24:25], v[6:7], 3, v[24:25]
	global_store_dwordx2 v[24:25], v[26:27], off
	v_add_u32_e32 v26, 0x80, v30
	v_mad_i64_i32 v[24:25], s[2:3], v26, s7, 0
	v_lshl_add_u64 v[24:25], v[24:25], 3, s[0:1]
	v_mad_i64_i32 v[26:27], s[2:3], v26, s6, 0
	v_max_f32_e32 v28, v107, v107
	s_mov_b64 vcc, s[8:9]
	s_cbranch_vccz .LBB168_135
; %bb.133:
	v_min_f32_e32 v29, 0, v28
	v_cvt_f64_f32_e32 v[32:33], v29
	v_lshl_add_u64 v[34:35], v[8:9], 3, v[24:25]
	global_store_dwordx2 v[34:35], v[32:33], off
	s_mov_b64 s[2:3], 0
	v_lshl_add_u64 v[26:27], v[26:27], 3, s[16:17]
	s_cbranch_execz .LBB168_136
; %bb.134:
	v_mov_b64_e32 v[28:29], s[2:3]
	s_branch .LBB168_137
.LBB168_135:
                                        ; implicit-def: $sgpr2_sgpr3
	v_lshl_add_u64 v[26:27], v[26:27], 3, s[16:17]
.LBB168_136:
	v_lshl_add_u64 v[32:33], v[26:27], 0, v[12:13]
	flat_load_dwordx2 v[32:33], v[32:33]
	v_lshl_add_u64 v[34:35], v[24:25], 0, v[12:13]
	s_waitcnt vmcnt(0) lgkmcnt(0)
	v_mul_f64 v[32:33], s[10:11], v[32:33]
	v_cvt_f32_f64_e32 v29, v[32:33]
	v_min_f32_e32 v28, v29, v28
	v_cvt_f64_f32_e32 v[28:29], v28
	global_store_dwordx2 v[34:35], v[28:29], off
	v_lshl_add_u64 v[28:29], v[0:1], 3, v[26:27]
	flat_load_dwordx2 v[28:29], v[28:29]
	s_waitcnt vmcnt(0) lgkmcnt(0)
	v_mul_f64 v[28:29], s[10:11], v[28:29]
.LBB168_137:
	v_cvt_f32_f64_e32 v28, v[28:29]
	v_max_f32_e32 v29, v106, v106
	v_min_f32_e32 v28, v28, v29
	v_cvt_f64_f32_e32 v[28:29], v28
	v_lshl_add_u64 v[32:33], v[0:1], 3, v[24:25]
	global_store_dwordx2 v[32:33], v[28:29], off
	v_max_f32_e32 v28, v105, v105
	s_mov_b64 vcc, s[8:9]
	s_cbranch_vccz .LBB168_140
; %bb.138:
	v_min_f32_e32 v29, 0, v28
	v_cvt_f64_f32_e32 v[32:33], v29
	v_lshl_add_u64 v[34:35], v[10:11], 3, v[24:25]
	global_store_dwordx2 v[34:35], v[32:33], off
	s_mov_b64 s[2:3], 0
	s_cbranch_execz .LBB168_141
; %bb.139:
	v_mov_b64_e32 v[28:29], s[2:3]
	s_branch .LBB168_142
.LBB168_140:
                                        ; implicit-def: $sgpr2_sgpr3
.LBB168_141:
	v_lshl_add_u64 v[32:33], v[26:27], 0, v[16:17]
	flat_load_dwordx2 v[32:33], v[32:33]
	v_lshl_add_u64 v[34:35], v[24:25], 0, v[16:17]
	s_waitcnt vmcnt(0) lgkmcnt(0)
	v_mul_f64 v[32:33], s[10:11], v[32:33]
	v_cvt_f32_f64_e32 v29, v[32:33]
	v_min_f32_e32 v28, v29, v28
	v_cvt_f64_f32_e32 v[28:29], v28
	global_store_dwordx2 v[34:35], v[28:29], off
	v_lshl_add_u64 v[28:29], v[2:3], 3, v[26:27]
	flat_load_dwordx2 v[28:29], v[28:29]
	s_waitcnt vmcnt(0) lgkmcnt(0)
	v_mul_f64 v[28:29], s[10:11], v[28:29]
.LBB168_142:
	v_cvt_f32_f64_e32 v28, v[28:29]
	v_max_f32_e32 v29, v104, v104
	v_min_f32_e32 v28, v28, v29
	v_cvt_f64_f32_e32 v[28:29], v28
	v_lshl_add_u64 v[32:33], v[2:3], 3, v[24:25]
	global_store_dwordx2 v[32:33], v[28:29], off
	v_max_f32_e32 v28, v103, v103
	s_mov_b64 vcc, s[8:9]
	s_cbranch_vccz .LBB168_145
; %bb.143:
	v_min_f32_e32 v29, 0, v28
	v_cvt_f64_f32_e32 v[32:33], v29
	v_lshl_add_u64 v[34:35], v[14:15], 3, v[24:25]
	global_store_dwordx2 v[34:35], v[32:33], off
	s_mov_b64 s[2:3], 0
	s_cbranch_execz .LBB168_146
; %bb.144:
	v_mov_b64_e32 v[28:29], s[2:3]
	s_branch .LBB168_147
.LBB168_145:
                                        ; implicit-def: $sgpr2_sgpr3
.LBB168_146:
	v_lshl_add_u64 v[32:33], v[26:27], 0, v[20:21]
	flat_load_dwordx2 v[32:33], v[32:33]
	v_lshl_add_u64 v[34:35], v[24:25], 0, v[20:21]
	s_waitcnt vmcnt(0) lgkmcnt(0)
	v_mul_f64 v[32:33], s[10:11], v[32:33]
	v_cvt_f32_f64_e32 v29, v[32:33]
	v_min_f32_e32 v28, v29, v28
	v_cvt_f64_f32_e32 v[28:29], v28
	global_store_dwordx2 v[34:35], v[28:29], off
	v_lshl_add_u64 v[28:29], v[4:5], 3, v[26:27]
	flat_load_dwordx2 v[28:29], v[28:29]
	s_waitcnt vmcnt(0) lgkmcnt(0)
	v_mul_f64 v[28:29], s[10:11], v[28:29]
.LBB168_147:
	v_cvt_f32_f64_e32 v28, v[28:29]
	v_max_f32_e32 v29, v102, v102
	v_min_f32_e32 v28, v28, v29
	v_cvt_f64_f32_e32 v[28:29], v28
	v_lshl_add_u64 v[32:33], v[4:5], 3, v[24:25]
	global_store_dwordx2 v[32:33], v[28:29], off
	v_max_f32_e32 v28, v101, v101
	s_mov_b64 vcc, s[8:9]
	s_cbranch_vccz .LBB168_150
; %bb.148:
	v_min_f32_e32 v29, 0, v28
	v_cvt_f64_f32_e32 v[32:33], v29
	v_lshl_add_u64 v[34:35], v[18:19], 3, v[24:25]
	global_store_dwordx2 v[34:35], v[32:33], off
	s_mov_b64 s[2:3], 0
	s_cbranch_execz .LBB168_151
; %bb.149:
	v_mov_b64_e32 v[26:27], s[2:3]
	s_branch .LBB168_152
.LBB168_150:
                                        ; implicit-def: $sgpr2_sgpr3
.LBB168_151:
	v_lshl_add_u64 v[32:33], v[26:27], 0, v[22:23]
	flat_load_dwordx2 v[32:33], v[32:33]
	v_lshl_add_u64 v[34:35], v[24:25], 0, v[22:23]
	v_lshl_add_u64 v[26:27], v[6:7], 3, v[26:27]
	s_waitcnt vmcnt(0) lgkmcnt(0)
	v_mul_f64 v[32:33], s[10:11], v[32:33]
	v_cvt_f32_f64_e32 v29, v[32:33]
	v_min_f32_e32 v28, v29, v28
	v_cvt_f64_f32_e32 v[28:29], v28
	global_store_dwordx2 v[34:35], v[28:29], off
	flat_load_dwordx2 v[26:27], v[26:27]
	s_waitcnt vmcnt(0) lgkmcnt(0)
	v_mul_f64 v[26:27], s[10:11], v[26:27]
.LBB168_152:
	v_cvt_f32_f64_e32 v26, v[26:27]
	v_max_f32_e32 v27, v100, v100
	v_min_f32_e32 v26, v26, v27
	v_cvt_f64_f32_e32 v[26:27], v26
	v_lshl_add_u64 v[24:25], v[6:7], 3, v[24:25]
	global_store_dwordx2 v[24:25], v[26:27], off
	v_add_u32_e32 v26, 0xa0, v30
	v_mad_i64_i32 v[24:25], s[2:3], v26, s7, 0
	v_lshl_add_u64 v[24:25], v[24:25], 3, s[0:1]
	v_mad_i64_i32 v[26:27], s[2:3], v26, s6, 0
	v_max_f32_e32 v28, v99, v99
	s_mov_b64 vcc, s[8:9]
	s_cbranch_vccz .LBB168_155
; %bb.153:
	v_min_f32_e32 v29, 0, v28
	v_cvt_f64_f32_e32 v[32:33], v29
	v_lshl_add_u64 v[34:35], v[8:9], 3, v[24:25]
	global_store_dwordx2 v[34:35], v[32:33], off
	s_mov_b64 s[2:3], 0
	v_lshl_add_u64 v[26:27], v[26:27], 3, s[16:17]
	s_cbranch_execz .LBB168_156
; %bb.154:
	v_mov_b64_e32 v[28:29], s[2:3]
	s_branch .LBB168_157
.LBB168_155:
                                        ; implicit-def: $sgpr2_sgpr3
	v_lshl_add_u64 v[26:27], v[26:27], 3, s[16:17]
.LBB168_156:
	v_lshl_add_u64 v[32:33], v[26:27], 0, v[12:13]
	flat_load_dwordx2 v[32:33], v[32:33]
	v_lshl_add_u64 v[34:35], v[24:25], 0, v[12:13]
	s_waitcnt vmcnt(0) lgkmcnt(0)
	v_mul_f64 v[32:33], s[10:11], v[32:33]
	v_cvt_f32_f64_e32 v29, v[32:33]
	v_min_f32_e32 v28, v29, v28
	v_cvt_f64_f32_e32 v[28:29], v28
	global_store_dwordx2 v[34:35], v[28:29], off
	v_lshl_add_u64 v[28:29], v[0:1], 3, v[26:27]
	flat_load_dwordx2 v[28:29], v[28:29]
	s_waitcnt vmcnt(0) lgkmcnt(0)
	v_mul_f64 v[28:29], s[10:11], v[28:29]
.LBB168_157:
	v_cvt_f32_f64_e32 v28, v[28:29]
	v_max_f32_e32 v29, v98, v98
	v_min_f32_e32 v28, v28, v29
	v_cvt_f64_f32_e32 v[28:29], v28
	v_lshl_add_u64 v[32:33], v[0:1], 3, v[24:25]
	global_store_dwordx2 v[32:33], v[28:29], off
	v_max_f32_e32 v28, v97, v97
	s_mov_b64 vcc, s[8:9]
	s_cbranch_vccz .LBB168_160
; %bb.158:
	v_min_f32_e32 v29, 0, v28
	v_cvt_f64_f32_e32 v[32:33], v29
	v_lshl_add_u64 v[34:35], v[10:11], 3, v[24:25]
	s_mov_b32 s4, 0
	global_store_dwordx2 v[34:35], v[32:33], off
	s_cbranch_execz .LBB168_161
; %bb.159:
	v_mov_b32_e32 v28, s4
	s_branch .LBB168_162
.LBB168_160:
                                        ; implicit-def: $sgpr4
.LBB168_161:
	v_lshl_add_u64 v[32:33], v[26:27], 0, v[16:17]
	flat_load_dwordx2 v[32:33], v[32:33]
	v_lshl_add_u64 v[34:35], v[24:25], 0, v[16:17]
	s_waitcnt vmcnt(0) lgkmcnt(0)
	v_mul_f64 v[32:33], s[10:11], v[32:33]
	v_cvt_f32_f64_e32 v29, v[32:33]
	v_min_f32_e32 v28, v29, v28
	v_cvt_f64_f32_e32 v[28:29], v28
	global_store_dwordx2 v[34:35], v[28:29], off
	v_lshl_add_u64 v[28:29], v[2:3], 3, v[26:27]
	flat_load_dwordx2 v[28:29], v[28:29]
	s_waitcnt vmcnt(0) lgkmcnt(0)
	v_mul_f64 v[28:29], s[10:11], v[28:29]
	v_cvt_f32_f64_e32 v28, v[28:29]
.LBB168_162:
	v_max_f32_e32 v29, v96, v96
	v_max_f32_e32 v28, v28, v28
	v_min_f32_e32 v28, v28, v29
	v_cvt_f64_f32_e32 v[28:29], v28
	v_lshl_add_u64 v[32:33], v[2:3], 3, v[24:25]
	global_store_dwordx2 v[32:33], v[28:29], off
	v_max_f32_e32 v28, v95, v95
	s_mov_b64 vcc, s[8:9]
	s_cbranch_vccz .LBB168_165
; %bb.163:
	v_min_f32_e32 v29, 0, v28
	v_cvt_f64_f32_e32 v[32:33], v29
	v_lshl_add_u64 v[34:35], v[14:15], 3, v[24:25]
	s_mov_b32 s4, 0
	global_store_dwordx2 v[34:35], v[32:33], off
	s_cbranch_execz .LBB168_166
; %bb.164:
	v_mov_b32_e32 v28, s4
	s_branch .LBB168_167
.LBB168_165:
                                        ; implicit-def: $sgpr4
.LBB168_166:
	v_lshl_add_u64 v[32:33], v[26:27], 0, v[20:21]
	flat_load_dwordx2 v[32:33], v[32:33]
	v_lshl_add_u64 v[34:35], v[24:25], 0, v[20:21]
	s_waitcnt vmcnt(0) lgkmcnt(0)
	v_mul_f64 v[32:33], s[10:11], v[32:33]
	v_cvt_f32_f64_e32 v29, v[32:33]
	v_min_f32_e32 v28, v29, v28
	v_cvt_f64_f32_e32 v[28:29], v28
	global_store_dwordx2 v[34:35], v[28:29], off
	v_lshl_add_u64 v[28:29], v[4:5], 3, v[26:27]
	flat_load_dwordx2 v[28:29], v[28:29]
	s_waitcnt vmcnt(0) lgkmcnt(0)
	v_mul_f64 v[28:29], s[10:11], v[28:29]
	v_cvt_f32_f64_e32 v28, v[28:29]
.LBB168_167:
	v_max_f32_e32 v29, v94, v94
	v_max_f32_e32 v28, v28, v28
	v_min_f32_e32 v28, v28, v29
	v_cvt_f64_f32_e32 v[28:29], v28
	v_lshl_add_u64 v[32:33], v[4:5], 3, v[24:25]
	global_store_dwordx2 v[32:33], v[28:29], off
	v_max_f32_e32 v28, v93, v93
	s_mov_b64 vcc, s[8:9]
	s_cbranch_vccz .LBB168_170
; %bb.168:
	v_min_f32_e32 v29, 0, v28
	v_cvt_f64_f32_e32 v[32:33], v29
	v_lshl_add_u64 v[34:35], v[18:19], 3, v[24:25]
	s_mov_b32 s4, 0
	global_store_dwordx2 v[34:35], v[32:33], off
	s_cbranch_execz .LBB168_171
; %bb.169:
	v_mov_b32_e32 v26, s4
	s_branch .LBB168_172
.LBB168_170:
                                        ; implicit-def: $sgpr4
.LBB168_171:
	v_lshl_add_u64 v[32:33], v[26:27], 0, v[22:23]
	flat_load_dwordx2 v[32:33], v[32:33]
	v_lshl_add_u64 v[34:35], v[24:25], 0, v[22:23]
	v_lshl_add_u64 v[26:27], v[6:7], 3, v[26:27]
	s_waitcnt vmcnt(0) lgkmcnt(0)
	v_mul_f64 v[32:33], s[10:11], v[32:33]
	v_cvt_f32_f64_e32 v29, v[32:33]
	v_min_f32_e32 v28, v29, v28
	v_cvt_f64_f32_e32 v[28:29], v28
	global_store_dwordx2 v[34:35], v[28:29], off
	flat_load_dwordx2 v[26:27], v[26:27]
	s_waitcnt vmcnt(0) lgkmcnt(0)
	v_mul_f64 v[26:27], s[10:11], v[26:27]
	v_cvt_f32_f64_e32 v26, v[26:27]
.LBB168_172:
	v_max_f32_e32 v27, v92, v92
	v_max_f32_e32 v26, v26, v26
	v_min_f32_e32 v26, v26, v27
	v_cvt_f64_f32_e32 v[26:27], v26
	v_lshl_add_u64 v[24:25], v[6:7], 3, v[24:25]
	global_store_dwordx2 v[24:25], v[26:27], off
	v_add_u32_e32 v26, 0xc0, v30
	v_mad_i64_i32 v[24:25], s[2:3], v26, s7, 0
	v_lshl_add_u64 v[24:25], v[24:25], 3, s[0:1]
	v_mad_i64_i32 v[26:27], s[2:3], v26, s6, 0
	v_max_f32_e32 v28, v91, v91
	s_mov_b64 vcc, s[8:9]
	s_cbranch_vccz .LBB168_175
; %bb.173:
	v_min_f32_e32 v29, 0, v28
	v_cvt_f64_f32_e32 v[32:33], v29
	v_lshl_add_u64 v[34:35], v[8:9], 3, v[24:25]
	s_mov_b32 s4, 0
	global_store_dwordx2 v[34:35], v[32:33], off
	v_lshl_add_u64 v[26:27], v[26:27], 3, s[16:17]
	s_cbranch_execz .LBB168_176
; %bb.174:
	v_mov_b32_e32 v28, s4
	s_branch .LBB168_177
.LBB168_175:
                                        ; implicit-def: $sgpr4
	v_lshl_add_u64 v[26:27], v[26:27], 3, s[16:17]
.LBB168_176:
	v_lshl_add_u64 v[32:33], v[26:27], 0, v[12:13]
	flat_load_dwordx2 v[32:33], v[32:33]
	v_lshl_add_u64 v[34:35], v[24:25], 0, v[12:13]
	s_waitcnt vmcnt(0) lgkmcnt(0)
	v_mul_f64 v[32:33], s[10:11], v[32:33]
	v_cvt_f32_f64_e32 v29, v[32:33]
	v_min_f32_e32 v28, v29, v28
	v_cvt_f64_f32_e32 v[28:29], v28
	global_store_dwordx2 v[34:35], v[28:29], off
	v_lshl_add_u64 v[28:29], v[0:1], 3, v[26:27]
	flat_load_dwordx2 v[28:29], v[28:29]
	s_waitcnt vmcnt(0) lgkmcnt(0)
	v_mul_f64 v[28:29], s[10:11], v[28:29]
	v_cvt_f32_f64_e32 v28, v[28:29]
.LBB168_177:
	v_max_f32_e32 v29, v90, v90
	v_max_f32_e32 v28, v28, v28
	v_min_f32_e32 v28, v28, v29
	v_cvt_f64_f32_e32 v[28:29], v28
	v_lshl_add_u64 v[32:33], v[0:1], 3, v[24:25]
	global_store_dwordx2 v[32:33], v[28:29], off
	v_max_f32_e32 v28, v89, v89
	s_mov_b64 vcc, s[8:9]
	s_cbranch_vccz .LBB168_180
; %bb.178:
	v_min_f32_e32 v29, 0, v28
	v_cvt_f64_f32_e32 v[32:33], v29
	v_lshl_add_u64 v[34:35], v[10:11], 3, v[24:25]
	s_mov_b32 s4, 0
	global_store_dwordx2 v[34:35], v[32:33], off
	s_cbranch_execz .LBB168_181
; %bb.179:
	v_mov_b32_e32 v28, s4
	s_branch .LBB168_182
.LBB168_180:
                                        ; implicit-def: $sgpr4
.LBB168_181:
	v_lshl_add_u64 v[32:33], v[26:27], 0, v[16:17]
	flat_load_dwordx2 v[32:33], v[32:33]
	v_lshl_add_u64 v[34:35], v[24:25], 0, v[16:17]
	s_waitcnt vmcnt(0) lgkmcnt(0)
	v_mul_f64 v[32:33], s[10:11], v[32:33]
	v_cvt_f32_f64_e32 v29, v[32:33]
	v_min_f32_e32 v28, v29, v28
	v_cvt_f64_f32_e32 v[28:29], v28
	global_store_dwordx2 v[34:35], v[28:29], off
	v_lshl_add_u64 v[28:29], v[2:3], 3, v[26:27]
	flat_load_dwordx2 v[28:29], v[28:29]
	s_waitcnt vmcnt(0) lgkmcnt(0)
	v_mul_f64 v[28:29], s[10:11], v[28:29]
	v_cvt_f32_f64_e32 v28, v[28:29]
.LBB168_182:
	v_max_f32_e32 v29, v88, v88
	v_max_f32_e32 v28, v28, v28
	v_min_f32_e32 v28, v28, v29
	v_cvt_f64_f32_e32 v[28:29], v28
	v_lshl_add_u64 v[32:33], v[2:3], 3, v[24:25]
	global_store_dwordx2 v[32:33], v[28:29], off
	v_max_f32_e32 v28, v87, v87
	s_mov_b64 vcc, s[8:9]
	s_cbranch_vccz .LBB168_185
; %bb.183:
	v_min_f32_e32 v29, 0, v28
	v_cvt_f64_f32_e32 v[32:33], v29
	v_lshl_add_u64 v[34:35], v[14:15], 3, v[24:25]
	s_mov_b32 s4, 0
	global_store_dwordx2 v[34:35], v[32:33], off
	s_cbranch_execz .LBB168_186
; %bb.184:
	v_mov_b32_e32 v28, s4
	s_branch .LBB168_187
.LBB168_185:
                                        ; implicit-def: $sgpr4
.LBB168_186:
	v_lshl_add_u64 v[32:33], v[26:27], 0, v[20:21]
	flat_load_dwordx2 v[32:33], v[32:33]
	v_lshl_add_u64 v[34:35], v[24:25], 0, v[20:21]
	s_waitcnt vmcnt(0) lgkmcnt(0)
	v_mul_f64 v[32:33], s[10:11], v[32:33]
	v_cvt_f32_f64_e32 v29, v[32:33]
	v_min_f32_e32 v28, v29, v28
	v_cvt_f64_f32_e32 v[28:29], v28
	global_store_dwordx2 v[34:35], v[28:29], off
	v_lshl_add_u64 v[28:29], v[4:5], 3, v[26:27]
	flat_load_dwordx2 v[28:29], v[28:29]
	s_waitcnt vmcnt(0) lgkmcnt(0)
	v_mul_f64 v[28:29], s[10:11], v[28:29]
	v_cvt_f32_f64_e32 v28, v[28:29]
.LBB168_187:
	v_max_f32_e32 v29, v86, v86
	v_max_f32_e32 v28, v28, v28
	v_min_f32_e32 v28, v28, v29
	v_cvt_f64_f32_e32 v[28:29], v28
	v_lshl_add_u64 v[32:33], v[4:5], 3, v[24:25]
	global_store_dwordx2 v[32:33], v[28:29], off
	v_max_f32_e32 v28, v85, v85
	s_mov_b64 vcc, s[8:9]
	s_cbranch_vccz .LBB168_190
; %bb.188:
	v_min_f32_e32 v29, 0, v28
	v_cvt_f64_f32_e32 v[32:33], v29
	v_lshl_add_u64 v[34:35], v[18:19], 3, v[24:25]
	s_mov_b32 s4, 0
	global_store_dwordx2 v[34:35], v[32:33], off
	s_cbranch_execz .LBB168_191
; %bb.189:
	v_mov_b32_e32 v26, s4
	s_branch .LBB168_192
.LBB168_190:
                                        ; implicit-def: $sgpr4
.LBB168_191:
	v_lshl_add_u64 v[32:33], v[26:27], 0, v[22:23]
	flat_load_dwordx2 v[32:33], v[32:33]
	v_lshl_add_u64 v[34:35], v[24:25], 0, v[22:23]
	v_lshl_add_u64 v[26:27], v[6:7], 3, v[26:27]
	s_waitcnt vmcnt(0) lgkmcnt(0)
	v_mul_f64 v[32:33], s[10:11], v[32:33]
	v_cvt_f32_f64_e32 v29, v[32:33]
	v_min_f32_e32 v28, v29, v28
	v_cvt_f64_f32_e32 v[28:29], v28
	global_store_dwordx2 v[34:35], v[28:29], off
	flat_load_dwordx2 v[26:27], v[26:27]
	s_waitcnt vmcnt(0) lgkmcnt(0)
	v_mul_f64 v[26:27], s[10:11], v[26:27]
	v_cvt_f32_f64_e32 v26, v[26:27]
.LBB168_192:
	v_max_f32_e32 v27, v84, v84
	v_max_f32_e32 v26, v26, v26
	v_min_f32_e32 v26, v26, v27
	v_cvt_f64_f32_e32 v[26:27], v26
	v_lshl_add_u64 v[24:25], v[6:7], 3, v[24:25]
	global_store_dwordx2 v[24:25], v[26:27], off
	v_add_u32_e32 v26, 0xe0, v30
	v_mad_i64_i32 v[24:25], s[2:3], v26, s7, 0
	v_lshl_add_u64 v[24:25], v[24:25], 3, s[0:1]
	v_mad_i64_i32 v[26:27], s[0:1], v26, s6, 0
	v_max_f32_e32 v28, v83, v83
	s_mov_b64 vcc, s[8:9]
	s_cbranch_vccz .LBB168_195
; %bb.193:
	v_min_f32_e32 v29, 0, v28
	v_cvt_f64_f32_e32 v[30:31], v29
	v_lshl_add_u64 v[8:9], v[8:9], 3, v[24:25]
	s_mov_b32 s2, 0
	global_store_dwordx2 v[8:9], v[30:31], off
	v_lshl_add_u64 v[8:9], v[26:27], 3, s[16:17]
	s_cbranch_execz .LBB168_196
; %bb.194:
	v_mov_b32_e32 v12, s2
	s_branch .LBB168_197
.LBB168_195:
                                        ; implicit-def: $sgpr2
	v_lshl_add_u64 v[8:9], v[26:27], 3, s[16:17]
.LBB168_196:
	v_lshl_add_u64 v[26:27], v[8:9], 0, v[12:13]
	flat_load_dwordx2 v[26:27], v[26:27]
	v_lshl_add_u64 v[12:13], v[24:25], 0, v[12:13]
	s_waitcnt vmcnt(0) lgkmcnt(0)
	v_mul_f64 v[26:27], s[10:11], v[26:27]
	v_cvt_f32_f64_e32 v26, v[26:27]
	v_min_f32_e32 v26, v26, v28
	v_cvt_f64_f32_e32 v[26:27], v26
	global_store_dwordx2 v[12:13], v[26:27], off
	v_lshl_add_u64 v[12:13], v[0:1], 3, v[8:9]
	flat_load_dwordx2 v[12:13], v[12:13]
	s_waitcnt vmcnt(0) lgkmcnt(0)
	v_mul_f64 v[12:13], s[10:11], v[12:13]
	v_cvt_f32_f64_e32 v12, v[12:13]
.LBB168_197:
	v_max_f32_e32 v13, v82, v82
	v_max_f32_e32 v12, v12, v12
	v_min_f32_e32 v12, v12, v13
	v_cvt_f64_f32_e32 v[12:13], v12
	v_lshl_add_u64 v[0:1], v[0:1], 3, v[24:25]
	global_store_dwordx2 v[0:1], v[12:13], off
	v_max_f32_e32 v0, v81, v81
	s_mov_b64 vcc, s[8:9]
	s_cbranch_vccz .LBB168_200
; %bb.198:
	v_min_f32_e32 v1, 0, v0
	v_cvt_f64_f32_e32 v[12:13], v1
	v_lshl_add_u64 v[10:11], v[10:11], 3, v[24:25]
	s_mov_b32 s2, 0
	global_store_dwordx2 v[10:11], v[12:13], off
	s_cbranch_execz .LBB168_201
; %bb.199:
	v_mov_b32_e32 v0, s2
	s_branch .LBB168_202
.LBB168_200:
                                        ; implicit-def: $sgpr2
.LBB168_201:
	v_lshl_add_u64 v[10:11], v[8:9], 0, v[16:17]
	flat_load_dwordx2 v[10:11], v[10:11]
	v_lshl_add_u64 v[12:13], v[24:25], 0, v[16:17]
	s_waitcnt vmcnt(0) lgkmcnt(0)
	v_mul_f64 v[10:11], s[10:11], v[10:11]
	v_cvt_f32_f64_e32 v1, v[10:11]
	v_min_f32_e32 v0, v1, v0
	v_cvt_f64_f32_e32 v[0:1], v0
	global_store_dwordx2 v[12:13], v[0:1], off
	v_lshl_add_u64 v[0:1], v[2:3], 3, v[8:9]
	flat_load_dwordx2 v[0:1], v[0:1]
	s_waitcnt vmcnt(0) lgkmcnt(0)
	v_mul_f64 v[0:1], s[10:11], v[0:1]
	v_cvt_f32_f64_e32 v0, v[0:1]
.LBB168_202:
	v_max_f32_e32 v1, v80, v80
	v_max_f32_e32 v0, v0, v0
	v_min_f32_e32 v0, v0, v1
	v_cvt_f64_f32_e32 v[0:1], v0
	v_lshl_add_u64 v[2:3], v[2:3], 3, v[24:25]
	global_store_dwordx2 v[2:3], v[0:1], off
	v_max_f32_e32 v0, v79, v79
	s_mov_b64 vcc, s[8:9]
	s_cbranch_vccz .LBB168_205
; %bb.203:
	v_min_f32_e32 v1, 0, v0
	v_cvt_f64_f32_e32 v[2:3], v1
	v_lshl_add_u64 v[10:11], v[14:15], 3, v[24:25]
	s_mov_b32 s2, 0
	global_store_dwordx2 v[10:11], v[2:3], off
	s_cbranch_execz .LBB168_206
; %bb.204:
	v_mov_b32_e32 v0, s2
	s_branch .LBB168_207
.LBB168_205:
                                        ; implicit-def: $sgpr2
.LBB168_206:
	v_lshl_add_u64 v[2:3], v[8:9], 0, v[20:21]
	flat_load_dwordx2 v[2:3], v[2:3]
	v_lshl_add_u64 v[10:11], v[24:25], 0, v[20:21]
	s_waitcnt vmcnt(0) lgkmcnt(0)
	v_mul_f64 v[2:3], s[10:11], v[2:3]
	v_cvt_f32_f64_e32 v1, v[2:3]
	v_min_f32_e32 v0, v1, v0
	v_cvt_f64_f32_e32 v[0:1], v0
	global_store_dwordx2 v[10:11], v[0:1], off
	v_lshl_add_u64 v[0:1], v[4:5], 3, v[8:9]
	flat_load_dwordx2 v[0:1], v[0:1]
	s_waitcnt vmcnt(0) lgkmcnt(0)
	v_mul_f64 v[0:1], s[10:11], v[0:1]
	v_cvt_f32_f64_e32 v0, v[0:1]
.LBB168_207:
	;; [unrolled: 37-line block ×3, first 2 shown]
	v_max_f32_e32 v1, v61, v61
	v_max_f32_e32 v0, v0, v0
	v_min_f32_e32 v0, v0, v1
	v_cvt_f64_f32_e32 v[0:1], v0
	v_lshl_add_u64 v[2:3], v[6:7], 3, v[24:25]
	global_store_dwordx2 v[2:3], v[0:1], off
	s_endpgm
	.section	.rodata,"a",@progbits
	.p2align	6, 0x0
	.amdhsa_kernel _ZN12_GLOBAL__N_120geam_min_plus_kernelId15HIP_vector_typeIdLj2EEdLi8ELi32ELi64ELi256ELi4ELi64ELi4ELi64ELi4ELc78ELc84ELb0ELb0ELb1EPKdS3_dEEviiiT16_PT17_ilS7_ilS5_S7_ilPT18_ili26rocblas_geam_ex_operation_
		.amdhsa_group_segment_fixed_size 20480
		.amdhsa_private_segment_fixed_size 0
		.amdhsa_kernarg_size 136
		.amdhsa_user_sgpr_count 2
		.amdhsa_user_sgpr_dispatch_ptr 0
		.amdhsa_user_sgpr_queue_ptr 0
		.amdhsa_user_sgpr_kernarg_segment_ptr 1
		.amdhsa_user_sgpr_dispatch_id 0
		.amdhsa_user_sgpr_kernarg_preload_length 0
		.amdhsa_user_sgpr_kernarg_preload_offset 0
		.amdhsa_user_sgpr_private_segment_size 0
		.amdhsa_uses_dynamic_stack 0
		.amdhsa_enable_private_segment 0
		.amdhsa_system_sgpr_workgroup_id_x 1
		.amdhsa_system_sgpr_workgroup_id_y 0
		.amdhsa_system_sgpr_workgroup_id_z 1
		.amdhsa_system_sgpr_workgroup_info 0
		.amdhsa_system_vgpr_workitem_id 1
		.amdhsa_next_free_vgpr 154
		.amdhsa_next_free_sgpr 31
		.amdhsa_accum_offset 156
		.amdhsa_reserve_vcc 1
		.amdhsa_float_round_mode_32 0
		.amdhsa_float_round_mode_16_64 0
		.amdhsa_float_denorm_mode_32 3
		.amdhsa_float_denorm_mode_16_64 3
		.amdhsa_dx10_clamp 1
		.amdhsa_ieee_mode 1
		.amdhsa_fp16_overflow 0
		.amdhsa_tg_split 0
		.amdhsa_exception_fp_ieee_invalid_op 0
		.amdhsa_exception_fp_denorm_src 0
		.amdhsa_exception_fp_ieee_div_zero 0
		.amdhsa_exception_fp_ieee_overflow 0
		.amdhsa_exception_fp_ieee_underflow 0
		.amdhsa_exception_fp_ieee_inexact 0
		.amdhsa_exception_int_div_zero 0
	.end_amdhsa_kernel
	.section	.text._ZN12_GLOBAL__N_120geam_min_plus_kernelId15HIP_vector_typeIdLj2EEdLi8ELi32ELi64ELi256ELi4ELi64ELi4ELi64ELi4ELc78ELc84ELb0ELb0ELb1EPKdS3_dEEviiiT16_PT17_ilS7_ilS5_S7_ilPT18_ili26rocblas_geam_ex_operation_,"axG",@progbits,_ZN12_GLOBAL__N_120geam_min_plus_kernelId15HIP_vector_typeIdLj2EEdLi8ELi32ELi64ELi256ELi4ELi64ELi4ELi64ELi4ELc78ELc84ELb0ELb0ELb1EPKdS3_dEEviiiT16_PT17_ilS7_ilS5_S7_ilPT18_ili26rocblas_geam_ex_operation_,comdat
.Lfunc_end168:
	.size	_ZN12_GLOBAL__N_120geam_min_plus_kernelId15HIP_vector_typeIdLj2EEdLi8ELi32ELi64ELi256ELi4ELi64ELi4ELi64ELi4ELc78ELc84ELb0ELb0ELb1EPKdS3_dEEviiiT16_PT17_ilS7_ilS5_S7_ilPT18_ili26rocblas_geam_ex_operation_, .Lfunc_end168-_ZN12_GLOBAL__N_120geam_min_plus_kernelId15HIP_vector_typeIdLj2EEdLi8ELi32ELi64ELi256ELi4ELi64ELi4ELi64ELi4ELc78ELc84ELb0ELb0ELb1EPKdS3_dEEviiiT16_PT17_ilS7_ilS5_S7_ilPT18_ili26rocblas_geam_ex_operation_
                                        ; -- End function
	.section	.AMDGPU.csdata,"",@progbits
; Kernel info:
; codeLenInByte = 17224
; NumSgprs: 37
; NumVgprs: 154
; NumAgprs: 0
; TotalNumVgprs: 154
; ScratchSize: 0
; MemoryBound: 1
; FloatMode: 240
; IeeeMode: 1
; LDSByteSize: 20480 bytes/workgroup (compile time only)
; SGPRBlocks: 4
; VGPRBlocks: 19
; NumSGPRsForWavesPerEU: 37
; NumVGPRsForWavesPerEU: 154
; AccumOffset: 156
; Occupancy: 3
; WaveLimiterHint : 1
; COMPUTE_PGM_RSRC2:SCRATCH_EN: 0
; COMPUTE_PGM_RSRC2:USER_SGPR: 2
; COMPUTE_PGM_RSRC2:TRAP_HANDLER: 0
; COMPUTE_PGM_RSRC2:TGID_X_EN: 1
; COMPUTE_PGM_RSRC2:TGID_Y_EN: 0
; COMPUTE_PGM_RSRC2:TGID_Z_EN: 1
; COMPUTE_PGM_RSRC2:TIDIG_COMP_CNT: 1
; COMPUTE_PGM_RSRC3_GFX90A:ACCUM_OFFSET: 38
; COMPUTE_PGM_RSRC3_GFX90A:TG_SPLIT: 0
	.section	.text._ZN12_GLOBAL__N_120geam_min_plus_kernelId15HIP_vector_typeIdLj2EEdLi8ELi32ELi64ELi256ELi4ELi64ELi4ELi64ELi4ELc78ELc84ELb1ELb0ELb1EdKddEEviiiT16_PT17_ilS6_ilS4_S6_ilPT18_ili26rocblas_geam_ex_operation_,"axG",@progbits,_ZN12_GLOBAL__N_120geam_min_plus_kernelId15HIP_vector_typeIdLj2EEdLi8ELi32ELi64ELi256ELi4ELi64ELi4ELi64ELi4ELc78ELc84ELb1ELb0ELb1EdKddEEviiiT16_PT17_ilS6_ilS4_S6_ilPT18_ili26rocblas_geam_ex_operation_,comdat
	.globl	_ZN12_GLOBAL__N_120geam_min_plus_kernelId15HIP_vector_typeIdLj2EEdLi8ELi32ELi64ELi256ELi4ELi64ELi4ELi64ELi4ELc78ELc84ELb1ELb0ELb1EdKddEEviiiT16_PT17_ilS6_ilS4_S6_ilPT18_ili26rocblas_geam_ex_operation_ ; -- Begin function _ZN12_GLOBAL__N_120geam_min_plus_kernelId15HIP_vector_typeIdLj2EEdLi8ELi32ELi64ELi256ELi4ELi64ELi4ELi64ELi4ELc78ELc84ELb1ELb0ELb1EdKddEEviiiT16_PT17_ilS6_ilS4_S6_ilPT18_ili26rocblas_geam_ex_operation_
	.p2align	8
	.type	_ZN12_GLOBAL__N_120geam_min_plus_kernelId15HIP_vector_typeIdLj2EEdLi8ELi32ELi64ELi256ELi4ELi64ELi4ELi64ELi4ELc78ELc84ELb1ELb0ELb1EdKddEEviiiT16_PT17_ilS6_ilS4_S6_ilPT18_ili26rocblas_geam_ex_operation_,@function
_ZN12_GLOBAL__N_120geam_min_plus_kernelId15HIP_vector_typeIdLj2EEdLi8ELi32ELi64ELi256ELi4ELi64ELi4ELi64ELi4ELc78ELc84ELb1ELb0ELb1EdKddEEviiiT16_PT17_ilS6_ilS4_S6_ilPT18_ili26rocblas_geam_ex_operation_: ; @_ZN12_GLOBAL__N_120geam_min_plus_kernelId15HIP_vector_typeIdLj2EEdLi8ELi32ELi64ELi256ELi4ELi64ELi4ELi64ELi4ELc78ELc84ELb1ELb0ELb1EdKddEEviiiT16_PT17_ilS6_ilS4_S6_ilPT18_ili26rocblas_geam_ex_operation_
; %bb.0:
	s_load_dwordx4 s[4:7], s[0:1], 0x10
	s_load_dwordx4 s[8:11], s[0:1], 0x28
	s_mov_b64 s[16:17], 0
	s_waitcnt lgkmcnt(0)
	v_cmp_eq_f64_e64 s[12:13], s[4:5], 0
	s_and_b64 vcc, exec, s[12:13]
	s_cbranch_vccnz .LBB169_2
; %bb.1:
	s_mul_i32 s4, s3, s9
	s_mul_hi_u32 s5, s3, s8
	s_add_i32 s5, s5, s4
	s_mul_i32 s4, s3, s8
	s_lshl_b64 s[4:5], s[4:5], 3
	s_add_u32 s16, s6, s4
	s_addc_u32 s17, s7, s5
.LBB169_2:
	s_load_dwordx4 s[4:7], s[0:1], 0x40
	s_load_dwordx2 s[20:21], s[0:1], 0x50
	s_andn2_b64 vcc, exec, s[12:13]
	s_cbranch_vccnz .LBB169_4
; %bb.3:
	s_mov_b32 s15, 0
	s_mov_b64 s[18:19], 0
	s_cbranch_execz .LBB169_5
	s_branch .LBB169_6
.LBB169_4:
                                        ; implicit-def: $sgpr18_sgpr19
                                        ; implicit-def: $sgpr14_sgpr15
.LBB169_5:
	s_waitcnt lgkmcnt(0)
	s_mul_i32 s5, s3, s5
	s_mul_hi_u32 s8, s3, s4
	s_add_i32 s5, s8, s5
	s_mul_i32 s4, s3, s4
	s_lshl_b64 s[4:5], s[4:5], 3
	s_add_u32 s18, s10, s4
	s_mov_b32 s15, 0
	s_addc_u32 s19, s11, s5
.LBB169_6:
	s_load_dwordx4 s[8:11], s[0:1], 0x60
	s_waitcnt lgkmcnt(0)
	v_cmp_eq_f64_e64 s[4:5], s[6:7], 0
	s_and_b64 s[4:5], exec, s[4:5]
	s_mov_b64 s[12:13], 0
	s_mov_b64 vcc, s[4:5]
	s_cbranch_vccnz .LBB169_8
; %bb.7:
	s_mul_i32 s9, s3, s9
	s_mul_hi_u32 s12, s3, s8
	s_add_i32 s9, s12, s9
	s_mul_i32 s12, s15, s8
	s_add_i32 s9, s9, s12
	s_mul_i32 s8, s3, s8
	s_lshl_b64 s[8:9], s[8:9], 3
	s_add_u32 s12, s20, s8
	s_addc_u32 s13, s21, s9
.LBB169_8:
	s_load_dword s8, s[0:1], 0x0
	s_load_dword s20, s[0:1], 0x20
	;; [unrolled: 1-line block ×3, first 2 shown]
	v_and_b32_e32 v133, 0x3ff, v0
	v_bfe_u32 v134, v0, 10, 10
	s_waitcnt lgkmcnt(0)
	s_add_i32 s8, s8, -1
	s_ashr_i32 s9, s8, 31
	s_lshr_b32 s9, s9, 26
	s_add_i32 s8, s8, s9
	s_ashr_i32 s8, s8, 6
	s_add_i32 s9, s8, 1
	v_cvt_f32_u32_e32 v1, s9
	s_not_b32 s8, s8
	s_ashr_i32 s22, s20, 31
	s_ashr_i32 s23, s21, 31
	v_rcp_iflag_f32_e32 v0, v1
	v_lshl_add_u32 v1, v134, 3, v133
	v_and_b32_e32 v144, 63, v1
	v_lshrrev_b32_e32 v140, 6, v1
	v_mul_f32_e32 v0, 0x4f7ffffe, v0
	v_cvt_u32_f32_e32 v0, v0
	v_add_u32_e32 v141, 4, v140
	v_mov_b32_e32 v74, 0x7f800000
	v_mov_b32_e32 v75, 0x7f800000
	v_readfirstlane_b32 s14, v0
	s_mul_i32 s8, s8, s14
	s_mul_hi_u32 s8, s14, s8
	s_add_i32 s14, s14, s8
	s_mul_hi_u32 s8, s2, s14
	s_mul_i32 s14, s8, s9
	s_sub_i32 s14, s2, s14
	s_add_i32 s24, s8, 1
	s_sub_i32 s25, s14, s9
	s_cmp_ge_u32 s14, s9
	s_cselect_b32 s8, s24, s8
	s_cselect_b32 s14, s25, s14
	s_add_i32 s24, s8, 1
	s_cmp_ge_u32 s14, s9
	s_cselect_b32 s8, s24, s8
	s_mul_i32 s9, s8, s9
	s_sub_i32 s2, s2, s9
	s_lshl_b32 s14, s8, 8
	s_lshl_b32 s2, s2, 6
	v_or_b32_e32 v60, s2, v144
	v_or_b32_e32 v62, s14, v144
	v_mad_i64_i32 v[0:1], s[8:9], s20, v140, 0
	v_ashrrev_i32_e32 v61, 31, v60
	v_mad_i64_i32 v[4:5], s[8:9], s21, v140, 0
	v_ashrrev_i32_e32 v63, 31, v62
	v_lshl_add_u64 v[0:1], v[0:1], 3, s[16:17]
	v_lshlrev_b64 v[2:3], 3, v[60:61]
	v_lshl_add_u64 v[4:5], v[4:5], 3, s[18:19]
	v_lshlrev_b64 v[6:7], 3, v[62:63]
	v_lshl_add_u64 v[0:1], v[0:1], 0, v[2:3]
	v_lshl_add_u64 v[4:5], v[4:5], 0, v[6:7]
	flat_load_dwordx2 v[8:9], v[4:5]
	flat_load_dwordx2 v[10:11], v[4:5] offset:512
	flat_load_dwordx2 v[12:13], v[4:5] offset:1024
	;; [unrolled: 1-line block ×3, first 2 shown]
	flat_load_dwordx2 v[16:17], v[0:1]
	v_mad_i64_i32 v[0:1], s[8:9], s20, v141, 0
	v_lshl_add_u64 v[0:1], v[0:1], 3, s[16:17]
	v_lshl_add_u64 v[0:1], v[0:1], 0, v[2:3]
	v_mad_i64_i32 v[2:3], s[8:9], s21, v141, 0
	v_lshl_add_u64 v[2:3], v[2:3], 3, s[18:19]
	v_lshl_add_u64 v[2:3], v[2:3], 0, v[6:7]
	flat_load_dwordx2 v[64:65], v[2:3]
	flat_load_dwordx2 v[66:67], v[2:3] offset:512
	flat_load_dwordx2 v[68:69], v[2:3] offset:1024
	;; [unrolled: 1-line block ×3, first 2 shown]
	flat_load_dwordx2 v[72:73], v[0:1]
	v_lshlrev_b32_e32 v0, 3, v140
	v_lshl_add_u32 v142, v144, 5, v0
	s_mov_b32 s24, 0
	s_mov_b64 s[8:9], -1
	v_mov_b32_e32 v76, 0x7f800000
	v_mov_b32_e32 v77, 0x7f800000
	;; [unrolled: 1-line block ×39, first 2 shown]
	v_or_b32_e32 v143, 0x4000, v142
	v_mov_b32_e32 v115, 0x7f800000
	v_mov_b32_e32 v116, 0x7f800000
	;; [unrolled: 1-line block ×23, first 2 shown]
	s_waitcnt vmcnt(0) lgkmcnt(0)
	ds_write2st64_b64 v142, v[8:9], v[10:11] offset1:4
	ds_write2st64_b64 v142, v[12:13], v[14:15] offset0:8 offset1:12
	ds_write_b64 v142, v[16:17] offset:16384
	s_waitcnt lgkmcnt(0)
	s_barrier
.LBB169_9:                              ; =>This Inner Loop Header: Depth=1
	v_cndmask_b32_e64 v0, 0, 1, s[8:9]
	s_lshl_b32 s8, s24, 3
	v_cmp_ne_u32_e32 vcc, 1, v0
	v_lshl_add_u32 v0, v133, 5, s8
	v_lshl_add_u32 v20, v134, 5, s8
	ds_read_b128 v[32:35], v0 offset:16384
	ds_read_b128 v[28:31], v0 offset:16640
	;; [unrolled: 1-line block ×8, first 2 shown]
	ds_read_b128 v[146:149], v20
	ds_read_b128 v[56:59], v20 offset:1024
	ds_read_b128 v[52:55], v20 offset:2048
	;; [unrolled: 1-line block ×7, first 2 shown]
	s_waitcnt lgkmcnt(7)
	v_add_f64 v[150:151], v[34:35], v[148:149]
	v_add_f64 v[152:153], v[32:33], v[146:147]
	v_cvt_f32_f64_e32 v145, v[152:153]
	v_cvt_f32_f64_e32 v150, v[150:151]
	v_min3_f32 v139, v145, v150, v139
	v_add_f64 v[150:151], v[30:31], v[148:149]
	v_add_f64 v[152:153], v[28:29], v[146:147]
	v_cvt_f32_f64_e32 v145, v[152:153]
	v_cvt_f32_f64_e32 v150, v[150:151]
	v_min3_f32 v138, v145, v150, v138
	;; [unrolled: 5-line block ×6, first 2 shown]
	v_add_f64 v[150:151], v[6:7], v[148:149]
	v_add_f64 v[152:153], v[4:5], v[146:147]
	v_cvt_f32_f64_e32 v145, v[152:153]
	v_cvt_f32_f64_e32 v150, v[150:151]
	v_add_f64 v[148:149], v[2:3], v[148:149]
	v_add_f64 v[146:147], v[0:1], v[146:147]
	v_min3_f32 v131, v145, v150, v131
	v_cvt_f32_f64_e32 v145, v[146:147]
	v_cvt_f32_f64_e32 v146, v[148:149]
	v_min3_f32 v130, v145, v146, v130
	s_waitcnt lgkmcnt(6)
	v_add_f64 v[146:147], v[34:35], v[58:59]
	v_add_f64 v[148:149], v[32:33], v[56:57]
	v_cvt_f32_f64_e32 v145, v[148:149]
	v_cvt_f32_f64_e32 v146, v[146:147]
	v_min3_f32 v129, v145, v146, v129
	v_add_f64 v[146:147], v[30:31], v[58:59]
	v_add_f64 v[148:149], v[28:29], v[56:57]
	v_cvt_f32_f64_e32 v145, v[148:149]
	v_cvt_f32_f64_e32 v146, v[146:147]
	v_min3_f32 v128, v145, v146, v128
	v_add_f64 v[146:147], v[26:27], v[58:59]
	v_add_f64 v[148:149], v[24:25], v[56:57]
	v_cvt_f32_f64_e32 v145, v[148:149]
	v_cvt_f32_f64_e32 v146, v[146:147]
	v_min3_f32 v127, v145, v146, v127
	v_add_f64 v[146:147], v[18:19], v[58:59]
	v_add_f64 v[148:149], v[16:17], v[56:57]
	v_cvt_f32_f64_e32 v145, v[148:149]
	v_cvt_f32_f64_e32 v146, v[146:147]
	v_min3_f32 v126, v145, v146, v126
	v_add_f64 v[146:147], v[14:15], v[58:59]
	v_add_f64 v[148:149], v[12:13], v[56:57]
	v_cvt_f32_f64_e32 v145, v[148:149]
	v_cvt_f32_f64_e32 v146, v[146:147]
	v_min3_f32 v125, v145, v146, v125
	v_add_f64 v[146:147], v[10:11], v[58:59]
	v_add_f64 v[148:149], v[8:9], v[56:57]
	v_cvt_f32_f64_e32 v145, v[148:149]
	v_cvt_f32_f64_e32 v146, v[146:147]
	v_min3_f32 v124, v145, v146, v124
	v_add_f64 v[146:147], v[6:7], v[58:59]
	v_add_f64 v[148:149], v[4:5], v[56:57]
	v_add_f64 v[58:59], v[2:3], v[58:59]
	v_add_f64 v[56:57], v[0:1], v[56:57]
	v_cvt_f32_f64_e32 v56, v[56:57]
	v_cvt_f32_f64_e32 v57, v[58:59]
	v_min3_f32 v122, v56, v57, v122
	s_waitcnt lgkmcnt(5)
	v_add_f64 v[56:57], v[34:35], v[54:55]
	v_add_f64 v[58:59], v[32:33], v[52:53]
	v_cvt_f32_f64_e32 v58, v[58:59]
	v_cvt_f32_f64_e32 v56, v[56:57]
	v_min3_f32 v121, v58, v56, v121
	v_add_f64 v[56:57], v[30:31], v[54:55]
	v_add_f64 v[58:59], v[28:29], v[52:53]
	v_cvt_f32_f64_e32 v58, v[58:59]
	v_cvt_f32_f64_e32 v56, v[56:57]
	v_min3_f32 v120, v58, v56, v120
	v_add_f64 v[56:57], v[26:27], v[54:55]
	v_add_f64 v[58:59], v[24:25], v[52:53]
	v_cvt_f32_f64_e32 v58, v[58:59]
	v_cvt_f32_f64_e32 v56, v[56:57]
	v_min3_f32 v119, v58, v56, v119
	v_add_f64 v[56:57], v[18:19], v[54:55]
	v_add_f64 v[58:59], v[16:17], v[52:53]
	v_cvt_f32_f64_e32 v58, v[58:59]
	v_cvt_f32_f64_e32 v56, v[56:57]
	v_min3_f32 v118, v58, v56, v118
	v_add_f64 v[56:57], v[14:15], v[54:55]
	v_add_f64 v[58:59], v[12:13], v[52:53]
	v_cvt_f32_f64_e32 v58, v[58:59]
	v_cvt_f32_f64_e32 v56, v[56:57]
	v_min3_f32 v117, v58, v56, v117
	v_add_f64 v[56:57], v[10:11], v[54:55]
	v_add_f64 v[58:59], v[8:9], v[52:53]
	v_cvt_f32_f64_e32 v58, v[58:59]
	v_cvt_f32_f64_e32 v56, v[56:57]
	v_min3_f32 v116, v58, v56, v116
	v_add_f64 v[56:57], v[6:7], v[54:55]
	v_add_f64 v[58:59], v[4:5], v[52:53]
	v_add_f64 v[54:55], v[2:3], v[54:55]
	v_add_f64 v[52:53], v[0:1], v[52:53]
	;; [unrolled: 38-line block ×6, first 2 shown]
	s_waitcnt lgkmcnt(0)
	v_add_f64 v[34:35], v[34:35], v[22:23]
	v_add_f64 v[32:33], v[32:33], v[20:21]
	;; [unrolled: 1-line block ×16, first 2 shown]
	v_cvt_f32_f64_e32 v145, v[148:149]
	v_cvt_f32_f64_e32 v146, v[146:147]
	;; [unrolled: 1-line block ×30, first 2 shown]
	v_min3_f32 v123, v145, v146, v123
	v_min3_f32 v115, v58, v56, v115
	;; [unrolled: 1-line block ×15, first 2 shown]
	s_mov_b32 s24, 2
	s_mov_b64 s[8:9], 0
	s_cbranch_vccz .LBB169_9
; %bb.10:
	s_load_dword s24, s[0:1], 0x8
	v_lshlrev_b32_e32 v0, 5, v144
	v_lshl_add_u32 v0, v140, 3, v0
	ds_write_b64 v0, v[72:73] offset:18432
	ds_write2st64_b64 v0, v[64:65], v[66:67] offset0:16 offset1:20
	ds_write2st64_b64 v0, v[68:69], v[70:71] offset0:24 offset1:28
	s_waitcnt lgkmcnt(0)
	s_cmp_lt_i32 s24, 9
	s_barrier
	s_cbranch_scc1 .LBB169_17
; %bb.11:
	v_add_u32_e32 v144, 0x4800, v0
	v_or_b32_e32 v145, 0x2000, v0
	s_add_i32 s24, s24, -8
	v_lshl_add_u64 v[60:61], v[60:61], 3, s[16:17]
	v_lshl_add_u64 v[62:63], v[62:63], 3, s[18:19]
	s_mov_b32 s16, 8
	s_mov_b32 s17, 0
.LBB169_12:                             ; =>This Loop Header: Depth=1
                                        ;     Child Loop BB169_13 Depth 2
                                        ;     Child Loop BB169_15 Depth 2
	v_add_u32_e32 v4, s16, v140
	v_mad_u64_u32 v[0:1], s[8:9], v4, s20, 0
	v_mov_b32_e32 v2, v1
	v_mad_u64_u32 v[2:3], s[8:9], v4, s22, v[2:3]
	v_mov_b32_e32 v1, v2
	v_lshl_add_u64 v[0:1], v[0:1], 3, v[60:61]
	flat_load_dwordx2 v[64:65], v[0:1]
	v_mad_u64_u32 v[0:1], s[8:9], v4, s21, 0
	v_mov_b32_e32 v2, v1
	v_mad_u64_u32 v[2:3], s[8:9], v4, s23, v[2:3]
	v_mov_b32_e32 v1, v2
	v_lshl_add_u64 v[0:1], v[0:1], 3, v[62:63]
	flat_load_dwordx2 v[66:67], v[0:1]
	flat_load_dwordx2 v[68:69], v[0:1] offset:512
	flat_load_dwordx2 v[70:71], v[0:1] offset:1024
	;; [unrolled: 1-line block ×3, first 2 shown]
	s_mov_b64 s[8:9], -1
	s_mov_b32 s18, 0
.LBB169_13:                             ;   Parent Loop BB169_12 Depth=1
                                        ; =>  This Inner Loop Header: Depth=2
	v_cndmask_b32_e64 v0, 0, 1, s[8:9]
	s_lshl_b32 s8, s18, 3
	v_cmp_ne_u32_e32 vcc, 1, v0
	v_lshl_add_u32 v0, v133, 5, s8
	v_lshl_add_u32 v20, v134, 5, s8
	ds_read_b128 v[32:35], v0 offset:18432
	ds_read_b128 v[28:31], v0 offset:18688
	;; [unrolled: 1-line block ×16, first 2 shown]
	s_waitcnt lgkmcnt(0)
	v_add_f64 v[150:151], v[34:35], v[148:149]
	v_add_f64 v[152:153], v[32:33], v[146:147]
	v_cvt_f32_f64_e32 v152, v[152:153]
	v_cvt_f32_f64_e32 v150, v[150:151]
	v_min3_f32 v139, v152, v150, v139
	v_add_f64 v[150:151], v[30:31], v[148:149]
	v_add_f64 v[152:153], v[28:29], v[146:147]
	v_cvt_f32_f64_e32 v152, v[152:153]
	v_cvt_f32_f64_e32 v150, v[150:151]
	v_min3_f32 v138, v152, v150, v138
	v_add_f64 v[150:151], v[26:27], v[148:149]
	v_add_f64 v[152:153], v[24:25], v[146:147]
	v_cvt_f32_f64_e32 v152, v[152:153]
	v_cvt_f32_f64_e32 v150, v[150:151]
	v_min3_f32 v137, v152, v150, v137
	v_add_f64 v[150:151], v[18:19], v[148:149]
	v_add_f64 v[152:153], v[16:17], v[146:147]
	v_cvt_f32_f64_e32 v152, v[152:153]
	v_cvt_f32_f64_e32 v150, v[150:151]
	v_min3_f32 v136, v152, v150, v136
	v_add_f64 v[150:151], v[14:15], v[148:149]
	v_add_f64 v[152:153], v[12:13], v[146:147]
	v_cvt_f32_f64_e32 v152, v[152:153]
	v_cvt_f32_f64_e32 v150, v[150:151]
	v_min3_f32 v135, v152, v150, v135
	v_add_f64 v[150:151], v[10:11], v[148:149]
	v_add_f64 v[152:153], v[8:9], v[146:147]
	v_cvt_f32_f64_e32 v152, v[152:153]
	v_cvt_f32_f64_e32 v150, v[150:151]
	v_min3_f32 v132, v152, v150, v132
	v_add_f64 v[150:151], v[6:7], v[148:149]
	v_add_f64 v[152:153], v[4:5], v[146:147]
	v_add_f64 v[148:149], v[2:3], v[148:149]
	v_add_f64 v[146:147], v[0:1], v[146:147]
	v_cvt_f32_f64_e32 v146, v[146:147]
	v_cvt_f32_f64_e32 v147, v[148:149]
	v_min3_f32 v130, v146, v147, v130
	v_add_f64 v[146:147], v[34:35], v[58:59]
	v_add_f64 v[148:149], v[32:33], v[56:57]
	v_cvt_f32_f64_e32 v148, v[148:149]
	v_cvt_f32_f64_e32 v146, v[146:147]
	v_min3_f32 v129, v148, v146, v129
	v_add_f64 v[146:147], v[30:31], v[58:59]
	v_add_f64 v[148:149], v[28:29], v[56:57]
	v_cvt_f32_f64_e32 v148, v[148:149]
	v_cvt_f32_f64_e32 v146, v[146:147]
	v_min3_f32 v128, v148, v146, v128
	v_add_f64 v[146:147], v[26:27], v[58:59]
	v_add_f64 v[148:149], v[24:25], v[56:57]
	v_cvt_f32_f64_e32 v148, v[148:149]
	v_cvt_f32_f64_e32 v146, v[146:147]
	v_min3_f32 v127, v148, v146, v127
	v_add_f64 v[146:147], v[18:19], v[58:59]
	v_add_f64 v[148:149], v[16:17], v[56:57]
	v_cvt_f32_f64_e32 v148, v[148:149]
	v_cvt_f32_f64_e32 v146, v[146:147]
	v_min3_f32 v126, v148, v146, v126
	v_add_f64 v[146:147], v[14:15], v[58:59]
	v_add_f64 v[148:149], v[12:13], v[56:57]
	v_cvt_f32_f64_e32 v148, v[148:149]
	v_cvt_f32_f64_e32 v146, v[146:147]
	v_min3_f32 v125, v148, v146, v125
	v_add_f64 v[146:147], v[10:11], v[58:59]
	v_add_f64 v[148:149], v[8:9], v[56:57]
	v_cvt_f32_f64_e32 v148, v[148:149]
	v_cvt_f32_f64_e32 v146, v[146:147]
	v_min3_f32 v124, v148, v146, v124
	v_add_f64 v[146:147], v[6:7], v[58:59]
	v_add_f64 v[148:149], v[4:5], v[56:57]
	v_add_f64 v[58:59], v[2:3], v[58:59]
	v_add_f64 v[56:57], v[0:1], v[56:57]
	v_cvt_f32_f64_e32 v56, v[56:57]
	v_cvt_f32_f64_e32 v57, v[58:59]
	v_min3_f32 v122, v56, v57, v122
	;; [unrolled: 37-line block ×6, first 2 shown]
	v_add_f64 v[40:41], v[34:35], v[38:39]
	v_add_f64 v[42:43], v[32:33], v[36:37]
	v_cvt_f32_f64_e32 v42, v[42:43]
	v_cvt_f32_f64_e32 v40, v[40:41]
	v_min3_f32 v89, v42, v40, v89
	v_add_f64 v[40:41], v[30:31], v[38:39]
	v_add_f64 v[42:43], v[28:29], v[36:37]
	v_cvt_f32_f64_e32 v42, v[42:43]
	v_cvt_f32_f64_e32 v40, v[40:41]
	v_min3_f32 v88, v42, v40, v88
	;; [unrolled: 5-line block ×6, first 2 shown]
	v_add_f64 v[40:41], v[6:7], v[38:39]
	v_add_f64 v[42:43], v[4:5], v[36:37]
	;; [unrolled: 1-line block ×20, first 2 shown]
	v_cvt_f32_f64_e32 v152, v[152:153]
	v_cvt_f32_f64_e32 v150, v[150:151]
	;; [unrolled: 1-line block ×32, first 2 shown]
	v_min3_f32 v131, v152, v150, v131
	v_min3_f32 v123, v148, v146, v123
	;; [unrolled: 1-line block ×16, first 2 shown]
	s_mov_b32 s18, 2
	s_mov_b64 s[8:9], 0
	s_cbranch_vccz .LBB169_13
; %bb.14:                               ;   in Loop: Header=BB169_12 Depth=1
	v_add_u32_e32 v4, s16, v141
	v_mad_u64_u32 v[0:1], s[8:9], v4, s20, 0
	v_mov_b32_e32 v2, v1
	v_mad_u64_u32 v[2:3], s[8:9], v4, s22, v[2:3]
	v_mov_b32_e32 v1, v2
	v_lshl_add_u64 v[0:1], v[0:1], 3, v[60:61]
	s_waitcnt vmcnt(0)
	ds_write_b64 v143, v[64:65]
	ds_write2st64_b64 v142, v[66:67], v[68:69] offset1:4
	ds_write2st64_b64 v142, v[70:71], v[72:73] offset0:8 offset1:12
	s_waitcnt lgkmcnt(0)
	s_barrier
	flat_load_dwordx2 v[64:65], v[0:1]
	v_mad_u64_u32 v[0:1], s[8:9], v4, s21, 0
	v_mov_b32_e32 v2, v1
	v_mad_u64_u32 v[2:3], s[8:9], v4, s23, v[2:3]
	v_mov_b32_e32 v1, v2
	v_lshl_add_u64 v[0:1], v[0:1], 3, v[62:63]
	flat_load_dwordx2 v[66:67], v[0:1]
	flat_load_dwordx2 v[68:69], v[0:1] offset:512
	flat_load_dwordx2 v[70:71], v[0:1] offset:1024
	;; [unrolled: 1-line block ×3, first 2 shown]
	s_mov_b32 s18, 0
	s_mov_b64 s[8:9], -1
.LBB169_15:                             ;   Parent Loop BB169_12 Depth=1
                                        ; =>  This Inner Loop Header: Depth=2
	v_cndmask_b32_e64 v0, 0, 1, s[8:9]
	s_lshl_b32 s8, s18, 3
	v_cmp_ne_u32_e32 vcc, 1, v0
	v_lshl_add_u32 v0, v133, 5, s8
	v_lshl_add_u32 v20, v134, 5, s8
	ds_read_b128 v[32:35], v0 offset:16384
	ds_read_b128 v[28:31], v0 offset:16640
	;; [unrolled: 1-line block ×8, first 2 shown]
	ds_read_b128 v[146:149], v20
	ds_read_b128 v[56:59], v20 offset:1024
	ds_read_b128 v[52:55], v20 offset:2048
	;; [unrolled: 1-line block ×7, first 2 shown]
	s_waitcnt lgkmcnt(0)
	v_add_f64 v[150:151], v[34:35], v[148:149]
	v_add_f64 v[152:153], v[32:33], v[146:147]
	v_cvt_f32_f64_e32 v152, v[152:153]
	v_cvt_f32_f64_e32 v150, v[150:151]
	v_min3_f32 v139, v152, v150, v139
	v_add_f64 v[150:151], v[30:31], v[148:149]
	v_add_f64 v[152:153], v[28:29], v[146:147]
	v_cvt_f32_f64_e32 v152, v[152:153]
	v_cvt_f32_f64_e32 v150, v[150:151]
	v_min3_f32 v138, v152, v150, v138
	v_add_f64 v[150:151], v[26:27], v[148:149]
	v_add_f64 v[152:153], v[24:25], v[146:147]
	v_cvt_f32_f64_e32 v152, v[152:153]
	v_cvt_f32_f64_e32 v150, v[150:151]
	v_min3_f32 v137, v152, v150, v137
	v_add_f64 v[150:151], v[18:19], v[148:149]
	v_add_f64 v[152:153], v[16:17], v[146:147]
	v_cvt_f32_f64_e32 v152, v[152:153]
	v_cvt_f32_f64_e32 v150, v[150:151]
	v_min3_f32 v136, v152, v150, v136
	v_add_f64 v[150:151], v[14:15], v[148:149]
	v_add_f64 v[152:153], v[12:13], v[146:147]
	v_cvt_f32_f64_e32 v152, v[152:153]
	v_cvt_f32_f64_e32 v150, v[150:151]
	v_min3_f32 v135, v152, v150, v135
	v_add_f64 v[150:151], v[10:11], v[148:149]
	v_add_f64 v[152:153], v[8:9], v[146:147]
	v_cvt_f32_f64_e32 v152, v[152:153]
	v_cvt_f32_f64_e32 v150, v[150:151]
	v_min3_f32 v132, v152, v150, v132
	v_add_f64 v[150:151], v[6:7], v[148:149]
	v_add_f64 v[152:153], v[4:5], v[146:147]
	v_add_f64 v[148:149], v[2:3], v[148:149]
	v_add_f64 v[146:147], v[0:1], v[146:147]
	v_cvt_f32_f64_e32 v146, v[146:147]
	v_cvt_f32_f64_e32 v147, v[148:149]
	v_min3_f32 v130, v146, v147, v130
	v_add_f64 v[146:147], v[34:35], v[58:59]
	v_add_f64 v[148:149], v[32:33], v[56:57]
	v_cvt_f32_f64_e32 v148, v[148:149]
	v_cvt_f32_f64_e32 v146, v[146:147]
	v_min3_f32 v129, v148, v146, v129
	v_add_f64 v[146:147], v[30:31], v[58:59]
	v_add_f64 v[148:149], v[28:29], v[56:57]
	v_cvt_f32_f64_e32 v148, v[148:149]
	v_cvt_f32_f64_e32 v146, v[146:147]
	v_min3_f32 v128, v148, v146, v128
	v_add_f64 v[146:147], v[26:27], v[58:59]
	v_add_f64 v[148:149], v[24:25], v[56:57]
	v_cvt_f32_f64_e32 v148, v[148:149]
	v_cvt_f32_f64_e32 v146, v[146:147]
	v_min3_f32 v127, v148, v146, v127
	v_add_f64 v[146:147], v[18:19], v[58:59]
	v_add_f64 v[148:149], v[16:17], v[56:57]
	v_cvt_f32_f64_e32 v148, v[148:149]
	v_cvt_f32_f64_e32 v146, v[146:147]
	v_min3_f32 v126, v148, v146, v126
	v_add_f64 v[146:147], v[14:15], v[58:59]
	v_add_f64 v[148:149], v[12:13], v[56:57]
	v_cvt_f32_f64_e32 v148, v[148:149]
	v_cvt_f32_f64_e32 v146, v[146:147]
	v_min3_f32 v125, v148, v146, v125
	v_add_f64 v[146:147], v[10:11], v[58:59]
	v_add_f64 v[148:149], v[8:9], v[56:57]
	v_cvt_f32_f64_e32 v148, v[148:149]
	v_cvt_f32_f64_e32 v146, v[146:147]
	v_min3_f32 v124, v148, v146, v124
	v_add_f64 v[146:147], v[6:7], v[58:59]
	v_add_f64 v[148:149], v[4:5], v[56:57]
	v_add_f64 v[58:59], v[2:3], v[58:59]
	v_add_f64 v[56:57], v[0:1], v[56:57]
	v_cvt_f32_f64_e32 v56, v[56:57]
	v_cvt_f32_f64_e32 v57, v[58:59]
	v_min3_f32 v122, v56, v57, v122
	;; [unrolled: 37-line block ×6, first 2 shown]
	v_add_f64 v[40:41], v[34:35], v[38:39]
	v_add_f64 v[42:43], v[32:33], v[36:37]
	v_cvt_f32_f64_e32 v42, v[42:43]
	v_cvt_f32_f64_e32 v40, v[40:41]
	v_min3_f32 v89, v42, v40, v89
	v_add_f64 v[40:41], v[30:31], v[38:39]
	v_add_f64 v[42:43], v[28:29], v[36:37]
	v_cvt_f32_f64_e32 v42, v[42:43]
	v_cvt_f32_f64_e32 v40, v[40:41]
	v_min3_f32 v88, v42, v40, v88
	;; [unrolled: 5-line block ×6, first 2 shown]
	v_add_f64 v[40:41], v[6:7], v[38:39]
	v_add_f64 v[42:43], v[4:5], v[36:37]
	;; [unrolled: 1-line block ×20, first 2 shown]
	v_cvt_f32_f64_e32 v152, v[152:153]
	v_cvt_f32_f64_e32 v150, v[150:151]
	;; [unrolled: 1-line block ×32, first 2 shown]
	v_min3_f32 v131, v152, v150, v131
	v_min3_f32 v123, v148, v146, v123
	;; [unrolled: 1-line block ×16, first 2 shown]
	s_mov_b32 s18, 2
	s_mov_b64 s[8:9], 0
	s_cbranch_vccz .LBB169_15
; %bb.16:                               ;   in Loop: Header=BB169_12 Depth=1
	s_add_i32 s16, s16, 8
	s_add_i32 s17, s17, 8
	s_cmp_ge_i32 s17, s24
	s_waitcnt vmcnt(0)
	ds_write_b64 v144, v[64:65]
	ds_write2st64_b64 v145, v[66:67], v[68:69] offset1:4
	ds_write2st64_b64 v145, v[70:71], v[72:73] offset0:8 offset1:12
	s_waitcnt lgkmcnt(0)
	s_barrier
	s_cbranch_scc0 .LBB169_12
.LBB169_17:
	s_mov_b32 s16, 0
	s_mov_b64 s[8:9], -1
.LBB169_18:                             ; =>This Inner Loop Header: Depth=1
	v_cndmask_b32_e64 v0, 0, 1, s[8:9]
	s_lshl_b32 s8, s16, 3
	v_cmp_ne_u32_e32 vcc, 1, v0
	v_lshl_add_u32 v0, v133, 5, s8
	v_lshl_add_u32 v20, v134, 5, s8
	ds_read_b128 v[32:35], v0 offset:18432
	ds_read_b128 v[28:31], v0 offset:18688
	;; [unrolled: 1-line block ×16, first 2 shown]
	s_waitcnt lgkmcnt(7)
	v_add_f64 v[64:65], v[34:35], v[62:63]
	v_add_f64 v[66:67], v[32:33], v[60:61]
	v_cvt_f32_f64_e32 v66, v[66:67]
	v_cvt_f32_f64_e32 v64, v[64:65]
	v_min3_f32 v139, v66, v64, v139
	v_add_f64 v[64:65], v[30:31], v[62:63]
	v_add_f64 v[66:67], v[28:29], v[60:61]
	v_cvt_f32_f64_e32 v66, v[66:67]
	v_cvt_f32_f64_e32 v64, v[64:65]
	v_min3_f32 v138, v66, v64, v138
	v_add_f64 v[64:65], v[26:27], v[62:63]
	v_add_f64 v[66:67], v[24:25], v[60:61]
	v_cvt_f32_f64_e32 v66, v[66:67]
	v_cvt_f32_f64_e32 v64, v[64:65]
	v_min3_f32 v137, v66, v64, v137
	v_add_f64 v[64:65], v[18:19], v[62:63]
	v_add_f64 v[66:67], v[16:17], v[60:61]
	v_cvt_f32_f64_e32 v66, v[66:67]
	v_cvt_f32_f64_e32 v64, v[64:65]
	v_min3_f32 v136, v66, v64, v136
	v_add_f64 v[64:65], v[14:15], v[62:63]
	v_add_f64 v[66:67], v[12:13], v[60:61]
	v_cvt_f32_f64_e32 v66, v[66:67]
	v_cvt_f32_f64_e32 v64, v[64:65]
	v_min3_f32 v135, v66, v64, v135
	v_add_f64 v[64:65], v[10:11], v[62:63]
	v_add_f64 v[66:67], v[8:9], v[60:61]
	v_cvt_f32_f64_e32 v66, v[66:67]
	v_cvt_f32_f64_e32 v64, v[64:65]
	v_min3_f32 v132, v66, v64, v132
	v_add_f64 v[64:65], v[6:7], v[62:63]
	v_add_f64 v[66:67], v[4:5], v[60:61]
	v_add_f64 v[62:63], v[2:3], v[62:63]
	v_add_f64 v[60:61], v[0:1], v[60:61]
	v_cvt_f32_f64_e32 v60, v[60:61]
	v_cvt_f32_f64_e32 v61, v[62:63]
	v_min3_f32 v130, v60, v61, v130
	s_waitcnt lgkmcnt(6)
	v_add_f64 v[60:61], v[34:35], v[58:59]
	v_add_f64 v[62:63], v[32:33], v[56:57]
	v_cvt_f32_f64_e32 v62, v[62:63]
	v_cvt_f32_f64_e32 v60, v[60:61]
	v_min3_f32 v129, v62, v60, v129
	v_add_f64 v[60:61], v[30:31], v[58:59]
	v_add_f64 v[62:63], v[28:29], v[56:57]
	v_cvt_f32_f64_e32 v62, v[62:63]
	v_cvt_f32_f64_e32 v60, v[60:61]
	v_min3_f32 v128, v62, v60, v128
	v_add_f64 v[60:61], v[26:27], v[58:59]
	v_add_f64 v[62:63], v[24:25], v[56:57]
	v_cvt_f32_f64_e32 v62, v[62:63]
	v_cvt_f32_f64_e32 v60, v[60:61]
	v_min3_f32 v127, v62, v60, v127
	v_add_f64 v[60:61], v[18:19], v[58:59]
	v_add_f64 v[62:63], v[16:17], v[56:57]
	v_cvt_f32_f64_e32 v62, v[62:63]
	v_cvt_f32_f64_e32 v60, v[60:61]
	v_min3_f32 v126, v62, v60, v126
	v_add_f64 v[60:61], v[14:15], v[58:59]
	v_add_f64 v[62:63], v[12:13], v[56:57]
	v_cvt_f32_f64_e32 v62, v[62:63]
	v_cvt_f32_f64_e32 v60, v[60:61]
	v_min3_f32 v125, v62, v60, v125
	v_add_f64 v[60:61], v[10:11], v[58:59]
	v_add_f64 v[62:63], v[8:9], v[56:57]
	v_cvt_f32_f64_e32 v62, v[62:63]
	v_cvt_f32_f64_e32 v60, v[60:61]
	v_min3_f32 v124, v62, v60, v124
	v_add_f64 v[60:61], v[6:7], v[58:59]
	v_add_f64 v[62:63], v[4:5], v[56:57]
	v_add_f64 v[58:59], v[2:3], v[58:59]
	v_add_f64 v[56:57], v[0:1], v[56:57]
	v_cvt_f32_f64_e32 v56, v[56:57]
	v_cvt_f32_f64_e32 v57, v[58:59]
	v_min3_f32 v122, v56, v57, v122
	;; [unrolled: 38-line block ×6, first 2 shown]
	s_waitcnt lgkmcnt(1)
	v_add_f64 v[40:41], v[34:35], v[38:39]
	v_add_f64 v[42:43], v[32:33], v[36:37]
	v_cvt_f32_f64_e32 v42, v[42:43]
	v_cvt_f32_f64_e32 v40, v[40:41]
	v_min3_f32 v89, v42, v40, v89
	v_add_f64 v[40:41], v[30:31], v[38:39]
	v_add_f64 v[42:43], v[28:29], v[36:37]
	v_cvt_f32_f64_e32 v42, v[42:43]
	v_cvt_f32_f64_e32 v40, v[40:41]
	v_min3_f32 v88, v42, v40, v88
	v_add_f64 v[40:41], v[26:27], v[38:39]
	v_add_f64 v[42:43], v[24:25], v[36:37]
	v_cvt_f32_f64_e32 v42, v[42:43]
	v_cvt_f32_f64_e32 v40, v[40:41]
	v_min3_f32 v87, v42, v40, v87
	v_add_f64 v[40:41], v[18:19], v[38:39]
	v_add_f64 v[42:43], v[16:17], v[36:37]
	v_cvt_f32_f64_e32 v42, v[42:43]
	v_cvt_f32_f64_e32 v40, v[40:41]
	v_min3_f32 v86, v42, v40, v86
	v_add_f64 v[40:41], v[14:15], v[38:39]
	v_add_f64 v[42:43], v[12:13], v[36:37]
	v_cvt_f32_f64_e32 v42, v[42:43]
	v_cvt_f32_f64_e32 v40, v[40:41]
	v_min3_f32 v85, v42, v40, v85
	v_add_f64 v[40:41], v[10:11], v[38:39]
	v_add_f64 v[42:43], v[8:9], v[36:37]
	v_cvt_f32_f64_e32 v42, v[42:43]
	v_cvt_f32_f64_e32 v40, v[40:41]
	v_min3_f32 v84, v42, v40, v84
	v_add_f64 v[40:41], v[6:7], v[38:39]
	v_add_f64 v[42:43], v[4:5], v[36:37]
	;; [unrolled: 1-line block ×4, first 2 shown]
	s_waitcnt lgkmcnt(0)
	v_add_f64 v[34:35], v[34:35], v[22:23]
	v_add_f64 v[32:33], v[32:33], v[20:21]
	;; [unrolled: 1-line block ×16, first 2 shown]
	v_cvt_f32_f64_e32 v66, v[66:67]
	v_cvt_f32_f64_e32 v64, v[64:65]
	;; [unrolled: 1-line block ×32, first 2 shown]
	v_min3_f32 v131, v66, v64, v131
	v_min3_f32 v123, v62, v60, v123
	;; [unrolled: 1-line block ×16, first 2 shown]
	s_mov_b32 s16, 2
	s_mov_b64 s[8:9], 0
	s_cbranch_vccz .LBB169_18
; %bb.19:
	s_load_dwordx2 s[8:9], s[0:1], 0x78
	s_load_dword s16, s[0:1], 0x58
	s_load_dword s17, s[0:1], 0x70
	v_add_u32_e32 v8, s2, v133
	v_add_u32_e32 v30, s14, v134
	s_waitcnt lgkmcnt(0)
	s_mul_i32 s0, s3, s9
	s_mul_hi_u32 s1, s3, s8
	s_mul_i32 s9, s15, s8
	s_add_i32 s0, s1, s0
	s_add_i32 s1, s0, s9
	s_mul_i32 s0, s3, s8
	s_lshl_b64 s[0:1], s[0:1], 3
	s_add_u32 s0, s10, s0
	s_addc_u32 s1, s11, s1
	v_add_u32_e32 v0, 8, v8
	v_mad_i64_i32 v[2:3], s[2:3], v30, s17, 0
	v_ashrrev_i32_e32 v9, 31, v8
	v_ashrrev_i32_e32 v1, 31, v0
	v_lshl_add_u64 v[24:25], v[2:3], 3, s[0:1]
	v_mad_i64_i32 v[2:3], s[2:3], v30, s16, 0
	v_max_f32_e32 v4, v139, v139
	s_mov_b64 vcc, s[4:5]
	s_cbranch_vccz .LBB169_22
; %bb.20:
	v_min_f32_e32 v5, 0, v4
	v_cvt_f64_f32_e32 v[6:7], v5
	v_lshl_add_u64 v[10:11], v[8:9], 3, v[24:25]
	global_store_dwordx2 v[10:11], v[6:7], off
	s_mov_b64 s[2:3], 0
	v_lshl_add_u64 v[26:27], v[2:3], 3, s[12:13]
	v_lshlrev_b64 v[12:13], 3, v[8:9]
	s_cbranch_execz .LBB169_23
; %bb.21:
	v_mov_b64_e32 v[4:5], s[2:3]
	s_branch .LBB169_24
.LBB169_22:
                                        ; implicit-def: $sgpr2_sgpr3
	v_lshl_add_u64 v[26:27], v[2:3], 3, s[12:13]
	v_lshlrev_b64 v[12:13], 3, v[8:9]
.LBB169_23:
	v_lshl_add_u64 v[2:3], v[26:27], 0, v[12:13]
	flat_load_dwordx2 v[2:3], v[2:3]
	v_lshl_add_u64 v[6:7], v[24:25], 0, v[12:13]
	s_waitcnt vmcnt(0) lgkmcnt(0)
	v_mul_f64 v[2:3], v[2:3], s[6:7]
	v_cvt_f32_f64_e32 v2, v[2:3]
	v_min_f32_e32 v2, v2, v4
	v_cvt_f64_f32_e32 v[2:3], v2
	global_store_dwordx2 v[6:7], v[2:3], off
	v_lshl_add_u64 v[2:3], v[0:1], 3, v[26:27]
	flat_load_dwordx2 v[2:3], v[2:3]
	s_waitcnt vmcnt(0) lgkmcnt(0)
	v_mul_f64 v[4:5], v[2:3], s[6:7]
.LBB169_24:
	v_cvt_f32_f64_e32 v4, v[4:5]
	v_max_f32_e32 v5, v138, v138
	v_min_f32_e32 v4, v4, v5
	v_add_u32_e32 v10, 16, v8
	v_add_u32_e32 v2, 24, v8
	v_cvt_f64_f32_e32 v[4:5], v4
	v_lshl_add_u64 v[6:7], v[0:1], 3, v[24:25]
	v_ashrrev_i32_e32 v11, 31, v10
	v_ashrrev_i32_e32 v3, 31, v2
	global_store_dwordx2 v[6:7], v[4:5], off
	v_max_f32_e32 v4, v137, v137
	s_mov_b64 vcc, s[4:5]
	s_cbranch_vccz .LBB169_27
; %bb.25:
	v_min_f32_e32 v5, 0, v4
	v_cvt_f64_f32_e32 v[6:7], v5
	v_lshl_add_u64 v[14:15], v[10:11], 3, v[24:25]
	global_store_dwordx2 v[14:15], v[6:7], off
	s_mov_b64 s[2:3], 0
	v_lshlrev_b64 v[16:17], 3, v[10:11]
	s_cbranch_execz .LBB169_28
; %bb.26:
	v_mov_b64_e32 v[6:7], s[2:3]
	s_branch .LBB169_29
.LBB169_27:
                                        ; implicit-def: $sgpr2_sgpr3
	v_lshlrev_b64 v[16:17], 3, v[10:11]
.LBB169_28:
	v_lshl_add_u64 v[6:7], v[26:27], 0, v[16:17]
	flat_load_dwordx2 v[6:7], v[6:7]
	v_lshl_add_u64 v[14:15], v[24:25], 0, v[16:17]
	s_waitcnt vmcnt(0) lgkmcnt(0)
	v_mul_f64 v[6:7], v[6:7], s[6:7]
	v_cvt_f32_f64_e32 v5, v[6:7]
	v_min_f32_e32 v4, v5, v4
	v_cvt_f64_f32_e32 v[4:5], v4
	global_store_dwordx2 v[14:15], v[4:5], off
	v_lshl_add_u64 v[4:5], v[2:3], 3, v[26:27]
	flat_load_dwordx2 v[4:5], v[4:5]
	s_waitcnt vmcnt(0) lgkmcnt(0)
	v_mul_f64 v[6:7], v[4:5], s[6:7]
.LBB169_29:
	v_cvt_f32_f64_e32 v6, v[6:7]
	v_max_f32_e32 v7, v136, v136
	v_min_f32_e32 v6, v6, v7
	v_add_u32_e32 v14, 32, v8
	v_add_u32_e32 v4, 40, v8
	v_cvt_f64_f32_e32 v[6:7], v6
	v_lshl_add_u64 v[18:19], v[2:3], 3, v[24:25]
	v_ashrrev_i32_e32 v15, 31, v14
	v_ashrrev_i32_e32 v5, 31, v4
	global_store_dwordx2 v[18:19], v[6:7], off
	v_max_f32_e32 v6, v135, v135
	s_mov_b64 vcc, s[4:5]
	s_cbranch_vccz .LBB169_32
; %bb.30:
	v_min_f32_e32 v7, 0, v6
	v_cvt_f64_f32_e32 v[18:19], v7
	v_lshl_add_u64 v[20:21], v[14:15], 3, v[24:25]
	global_store_dwordx2 v[20:21], v[18:19], off
	s_mov_b64 s[2:3], 0
	v_lshlrev_b64 v[20:21], 3, v[14:15]
	s_cbranch_execz .LBB169_33
; %bb.31:
	v_mov_b64_e32 v[22:23], s[2:3]
	s_branch .LBB169_34
.LBB169_32:
                                        ; implicit-def: $sgpr2_sgpr3
	v_lshlrev_b64 v[20:21], 3, v[14:15]
.LBB169_33:
	v_lshl_add_u64 v[18:19], v[26:27], 0, v[20:21]
	flat_load_dwordx2 v[18:19], v[18:19]
	v_lshl_add_u64 v[22:23], v[24:25], 0, v[20:21]
	s_waitcnt vmcnt(0) lgkmcnt(0)
	v_mul_f64 v[18:19], v[18:19], s[6:7]
	v_cvt_f32_f64_e32 v7, v[18:19]
	v_min_f32_e32 v6, v7, v6
	v_cvt_f64_f32_e32 v[6:7], v6
	global_store_dwordx2 v[22:23], v[6:7], off
	v_lshl_add_u64 v[6:7], v[4:5], 3, v[26:27]
	flat_load_dwordx2 v[6:7], v[6:7]
	s_waitcnt vmcnt(0) lgkmcnt(0)
	v_mul_f64 v[22:23], v[6:7], s[6:7]
.LBB169_34:
	v_cvt_f32_f64_e32 v22, v[22:23]
	v_max_f32_e32 v23, v132, v132
	v_min_f32_e32 v22, v22, v23
	v_add_u32_e32 v18, 48, v8
	v_add_u32_e32 v6, 56, v8
	v_cvt_f64_f32_e32 v[22:23], v22
	v_lshl_add_u64 v[28:29], v[4:5], 3, v[24:25]
	v_ashrrev_i32_e32 v19, 31, v18
	v_ashrrev_i32_e32 v7, 31, v6
	global_store_dwordx2 v[28:29], v[22:23], off
	v_max_f32_e32 v28, v131, v131
	s_mov_b64 vcc, s[4:5]
	s_cbranch_vccz .LBB169_37
; %bb.35:
	v_min_f32_e32 v22, 0, v28
	v_cvt_f64_f32_e32 v[22:23], v22
	v_lshl_add_u64 v[32:33], v[18:19], 3, v[24:25]
	global_store_dwordx2 v[32:33], v[22:23], off
	s_mov_b64 s[2:3], 0
	v_lshlrev_b64 v[22:23], 3, v[18:19]
	s_cbranch_execz .LBB169_38
; %bb.36:
	v_mov_b64_e32 v[26:27], s[2:3]
	s_branch .LBB169_39
.LBB169_37:
                                        ; implicit-def: $sgpr2_sgpr3
	v_lshlrev_b64 v[22:23], 3, v[18:19]
.LBB169_38:
	v_lshl_add_u64 v[32:33], v[26:27], 0, v[22:23]
	flat_load_dwordx2 v[32:33], v[32:33]
	v_lshl_add_u64 v[34:35], v[24:25], 0, v[22:23]
	v_lshl_add_u64 v[26:27], v[6:7], 3, v[26:27]
	s_waitcnt vmcnt(0) lgkmcnt(0)
	v_mul_f64 v[32:33], v[32:33], s[6:7]
	v_cvt_f32_f64_e32 v29, v[32:33]
	v_min_f32_e32 v28, v29, v28
	v_cvt_f64_f32_e32 v[28:29], v28
	global_store_dwordx2 v[34:35], v[28:29], off
	flat_load_dwordx2 v[26:27], v[26:27]
	s_waitcnt vmcnt(0) lgkmcnt(0)
	v_mul_f64 v[26:27], v[26:27], s[6:7]
.LBB169_39:
	v_cvt_f32_f64_e32 v26, v[26:27]
	v_max_f32_e32 v27, v130, v130
	v_min_f32_e32 v26, v26, v27
	v_cvt_f64_f32_e32 v[26:27], v26
	v_lshl_add_u64 v[24:25], v[6:7], 3, v[24:25]
	global_store_dwordx2 v[24:25], v[26:27], off
	v_add_u32_e32 v26, 32, v30
	v_mad_i64_i32 v[24:25], s[2:3], v26, s17, 0
	v_lshl_add_u64 v[24:25], v[24:25], 3, s[0:1]
	v_mad_i64_i32 v[26:27], s[2:3], v26, s16, 0
	v_max_f32_e32 v28, v129, v129
	s_mov_b64 vcc, s[4:5]
	s_cbranch_vccz .LBB169_42
; %bb.40:
	v_min_f32_e32 v29, 0, v28
	v_cvt_f64_f32_e32 v[32:33], v29
	v_lshl_add_u64 v[34:35], v[8:9], 3, v[24:25]
	global_store_dwordx2 v[34:35], v[32:33], off
	s_mov_b64 s[2:3], 0
	v_lshl_add_u64 v[26:27], v[26:27], 3, s[12:13]
	s_cbranch_execz .LBB169_43
; %bb.41:
	v_mov_b64_e32 v[28:29], s[2:3]
	s_branch .LBB169_44
.LBB169_42:
                                        ; implicit-def: $sgpr2_sgpr3
	v_lshl_add_u64 v[26:27], v[26:27], 3, s[12:13]
.LBB169_43:
	v_lshl_add_u64 v[32:33], v[26:27], 0, v[12:13]
	flat_load_dwordx2 v[32:33], v[32:33]
	v_lshl_add_u64 v[34:35], v[24:25], 0, v[12:13]
	s_waitcnt vmcnt(0) lgkmcnt(0)
	v_mul_f64 v[32:33], v[32:33], s[6:7]
	v_cvt_f32_f64_e32 v29, v[32:33]
	v_min_f32_e32 v28, v29, v28
	v_cvt_f64_f32_e32 v[28:29], v28
	global_store_dwordx2 v[34:35], v[28:29], off
	v_lshl_add_u64 v[28:29], v[0:1], 3, v[26:27]
	flat_load_dwordx2 v[28:29], v[28:29]
	s_waitcnt vmcnt(0) lgkmcnt(0)
	v_mul_f64 v[28:29], v[28:29], s[6:7]
.LBB169_44:
	v_cvt_f32_f64_e32 v28, v[28:29]
	v_max_f32_e32 v29, v128, v128
	v_min_f32_e32 v28, v28, v29
	v_cvt_f64_f32_e32 v[28:29], v28
	v_lshl_add_u64 v[32:33], v[0:1], 3, v[24:25]
	global_store_dwordx2 v[32:33], v[28:29], off
	v_max_f32_e32 v28, v127, v127
	s_mov_b64 vcc, s[4:5]
	s_cbranch_vccz .LBB169_47
; %bb.45:
	v_min_f32_e32 v29, 0, v28
	v_cvt_f64_f32_e32 v[32:33], v29
	v_lshl_add_u64 v[34:35], v[10:11], 3, v[24:25]
	global_store_dwordx2 v[34:35], v[32:33], off
	s_mov_b64 s[2:3], 0
	s_cbranch_execz .LBB169_48
; %bb.46:
	v_mov_b64_e32 v[28:29], s[2:3]
	s_branch .LBB169_49
.LBB169_47:
                                        ; implicit-def: $sgpr2_sgpr3
.LBB169_48:
	v_lshl_add_u64 v[32:33], v[26:27], 0, v[16:17]
	flat_load_dwordx2 v[32:33], v[32:33]
	v_lshl_add_u64 v[34:35], v[24:25], 0, v[16:17]
	s_waitcnt vmcnt(0) lgkmcnt(0)
	v_mul_f64 v[32:33], v[32:33], s[6:7]
	v_cvt_f32_f64_e32 v29, v[32:33]
	v_min_f32_e32 v28, v29, v28
	v_cvt_f64_f32_e32 v[28:29], v28
	global_store_dwordx2 v[34:35], v[28:29], off
	v_lshl_add_u64 v[28:29], v[2:3], 3, v[26:27]
	flat_load_dwordx2 v[28:29], v[28:29]
	s_waitcnt vmcnt(0) lgkmcnt(0)
	v_mul_f64 v[28:29], v[28:29], s[6:7]
.LBB169_49:
	v_cvt_f32_f64_e32 v28, v[28:29]
	v_max_f32_e32 v29, v126, v126
	v_min_f32_e32 v28, v28, v29
	v_cvt_f64_f32_e32 v[28:29], v28
	v_lshl_add_u64 v[32:33], v[2:3], 3, v[24:25]
	global_store_dwordx2 v[32:33], v[28:29], off
	v_max_f32_e32 v28, v125, v125
	s_mov_b64 vcc, s[4:5]
	s_cbranch_vccz .LBB169_52
; %bb.50:
	v_min_f32_e32 v29, 0, v28
	v_cvt_f64_f32_e32 v[32:33], v29
	v_lshl_add_u64 v[34:35], v[14:15], 3, v[24:25]
	global_store_dwordx2 v[34:35], v[32:33], off
	s_mov_b64 s[2:3], 0
	s_cbranch_execz .LBB169_53
; %bb.51:
	v_mov_b64_e32 v[28:29], s[2:3]
	s_branch .LBB169_54
.LBB169_52:
                                        ; implicit-def: $sgpr2_sgpr3
.LBB169_53:
	v_lshl_add_u64 v[32:33], v[26:27], 0, v[20:21]
	flat_load_dwordx2 v[32:33], v[32:33]
	v_lshl_add_u64 v[34:35], v[24:25], 0, v[20:21]
	s_waitcnt vmcnt(0) lgkmcnt(0)
	v_mul_f64 v[32:33], v[32:33], s[6:7]
	v_cvt_f32_f64_e32 v29, v[32:33]
	v_min_f32_e32 v28, v29, v28
	v_cvt_f64_f32_e32 v[28:29], v28
	global_store_dwordx2 v[34:35], v[28:29], off
	v_lshl_add_u64 v[28:29], v[4:5], 3, v[26:27]
	flat_load_dwordx2 v[28:29], v[28:29]
	s_waitcnt vmcnt(0) lgkmcnt(0)
	v_mul_f64 v[28:29], v[28:29], s[6:7]
.LBB169_54:
	v_cvt_f32_f64_e32 v28, v[28:29]
	v_max_f32_e32 v29, v124, v124
	v_min_f32_e32 v28, v28, v29
	v_cvt_f64_f32_e32 v[28:29], v28
	v_lshl_add_u64 v[32:33], v[4:5], 3, v[24:25]
	global_store_dwordx2 v[32:33], v[28:29], off
	v_max_f32_e32 v28, v123, v123
	s_mov_b64 vcc, s[4:5]
	s_cbranch_vccz .LBB169_57
; %bb.55:
	v_min_f32_e32 v29, 0, v28
	v_cvt_f64_f32_e32 v[32:33], v29
	v_lshl_add_u64 v[34:35], v[18:19], 3, v[24:25]
	global_store_dwordx2 v[34:35], v[32:33], off
	s_mov_b64 s[2:3], 0
	s_cbranch_execz .LBB169_58
; %bb.56:
	v_mov_b64_e32 v[26:27], s[2:3]
	s_branch .LBB169_59
.LBB169_57:
                                        ; implicit-def: $sgpr2_sgpr3
.LBB169_58:
	v_lshl_add_u64 v[32:33], v[26:27], 0, v[22:23]
	flat_load_dwordx2 v[32:33], v[32:33]
	v_lshl_add_u64 v[34:35], v[24:25], 0, v[22:23]
	v_lshl_add_u64 v[26:27], v[6:7], 3, v[26:27]
	s_waitcnt vmcnt(0) lgkmcnt(0)
	v_mul_f64 v[32:33], v[32:33], s[6:7]
	v_cvt_f32_f64_e32 v29, v[32:33]
	v_min_f32_e32 v28, v29, v28
	v_cvt_f64_f32_e32 v[28:29], v28
	global_store_dwordx2 v[34:35], v[28:29], off
	flat_load_dwordx2 v[26:27], v[26:27]
	s_waitcnt vmcnt(0) lgkmcnt(0)
	v_mul_f64 v[26:27], v[26:27], s[6:7]
.LBB169_59:
	v_cvt_f32_f64_e32 v26, v[26:27]
	v_max_f32_e32 v27, v122, v122
	v_min_f32_e32 v26, v26, v27
	v_cvt_f64_f32_e32 v[26:27], v26
	v_lshl_add_u64 v[24:25], v[6:7], 3, v[24:25]
	global_store_dwordx2 v[24:25], v[26:27], off
	v_add_u32_e32 v26, 64, v30
	v_mad_i64_i32 v[24:25], s[2:3], v26, s17, 0
	v_lshl_add_u64 v[24:25], v[24:25], 3, s[0:1]
	v_mad_i64_i32 v[26:27], s[2:3], v26, s16, 0
	v_max_f32_e32 v28, v121, v121
	s_mov_b64 vcc, s[4:5]
	s_cbranch_vccz .LBB169_62
; %bb.60:
	v_min_f32_e32 v29, 0, v28
	v_cvt_f64_f32_e32 v[32:33], v29
	v_lshl_add_u64 v[34:35], v[8:9], 3, v[24:25]
	global_store_dwordx2 v[34:35], v[32:33], off
	s_mov_b64 s[2:3], 0
	v_lshl_add_u64 v[26:27], v[26:27], 3, s[12:13]
	s_cbranch_execz .LBB169_63
; %bb.61:
	v_mov_b64_e32 v[28:29], s[2:3]
	s_branch .LBB169_64
.LBB169_62:
                                        ; implicit-def: $sgpr2_sgpr3
	v_lshl_add_u64 v[26:27], v[26:27], 3, s[12:13]
.LBB169_63:
	v_lshl_add_u64 v[32:33], v[26:27], 0, v[12:13]
	flat_load_dwordx2 v[32:33], v[32:33]
	v_lshl_add_u64 v[34:35], v[24:25], 0, v[12:13]
	s_waitcnt vmcnt(0) lgkmcnt(0)
	v_mul_f64 v[32:33], v[32:33], s[6:7]
	v_cvt_f32_f64_e32 v29, v[32:33]
	v_min_f32_e32 v28, v29, v28
	v_cvt_f64_f32_e32 v[28:29], v28
	global_store_dwordx2 v[34:35], v[28:29], off
	v_lshl_add_u64 v[28:29], v[0:1], 3, v[26:27]
	flat_load_dwordx2 v[28:29], v[28:29]
	s_waitcnt vmcnt(0) lgkmcnt(0)
	v_mul_f64 v[28:29], v[28:29], s[6:7]
.LBB169_64:
	v_cvt_f32_f64_e32 v28, v[28:29]
	v_max_f32_e32 v29, v120, v120
	v_min_f32_e32 v28, v28, v29
	v_cvt_f64_f32_e32 v[28:29], v28
	v_lshl_add_u64 v[32:33], v[0:1], 3, v[24:25]
	global_store_dwordx2 v[32:33], v[28:29], off
	v_max_f32_e32 v28, v119, v119
	s_mov_b64 vcc, s[4:5]
	s_cbranch_vccz .LBB169_67
; %bb.65:
	v_min_f32_e32 v29, 0, v28
	v_cvt_f64_f32_e32 v[32:33], v29
	v_lshl_add_u64 v[34:35], v[10:11], 3, v[24:25]
	global_store_dwordx2 v[34:35], v[32:33], off
	s_mov_b64 s[2:3], 0
	s_cbranch_execz .LBB169_68
; %bb.66:
	v_mov_b64_e32 v[28:29], s[2:3]
	s_branch .LBB169_69
.LBB169_67:
                                        ; implicit-def: $sgpr2_sgpr3
.LBB169_68:
	v_lshl_add_u64 v[32:33], v[26:27], 0, v[16:17]
	flat_load_dwordx2 v[32:33], v[32:33]
	v_lshl_add_u64 v[34:35], v[24:25], 0, v[16:17]
	s_waitcnt vmcnt(0) lgkmcnt(0)
	v_mul_f64 v[32:33], v[32:33], s[6:7]
	v_cvt_f32_f64_e32 v29, v[32:33]
	v_min_f32_e32 v28, v29, v28
	v_cvt_f64_f32_e32 v[28:29], v28
	global_store_dwordx2 v[34:35], v[28:29], off
	v_lshl_add_u64 v[28:29], v[2:3], 3, v[26:27]
	flat_load_dwordx2 v[28:29], v[28:29]
	s_waitcnt vmcnt(0) lgkmcnt(0)
	v_mul_f64 v[28:29], v[28:29], s[6:7]
.LBB169_69:
	v_cvt_f32_f64_e32 v28, v[28:29]
	v_max_f32_e32 v29, v118, v118
	v_min_f32_e32 v28, v28, v29
	v_cvt_f64_f32_e32 v[28:29], v28
	v_lshl_add_u64 v[32:33], v[2:3], 3, v[24:25]
	global_store_dwordx2 v[32:33], v[28:29], off
	v_max_f32_e32 v28, v117, v117
	s_mov_b64 vcc, s[4:5]
	s_cbranch_vccz .LBB169_72
; %bb.70:
	v_min_f32_e32 v29, 0, v28
	v_cvt_f64_f32_e32 v[32:33], v29
	v_lshl_add_u64 v[34:35], v[14:15], 3, v[24:25]
	global_store_dwordx2 v[34:35], v[32:33], off
	s_mov_b64 s[2:3], 0
	s_cbranch_execz .LBB169_73
; %bb.71:
	v_mov_b64_e32 v[28:29], s[2:3]
	s_branch .LBB169_74
.LBB169_72:
                                        ; implicit-def: $sgpr2_sgpr3
.LBB169_73:
	v_lshl_add_u64 v[32:33], v[26:27], 0, v[20:21]
	flat_load_dwordx2 v[32:33], v[32:33]
	v_lshl_add_u64 v[34:35], v[24:25], 0, v[20:21]
	s_waitcnt vmcnt(0) lgkmcnt(0)
	v_mul_f64 v[32:33], v[32:33], s[6:7]
	v_cvt_f32_f64_e32 v29, v[32:33]
	v_min_f32_e32 v28, v29, v28
	v_cvt_f64_f32_e32 v[28:29], v28
	global_store_dwordx2 v[34:35], v[28:29], off
	v_lshl_add_u64 v[28:29], v[4:5], 3, v[26:27]
	flat_load_dwordx2 v[28:29], v[28:29]
	s_waitcnt vmcnt(0) lgkmcnt(0)
	v_mul_f64 v[28:29], v[28:29], s[6:7]
.LBB169_74:
	v_cvt_f32_f64_e32 v28, v[28:29]
	v_max_f32_e32 v29, v116, v116
	v_min_f32_e32 v28, v28, v29
	v_cvt_f64_f32_e32 v[28:29], v28
	v_lshl_add_u64 v[32:33], v[4:5], 3, v[24:25]
	global_store_dwordx2 v[32:33], v[28:29], off
	v_max_f32_e32 v28, v115, v115
	s_mov_b64 vcc, s[4:5]
	s_cbranch_vccz .LBB169_77
; %bb.75:
	v_min_f32_e32 v29, 0, v28
	v_cvt_f64_f32_e32 v[32:33], v29
	v_lshl_add_u64 v[34:35], v[18:19], 3, v[24:25]
	global_store_dwordx2 v[34:35], v[32:33], off
	s_mov_b64 s[2:3], 0
	s_cbranch_execz .LBB169_78
; %bb.76:
	v_mov_b64_e32 v[26:27], s[2:3]
	s_branch .LBB169_79
.LBB169_77:
                                        ; implicit-def: $sgpr2_sgpr3
.LBB169_78:
	v_lshl_add_u64 v[32:33], v[26:27], 0, v[22:23]
	flat_load_dwordx2 v[32:33], v[32:33]
	v_lshl_add_u64 v[34:35], v[24:25], 0, v[22:23]
	v_lshl_add_u64 v[26:27], v[6:7], 3, v[26:27]
	s_waitcnt vmcnt(0) lgkmcnt(0)
	v_mul_f64 v[32:33], v[32:33], s[6:7]
	v_cvt_f32_f64_e32 v29, v[32:33]
	v_min_f32_e32 v28, v29, v28
	v_cvt_f64_f32_e32 v[28:29], v28
	global_store_dwordx2 v[34:35], v[28:29], off
	flat_load_dwordx2 v[26:27], v[26:27]
	s_waitcnt vmcnt(0) lgkmcnt(0)
	v_mul_f64 v[26:27], v[26:27], s[6:7]
.LBB169_79:
	v_cvt_f32_f64_e32 v26, v[26:27]
	v_max_f32_e32 v27, v114, v114
	v_min_f32_e32 v26, v26, v27
	v_cvt_f64_f32_e32 v[26:27], v26
	v_lshl_add_u64 v[24:25], v[6:7], 3, v[24:25]
	global_store_dwordx2 v[24:25], v[26:27], off
	v_add_u32_e32 v26, 0x60, v30
	v_mad_i64_i32 v[24:25], s[2:3], v26, s17, 0
	v_lshl_add_u64 v[24:25], v[24:25], 3, s[0:1]
	v_mad_i64_i32 v[26:27], s[2:3], v26, s16, 0
	v_max_f32_e32 v28, v113, v113
	s_mov_b64 vcc, s[4:5]
	s_cbranch_vccz .LBB169_82
; %bb.80:
	v_min_f32_e32 v29, 0, v28
	v_cvt_f64_f32_e32 v[32:33], v29
	v_lshl_add_u64 v[34:35], v[8:9], 3, v[24:25]
	global_store_dwordx2 v[34:35], v[32:33], off
	s_mov_b64 s[2:3], 0
	v_lshl_add_u64 v[26:27], v[26:27], 3, s[12:13]
	s_cbranch_execz .LBB169_83
; %bb.81:
	v_mov_b64_e32 v[28:29], s[2:3]
	s_branch .LBB169_84
.LBB169_82:
                                        ; implicit-def: $sgpr2_sgpr3
	v_lshl_add_u64 v[26:27], v[26:27], 3, s[12:13]
.LBB169_83:
	v_lshl_add_u64 v[32:33], v[26:27], 0, v[12:13]
	flat_load_dwordx2 v[32:33], v[32:33]
	v_lshl_add_u64 v[34:35], v[24:25], 0, v[12:13]
	s_waitcnt vmcnt(0) lgkmcnt(0)
	v_mul_f64 v[32:33], v[32:33], s[6:7]
	v_cvt_f32_f64_e32 v29, v[32:33]
	v_min_f32_e32 v28, v29, v28
	v_cvt_f64_f32_e32 v[28:29], v28
	global_store_dwordx2 v[34:35], v[28:29], off
	v_lshl_add_u64 v[28:29], v[0:1], 3, v[26:27]
	flat_load_dwordx2 v[28:29], v[28:29]
	s_waitcnt vmcnt(0) lgkmcnt(0)
	v_mul_f64 v[28:29], v[28:29], s[6:7]
.LBB169_84:
	v_cvt_f32_f64_e32 v28, v[28:29]
	v_max_f32_e32 v29, v112, v112
	v_min_f32_e32 v28, v28, v29
	v_cvt_f64_f32_e32 v[28:29], v28
	v_lshl_add_u64 v[32:33], v[0:1], 3, v[24:25]
	global_store_dwordx2 v[32:33], v[28:29], off
	v_max_f32_e32 v28, v111, v111
	s_mov_b64 vcc, s[4:5]
	s_cbranch_vccz .LBB169_87
; %bb.85:
	v_min_f32_e32 v29, 0, v28
	v_cvt_f64_f32_e32 v[32:33], v29
	v_lshl_add_u64 v[34:35], v[10:11], 3, v[24:25]
	global_store_dwordx2 v[34:35], v[32:33], off
	s_mov_b64 s[2:3], 0
	s_cbranch_execz .LBB169_88
; %bb.86:
	v_mov_b64_e32 v[28:29], s[2:3]
	s_branch .LBB169_89
.LBB169_87:
                                        ; implicit-def: $sgpr2_sgpr3
.LBB169_88:
	v_lshl_add_u64 v[32:33], v[26:27], 0, v[16:17]
	flat_load_dwordx2 v[32:33], v[32:33]
	v_lshl_add_u64 v[34:35], v[24:25], 0, v[16:17]
	s_waitcnt vmcnt(0) lgkmcnt(0)
	v_mul_f64 v[32:33], v[32:33], s[6:7]
	v_cvt_f32_f64_e32 v29, v[32:33]
	v_min_f32_e32 v28, v29, v28
	v_cvt_f64_f32_e32 v[28:29], v28
	global_store_dwordx2 v[34:35], v[28:29], off
	v_lshl_add_u64 v[28:29], v[2:3], 3, v[26:27]
	flat_load_dwordx2 v[28:29], v[28:29]
	s_waitcnt vmcnt(0) lgkmcnt(0)
	v_mul_f64 v[28:29], v[28:29], s[6:7]
.LBB169_89:
	v_cvt_f32_f64_e32 v28, v[28:29]
	v_max_f32_e32 v29, v110, v110
	v_min_f32_e32 v28, v28, v29
	v_cvt_f64_f32_e32 v[28:29], v28
	v_lshl_add_u64 v[32:33], v[2:3], 3, v[24:25]
	global_store_dwordx2 v[32:33], v[28:29], off
	v_max_f32_e32 v28, v109, v109
	s_mov_b64 vcc, s[4:5]
	s_cbranch_vccz .LBB169_92
; %bb.90:
	v_min_f32_e32 v29, 0, v28
	v_cvt_f64_f32_e32 v[32:33], v29
	v_lshl_add_u64 v[34:35], v[14:15], 3, v[24:25]
	global_store_dwordx2 v[34:35], v[32:33], off
	s_mov_b64 s[2:3], 0
	s_cbranch_execz .LBB169_93
; %bb.91:
	v_mov_b64_e32 v[28:29], s[2:3]
	s_branch .LBB169_94
.LBB169_92:
                                        ; implicit-def: $sgpr2_sgpr3
.LBB169_93:
	v_lshl_add_u64 v[32:33], v[26:27], 0, v[20:21]
	flat_load_dwordx2 v[32:33], v[32:33]
	v_lshl_add_u64 v[34:35], v[24:25], 0, v[20:21]
	s_waitcnt vmcnt(0) lgkmcnt(0)
	v_mul_f64 v[32:33], v[32:33], s[6:7]
	v_cvt_f32_f64_e32 v29, v[32:33]
	v_min_f32_e32 v28, v29, v28
	v_cvt_f64_f32_e32 v[28:29], v28
	global_store_dwordx2 v[34:35], v[28:29], off
	v_lshl_add_u64 v[28:29], v[4:5], 3, v[26:27]
	flat_load_dwordx2 v[28:29], v[28:29]
	s_waitcnt vmcnt(0) lgkmcnt(0)
	v_mul_f64 v[28:29], v[28:29], s[6:7]
.LBB169_94:
	v_cvt_f32_f64_e32 v28, v[28:29]
	v_max_f32_e32 v29, v108, v108
	v_min_f32_e32 v28, v28, v29
	v_cvt_f64_f32_e32 v[28:29], v28
	v_lshl_add_u64 v[32:33], v[4:5], 3, v[24:25]
	global_store_dwordx2 v[32:33], v[28:29], off
	v_max_f32_e32 v28, v107, v107
	s_mov_b64 vcc, s[4:5]
	s_cbranch_vccz .LBB169_97
; %bb.95:
	v_min_f32_e32 v29, 0, v28
	v_cvt_f64_f32_e32 v[32:33], v29
	v_lshl_add_u64 v[34:35], v[18:19], 3, v[24:25]
	global_store_dwordx2 v[34:35], v[32:33], off
	s_mov_b64 s[2:3], 0
	s_cbranch_execz .LBB169_98
; %bb.96:
	v_mov_b64_e32 v[26:27], s[2:3]
	s_branch .LBB169_99
.LBB169_97:
                                        ; implicit-def: $sgpr2_sgpr3
.LBB169_98:
	v_lshl_add_u64 v[32:33], v[26:27], 0, v[22:23]
	flat_load_dwordx2 v[32:33], v[32:33]
	v_lshl_add_u64 v[34:35], v[24:25], 0, v[22:23]
	v_lshl_add_u64 v[26:27], v[6:7], 3, v[26:27]
	s_waitcnt vmcnt(0) lgkmcnt(0)
	v_mul_f64 v[32:33], v[32:33], s[6:7]
	v_cvt_f32_f64_e32 v29, v[32:33]
	v_min_f32_e32 v28, v29, v28
	v_cvt_f64_f32_e32 v[28:29], v28
	global_store_dwordx2 v[34:35], v[28:29], off
	flat_load_dwordx2 v[26:27], v[26:27]
	s_waitcnt vmcnt(0) lgkmcnt(0)
	v_mul_f64 v[26:27], v[26:27], s[6:7]
.LBB169_99:
	v_cvt_f32_f64_e32 v26, v[26:27]
	v_max_f32_e32 v27, v106, v106
	v_min_f32_e32 v26, v26, v27
	v_cvt_f64_f32_e32 v[26:27], v26
	v_lshl_add_u64 v[24:25], v[6:7], 3, v[24:25]
	global_store_dwordx2 v[24:25], v[26:27], off
	v_add_u32_e32 v26, 0x80, v30
	v_mad_i64_i32 v[24:25], s[2:3], v26, s17, 0
	v_lshl_add_u64 v[24:25], v[24:25], 3, s[0:1]
	v_mad_i64_i32 v[26:27], s[2:3], v26, s16, 0
	v_max_f32_e32 v28, v105, v105
	s_mov_b64 vcc, s[4:5]
	s_cbranch_vccz .LBB169_102
; %bb.100:
	v_min_f32_e32 v29, 0, v28
	v_cvt_f64_f32_e32 v[32:33], v29
	v_lshl_add_u64 v[34:35], v[8:9], 3, v[24:25]
	global_store_dwordx2 v[34:35], v[32:33], off
	s_mov_b64 s[2:3], 0
	v_lshl_add_u64 v[26:27], v[26:27], 3, s[12:13]
	s_cbranch_execz .LBB169_103
; %bb.101:
	v_mov_b64_e32 v[28:29], s[2:3]
	s_branch .LBB169_104
.LBB169_102:
                                        ; implicit-def: $sgpr2_sgpr3
	v_lshl_add_u64 v[26:27], v[26:27], 3, s[12:13]
.LBB169_103:
	v_lshl_add_u64 v[32:33], v[26:27], 0, v[12:13]
	flat_load_dwordx2 v[32:33], v[32:33]
	v_lshl_add_u64 v[34:35], v[24:25], 0, v[12:13]
	s_waitcnt vmcnt(0) lgkmcnt(0)
	v_mul_f64 v[32:33], v[32:33], s[6:7]
	v_cvt_f32_f64_e32 v29, v[32:33]
	v_min_f32_e32 v28, v29, v28
	v_cvt_f64_f32_e32 v[28:29], v28
	global_store_dwordx2 v[34:35], v[28:29], off
	v_lshl_add_u64 v[28:29], v[0:1], 3, v[26:27]
	flat_load_dwordx2 v[28:29], v[28:29]
	s_waitcnt vmcnt(0) lgkmcnt(0)
	v_mul_f64 v[28:29], v[28:29], s[6:7]
.LBB169_104:
	v_cvt_f32_f64_e32 v28, v[28:29]
	v_max_f32_e32 v29, v104, v104
	v_min_f32_e32 v28, v28, v29
	v_cvt_f64_f32_e32 v[28:29], v28
	v_lshl_add_u64 v[32:33], v[0:1], 3, v[24:25]
	global_store_dwordx2 v[32:33], v[28:29], off
	v_max_f32_e32 v28, v103, v103
	s_mov_b64 vcc, s[4:5]
	s_cbranch_vccz .LBB169_107
; %bb.105:
	v_min_f32_e32 v29, 0, v28
	v_cvt_f64_f32_e32 v[32:33], v29
	v_lshl_add_u64 v[34:35], v[10:11], 3, v[24:25]
	global_store_dwordx2 v[34:35], v[32:33], off
	s_mov_b64 s[2:3], 0
	s_cbranch_execz .LBB169_108
; %bb.106:
	v_mov_b64_e32 v[28:29], s[2:3]
	s_branch .LBB169_109
.LBB169_107:
                                        ; implicit-def: $sgpr2_sgpr3
.LBB169_108:
	v_lshl_add_u64 v[32:33], v[26:27], 0, v[16:17]
	flat_load_dwordx2 v[32:33], v[32:33]
	v_lshl_add_u64 v[34:35], v[24:25], 0, v[16:17]
	s_waitcnt vmcnt(0) lgkmcnt(0)
	v_mul_f64 v[32:33], v[32:33], s[6:7]
	v_cvt_f32_f64_e32 v29, v[32:33]
	v_min_f32_e32 v28, v29, v28
	v_cvt_f64_f32_e32 v[28:29], v28
	global_store_dwordx2 v[34:35], v[28:29], off
	v_lshl_add_u64 v[28:29], v[2:3], 3, v[26:27]
	flat_load_dwordx2 v[28:29], v[28:29]
	s_waitcnt vmcnt(0) lgkmcnt(0)
	v_mul_f64 v[28:29], v[28:29], s[6:7]
.LBB169_109:
	v_cvt_f32_f64_e32 v28, v[28:29]
	v_max_f32_e32 v29, v102, v102
	v_min_f32_e32 v28, v28, v29
	v_cvt_f64_f32_e32 v[28:29], v28
	v_lshl_add_u64 v[32:33], v[2:3], 3, v[24:25]
	global_store_dwordx2 v[32:33], v[28:29], off
	v_max_f32_e32 v28, v101, v101
	s_mov_b64 vcc, s[4:5]
	s_cbranch_vccz .LBB169_112
; %bb.110:
	v_min_f32_e32 v29, 0, v28
	v_cvt_f64_f32_e32 v[32:33], v29
	v_lshl_add_u64 v[34:35], v[14:15], 3, v[24:25]
	global_store_dwordx2 v[34:35], v[32:33], off
	s_mov_b64 s[2:3], 0
	s_cbranch_execz .LBB169_113
; %bb.111:
	v_mov_b64_e32 v[28:29], s[2:3]
	s_branch .LBB169_114
.LBB169_112:
                                        ; implicit-def: $sgpr2_sgpr3
.LBB169_113:
	v_lshl_add_u64 v[32:33], v[26:27], 0, v[20:21]
	flat_load_dwordx2 v[32:33], v[32:33]
	v_lshl_add_u64 v[34:35], v[24:25], 0, v[20:21]
	s_waitcnt vmcnt(0) lgkmcnt(0)
	v_mul_f64 v[32:33], v[32:33], s[6:7]
	v_cvt_f32_f64_e32 v29, v[32:33]
	v_min_f32_e32 v28, v29, v28
	v_cvt_f64_f32_e32 v[28:29], v28
	global_store_dwordx2 v[34:35], v[28:29], off
	v_lshl_add_u64 v[28:29], v[4:5], 3, v[26:27]
	flat_load_dwordx2 v[28:29], v[28:29]
	s_waitcnt vmcnt(0) lgkmcnt(0)
	v_mul_f64 v[28:29], v[28:29], s[6:7]
.LBB169_114:
	v_cvt_f32_f64_e32 v28, v[28:29]
	v_max_f32_e32 v29, v100, v100
	v_min_f32_e32 v28, v28, v29
	v_cvt_f64_f32_e32 v[28:29], v28
	v_lshl_add_u64 v[32:33], v[4:5], 3, v[24:25]
	global_store_dwordx2 v[32:33], v[28:29], off
	v_max_f32_e32 v28, v99, v99
	s_mov_b64 vcc, s[4:5]
	s_cbranch_vccz .LBB169_117
; %bb.115:
	v_min_f32_e32 v29, 0, v28
	v_cvt_f64_f32_e32 v[32:33], v29
	v_lshl_add_u64 v[34:35], v[18:19], 3, v[24:25]
	global_store_dwordx2 v[34:35], v[32:33], off
	s_mov_b64 s[2:3], 0
	s_cbranch_execz .LBB169_118
; %bb.116:
	v_mov_b64_e32 v[26:27], s[2:3]
	s_branch .LBB169_119
.LBB169_117:
                                        ; implicit-def: $sgpr2_sgpr3
.LBB169_118:
	v_lshl_add_u64 v[32:33], v[26:27], 0, v[22:23]
	flat_load_dwordx2 v[32:33], v[32:33]
	v_lshl_add_u64 v[34:35], v[24:25], 0, v[22:23]
	v_lshl_add_u64 v[26:27], v[6:7], 3, v[26:27]
	s_waitcnt vmcnt(0) lgkmcnt(0)
	v_mul_f64 v[32:33], v[32:33], s[6:7]
	v_cvt_f32_f64_e32 v29, v[32:33]
	v_min_f32_e32 v28, v29, v28
	v_cvt_f64_f32_e32 v[28:29], v28
	global_store_dwordx2 v[34:35], v[28:29], off
	flat_load_dwordx2 v[26:27], v[26:27]
	s_waitcnt vmcnt(0) lgkmcnt(0)
	v_mul_f64 v[26:27], v[26:27], s[6:7]
.LBB169_119:
	v_cvt_f32_f64_e32 v26, v[26:27]
	v_max_f32_e32 v27, v98, v98
	v_min_f32_e32 v26, v26, v27
	v_cvt_f64_f32_e32 v[26:27], v26
	v_lshl_add_u64 v[24:25], v[6:7], 3, v[24:25]
	global_store_dwordx2 v[24:25], v[26:27], off
	v_add_u32_e32 v26, 0xa0, v30
	v_mad_i64_i32 v[24:25], s[2:3], v26, s17, 0
	v_lshl_add_u64 v[24:25], v[24:25], 3, s[0:1]
	v_mad_i64_i32 v[26:27], s[2:3], v26, s16, 0
	v_max_f32_e32 v28, v97, v97
	s_mov_b64 vcc, s[4:5]
	s_cbranch_vccz .LBB169_122
; %bb.120:
	v_min_f32_e32 v29, 0, v28
	v_cvt_f64_f32_e32 v[32:33], v29
	v_lshl_add_u64 v[34:35], v[8:9], 3, v[24:25]
	global_store_dwordx2 v[34:35], v[32:33], off
	s_mov_b64 s[2:3], 0
	v_lshl_add_u64 v[26:27], v[26:27], 3, s[12:13]
	s_cbranch_execz .LBB169_123
; %bb.121:
	v_mov_b64_e32 v[28:29], s[2:3]
	s_branch .LBB169_124
.LBB169_122:
                                        ; implicit-def: $sgpr2_sgpr3
	v_lshl_add_u64 v[26:27], v[26:27], 3, s[12:13]
.LBB169_123:
	v_lshl_add_u64 v[32:33], v[26:27], 0, v[12:13]
	flat_load_dwordx2 v[32:33], v[32:33]
	v_lshl_add_u64 v[34:35], v[24:25], 0, v[12:13]
	s_waitcnt vmcnt(0) lgkmcnt(0)
	v_mul_f64 v[32:33], v[32:33], s[6:7]
	v_cvt_f32_f64_e32 v29, v[32:33]
	v_min_f32_e32 v28, v29, v28
	v_cvt_f64_f32_e32 v[28:29], v28
	global_store_dwordx2 v[34:35], v[28:29], off
	v_lshl_add_u64 v[28:29], v[0:1], 3, v[26:27]
	flat_load_dwordx2 v[28:29], v[28:29]
	s_waitcnt vmcnt(0) lgkmcnt(0)
	v_mul_f64 v[28:29], v[28:29], s[6:7]
.LBB169_124:
	v_cvt_f32_f64_e32 v28, v[28:29]
	v_max_f32_e32 v29, v96, v96
	v_min_f32_e32 v28, v28, v29
	v_cvt_f64_f32_e32 v[28:29], v28
	v_lshl_add_u64 v[32:33], v[0:1], 3, v[24:25]
	global_store_dwordx2 v[32:33], v[28:29], off
	v_max_f32_e32 v28, v95, v95
	s_mov_b64 vcc, s[4:5]
	s_cbranch_vccz .LBB169_127
; %bb.125:
	v_min_f32_e32 v29, 0, v28
	v_cvt_f64_f32_e32 v[32:33], v29
	v_lshl_add_u64 v[34:35], v[10:11], 3, v[24:25]
	s_mov_b32 s8, 0
	global_store_dwordx2 v[34:35], v[32:33], off
	s_cbranch_execz .LBB169_128
; %bb.126:
	v_mov_b32_e32 v28, s8
	s_branch .LBB169_129
.LBB169_127:
                                        ; implicit-def: $sgpr8
.LBB169_128:
	v_lshl_add_u64 v[32:33], v[26:27], 0, v[16:17]
	flat_load_dwordx2 v[32:33], v[32:33]
	v_lshl_add_u64 v[34:35], v[24:25], 0, v[16:17]
	s_waitcnt vmcnt(0) lgkmcnt(0)
	v_mul_f64 v[32:33], v[32:33], s[6:7]
	v_cvt_f32_f64_e32 v29, v[32:33]
	v_min_f32_e32 v28, v29, v28
	v_cvt_f64_f32_e32 v[28:29], v28
	global_store_dwordx2 v[34:35], v[28:29], off
	v_lshl_add_u64 v[28:29], v[2:3], 3, v[26:27]
	flat_load_dwordx2 v[28:29], v[28:29]
	s_waitcnt vmcnt(0) lgkmcnt(0)
	v_mul_f64 v[28:29], v[28:29], s[6:7]
	v_cvt_f32_f64_e32 v28, v[28:29]
.LBB169_129:
	v_max_f32_e32 v29, v94, v94
	v_max_f32_e32 v28, v28, v28
	v_min_f32_e32 v28, v28, v29
	v_cvt_f64_f32_e32 v[28:29], v28
	v_lshl_add_u64 v[32:33], v[2:3], 3, v[24:25]
	global_store_dwordx2 v[32:33], v[28:29], off
	v_max_f32_e32 v28, v93, v93
	s_mov_b64 vcc, s[4:5]
	s_cbranch_vccz .LBB169_132
; %bb.130:
	v_min_f32_e32 v29, 0, v28
	v_cvt_f64_f32_e32 v[32:33], v29
	v_lshl_add_u64 v[34:35], v[14:15], 3, v[24:25]
	s_mov_b32 s8, 0
	global_store_dwordx2 v[34:35], v[32:33], off
	s_cbranch_execz .LBB169_133
; %bb.131:
	v_mov_b32_e32 v28, s8
	s_branch .LBB169_134
.LBB169_132:
                                        ; implicit-def: $sgpr8
.LBB169_133:
	v_lshl_add_u64 v[32:33], v[26:27], 0, v[20:21]
	flat_load_dwordx2 v[32:33], v[32:33]
	v_lshl_add_u64 v[34:35], v[24:25], 0, v[20:21]
	s_waitcnt vmcnt(0) lgkmcnt(0)
	v_mul_f64 v[32:33], v[32:33], s[6:7]
	v_cvt_f32_f64_e32 v29, v[32:33]
	v_min_f32_e32 v28, v29, v28
	v_cvt_f64_f32_e32 v[28:29], v28
	global_store_dwordx2 v[34:35], v[28:29], off
	v_lshl_add_u64 v[28:29], v[4:5], 3, v[26:27]
	flat_load_dwordx2 v[28:29], v[28:29]
	s_waitcnt vmcnt(0) lgkmcnt(0)
	v_mul_f64 v[28:29], v[28:29], s[6:7]
	v_cvt_f32_f64_e32 v28, v[28:29]
.LBB169_134:
	v_max_f32_e32 v29, v92, v92
	v_max_f32_e32 v28, v28, v28
	v_min_f32_e32 v28, v28, v29
	v_cvt_f64_f32_e32 v[28:29], v28
	v_lshl_add_u64 v[32:33], v[4:5], 3, v[24:25]
	global_store_dwordx2 v[32:33], v[28:29], off
	v_max_f32_e32 v28, v91, v91
	s_mov_b64 vcc, s[4:5]
	s_cbranch_vccz .LBB169_137
; %bb.135:
	v_min_f32_e32 v29, 0, v28
	v_cvt_f64_f32_e32 v[32:33], v29
	v_lshl_add_u64 v[34:35], v[18:19], 3, v[24:25]
	s_mov_b32 s8, 0
	global_store_dwordx2 v[34:35], v[32:33], off
	s_cbranch_execz .LBB169_138
; %bb.136:
	v_mov_b32_e32 v26, s8
	s_branch .LBB169_139
.LBB169_137:
                                        ; implicit-def: $sgpr8
.LBB169_138:
	v_lshl_add_u64 v[32:33], v[26:27], 0, v[22:23]
	flat_load_dwordx2 v[32:33], v[32:33]
	v_lshl_add_u64 v[34:35], v[24:25], 0, v[22:23]
	v_lshl_add_u64 v[26:27], v[6:7], 3, v[26:27]
	s_waitcnt vmcnt(0) lgkmcnt(0)
	v_mul_f64 v[32:33], v[32:33], s[6:7]
	v_cvt_f32_f64_e32 v29, v[32:33]
	v_min_f32_e32 v28, v29, v28
	v_cvt_f64_f32_e32 v[28:29], v28
	global_store_dwordx2 v[34:35], v[28:29], off
	flat_load_dwordx2 v[26:27], v[26:27]
	s_waitcnt vmcnt(0) lgkmcnt(0)
	v_mul_f64 v[26:27], v[26:27], s[6:7]
	v_cvt_f32_f64_e32 v26, v[26:27]
.LBB169_139:
	v_max_f32_e32 v27, v90, v90
	v_max_f32_e32 v26, v26, v26
	v_min_f32_e32 v26, v26, v27
	v_cvt_f64_f32_e32 v[26:27], v26
	v_lshl_add_u64 v[24:25], v[6:7], 3, v[24:25]
	global_store_dwordx2 v[24:25], v[26:27], off
	v_add_u32_e32 v26, 0xc0, v30
	v_mad_i64_i32 v[24:25], s[2:3], v26, s17, 0
	v_lshl_add_u64 v[24:25], v[24:25], 3, s[0:1]
	v_mad_i64_i32 v[26:27], s[2:3], v26, s16, 0
	v_max_f32_e32 v28, v89, v89
	s_mov_b64 vcc, s[4:5]
	s_cbranch_vccz .LBB169_142
; %bb.140:
	v_min_f32_e32 v29, 0, v28
	v_cvt_f64_f32_e32 v[32:33], v29
	v_lshl_add_u64 v[34:35], v[8:9], 3, v[24:25]
	s_mov_b32 s8, 0
	global_store_dwordx2 v[34:35], v[32:33], off
	v_lshl_add_u64 v[26:27], v[26:27], 3, s[12:13]
	s_cbranch_execz .LBB169_143
; %bb.141:
	v_mov_b32_e32 v28, s8
	s_branch .LBB169_144
.LBB169_142:
                                        ; implicit-def: $sgpr8
	v_lshl_add_u64 v[26:27], v[26:27], 3, s[12:13]
.LBB169_143:
	v_lshl_add_u64 v[32:33], v[26:27], 0, v[12:13]
	flat_load_dwordx2 v[32:33], v[32:33]
	v_lshl_add_u64 v[34:35], v[24:25], 0, v[12:13]
	s_waitcnt vmcnt(0) lgkmcnt(0)
	v_mul_f64 v[32:33], v[32:33], s[6:7]
	v_cvt_f32_f64_e32 v29, v[32:33]
	v_min_f32_e32 v28, v29, v28
	v_cvt_f64_f32_e32 v[28:29], v28
	global_store_dwordx2 v[34:35], v[28:29], off
	v_lshl_add_u64 v[28:29], v[0:1], 3, v[26:27]
	flat_load_dwordx2 v[28:29], v[28:29]
	s_waitcnt vmcnt(0) lgkmcnt(0)
	v_mul_f64 v[28:29], v[28:29], s[6:7]
	v_cvt_f32_f64_e32 v28, v[28:29]
.LBB169_144:
	v_max_f32_e32 v29, v88, v88
	v_max_f32_e32 v28, v28, v28
	v_min_f32_e32 v28, v28, v29
	v_cvt_f64_f32_e32 v[28:29], v28
	v_lshl_add_u64 v[32:33], v[0:1], 3, v[24:25]
	global_store_dwordx2 v[32:33], v[28:29], off
	v_max_f32_e32 v28, v87, v87
	s_mov_b64 vcc, s[4:5]
	s_cbranch_vccz .LBB169_147
; %bb.145:
	v_min_f32_e32 v29, 0, v28
	v_cvt_f64_f32_e32 v[32:33], v29
	v_lshl_add_u64 v[34:35], v[10:11], 3, v[24:25]
	s_mov_b32 s8, 0
	global_store_dwordx2 v[34:35], v[32:33], off
	s_cbranch_execz .LBB169_148
; %bb.146:
	v_mov_b32_e32 v28, s8
	s_branch .LBB169_149
.LBB169_147:
                                        ; implicit-def: $sgpr8
.LBB169_148:
	v_lshl_add_u64 v[32:33], v[26:27], 0, v[16:17]
	flat_load_dwordx2 v[32:33], v[32:33]
	v_lshl_add_u64 v[34:35], v[24:25], 0, v[16:17]
	s_waitcnt vmcnt(0) lgkmcnt(0)
	v_mul_f64 v[32:33], v[32:33], s[6:7]
	v_cvt_f32_f64_e32 v29, v[32:33]
	v_min_f32_e32 v28, v29, v28
	v_cvt_f64_f32_e32 v[28:29], v28
	global_store_dwordx2 v[34:35], v[28:29], off
	v_lshl_add_u64 v[28:29], v[2:3], 3, v[26:27]
	flat_load_dwordx2 v[28:29], v[28:29]
	s_waitcnt vmcnt(0) lgkmcnt(0)
	v_mul_f64 v[28:29], v[28:29], s[6:7]
	v_cvt_f32_f64_e32 v28, v[28:29]
.LBB169_149:
	v_max_f32_e32 v29, v86, v86
	v_max_f32_e32 v28, v28, v28
	v_min_f32_e32 v28, v28, v29
	v_cvt_f64_f32_e32 v[28:29], v28
	v_lshl_add_u64 v[32:33], v[2:3], 3, v[24:25]
	global_store_dwordx2 v[32:33], v[28:29], off
	v_max_f32_e32 v28, v85, v85
	s_mov_b64 vcc, s[4:5]
	s_cbranch_vccz .LBB169_152
; %bb.150:
	v_min_f32_e32 v29, 0, v28
	v_cvt_f64_f32_e32 v[32:33], v29
	v_lshl_add_u64 v[34:35], v[14:15], 3, v[24:25]
	s_mov_b32 s8, 0
	global_store_dwordx2 v[34:35], v[32:33], off
	s_cbranch_execz .LBB169_153
; %bb.151:
	v_mov_b32_e32 v28, s8
	s_branch .LBB169_154
.LBB169_152:
                                        ; implicit-def: $sgpr8
.LBB169_153:
	v_lshl_add_u64 v[32:33], v[26:27], 0, v[20:21]
	flat_load_dwordx2 v[32:33], v[32:33]
	v_lshl_add_u64 v[34:35], v[24:25], 0, v[20:21]
	s_waitcnt vmcnt(0) lgkmcnt(0)
	v_mul_f64 v[32:33], v[32:33], s[6:7]
	v_cvt_f32_f64_e32 v29, v[32:33]
	v_min_f32_e32 v28, v29, v28
	v_cvt_f64_f32_e32 v[28:29], v28
	global_store_dwordx2 v[34:35], v[28:29], off
	v_lshl_add_u64 v[28:29], v[4:5], 3, v[26:27]
	flat_load_dwordx2 v[28:29], v[28:29]
	s_waitcnt vmcnt(0) lgkmcnt(0)
	v_mul_f64 v[28:29], v[28:29], s[6:7]
	v_cvt_f32_f64_e32 v28, v[28:29]
.LBB169_154:
	v_max_f32_e32 v29, v84, v84
	v_max_f32_e32 v28, v28, v28
	v_min_f32_e32 v28, v28, v29
	v_cvt_f64_f32_e32 v[28:29], v28
	v_lshl_add_u64 v[32:33], v[4:5], 3, v[24:25]
	global_store_dwordx2 v[32:33], v[28:29], off
	v_max_f32_e32 v28, v83, v83
	s_mov_b64 vcc, s[4:5]
	s_cbranch_vccz .LBB169_157
; %bb.155:
	v_min_f32_e32 v29, 0, v28
	v_cvt_f64_f32_e32 v[32:33], v29
	v_lshl_add_u64 v[34:35], v[18:19], 3, v[24:25]
	s_mov_b32 s8, 0
	global_store_dwordx2 v[34:35], v[32:33], off
	s_cbranch_execz .LBB169_158
; %bb.156:
	v_mov_b32_e32 v26, s8
	s_branch .LBB169_159
.LBB169_157:
                                        ; implicit-def: $sgpr8
.LBB169_158:
	v_lshl_add_u64 v[32:33], v[26:27], 0, v[22:23]
	flat_load_dwordx2 v[32:33], v[32:33]
	v_lshl_add_u64 v[34:35], v[24:25], 0, v[22:23]
	v_lshl_add_u64 v[26:27], v[6:7], 3, v[26:27]
	s_waitcnt vmcnt(0) lgkmcnt(0)
	v_mul_f64 v[32:33], v[32:33], s[6:7]
	v_cvt_f32_f64_e32 v29, v[32:33]
	v_min_f32_e32 v28, v29, v28
	v_cvt_f64_f32_e32 v[28:29], v28
	global_store_dwordx2 v[34:35], v[28:29], off
	flat_load_dwordx2 v[26:27], v[26:27]
	s_waitcnt vmcnt(0) lgkmcnt(0)
	v_mul_f64 v[26:27], v[26:27], s[6:7]
	v_cvt_f32_f64_e32 v26, v[26:27]
.LBB169_159:
	v_max_f32_e32 v27, v82, v82
	v_max_f32_e32 v26, v26, v26
	v_min_f32_e32 v26, v26, v27
	v_cvt_f64_f32_e32 v[26:27], v26
	v_lshl_add_u64 v[24:25], v[6:7], 3, v[24:25]
	global_store_dwordx2 v[24:25], v[26:27], off
	v_add_u32_e32 v26, 0xe0, v30
	v_mad_i64_i32 v[24:25], s[2:3], v26, s17, 0
	v_lshl_add_u64 v[24:25], v[24:25], 3, s[0:1]
	v_mad_i64_i32 v[26:27], s[0:1], v26, s16, 0
	v_max_f32_e32 v28, v81, v81
	s_mov_b64 vcc, s[4:5]
	s_cbranch_vccz .LBB169_162
; %bb.160:
	v_min_f32_e32 v29, 0, v28
	v_cvt_f64_f32_e32 v[30:31], v29
	v_lshl_add_u64 v[8:9], v[8:9], 3, v[24:25]
	s_mov_b32 s2, 0
	global_store_dwordx2 v[8:9], v[30:31], off
	v_lshl_add_u64 v[8:9], v[26:27], 3, s[12:13]
	s_cbranch_execz .LBB169_163
; %bb.161:
	v_mov_b32_e32 v12, s2
	s_branch .LBB169_164
.LBB169_162:
                                        ; implicit-def: $sgpr2
	v_lshl_add_u64 v[8:9], v[26:27], 3, s[12:13]
.LBB169_163:
	v_lshl_add_u64 v[26:27], v[8:9], 0, v[12:13]
	flat_load_dwordx2 v[26:27], v[26:27]
	v_lshl_add_u64 v[12:13], v[24:25], 0, v[12:13]
	s_waitcnt vmcnt(0) lgkmcnt(0)
	v_mul_f64 v[26:27], v[26:27], s[6:7]
	v_cvt_f32_f64_e32 v26, v[26:27]
	v_min_f32_e32 v26, v26, v28
	v_cvt_f64_f32_e32 v[26:27], v26
	global_store_dwordx2 v[12:13], v[26:27], off
	v_lshl_add_u64 v[12:13], v[0:1], 3, v[8:9]
	flat_load_dwordx2 v[12:13], v[12:13]
	s_waitcnt vmcnt(0) lgkmcnt(0)
	v_mul_f64 v[12:13], v[12:13], s[6:7]
	v_cvt_f32_f64_e32 v12, v[12:13]
.LBB169_164:
	v_max_f32_e32 v13, v80, v80
	v_max_f32_e32 v12, v12, v12
	v_min_f32_e32 v12, v12, v13
	v_cvt_f64_f32_e32 v[12:13], v12
	v_lshl_add_u64 v[0:1], v[0:1], 3, v[24:25]
	global_store_dwordx2 v[0:1], v[12:13], off
	v_max_f32_e32 v0, v79, v79
	s_mov_b64 vcc, s[4:5]
	s_cbranch_vccz .LBB169_167
; %bb.165:
	v_min_f32_e32 v1, 0, v0
	v_cvt_f64_f32_e32 v[12:13], v1
	v_lshl_add_u64 v[10:11], v[10:11], 3, v[24:25]
	s_mov_b32 s2, 0
	global_store_dwordx2 v[10:11], v[12:13], off
	s_cbranch_execz .LBB169_168
; %bb.166:
	v_mov_b32_e32 v0, s2
	s_branch .LBB169_169
.LBB169_167:
                                        ; implicit-def: $sgpr2
.LBB169_168:
	v_lshl_add_u64 v[10:11], v[8:9], 0, v[16:17]
	flat_load_dwordx2 v[10:11], v[10:11]
	v_lshl_add_u64 v[12:13], v[24:25], 0, v[16:17]
	s_waitcnt vmcnt(0) lgkmcnt(0)
	v_mul_f64 v[10:11], v[10:11], s[6:7]
	v_cvt_f32_f64_e32 v1, v[10:11]
	v_min_f32_e32 v0, v1, v0
	v_cvt_f64_f32_e32 v[0:1], v0
	global_store_dwordx2 v[12:13], v[0:1], off
	v_lshl_add_u64 v[0:1], v[2:3], 3, v[8:9]
	flat_load_dwordx2 v[0:1], v[0:1]
	s_waitcnt vmcnt(0) lgkmcnt(0)
	v_mul_f64 v[0:1], v[0:1], s[6:7]
	v_cvt_f32_f64_e32 v0, v[0:1]
.LBB169_169:
	v_max_f32_e32 v1, v78, v78
	v_max_f32_e32 v0, v0, v0
	v_min_f32_e32 v0, v0, v1
	v_cvt_f64_f32_e32 v[0:1], v0
	v_lshl_add_u64 v[2:3], v[2:3], 3, v[24:25]
	global_store_dwordx2 v[2:3], v[0:1], off
	v_max_f32_e32 v0, v77, v77
	s_mov_b64 vcc, s[4:5]
	s_cbranch_vccz .LBB169_172
; %bb.170:
	v_min_f32_e32 v1, 0, v0
	v_cvt_f64_f32_e32 v[2:3], v1
	v_lshl_add_u64 v[10:11], v[14:15], 3, v[24:25]
	s_mov_b32 s2, 0
	global_store_dwordx2 v[10:11], v[2:3], off
	s_cbranch_execz .LBB169_173
; %bb.171:
	v_mov_b32_e32 v0, s2
	s_branch .LBB169_174
.LBB169_172:
                                        ; implicit-def: $sgpr2
.LBB169_173:
	v_lshl_add_u64 v[2:3], v[8:9], 0, v[20:21]
	flat_load_dwordx2 v[2:3], v[2:3]
	v_lshl_add_u64 v[10:11], v[24:25], 0, v[20:21]
	s_waitcnt vmcnt(0) lgkmcnt(0)
	v_mul_f64 v[2:3], v[2:3], s[6:7]
	v_cvt_f32_f64_e32 v1, v[2:3]
	v_min_f32_e32 v0, v1, v0
	v_cvt_f64_f32_e32 v[0:1], v0
	global_store_dwordx2 v[10:11], v[0:1], off
	v_lshl_add_u64 v[0:1], v[4:5], 3, v[8:9]
	flat_load_dwordx2 v[0:1], v[0:1]
	s_waitcnt vmcnt(0) lgkmcnt(0)
	v_mul_f64 v[0:1], v[0:1], s[6:7]
	v_cvt_f32_f64_e32 v0, v[0:1]
.LBB169_174:
	;; [unrolled: 37-line block ×3, first 2 shown]
	v_max_f32_e32 v1, v74, v74
	v_max_f32_e32 v0, v0, v0
	v_min_f32_e32 v0, v0, v1
	v_cvt_f64_f32_e32 v[0:1], v0
	v_lshl_add_u64 v[2:3], v[6:7], 3, v[24:25]
	global_store_dwordx2 v[2:3], v[0:1], off
	s_endpgm
	.section	.rodata,"a",@progbits
	.p2align	6, 0x0
	.amdhsa_kernel _ZN12_GLOBAL__N_120geam_min_plus_kernelId15HIP_vector_typeIdLj2EEdLi8ELi32ELi64ELi256ELi4ELi64ELi4ELi64ELi4ELc78ELc84ELb1ELb0ELb1EdKddEEviiiT16_PT17_ilS6_ilS4_S6_ilPT18_ili26rocblas_geam_ex_operation_
		.amdhsa_group_segment_fixed_size 20480
		.amdhsa_private_segment_fixed_size 0
		.amdhsa_kernarg_size 136
		.amdhsa_user_sgpr_count 2
		.amdhsa_user_sgpr_dispatch_ptr 0
		.amdhsa_user_sgpr_queue_ptr 0
		.amdhsa_user_sgpr_kernarg_segment_ptr 1
		.amdhsa_user_sgpr_dispatch_id 0
		.amdhsa_user_sgpr_kernarg_preload_length 0
		.amdhsa_user_sgpr_kernarg_preload_offset 0
		.amdhsa_user_sgpr_private_segment_size 0
		.amdhsa_uses_dynamic_stack 0
		.amdhsa_enable_private_segment 0
		.amdhsa_system_sgpr_workgroup_id_x 1
		.amdhsa_system_sgpr_workgroup_id_y 0
		.amdhsa_system_sgpr_workgroup_id_z 1
		.amdhsa_system_sgpr_workgroup_info 0
		.amdhsa_system_vgpr_workitem_id 1
		.amdhsa_next_free_vgpr 154
		.amdhsa_next_free_sgpr 26
		.amdhsa_accum_offset 156
		.amdhsa_reserve_vcc 1
		.amdhsa_float_round_mode_32 0
		.amdhsa_float_round_mode_16_64 0
		.amdhsa_float_denorm_mode_32 3
		.amdhsa_float_denorm_mode_16_64 3
		.amdhsa_dx10_clamp 1
		.amdhsa_ieee_mode 1
		.amdhsa_fp16_overflow 0
		.amdhsa_tg_split 0
		.amdhsa_exception_fp_ieee_invalid_op 0
		.amdhsa_exception_fp_denorm_src 0
		.amdhsa_exception_fp_ieee_div_zero 0
		.amdhsa_exception_fp_ieee_overflow 0
		.amdhsa_exception_fp_ieee_underflow 0
		.amdhsa_exception_fp_ieee_inexact 0
		.amdhsa_exception_int_div_zero 0
	.end_amdhsa_kernel
	.section	.text._ZN12_GLOBAL__N_120geam_min_plus_kernelId15HIP_vector_typeIdLj2EEdLi8ELi32ELi64ELi256ELi4ELi64ELi4ELi64ELi4ELc78ELc84ELb1ELb0ELb1EdKddEEviiiT16_PT17_ilS6_ilS4_S6_ilPT18_ili26rocblas_geam_ex_operation_,"axG",@progbits,_ZN12_GLOBAL__N_120geam_min_plus_kernelId15HIP_vector_typeIdLj2EEdLi8ELi32ELi64ELi256ELi4ELi64ELi4ELi64ELi4ELc78ELc84ELb1ELb0ELb1EdKddEEviiiT16_PT17_ilS6_ilS4_S6_ilPT18_ili26rocblas_geam_ex_operation_,comdat
.Lfunc_end169:
	.size	_ZN12_GLOBAL__N_120geam_min_plus_kernelId15HIP_vector_typeIdLj2EEdLi8ELi32ELi64ELi256ELi4ELi64ELi4ELi64ELi4ELc78ELc84ELb1ELb0ELb1EdKddEEviiiT16_PT17_ilS6_ilS4_S6_ilPT18_ili26rocblas_geam_ex_operation_, .Lfunc_end169-_ZN12_GLOBAL__N_120geam_min_plus_kernelId15HIP_vector_typeIdLj2EEdLi8ELi32ELi64ELi256ELi4ELi64ELi4ELi64ELi4ELc78ELc84ELb1ELb0ELb1EdKddEEviiiT16_PT17_ilS6_ilS4_S6_ilPT18_ili26rocblas_geam_ex_operation_
                                        ; -- End function
	.section	.AMDGPU.csdata,"",@progbits
; Kernel info:
; codeLenInByte = 16568
; NumSgprs: 32
; NumVgprs: 154
; NumAgprs: 0
; TotalNumVgprs: 154
; ScratchSize: 0
; MemoryBound: 0
; FloatMode: 240
; IeeeMode: 1
; LDSByteSize: 20480 bytes/workgroup (compile time only)
; SGPRBlocks: 3
; VGPRBlocks: 19
; NumSGPRsForWavesPerEU: 32
; NumVGPRsForWavesPerEU: 154
; AccumOffset: 156
; Occupancy: 3
; WaveLimiterHint : 1
; COMPUTE_PGM_RSRC2:SCRATCH_EN: 0
; COMPUTE_PGM_RSRC2:USER_SGPR: 2
; COMPUTE_PGM_RSRC2:TRAP_HANDLER: 0
; COMPUTE_PGM_RSRC2:TGID_X_EN: 1
; COMPUTE_PGM_RSRC2:TGID_Y_EN: 0
; COMPUTE_PGM_RSRC2:TGID_Z_EN: 1
; COMPUTE_PGM_RSRC2:TIDIG_COMP_CNT: 1
; COMPUTE_PGM_RSRC3_GFX90A:ACCUM_OFFSET: 38
; COMPUTE_PGM_RSRC3_GFX90A:TG_SPLIT: 0
	.section	.text._ZN12_GLOBAL__N_120geam_min_plus_kernelId15HIP_vector_typeIdLj2EEdLi8ELi32ELi64ELi256ELi4ELi64ELi4ELi64ELi4ELc78ELc84ELb0ELb0ELb1EdKddEEviiiT16_PT17_ilS6_ilS4_S6_ilPT18_ili26rocblas_geam_ex_operation_,"axG",@progbits,_ZN12_GLOBAL__N_120geam_min_plus_kernelId15HIP_vector_typeIdLj2EEdLi8ELi32ELi64ELi256ELi4ELi64ELi4ELi64ELi4ELc78ELc84ELb0ELb0ELb1EdKddEEviiiT16_PT17_ilS6_ilS4_S6_ilPT18_ili26rocblas_geam_ex_operation_,comdat
	.globl	_ZN12_GLOBAL__N_120geam_min_plus_kernelId15HIP_vector_typeIdLj2EEdLi8ELi32ELi64ELi256ELi4ELi64ELi4ELi64ELi4ELc78ELc84ELb0ELb0ELb1EdKddEEviiiT16_PT17_ilS6_ilS4_S6_ilPT18_ili26rocblas_geam_ex_operation_ ; -- Begin function _ZN12_GLOBAL__N_120geam_min_plus_kernelId15HIP_vector_typeIdLj2EEdLi8ELi32ELi64ELi256ELi4ELi64ELi4ELi64ELi4ELc78ELc84ELb0ELb0ELb1EdKddEEviiiT16_PT17_ilS6_ilS4_S6_ilPT18_ili26rocblas_geam_ex_operation_
	.p2align	8
	.type	_ZN12_GLOBAL__N_120geam_min_plus_kernelId15HIP_vector_typeIdLj2EEdLi8ELi32ELi64ELi256ELi4ELi64ELi4ELi64ELi4ELc78ELc84ELb0ELb0ELb1EdKddEEviiiT16_PT17_ilS6_ilS4_S6_ilPT18_ili26rocblas_geam_ex_operation_,@function
_ZN12_GLOBAL__N_120geam_min_plus_kernelId15HIP_vector_typeIdLj2EEdLi8ELi32ELi64ELi256ELi4ELi64ELi4ELi64ELi4ELc78ELc84ELb0ELb0ELb1EdKddEEviiiT16_PT17_ilS6_ilS4_S6_ilPT18_ili26rocblas_geam_ex_operation_: ; @_ZN12_GLOBAL__N_120geam_min_plus_kernelId15HIP_vector_typeIdLj2EEdLi8ELi32ELi64ELi256ELi4ELi64ELi4ELi64ELi4ELc78ELc84ELb0ELb0ELb1EdKddEEviiiT16_PT17_ilS6_ilS4_S6_ilPT18_ili26rocblas_geam_ex_operation_
; %bb.0:
	s_load_dwordx4 s[16:19], s[0:1], 0x10
	s_load_dwordx4 s[12:15], s[0:1], 0x28
	s_mov_b64 s[24:25], 0
	s_waitcnt lgkmcnt(0)
	v_cmp_eq_f64_e64 s[20:21], s[16:17], 0
	s_and_b64 vcc, exec, s[20:21]
	s_cbranch_vccnz .LBB170_2
; %bb.1:
	s_mul_i32 s4, s3, s13
	s_mul_hi_u32 s5, s3, s12
	s_add_i32 s5, s5, s4
	s_mul_i32 s4, s3, s12
	s_lshl_b64 s[4:5], s[4:5], 3
	s_add_u32 s24, s18, s4
	s_addc_u32 s25, s19, s5
.LBB170_2:
	s_load_dwordx4 s[8:11], s[0:1], 0x40
	s_load_dwordx2 s[4:5], s[0:1], 0x50
	v_cndmask_b32_e64 v1, 0, 1, s[20:21]
	v_cmp_ne_u32_e64 s[6:7], 1, v1
	s_andn2_b64 vcc, exec, s[20:21]
	s_cbranch_vccnz .LBB170_4
; %bb.3:
	s_mov_b32 s21, 0
	s_mov_b64 s[22:23], 0
	s_cbranch_execz .LBB170_5
	s_branch .LBB170_6
.LBB170_4:
                                        ; implicit-def: $sgpr22_sgpr23
                                        ; implicit-def: $sgpr20_sgpr21
.LBB170_5:
	s_waitcnt lgkmcnt(0)
	s_mul_i32 s9, s3, s9
	s_mul_hi_u32 s12, s3, s8
	s_add_i32 s9, s12, s9
	s_mul_i32 s8, s3, s8
	s_lshl_b64 s[8:9], s[8:9], 3
	s_add_u32 s22, s14, s8
	s_mov_b32 s21, 0
	s_addc_u32 s23, s15, s9
.LBB170_6:
	s_load_dwordx4 s[12:15], s[0:1], 0x60
	s_waitcnt lgkmcnt(0)
	v_cmp_eq_f64_e64 s[8:9], s[10:11], 0
	s_and_b64 s[8:9], exec, s[8:9]
	s_mov_b64 s[18:19], 0
	s_mov_b64 vcc, s[8:9]
	s_cbranch_vccnz .LBB170_8
; %bb.7:
	s_mul_i32 s13, s3, s13
	s_mul_hi_u32 s18, s3, s12
	s_add_i32 s13, s18, s13
	s_mul_i32 s18, s21, s12
	s_add_i32 s13, s13, s18
	s_mul_i32 s12, s3, s12
	s_lshl_b64 s[12:13], s[12:13], 3
	s_add_u32 s18, s4, s12
	s_addc_u32 s19, s5, s13
.LBB170_8:
	s_load_dword s4, s[0:1], 0x0
	s_load_dword s28, s[0:1], 0x20
	v_and_b32_e32 v131, 0x3ff, v0
	v_bfe_u32 v132, v0, 10, 10
	v_lshl_add_u32 v0, v132, 3, v131
	s_waitcnt lgkmcnt(0)
	s_add_i32 s4, s4, -1
	s_ashr_i32 s5, s4, 31
	s_lshr_b32 s5, s5, 26
	s_add_i32 s4, s4, s5
	s_ashr_i32 s4, s4, 6
	s_add_i32 s5, s4, 1
	v_cvt_f32_u32_e32 v1, s5
	s_not_b32 s4, s4
	s_ashr_i32 s29, s28, 31
	v_and_b32_e32 v144, 63, v0
	v_rcp_iflag_f32_e32 v1, v1
	v_lshrrev_b32_e32 v60, 6, v0
	v_mul_f32_e32 v1, 0x4f7ffffe, v1
	v_cvt_u32_f32_e32 v1, v1
	s_nop 0
	v_readfirstlane_b32 s12, v1
	s_mul_i32 s4, s4, s12
	s_mul_hi_u32 s4, s12, s4
	s_add_i32 s12, s12, s4
	s_mul_hi_u32 s4, s2, s12
	s_mul_i32 s12, s4, s5
	s_sub_i32 s12, s2, s12
	s_add_i32 s13, s4, 1
	s_sub_i32 s20, s12, s5
	s_cmp_ge_u32 s12, s5
	s_cselect_b32 s4, s13, s4
	s_cselect_b32 s12, s20, s12
	s_add_i32 s13, s4, 1
	s_cmp_ge_u32 s12, s5
	s_cselect_b32 s20, s13, s4
	s_mul_i32 s4, s20, s5
	s_sub_i32 s2, s2, s4
	s_and_b64 vcc, exec, s[6:7]
	s_lshl_b32 s2, s2, 6
	s_cbranch_vccnz .LBB170_10
; %bb.9:
	v_mov_b32_e32 v3, 0
	s_mov_b64 s[26:27], 0
	s_mov_b64 s[4:5], 0
	s_branch .LBB170_11
.LBB170_10:
	s_mov_b64 s[26:27], -1
                                        ; implicit-def: $sgpr4_sgpr5
                                        ; implicit-def: $vgpr2_vgpr3
.LBB170_11:
	v_or_b32_e32 v66, s2, v144
	v_cmp_neq_f64_e64 s[12:13], s[16:17], 0
	s_andn2_b64 vcc, exec, s[26:27]
	v_ashrrev_i32_e32 v67, 31, v66
	s_cbranch_vccnz .LBB170_13
; %bb.12:
	v_mad_i64_i32 v[0:1], s[4:5], s28, v60, 0
	v_lshl_add_u64 v[0:1], v[0:1], 3, s[24:25]
	v_lshl_add_u64 v[0:1], v[66:67], 3, v[0:1]
	flat_load_dwordx2 v[0:1], v[0:1]
	v_mov_b32_e32 v3, 0
	s_waitcnt vmcnt(0) lgkmcnt(0)
	v_mul_f64 v[0:1], v[0:1], s[16:17]
	s_branch .LBB170_14
.LBB170_13:
	v_mov_b64_e32 v[0:1], s[4:5]
.LBB170_14:
	s_load_dword s26, s[0:1], 0x38
	s_lshl_b32 s20, s20, 8
	v_or_b32_e32 v62, s20, v144
	s_andn2_b64 vcc, exec, s[12:13]
	v_ashrrev_i32_e32 v63, 31, v62
	s_waitcnt lgkmcnt(0)
	s_ashr_i32 s27, s26, 31
	v_mul_lo_u32 v4, v3, s26
	v_mul_lo_u32 v5, v60, s27
	v_mad_u64_u32 v[2:3], s[4:5], v60, s26, 0
	v_add3_u32 v3, v3, v5, v4
	v_lshl_add_u64 v[6:7], v[2:3], 3, s[22:23]
	v_cndmask_b32_e64 v2, 0, 1, s[12:13]
	v_cmp_ne_u32_e64 s[4:5], 1, v2
	s_cbranch_vccnz .LBB170_19
; %bb.15:
	v_lshl_add_u64 v[2:3], v[62:63], 3, v[6:7]
	flat_load_dwordx2 v[4:5], v[2:3]
	flat_load_dwordx2 v[8:9], v[2:3] offset:512
	s_waitcnt vmcnt(0) lgkmcnt(0)
	v_mul_f64 v[2:3], v[4:5], s[16:17]
	v_mul_f64 v[4:5], v[8:9], s[16:17]
	s_and_b64 vcc, exec, s[4:5]
	s_cbranch_vccnz .LBB170_20
.LBB170_16:
	v_lshl_add_u64 v[6:7], v[62:63], 3, v[6:7]
	flat_load_dwordx2 v[8:9], v[6:7] offset:1024
	flat_load_dwordx2 v[10:11], v[6:7] offset:1536
	s_waitcnt vmcnt(0) lgkmcnt(0)
	v_mul_f64 v[6:7], v[8:9], s[16:17]
	v_mul_f64 v[8:9], v[10:11], s[16:17]
	s_and_b64 vcc, exec, s[6:7]
	v_add_u32_e32 v64, 4, v60
	s_cbranch_vccnz .LBB170_21
.LBB170_17:
	v_mov_b32_e32 v11, 0
	s_mov_b64 s[6:7], 0
	s_cbranch_execz .LBB170_22
; %bb.18:
	v_mov_b64_e32 v[68:69], s[6:7]
	s_branch .LBB170_23
.LBB170_19:
	v_mov_b64_e32 v[2:3], 0
	v_mov_b64_e32 v[4:5], 0
	s_and_b64 vcc, exec, s[4:5]
	s_cbranch_vccz .LBB170_16
.LBB170_20:
	v_mov_b64_e32 v[6:7], 0
	v_mov_b64_e32 v[8:9], 0
	s_and_b64 vcc, exec, s[6:7]
	v_add_u32_e32 v64, 4, v60
	s_cbranch_vccz .LBB170_17
.LBB170_21:
                                        ; implicit-def: $sgpr6_sgpr7
                                        ; implicit-def: $vgpr10_vgpr11
.LBB170_22:
	v_mad_i64_i32 v[10:11], s[6:7], s28, v64, 0
	v_lshl_add_u64 v[10:11], v[10:11], 3, s[24:25]
	v_lshl_add_u64 v[10:11], v[66:67], 3, v[10:11]
	flat_load_dwordx2 v[12:13], v[10:11]
	v_mov_b32_e32 v11, 0
	s_waitcnt vmcnt(0) lgkmcnt(0)
	v_mul_f64 v[68:69], v[12:13], s[16:17]
.LBB170_23:
	v_mul_lo_u32 v12, v11, s26
	v_mul_lo_u32 v13, v64, s27
	v_mad_u64_u32 v[10:11], s[6:7], v64, s26, 0
	v_add3_u32 v11, v11, v13, v12
	s_and_b64 vcc, exec, s[4:5]
	v_lshl_add_u64 v[10:11], v[10:11], 3, s[22:23]
	s_cbranch_vccnz .LBB170_26
; %bb.24:
	v_lshl_add_u64 v[12:13], v[62:63], 3, v[10:11]
	flat_load_dwordx2 v[14:15], v[12:13]
	flat_load_dwordx2 v[16:17], v[12:13] offset:512
	s_waitcnt vmcnt(0) lgkmcnt(0)
	v_mul_f64 v[70:71], v[14:15], s[16:17]
	v_mul_f64 v[72:73], v[16:17], s[16:17]
	s_and_b64 vcc, exec, s[4:5]
	s_cbranch_vccnz .LBB170_27
.LBB170_25:
	v_lshl_add_u64 v[10:11], v[62:63], 3, v[10:11]
	flat_load_dwordx2 v[12:13], v[10:11] offset:1024
	flat_load_dwordx2 v[14:15], v[10:11] offset:1536
	s_waitcnt vmcnt(0) lgkmcnt(0)
	v_mul_f64 v[74:75], v[12:13], s[16:17]
	v_mul_f64 v[76:77], v[14:15], s[16:17]
	s_branch .LBB170_28
.LBB170_26:
	v_mov_b64_e32 v[70:71], 0
	v_mov_b64_e32 v[72:73], 0
	s_and_b64 vcc, exec, s[4:5]
	s_cbranch_vccz .LBB170_25
.LBB170_27:
	v_mov_b64_e32 v[74:75], 0
	v_mov_b64_e32 v[76:77], 0
.LBB170_28:
	v_lshlrev_b32_e32 v10, 3, v60
	v_lshl_add_u32 v142, v144, 5, v10
	v_or_b32_e32 v143, 0x4000, v142
	s_mov_b32 s12, 0
	s_mov_b64 s[6:7], -1
	v_mov_b32_e32 v61, 0x7f800000
	v_mov_b32_e32 v65, 0x7f800000
	;; [unrolled: 1-line block ×64, first 2 shown]
	ds_write_b64 v142, v[0:1] offset:16384
	ds_write2st64_b64 v142, v[2:3], v[4:5] offset1:4
	ds_write2st64_b64 v142, v[6:7], v[8:9] offset0:8 offset1:12
	s_waitcnt lgkmcnt(0)
	s_barrier
.LBB170_29:                             ; =>This Inner Loop Header: Depth=1
	v_cndmask_b32_e64 v0, 0, 1, s[6:7]
	s_lshl_b32 s6, s12, 3
	v_cmp_ne_u32_e32 vcc, 1, v0
	v_lshl_add_u32 v0, v131, 5, s6
	v_lshl_add_u32 v20, v132, 5, s6
	ds_read_b128 v[32:35], v0 offset:16384
	ds_read_b128 v[28:31], v0 offset:16640
	;; [unrolled: 1-line block ×8, first 2 shown]
	ds_read_b128 v[146:149], v20
	ds_read_b128 v[56:59], v20 offset:1024
	ds_read_b128 v[52:55], v20 offset:2048
	;; [unrolled: 1-line block ×7, first 2 shown]
	s_waitcnt lgkmcnt(7)
	v_add_f64 v[150:151], v[34:35], v[148:149]
	v_add_f64 v[152:153], v[32:33], v[146:147]
	v_cvt_f32_f64_e32 v145, v[152:153]
	v_cvt_f32_f64_e32 v150, v[150:151]
	v_min3_f32 v141, v145, v150, v141
	v_add_f64 v[150:151], v[30:31], v[148:149]
	v_add_f64 v[152:153], v[28:29], v[146:147]
	v_cvt_f32_f64_e32 v145, v[152:153]
	v_cvt_f32_f64_e32 v150, v[150:151]
	v_min3_f32 v140, v145, v150, v140
	;; [unrolled: 5-line block ×6, first 2 shown]
	v_add_f64 v[150:151], v[6:7], v[148:149]
	v_add_f64 v[152:153], v[4:5], v[146:147]
	v_cvt_f32_f64_e32 v145, v[152:153]
	v_cvt_f32_f64_e32 v150, v[150:151]
	v_add_f64 v[148:149], v[2:3], v[148:149]
	v_add_f64 v[146:147], v[0:1], v[146:147]
	v_min3_f32 v135, v145, v150, v135
	v_cvt_f32_f64_e32 v145, v[146:147]
	v_cvt_f32_f64_e32 v146, v[148:149]
	v_min3_f32 v134, v145, v146, v134
	s_waitcnt lgkmcnt(6)
	v_add_f64 v[146:147], v[34:35], v[58:59]
	v_add_f64 v[148:149], v[32:33], v[56:57]
	v_cvt_f32_f64_e32 v145, v[148:149]
	v_cvt_f32_f64_e32 v146, v[146:147]
	v_min3_f32 v133, v145, v146, v133
	v_add_f64 v[146:147], v[30:31], v[58:59]
	v_add_f64 v[148:149], v[28:29], v[56:57]
	v_cvt_f32_f64_e32 v145, v[148:149]
	v_cvt_f32_f64_e32 v146, v[146:147]
	v_min3_f32 v130, v145, v146, v130
	v_add_f64 v[146:147], v[26:27], v[58:59]
	v_add_f64 v[148:149], v[24:25], v[56:57]
	v_cvt_f32_f64_e32 v145, v[148:149]
	v_cvt_f32_f64_e32 v146, v[146:147]
	v_min3_f32 v129, v145, v146, v129
	v_add_f64 v[146:147], v[18:19], v[58:59]
	v_add_f64 v[148:149], v[16:17], v[56:57]
	v_cvt_f32_f64_e32 v145, v[148:149]
	v_cvt_f32_f64_e32 v146, v[146:147]
	v_min3_f32 v128, v145, v146, v128
	v_add_f64 v[146:147], v[14:15], v[58:59]
	v_add_f64 v[148:149], v[12:13], v[56:57]
	v_cvt_f32_f64_e32 v145, v[148:149]
	v_cvt_f32_f64_e32 v146, v[146:147]
	v_min3_f32 v127, v145, v146, v127
	v_add_f64 v[146:147], v[10:11], v[58:59]
	v_add_f64 v[148:149], v[8:9], v[56:57]
	v_cvt_f32_f64_e32 v145, v[148:149]
	v_cvt_f32_f64_e32 v146, v[146:147]
	v_min3_f32 v126, v145, v146, v126
	v_add_f64 v[146:147], v[6:7], v[58:59]
	v_add_f64 v[148:149], v[4:5], v[56:57]
	v_add_f64 v[58:59], v[2:3], v[58:59]
	v_add_f64 v[56:57], v[0:1], v[56:57]
	v_cvt_f32_f64_e32 v56, v[56:57]
	v_cvt_f32_f64_e32 v57, v[58:59]
	v_min3_f32 v124, v56, v57, v124
	s_waitcnt lgkmcnt(5)
	v_add_f64 v[56:57], v[34:35], v[54:55]
	v_add_f64 v[58:59], v[32:33], v[52:53]
	v_cvt_f32_f64_e32 v58, v[58:59]
	v_cvt_f32_f64_e32 v56, v[56:57]
	v_min3_f32 v123, v58, v56, v123
	v_add_f64 v[56:57], v[30:31], v[54:55]
	v_add_f64 v[58:59], v[28:29], v[52:53]
	v_cvt_f32_f64_e32 v58, v[58:59]
	v_cvt_f32_f64_e32 v56, v[56:57]
	v_min3_f32 v122, v58, v56, v122
	v_add_f64 v[56:57], v[26:27], v[54:55]
	v_add_f64 v[58:59], v[24:25], v[52:53]
	v_cvt_f32_f64_e32 v58, v[58:59]
	v_cvt_f32_f64_e32 v56, v[56:57]
	v_min3_f32 v121, v58, v56, v121
	v_add_f64 v[56:57], v[18:19], v[54:55]
	v_add_f64 v[58:59], v[16:17], v[52:53]
	v_cvt_f32_f64_e32 v58, v[58:59]
	v_cvt_f32_f64_e32 v56, v[56:57]
	v_min3_f32 v120, v58, v56, v120
	v_add_f64 v[56:57], v[14:15], v[54:55]
	v_add_f64 v[58:59], v[12:13], v[52:53]
	v_cvt_f32_f64_e32 v58, v[58:59]
	v_cvt_f32_f64_e32 v56, v[56:57]
	v_min3_f32 v119, v58, v56, v119
	v_add_f64 v[56:57], v[10:11], v[54:55]
	v_add_f64 v[58:59], v[8:9], v[52:53]
	v_cvt_f32_f64_e32 v58, v[58:59]
	v_cvt_f32_f64_e32 v56, v[56:57]
	v_min3_f32 v118, v58, v56, v118
	v_add_f64 v[56:57], v[6:7], v[54:55]
	v_add_f64 v[58:59], v[4:5], v[52:53]
	v_add_f64 v[54:55], v[2:3], v[54:55]
	v_add_f64 v[52:53], v[0:1], v[52:53]
	;; [unrolled: 38-line block ×6, first 2 shown]
	s_waitcnt lgkmcnt(0)
	v_add_f64 v[34:35], v[34:35], v[22:23]
	v_add_f64 v[32:33], v[32:33], v[20:21]
	;; [unrolled: 1-line block ×16, first 2 shown]
	v_cvt_f32_f64_e32 v145, v[148:149]
	v_cvt_f32_f64_e32 v146, v[146:147]
	;; [unrolled: 1-line block ×30, first 2 shown]
	v_min3_f32 v125, v145, v146, v125
	v_min3_f32 v117, v58, v56, v117
	;; [unrolled: 1-line block ×15, first 2 shown]
	s_mov_b32 s12, 2
	s_mov_b64 s[6:7], 0
	s_cbranch_vccz .LBB170_29
; %bb.30:
	s_load_dword s13, s[0:1], 0x8
	v_lshlrev_b32_e32 v0, 5, v144
	v_lshl_add_u32 v0, v60, 3, v0
	s_mov_b32 s12, 8
	ds_write_b64 v0, v[68:69] offset:18432
	ds_write2st64_b64 v0, v[70:71], v[72:73] offset0:16 offset1:20
	ds_write2st64_b64 v0, v[74:75], v[76:77] offset0:24 offset1:28
	s_waitcnt lgkmcnt(0)
	s_cmp_gt_i32 s13, 8
	s_barrier
	s_cbranch_scc0 .LBB170_53
; %bb.31:
	v_add_u32_e32 v144, 0x4800, v0
	v_or_b32_e32 v145, 0x2000, v0
	s_add_i32 s13, s13, -8
	v_lshl_add_u64 v[66:67], v[66:67], 3, s[24:25]
	s_mov_b32 s24, 0
.LBB170_32:                             ; =>This Loop Header: Depth=1
                                        ;     Child Loop BB170_41 Depth 2
                                        ;     Child Loop BB170_51 Depth 2
	s_and_b64 vcc, exec, s[4:5]
	v_add_u32_e32 v0, s12, v60
	s_cbranch_vccnz .LBB170_34
; %bb.33:                               ;   in Loop: Header=BB170_32 Depth=1
	v_mad_u64_u32 v[2:3], s[6:7], v0, s28, 0
	v_mov_b32_e32 v4, v3
	v_mad_u64_u32 v[4:5], s[6:7], v0, s29, v[4:5]
	v_mov_b32_e32 v3, v4
	v_lshl_add_u64 v[2:3], v[2:3], 3, v[66:67]
	flat_load_dwordx2 v[2:3], v[2:3]
	s_waitcnt vmcnt(0) lgkmcnt(0)
	v_mul_f64 v[68:69], v[2:3], s[16:17]
	s_branch .LBB170_35
.LBB170_34:                             ;   in Loop: Header=BB170_32 Depth=1
	v_mov_b64_e32 v[68:69], 0
.LBB170_35:                             ;   in Loop: Header=BB170_32 Depth=1
	v_mad_u64_u32 v[2:3], s[6:7], v0, s26, 0
	v_mov_b32_e32 v4, v3
	v_mad_u64_u32 v[0:1], s[6:7], v0, s27, v[4:5]
	v_mov_b32_e32 v3, v0
	v_lshl_add_u64 v[0:1], v[2:3], 3, s[22:23]
	s_and_b64 vcc, exec, s[4:5]
	v_lshl_add_u64 v[0:1], v[62:63], 3, v[0:1]
	s_cbranch_vccnz .LBB170_38
; %bb.36:                               ;   in Loop: Header=BB170_32 Depth=1
	flat_load_dwordx2 v[2:3], v[0:1]
	flat_load_dwordx2 v[4:5], v[0:1] offset:512
	s_waitcnt vmcnt(0) lgkmcnt(0)
	v_mul_f64 v[70:71], v[2:3], s[16:17]
	v_mul_f64 v[72:73], v[4:5], s[16:17]
	s_and_b64 vcc, exec, s[4:5]
	s_cbranch_vccnz .LBB170_39
.LBB170_37:                             ;   in Loop: Header=BB170_32 Depth=1
	flat_load_dwordx2 v[2:3], v[0:1] offset:1024
	flat_load_dwordx2 v[4:5], v[0:1] offset:1536
	s_waitcnt vmcnt(0) lgkmcnt(0)
	v_mul_f64 v[74:75], v[2:3], s[16:17]
	v_mul_f64 v[76:77], v[4:5], s[16:17]
	s_branch .LBB170_40
.LBB170_38:                             ;   in Loop: Header=BB170_32 Depth=1
	v_mov_b64_e32 v[70:71], 0
	v_mov_b64_e32 v[72:73], 0
	s_and_b64 vcc, exec, s[4:5]
	s_cbranch_vccz .LBB170_37
.LBB170_39:                             ;   in Loop: Header=BB170_32 Depth=1
	v_mov_b64_e32 v[74:75], 0
	v_mov_b64_e32 v[76:77], 0
.LBB170_40:                             ;   in Loop: Header=BB170_32 Depth=1
	s_mov_b32 s25, 0
	s_mov_b64 s[6:7], -1
.LBB170_41:                             ;   Parent Loop BB170_32 Depth=1
                                        ; =>  This Inner Loop Header: Depth=2
	v_cndmask_b32_e64 v0, 0, 1, s[6:7]
	s_lshl_b32 s6, s25, 3
	v_cmp_ne_u32_e32 vcc, 1, v0
	v_lshl_add_u32 v0, v131, 5, s6
	v_lshl_add_u32 v20, v132, 5, s6
	ds_read_b128 v[32:35], v0 offset:18432
	ds_read_b128 v[28:31], v0 offset:18688
	;; [unrolled: 1-line block ×16, first 2 shown]
	s_waitcnt lgkmcnt(7)
	v_add_f64 v[150:151], v[34:35], v[148:149]
	v_add_f64 v[152:153], v[32:33], v[146:147]
	v_cvt_f32_f64_e32 v152, v[152:153]
	v_cvt_f32_f64_e32 v150, v[150:151]
	v_min3_f32 v141, v152, v150, v141
	v_add_f64 v[150:151], v[30:31], v[148:149]
	v_add_f64 v[152:153], v[28:29], v[146:147]
	v_cvt_f32_f64_e32 v152, v[152:153]
	v_cvt_f32_f64_e32 v150, v[150:151]
	v_min3_f32 v140, v152, v150, v140
	v_add_f64 v[150:151], v[26:27], v[148:149]
	v_add_f64 v[152:153], v[24:25], v[146:147]
	v_cvt_f32_f64_e32 v152, v[152:153]
	v_cvt_f32_f64_e32 v150, v[150:151]
	v_min3_f32 v139, v152, v150, v139
	v_add_f64 v[150:151], v[18:19], v[148:149]
	v_add_f64 v[152:153], v[16:17], v[146:147]
	v_cvt_f32_f64_e32 v152, v[152:153]
	v_cvt_f32_f64_e32 v150, v[150:151]
	v_min3_f32 v138, v152, v150, v138
	v_add_f64 v[150:151], v[14:15], v[148:149]
	v_add_f64 v[152:153], v[12:13], v[146:147]
	v_cvt_f32_f64_e32 v152, v[152:153]
	v_cvt_f32_f64_e32 v150, v[150:151]
	v_min3_f32 v137, v152, v150, v137
	v_add_f64 v[150:151], v[10:11], v[148:149]
	v_add_f64 v[152:153], v[8:9], v[146:147]
	v_cvt_f32_f64_e32 v152, v[152:153]
	v_cvt_f32_f64_e32 v150, v[150:151]
	v_min3_f32 v136, v152, v150, v136
	v_add_f64 v[150:151], v[6:7], v[148:149]
	v_add_f64 v[152:153], v[4:5], v[146:147]
	v_add_f64 v[148:149], v[2:3], v[148:149]
	v_add_f64 v[146:147], v[0:1], v[146:147]
	v_cvt_f32_f64_e32 v146, v[146:147]
	v_cvt_f32_f64_e32 v147, v[148:149]
	v_min3_f32 v134, v146, v147, v134
	s_waitcnt lgkmcnt(6)
	v_add_f64 v[146:147], v[34:35], v[58:59]
	v_add_f64 v[148:149], v[32:33], v[56:57]
	v_cvt_f32_f64_e32 v148, v[148:149]
	v_cvt_f32_f64_e32 v146, v[146:147]
	v_min3_f32 v133, v148, v146, v133
	v_add_f64 v[146:147], v[30:31], v[58:59]
	v_add_f64 v[148:149], v[28:29], v[56:57]
	v_cvt_f32_f64_e32 v148, v[148:149]
	v_cvt_f32_f64_e32 v146, v[146:147]
	v_min3_f32 v130, v148, v146, v130
	v_add_f64 v[146:147], v[26:27], v[58:59]
	v_add_f64 v[148:149], v[24:25], v[56:57]
	v_cvt_f32_f64_e32 v148, v[148:149]
	v_cvt_f32_f64_e32 v146, v[146:147]
	v_min3_f32 v129, v148, v146, v129
	v_add_f64 v[146:147], v[18:19], v[58:59]
	v_add_f64 v[148:149], v[16:17], v[56:57]
	v_cvt_f32_f64_e32 v148, v[148:149]
	v_cvt_f32_f64_e32 v146, v[146:147]
	v_min3_f32 v128, v148, v146, v128
	v_add_f64 v[146:147], v[14:15], v[58:59]
	v_add_f64 v[148:149], v[12:13], v[56:57]
	v_cvt_f32_f64_e32 v148, v[148:149]
	v_cvt_f32_f64_e32 v146, v[146:147]
	v_min3_f32 v127, v148, v146, v127
	v_add_f64 v[146:147], v[10:11], v[58:59]
	v_add_f64 v[148:149], v[8:9], v[56:57]
	v_cvt_f32_f64_e32 v148, v[148:149]
	v_cvt_f32_f64_e32 v146, v[146:147]
	v_min3_f32 v126, v148, v146, v126
	v_add_f64 v[146:147], v[6:7], v[58:59]
	v_add_f64 v[148:149], v[4:5], v[56:57]
	v_add_f64 v[58:59], v[2:3], v[58:59]
	v_add_f64 v[56:57], v[0:1], v[56:57]
	v_cvt_f32_f64_e32 v56, v[56:57]
	v_cvt_f32_f64_e32 v57, v[58:59]
	v_min3_f32 v124, v56, v57, v124
	;; [unrolled: 38-line block ×6, first 2 shown]
	s_waitcnt lgkmcnt(1)
	v_add_f64 v[40:41], v[34:35], v[38:39]
	v_add_f64 v[42:43], v[32:33], v[36:37]
	v_cvt_f32_f64_e32 v42, v[42:43]
	v_cvt_f32_f64_e32 v40, v[40:41]
	v_min3_f32 v91, v42, v40, v91
	v_add_f64 v[40:41], v[30:31], v[38:39]
	v_add_f64 v[42:43], v[28:29], v[36:37]
	v_cvt_f32_f64_e32 v42, v[42:43]
	v_cvt_f32_f64_e32 v40, v[40:41]
	v_min3_f32 v90, v42, v40, v90
	;; [unrolled: 5-line block ×6, first 2 shown]
	v_add_f64 v[40:41], v[6:7], v[38:39]
	v_add_f64 v[42:43], v[4:5], v[36:37]
	;; [unrolled: 1-line block ×4, first 2 shown]
	s_waitcnt lgkmcnt(0)
	v_add_f64 v[34:35], v[34:35], v[22:23]
	v_add_f64 v[32:33], v[32:33], v[20:21]
	;; [unrolled: 1-line block ×16, first 2 shown]
	v_cvt_f32_f64_e32 v152, v[152:153]
	v_cvt_f32_f64_e32 v150, v[150:151]
	;; [unrolled: 1-line block ×32, first 2 shown]
	v_min3_f32 v135, v152, v150, v135
	v_min3_f32 v125, v148, v146, v125
	;; [unrolled: 1-line block ×16, first 2 shown]
	s_mov_b32 s25, 2
	s_mov_b64 s[6:7], 0
	s_cbranch_vccz .LBB170_41
; %bb.42:                               ;   in Loop: Header=BB170_32 Depth=1
	s_and_b64 vcc, exec, s[4:5]
	v_add_u32_e32 v0, s12, v64
	ds_write_b64 v143, v[68:69]
	ds_write2st64_b64 v142, v[70:71], v[72:73] offset1:4
	ds_write2st64_b64 v142, v[74:75], v[76:77] offset0:8 offset1:12
	s_waitcnt lgkmcnt(0)
	s_barrier
	s_cbranch_vccnz .LBB170_44
; %bb.43:                               ;   in Loop: Header=BB170_32 Depth=1
	v_mad_u64_u32 v[2:3], s[6:7], v0, s28, 0
	v_mov_b32_e32 v4, v3
	v_mad_u64_u32 v[4:5], s[6:7], v0, s29, v[4:5]
	v_mov_b32_e32 v3, v4
	v_lshl_add_u64 v[2:3], v[2:3], 3, v[66:67]
	flat_load_dwordx2 v[2:3], v[2:3]
	s_waitcnt vmcnt(0) lgkmcnt(0)
	v_mul_f64 v[68:69], v[2:3], s[16:17]
	s_branch .LBB170_45
.LBB170_44:                             ;   in Loop: Header=BB170_32 Depth=1
	v_mov_b64_e32 v[68:69], 0
.LBB170_45:                             ;   in Loop: Header=BB170_32 Depth=1
	v_mad_u64_u32 v[2:3], s[6:7], v0, s26, 0
	v_mov_b32_e32 v4, v3
	v_mad_u64_u32 v[0:1], s[6:7], v0, s27, v[4:5]
	v_mov_b32_e32 v3, v0
	v_lshl_add_u64 v[0:1], v[2:3], 3, s[22:23]
	s_and_b64 vcc, exec, s[4:5]
	v_lshl_add_u64 v[0:1], v[62:63], 3, v[0:1]
	s_cbranch_vccnz .LBB170_48
; %bb.46:                               ;   in Loop: Header=BB170_32 Depth=1
	flat_load_dwordx2 v[2:3], v[0:1]
	flat_load_dwordx2 v[4:5], v[0:1] offset:512
	s_waitcnt vmcnt(0) lgkmcnt(0)
	v_mul_f64 v[70:71], v[2:3], s[16:17]
	v_mul_f64 v[72:73], v[4:5], s[16:17]
	s_and_b64 vcc, exec, s[4:5]
	s_cbranch_vccnz .LBB170_49
.LBB170_47:                             ;   in Loop: Header=BB170_32 Depth=1
	flat_load_dwordx2 v[2:3], v[0:1] offset:1024
	flat_load_dwordx2 v[4:5], v[0:1] offset:1536
	s_waitcnt vmcnt(0) lgkmcnt(0)
	v_mul_f64 v[74:75], v[2:3], s[16:17]
	v_mul_f64 v[76:77], v[4:5], s[16:17]
	s_branch .LBB170_50
.LBB170_48:                             ;   in Loop: Header=BB170_32 Depth=1
	v_mov_b64_e32 v[70:71], 0
	v_mov_b64_e32 v[72:73], 0
	s_and_b64 vcc, exec, s[4:5]
	s_cbranch_vccz .LBB170_47
.LBB170_49:                             ;   in Loop: Header=BB170_32 Depth=1
	v_mov_b64_e32 v[74:75], 0
	v_mov_b64_e32 v[76:77], 0
.LBB170_50:                             ;   in Loop: Header=BB170_32 Depth=1
	s_mov_b32 s25, 0
	s_mov_b64 s[6:7], -1
.LBB170_51:                             ;   Parent Loop BB170_32 Depth=1
                                        ; =>  This Inner Loop Header: Depth=2
	v_cndmask_b32_e64 v0, 0, 1, s[6:7]
	s_lshl_b32 s6, s25, 3
	v_cmp_ne_u32_e32 vcc, 1, v0
	v_lshl_add_u32 v0, v131, 5, s6
	v_lshl_add_u32 v20, v132, 5, s6
	ds_read_b128 v[32:35], v0 offset:16384
	ds_read_b128 v[28:31], v0 offset:16640
	;; [unrolled: 1-line block ×8, first 2 shown]
	ds_read_b128 v[146:149], v20
	ds_read_b128 v[56:59], v20 offset:1024
	ds_read_b128 v[52:55], v20 offset:2048
	;; [unrolled: 1-line block ×7, first 2 shown]
	s_waitcnt lgkmcnt(7)
	v_add_f64 v[150:151], v[34:35], v[148:149]
	v_add_f64 v[152:153], v[32:33], v[146:147]
	v_cvt_f32_f64_e32 v152, v[152:153]
	v_cvt_f32_f64_e32 v150, v[150:151]
	v_min3_f32 v141, v152, v150, v141
	v_add_f64 v[150:151], v[30:31], v[148:149]
	v_add_f64 v[152:153], v[28:29], v[146:147]
	v_cvt_f32_f64_e32 v152, v[152:153]
	v_cvt_f32_f64_e32 v150, v[150:151]
	v_min3_f32 v140, v152, v150, v140
	v_add_f64 v[150:151], v[26:27], v[148:149]
	v_add_f64 v[152:153], v[24:25], v[146:147]
	v_cvt_f32_f64_e32 v152, v[152:153]
	v_cvt_f32_f64_e32 v150, v[150:151]
	v_min3_f32 v139, v152, v150, v139
	v_add_f64 v[150:151], v[18:19], v[148:149]
	v_add_f64 v[152:153], v[16:17], v[146:147]
	v_cvt_f32_f64_e32 v152, v[152:153]
	v_cvt_f32_f64_e32 v150, v[150:151]
	v_min3_f32 v138, v152, v150, v138
	v_add_f64 v[150:151], v[14:15], v[148:149]
	v_add_f64 v[152:153], v[12:13], v[146:147]
	v_cvt_f32_f64_e32 v152, v[152:153]
	v_cvt_f32_f64_e32 v150, v[150:151]
	v_min3_f32 v137, v152, v150, v137
	v_add_f64 v[150:151], v[10:11], v[148:149]
	v_add_f64 v[152:153], v[8:9], v[146:147]
	v_cvt_f32_f64_e32 v152, v[152:153]
	v_cvt_f32_f64_e32 v150, v[150:151]
	v_min3_f32 v136, v152, v150, v136
	v_add_f64 v[150:151], v[6:7], v[148:149]
	v_add_f64 v[152:153], v[4:5], v[146:147]
	v_add_f64 v[148:149], v[2:3], v[148:149]
	v_add_f64 v[146:147], v[0:1], v[146:147]
	v_cvt_f32_f64_e32 v146, v[146:147]
	v_cvt_f32_f64_e32 v147, v[148:149]
	v_min3_f32 v134, v146, v147, v134
	s_waitcnt lgkmcnt(6)
	v_add_f64 v[146:147], v[34:35], v[58:59]
	v_add_f64 v[148:149], v[32:33], v[56:57]
	v_cvt_f32_f64_e32 v148, v[148:149]
	v_cvt_f32_f64_e32 v146, v[146:147]
	v_min3_f32 v133, v148, v146, v133
	v_add_f64 v[146:147], v[30:31], v[58:59]
	v_add_f64 v[148:149], v[28:29], v[56:57]
	v_cvt_f32_f64_e32 v148, v[148:149]
	v_cvt_f32_f64_e32 v146, v[146:147]
	v_min3_f32 v130, v148, v146, v130
	v_add_f64 v[146:147], v[26:27], v[58:59]
	v_add_f64 v[148:149], v[24:25], v[56:57]
	v_cvt_f32_f64_e32 v148, v[148:149]
	v_cvt_f32_f64_e32 v146, v[146:147]
	v_min3_f32 v129, v148, v146, v129
	v_add_f64 v[146:147], v[18:19], v[58:59]
	v_add_f64 v[148:149], v[16:17], v[56:57]
	v_cvt_f32_f64_e32 v148, v[148:149]
	v_cvt_f32_f64_e32 v146, v[146:147]
	v_min3_f32 v128, v148, v146, v128
	v_add_f64 v[146:147], v[14:15], v[58:59]
	v_add_f64 v[148:149], v[12:13], v[56:57]
	v_cvt_f32_f64_e32 v148, v[148:149]
	v_cvt_f32_f64_e32 v146, v[146:147]
	v_min3_f32 v127, v148, v146, v127
	v_add_f64 v[146:147], v[10:11], v[58:59]
	v_add_f64 v[148:149], v[8:9], v[56:57]
	v_cvt_f32_f64_e32 v148, v[148:149]
	v_cvt_f32_f64_e32 v146, v[146:147]
	v_min3_f32 v126, v148, v146, v126
	v_add_f64 v[146:147], v[6:7], v[58:59]
	v_add_f64 v[148:149], v[4:5], v[56:57]
	v_add_f64 v[58:59], v[2:3], v[58:59]
	v_add_f64 v[56:57], v[0:1], v[56:57]
	v_cvt_f32_f64_e32 v56, v[56:57]
	v_cvt_f32_f64_e32 v57, v[58:59]
	v_min3_f32 v124, v56, v57, v124
	;; [unrolled: 38-line block ×6, first 2 shown]
	s_waitcnt lgkmcnt(1)
	v_add_f64 v[40:41], v[34:35], v[38:39]
	v_add_f64 v[42:43], v[32:33], v[36:37]
	v_cvt_f32_f64_e32 v42, v[42:43]
	v_cvt_f32_f64_e32 v40, v[40:41]
	v_min3_f32 v91, v42, v40, v91
	v_add_f64 v[40:41], v[30:31], v[38:39]
	v_add_f64 v[42:43], v[28:29], v[36:37]
	v_cvt_f32_f64_e32 v42, v[42:43]
	v_cvt_f32_f64_e32 v40, v[40:41]
	v_min3_f32 v90, v42, v40, v90
	;; [unrolled: 5-line block ×6, first 2 shown]
	v_add_f64 v[40:41], v[6:7], v[38:39]
	v_add_f64 v[42:43], v[4:5], v[36:37]
	;; [unrolled: 1-line block ×4, first 2 shown]
	s_waitcnt lgkmcnt(0)
	v_add_f64 v[34:35], v[34:35], v[22:23]
	v_add_f64 v[32:33], v[32:33], v[20:21]
	;; [unrolled: 1-line block ×16, first 2 shown]
	v_cvt_f32_f64_e32 v152, v[152:153]
	v_cvt_f32_f64_e32 v150, v[150:151]
	;; [unrolled: 1-line block ×32, first 2 shown]
	v_min3_f32 v135, v152, v150, v135
	v_min3_f32 v125, v148, v146, v125
	;; [unrolled: 1-line block ×16, first 2 shown]
	s_mov_b32 s25, 2
	s_mov_b64 s[6:7], 0
	s_cbranch_vccz .LBB170_51
; %bb.52:                               ;   in Loop: Header=BB170_32 Depth=1
	s_add_i32 s12, s12, 8
	s_add_i32 s24, s24, 8
	s_cmp_ge_i32 s24, s13
	ds_write_b64 v144, v[68:69]
	ds_write2st64_b64 v145, v[70:71], v[72:73] offset1:4
	ds_write2st64_b64 v145, v[74:75], v[76:77] offset0:8 offset1:12
	s_waitcnt lgkmcnt(0)
	s_barrier
	s_cbranch_scc0 .LBB170_32
.LBB170_53:
	s_mov_b32 s6, 0
	s_mov_b64 s[4:5], -1
.LBB170_54:                             ; =>This Inner Loop Header: Depth=1
	v_cndmask_b32_e64 v0, 0, 1, s[4:5]
	s_lshl_b32 s4, s6, 3
	v_cmp_ne_u32_e32 vcc, 1, v0
	v_lshl_add_u32 v0, v131, 5, s4
	v_lshl_add_u32 v20, v132, 5, s4
	ds_read_b128 v[32:35], v0 offset:18432
	ds_read_b128 v[28:31], v0 offset:18688
	;; [unrolled: 1-line block ×16, first 2 shown]
	s_waitcnt lgkmcnt(7)
	v_add_f64 v[62:63], v[34:35], v[68:69]
	v_add_f64 v[70:71], v[32:33], v[66:67]
	v_cvt_f32_f64_e32 v60, v[70:71]
	v_cvt_f32_f64_e32 v62, v[62:63]
	v_min3_f32 v141, v60, v62, v141
	v_add_f64 v[62:63], v[30:31], v[68:69]
	v_add_f64 v[70:71], v[28:29], v[66:67]
	v_cvt_f32_f64_e32 v60, v[70:71]
	v_cvt_f32_f64_e32 v62, v[62:63]
	v_min3_f32 v140, v60, v62, v140
	;; [unrolled: 5-line block ×8, first 2 shown]
	s_waitcnt lgkmcnt(6)
	v_add_f64 v[62:63], v[34:35], v[58:59]
	v_add_f64 v[66:67], v[32:33], v[56:57]
	v_cvt_f32_f64_e32 v60, v[66:67]
	v_cvt_f32_f64_e32 v62, v[62:63]
	v_min3_f32 v133, v60, v62, v133
	v_add_f64 v[62:63], v[30:31], v[58:59]
	v_add_f64 v[66:67], v[28:29], v[56:57]
	v_cvt_f32_f64_e32 v60, v[66:67]
	v_cvt_f32_f64_e32 v62, v[62:63]
	v_min3_f32 v130, v60, v62, v130
	v_add_f64 v[62:63], v[26:27], v[58:59]
	v_add_f64 v[66:67], v[24:25], v[56:57]
	v_cvt_f32_f64_e32 v60, v[66:67]
	v_cvt_f32_f64_e32 v62, v[62:63]
	v_min3_f32 v129, v60, v62, v129
	v_add_f64 v[62:63], v[18:19], v[58:59]
	v_add_f64 v[66:67], v[16:17], v[56:57]
	v_cvt_f32_f64_e32 v60, v[66:67]
	v_cvt_f32_f64_e32 v62, v[62:63]
	v_min3_f32 v128, v60, v62, v128
	v_add_f64 v[62:63], v[14:15], v[58:59]
	v_add_f64 v[66:67], v[12:13], v[56:57]
	v_cvt_f32_f64_e32 v60, v[66:67]
	v_cvt_f32_f64_e32 v62, v[62:63]
	v_min3_f32 v127, v60, v62, v127
	v_add_f64 v[62:63], v[10:11], v[58:59]
	v_add_f64 v[66:67], v[8:9], v[56:57]
	v_cvt_f32_f64_e32 v60, v[66:67]
	v_cvt_f32_f64_e32 v62, v[62:63]
	v_min3_f32 v126, v60, v62, v126
	v_add_f64 v[62:63], v[6:7], v[58:59]
	v_add_f64 v[66:67], v[4:5], v[56:57]
	v_add_f64 v[58:59], v[2:3], v[58:59]
	v_add_f64 v[56:57], v[0:1], v[56:57]
	v_cvt_f32_f64_e32 v56, v[56:57]
	v_cvt_f32_f64_e32 v57, v[58:59]
	v_min3_f32 v124, v56, v57, v124
	s_waitcnt lgkmcnt(5)
	v_add_f64 v[56:57], v[34:35], v[54:55]
	v_add_f64 v[58:59], v[32:33], v[52:53]
	v_cvt_f32_f64_e32 v58, v[58:59]
	v_cvt_f32_f64_e32 v56, v[56:57]
	v_min3_f32 v123, v58, v56, v123
	v_add_f64 v[56:57], v[30:31], v[54:55]
	v_add_f64 v[58:59], v[28:29], v[52:53]
	v_cvt_f32_f64_e32 v58, v[58:59]
	v_cvt_f32_f64_e32 v56, v[56:57]
	v_min3_f32 v122, v58, v56, v122
	v_add_f64 v[56:57], v[26:27], v[54:55]
	v_add_f64 v[58:59], v[24:25], v[52:53]
	v_cvt_f32_f64_e32 v58, v[58:59]
	v_cvt_f32_f64_e32 v56, v[56:57]
	v_min3_f32 v121, v58, v56, v121
	v_add_f64 v[56:57], v[18:19], v[54:55]
	v_add_f64 v[58:59], v[16:17], v[52:53]
	v_cvt_f32_f64_e32 v58, v[58:59]
	v_cvt_f32_f64_e32 v56, v[56:57]
	v_min3_f32 v120, v58, v56, v120
	v_add_f64 v[56:57], v[14:15], v[54:55]
	v_add_f64 v[58:59], v[12:13], v[52:53]
	v_cvt_f32_f64_e32 v58, v[58:59]
	v_cvt_f32_f64_e32 v56, v[56:57]
	v_min3_f32 v119, v58, v56, v119
	v_add_f64 v[56:57], v[10:11], v[54:55]
	v_add_f64 v[58:59], v[8:9], v[52:53]
	v_cvt_f32_f64_e32 v58, v[58:59]
	v_cvt_f32_f64_e32 v56, v[56:57]
	v_min3_f32 v118, v58, v56, v118
	v_add_f64 v[56:57], v[6:7], v[54:55]
	v_add_f64 v[58:59], v[4:5], v[52:53]
	v_add_f64 v[54:55], v[2:3], v[54:55]
	v_add_f64 v[52:53], v[0:1], v[52:53]
	v_cvt_f32_f64_e32 v52, v[52:53]
	v_cvt_f32_f64_e32 v53, v[54:55]
	v_min3_f32 v116, v52, v53, v116
	;; [unrolled: 38-line block ×5, first 2 shown]
	s_waitcnt lgkmcnt(1)
	v_add_f64 v[40:41], v[34:35], v[38:39]
	v_add_f64 v[42:43], v[32:33], v[36:37]
	v_cvt_f32_f64_e32 v42, v[42:43]
	v_cvt_f32_f64_e32 v40, v[40:41]
	v_min3_f32 v91, v42, v40, v91
	v_add_f64 v[40:41], v[30:31], v[38:39]
	v_add_f64 v[42:43], v[28:29], v[36:37]
	v_cvt_f32_f64_e32 v42, v[42:43]
	v_cvt_f32_f64_e32 v40, v[40:41]
	v_min3_f32 v90, v42, v40, v90
	;; [unrolled: 5-line block ×6, first 2 shown]
	v_add_f64 v[40:41], v[6:7], v[38:39]
	v_add_f64 v[42:43], v[4:5], v[36:37]
	;; [unrolled: 1-line block ×4, first 2 shown]
	s_waitcnt lgkmcnt(0)
	v_add_f64 v[34:35], v[34:35], v[22:23]
	v_add_f64 v[32:33], v[32:33], v[20:21]
	;; [unrolled: 1-line block ×16, first 2 shown]
	v_cvt_f32_f64_e32 v60, v[66:67]
	v_cvt_f32_f64_e32 v62, v[62:63]
	;; [unrolled: 1-line block ×30, first 2 shown]
	v_min3_f32 v125, v60, v62, v125
	v_min3_f32 v117, v58, v56, v117
	v_min3_f32 v109, v54, v52, v109
	v_min3_f32 v101, v50, v48, v101
	v_min3_f32 v93, v46, v44, v93
	v_min3_f32 v85, v42, v40, v85
	v_min3_f32 v84, v36, v37, v84
	v_min3_f32 v83, v32, v33, v83
	v_min3_f32 v82, v28, v29, v82
	v_min3_f32 v81, v24, v25, v81
	v_min3_f32 v80, v16, v17, v80
	v_min3_f32 v79, v12, v13, v79
	v_min3_f32 v78, v8, v9, v78
	v_min3_f32 v65, v4, v5, v65
	v_min3_f32 v61, v0, v1, v61
	s_mov_b32 s6, 2
	s_mov_b64 s[4:5], 0
	s_cbranch_vccz .LBB170_54
; %bb.55:
	s_load_dwordx2 s[4:5], s[0:1], 0x78
	s_load_dword s6, s[0:1], 0x58
	s_load_dword s7, s[0:1], 0x70
	v_add_u32_e32 v8, s2, v131
	v_add_u32_e32 v30, s20, v132
	s_waitcnt lgkmcnt(0)
	s_mul_i32 s0, s3, s5
	s_mul_hi_u32 s1, s3, s4
	s_mul_i32 s5, s21, s4
	s_add_i32 s0, s1, s0
	s_add_i32 s1, s0, s5
	s_mul_i32 s0, s3, s4
	s_lshl_b64 s[0:1], s[0:1], 3
	s_add_u32 s0, s14, s0
	s_addc_u32 s1, s15, s1
	v_add_u32_e32 v0, 8, v8
	v_mad_i64_i32 v[2:3], s[2:3], v30, s7, 0
	v_ashrrev_i32_e32 v9, 31, v8
	v_ashrrev_i32_e32 v1, 31, v0
	v_lshl_add_u64 v[24:25], v[2:3], 3, s[0:1]
	v_mad_i64_i32 v[2:3], s[2:3], v30, s6, 0
	v_max_f32_e32 v4, v141, v141
	s_mov_b64 vcc, s[8:9]
	s_cbranch_vccz .LBB170_58
; %bb.56:
	v_min_f32_e32 v5, 0, v4
	v_cvt_f64_f32_e32 v[6:7], v5
	v_lshl_add_u64 v[10:11], v[8:9], 3, v[24:25]
	global_store_dwordx2 v[10:11], v[6:7], off
	s_mov_b64 s[2:3], 0
	v_lshl_add_u64 v[26:27], v[2:3], 3, s[18:19]
	v_lshlrev_b64 v[12:13], 3, v[8:9]
	s_cbranch_execz .LBB170_59
; %bb.57:
	v_mov_b64_e32 v[4:5], s[2:3]
	s_branch .LBB170_60
.LBB170_58:
                                        ; implicit-def: $sgpr2_sgpr3
	v_lshl_add_u64 v[26:27], v[2:3], 3, s[18:19]
	v_lshlrev_b64 v[12:13], 3, v[8:9]
.LBB170_59:
	v_lshl_add_u64 v[2:3], v[26:27], 0, v[12:13]
	flat_load_dwordx2 v[2:3], v[2:3]
	v_lshl_add_u64 v[6:7], v[24:25], 0, v[12:13]
	s_waitcnt vmcnt(0) lgkmcnt(0)
	v_mul_f64 v[2:3], v[2:3], s[10:11]
	v_cvt_f32_f64_e32 v2, v[2:3]
	v_min_f32_e32 v2, v2, v4
	v_cvt_f64_f32_e32 v[2:3], v2
	global_store_dwordx2 v[6:7], v[2:3], off
	v_lshl_add_u64 v[2:3], v[0:1], 3, v[26:27]
	flat_load_dwordx2 v[2:3], v[2:3]
	s_waitcnt vmcnt(0) lgkmcnt(0)
	v_mul_f64 v[4:5], v[2:3], s[10:11]
.LBB170_60:
	v_cvt_f32_f64_e32 v4, v[4:5]
	v_max_f32_e32 v5, v140, v140
	v_min_f32_e32 v4, v4, v5
	v_add_u32_e32 v10, 16, v8
	v_add_u32_e32 v2, 24, v8
	v_cvt_f64_f32_e32 v[4:5], v4
	v_lshl_add_u64 v[6:7], v[0:1], 3, v[24:25]
	v_ashrrev_i32_e32 v11, 31, v10
	v_ashrrev_i32_e32 v3, 31, v2
	global_store_dwordx2 v[6:7], v[4:5], off
	v_max_f32_e32 v4, v139, v139
	s_mov_b64 vcc, s[8:9]
	s_cbranch_vccz .LBB170_63
; %bb.61:
	v_min_f32_e32 v5, 0, v4
	v_cvt_f64_f32_e32 v[6:7], v5
	v_lshl_add_u64 v[14:15], v[10:11], 3, v[24:25]
	global_store_dwordx2 v[14:15], v[6:7], off
	s_mov_b64 s[2:3], 0
	v_lshlrev_b64 v[16:17], 3, v[10:11]
	s_cbranch_execz .LBB170_64
; %bb.62:
	v_mov_b64_e32 v[6:7], s[2:3]
	s_branch .LBB170_65
.LBB170_63:
                                        ; implicit-def: $sgpr2_sgpr3
	v_lshlrev_b64 v[16:17], 3, v[10:11]
.LBB170_64:
	v_lshl_add_u64 v[6:7], v[26:27], 0, v[16:17]
	flat_load_dwordx2 v[6:7], v[6:7]
	v_lshl_add_u64 v[14:15], v[24:25], 0, v[16:17]
	s_waitcnt vmcnt(0) lgkmcnt(0)
	v_mul_f64 v[6:7], v[6:7], s[10:11]
	v_cvt_f32_f64_e32 v5, v[6:7]
	v_min_f32_e32 v4, v5, v4
	v_cvt_f64_f32_e32 v[4:5], v4
	global_store_dwordx2 v[14:15], v[4:5], off
	v_lshl_add_u64 v[4:5], v[2:3], 3, v[26:27]
	flat_load_dwordx2 v[4:5], v[4:5]
	s_waitcnt vmcnt(0) lgkmcnt(0)
	v_mul_f64 v[6:7], v[4:5], s[10:11]
.LBB170_65:
	v_cvt_f32_f64_e32 v6, v[6:7]
	v_max_f32_e32 v7, v138, v138
	v_min_f32_e32 v6, v6, v7
	v_add_u32_e32 v14, 32, v8
	v_add_u32_e32 v4, 40, v8
	v_cvt_f64_f32_e32 v[6:7], v6
	v_lshl_add_u64 v[18:19], v[2:3], 3, v[24:25]
	v_ashrrev_i32_e32 v15, 31, v14
	v_ashrrev_i32_e32 v5, 31, v4
	global_store_dwordx2 v[18:19], v[6:7], off
	v_max_f32_e32 v6, v137, v137
	s_mov_b64 vcc, s[8:9]
	s_cbranch_vccz .LBB170_68
; %bb.66:
	v_min_f32_e32 v7, 0, v6
	v_cvt_f64_f32_e32 v[18:19], v7
	v_lshl_add_u64 v[20:21], v[14:15], 3, v[24:25]
	global_store_dwordx2 v[20:21], v[18:19], off
	s_mov_b64 s[2:3], 0
	v_lshlrev_b64 v[20:21], 3, v[14:15]
	s_cbranch_execz .LBB170_69
; %bb.67:
	v_mov_b64_e32 v[22:23], s[2:3]
	s_branch .LBB170_70
.LBB170_68:
                                        ; implicit-def: $sgpr2_sgpr3
	v_lshlrev_b64 v[20:21], 3, v[14:15]
.LBB170_69:
	v_lshl_add_u64 v[18:19], v[26:27], 0, v[20:21]
	flat_load_dwordx2 v[18:19], v[18:19]
	v_lshl_add_u64 v[22:23], v[24:25], 0, v[20:21]
	s_waitcnt vmcnt(0) lgkmcnt(0)
	v_mul_f64 v[18:19], v[18:19], s[10:11]
	v_cvt_f32_f64_e32 v7, v[18:19]
	v_min_f32_e32 v6, v7, v6
	v_cvt_f64_f32_e32 v[6:7], v6
	global_store_dwordx2 v[22:23], v[6:7], off
	v_lshl_add_u64 v[6:7], v[4:5], 3, v[26:27]
	flat_load_dwordx2 v[6:7], v[6:7]
	s_waitcnt vmcnt(0) lgkmcnt(0)
	v_mul_f64 v[22:23], v[6:7], s[10:11]
.LBB170_70:
	v_cvt_f32_f64_e32 v22, v[22:23]
	v_max_f32_e32 v23, v136, v136
	v_min_f32_e32 v22, v22, v23
	v_add_u32_e32 v18, 48, v8
	v_add_u32_e32 v6, 56, v8
	v_cvt_f64_f32_e32 v[22:23], v22
	v_lshl_add_u64 v[28:29], v[4:5], 3, v[24:25]
	v_ashrrev_i32_e32 v19, 31, v18
	v_ashrrev_i32_e32 v7, 31, v6
	global_store_dwordx2 v[28:29], v[22:23], off
	v_max_f32_e32 v28, v135, v135
	s_mov_b64 vcc, s[8:9]
	s_cbranch_vccz .LBB170_73
; %bb.71:
	v_min_f32_e32 v22, 0, v28
	v_cvt_f64_f32_e32 v[22:23], v22
	v_lshl_add_u64 v[32:33], v[18:19], 3, v[24:25]
	global_store_dwordx2 v[32:33], v[22:23], off
	s_mov_b64 s[2:3], 0
	v_lshlrev_b64 v[22:23], 3, v[18:19]
	s_cbranch_execz .LBB170_74
; %bb.72:
	v_mov_b64_e32 v[26:27], s[2:3]
	s_branch .LBB170_75
.LBB170_73:
                                        ; implicit-def: $sgpr2_sgpr3
	v_lshlrev_b64 v[22:23], 3, v[18:19]
.LBB170_74:
	v_lshl_add_u64 v[32:33], v[26:27], 0, v[22:23]
	flat_load_dwordx2 v[32:33], v[32:33]
	v_lshl_add_u64 v[34:35], v[24:25], 0, v[22:23]
	v_lshl_add_u64 v[26:27], v[6:7], 3, v[26:27]
	s_waitcnt vmcnt(0) lgkmcnt(0)
	v_mul_f64 v[32:33], v[32:33], s[10:11]
	v_cvt_f32_f64_e32 v29, v[32:33]
	v_min_f32_e32 v28, v29, v28
	v_cvt_f64_f32_e32 v[28:29], v28
	global_store_dwordx2 v[34:35], v[28:29], off
	flat_load_dwordx2 v[26:27], v[26:27]
	s_waitcnt vmcnt(0) lgkmcnt(0)
	v_mul_f64 v[26:27], v[26:27], s[10:11]
.LBB170_75:
	v_cvt_f32_f64_e32 v26, v[26:27]
	v_max_f32_e32 v27, v134, v134
	v_min_f32_e32 v26, v26, v27
	v_cvt_f64_f32_e32 v[26:27], v26
	v_lshl_add_u64 v[24:25], v[6:7], 3, v[24:25]
	global_store_dwordx2 v[24:25], v[26:27], off
	v_add_u32_e32 v26, 32, v30
	v_mad_i64_i32 v[24:25], s[2:3], v26, s7, 0
	v_lshl_add_u64 v[24:25], v[24:25], 3, s[0:1]
	v_mad_i64_i32 v[26:27], s[2:3], v26, s6, 0
	v_max_f32_e32 v28, v133, v133
	s_mov_b64 vcc, s[8:9]
	s_cbranch_vccz .LBB170_78
; %bb.76:
	v_min_f32_e32 v29, 0, v28
	v_cvt_f64_f32_e32 v[32:33], v29
	v_lshl_add_u64 v[34:35], v[8:9], 3, v[24:25]
	global_store_dwordx2 v[34:35], v[32:33], off
	s_mov_b64 s[2:3], 0
	v_lshl_add_u64 v[26:27], v[26:27], 3, s[18:19]
	s_cbranch_execz .LBB170_79
; %bb.77:
	v_mov_b64_e32 v[28:29], s[2:3]
	s_branch .LBB170_80
.LBB170_78:
                                        ; implicit-def: $sgpr2_sgpr3
	v_lshl_add_u64 v[26:27], v[26:27], 3, s[18:19]
.LBB170_79:
	v_lshl_add_u64 v[32:33], v[26:27], 0, v[12:13]
	flat_load_dwordx2 v[32:33], v[32:33]
	v_lshl_add_u64 v[34:35], v[24:25], 0, v[12:13]
	s_waitcnt vmcnt(0) lgkmcnt(0)
	v_mul_f64 v[32:33], v[32:33], s[10:11]
	v_cvt_f32_f64_e32 v29, v[32:33]
	v_min_f32_e32 v28, v29, v28
	v_cvt_f64_f32_e32 v[28:29], v28
	global_store_dwordx2 v[34:35], v[28:29], off
	v_lshl_add_u64 v[28:29], v[0:1], 3, v[26:27]
	flat_load_dwordx2 v[28:29], v[28:29]
	s_waitcnt vmcnt(0) lgkmcnt(0)
	v_mul_f64 v[28:29], v[28:29], s[10:11]
.LBB170_80:
	v_cvt_f32_f64_e32 v28, v[28:29]
	v_max_f32_e32 v29, v130, v130
	v_min_f32_e32 v28, v28, v29
	v_cvt_f64_f32_e32 v[28:29], v28
	v_lshl_add_u64 v[32:33], v[0:1], 3, v[24:25]
	global_store_dwordx2 v[32:33], v[28:29], off
	v_max_f32_e32 v28, v129, v129
	s_mov_b64 vcc, s[8:9]
	s_cbranch_vccz .LBB170_83
; %bb.81:
	v_min_f32_e32 v29, 0, v28
	v_cvt_f64_f32_e32 v[32:33], v29
	v_lshl_add_u64 v[34:35], v[10:11], 3, v[24:25]
	global_store_dwordx2 v[34:35], v[32:33], off
	s_mov_b64 s[2:3], 0
	s_cbranch_execz .LBB170_84
; %bb.82:
	v_mov_b64_e32 v[28:29], s[2:3]
	s_branch .LBB170_85
.LBB170_83:
                                        ; implicit-def: $sgpr2_sgpr3
.LBB170_84:
	v_lshl_add_u64 v[32:33], v[26:27], 0, v[16:17]
	flat_load_dwordx2 v[32:33], v[32:33]
	v_lshl_add_u64 v[34:35], v[24:25], 0, v[16:17]
	s_waitcnt vmcnt(0) lgkmcnt(0)
	v_mul_f64 v[32:33], v[32:33], s[10:11]
	v_cvt_f32_f64_e32 v29, v[32:33]
	v_min_f32_e32 v28, v29, v28
	v_cvt_f64_f32_e32 v[28:29], v28
	global_store_dwordx2 v[34:35], v[28:29], off
	v_lshl_add_u64 v[28:29], v[2:3], 3, v[26:27]
	flat_load_dwordx2 v[28:29], v[28:29]
	s_waitcnt vmcnt(0) lgkmcnt(0)
	v_mul_f64 v[28:29], v[28:29], s[10:11]
.LBB170_85:
	v_cvt_f32_f64_e32 v28, v[28:29]
	v_max_f32_e32 v29, v128, v128
	v_min_f32_e32 v28, v28, v29
	v_cvt_f64_f32_e32 v[28:29], v28
	v_lshl_add_u64 v[32:33], v[2:3], 3, v[24:25]
	global_store_dwordx2 v[32:33], v[28:29], off
	v_max_f32_e32 v28, v127, v127
	s_mov_b64 vcc, s[8:9]
	s_cbranch_vccz .LBB170_88
; %bb.86:
	v_min_f32_e32 v29, 0, v28
	v_cvt_f64_f32_e32 v[32:33], v29
	v_lshl_add_u64 v[34:35], v[14:15], 3, v[24:25]
	global_store_dwordx2 v[34:35], v[32:33], off
	s_mov_b64 s[2:3], 0
	s_cbranch_execz .LBB170_89
; %bb.87:
	v_mov_b64_e32 v[28:29], s[2:3]
	s_branch .LBB170_90
.LBB170_88:
                                        ; implicit-def: $sgpr2_sgpr3
.LBB170_89:
	v_lshl_add_u64 v[32:33], v[26:27], 0, v[20:21]
	flat_load_dwordx2 v[32:33], v[32:33]
	v_lshl_add_u64 v[34:35], v[24:25], 0, v[20:21]
	s_waitcnt vmcnt(0) lgkmcnt(0)
	v_mul_f64 v[32:33], v[32:33], s[10:11]
	v_cvt_f32_f64_e32 v29, v[32:33]
	v_min_f32_e32 v28, v29, v28
	v_cvt_f64_f32_e32 v[28:29], v28
	global_store_dwordx2 v[34:35], v[28:29], off
	v_lshl_add_u64 v[28:29], v[4:5], 3, v[26:27]
	flat_load_dwordx2 v[28:29], v[28:29]
	s_waitcnt vmcnt(0) lgkmcnt(0)
	v_mul_f64 v[28:29], v[28:29], s[10:11]
.LBB170_90:
	v_cvt_f32_f64_e32 v28, v[28:29]
	v_max_f32_e32 v29, v126, v126
	v_min_f32_e32 v28, v28, v29
	v_cvt_f64_f32_e32 v[28:29], v28
	v_lshl_add_u64 v[32:33], v[4:5], 3, v[24:25]
	global_store_dwordx2 v[32:33], v[28:29], off
	v_max_f32_e32 v28, v125, v125
	s_mov_b64 vcc, s[8:9]
	s_cbranch_vccz .LBB170_93
; %bb.91:
	v_min_f32_e32 v29, 0, v28
	v_cvt_f64_f32_e32 v[32:33], v29
	v_lshl_add_u64 v[34:35], v[18:19], 3, v[24:25]
	global_store_dwordx2 v[34:35], v[32:33], off
	s_mov_b64 s[2:3], 0
	s_cbranch_execz .LBB170_94
; %bb.92:
	v_mov_b64_e32 v[26:27], s[2:3]
	s_branch .LBB170_95
.LBB170_93:
                                        ; implicit-def: $sgpr2_sgpr3
.LBB170_94:
	v_lshl_add_u64 v[32:33], v[26:27], 0, v[22:23]
	flat_load_dwordx2 v[32:33], v[32:33]
	v_lshl_add_u64 v[34:35], v[24:25], 0, v[22:23]
	v_lshl_add_u64 v[26:27], v[6:7], 3, v[26:27]
	s_waitcnt vmcnt(0) lgkmcnt(0)
	v_mul_f64 v[32:33], v[32:33], s[10:11]
	v_cvt_f32_f64_e32 v29, v[32:33]
	v_min_f32_e32 v28, v29, v28
	v_cvt_f64_f32_e32 v[28:29], v28
	global_store_dwordx2 v[34:35], v[28:29], off
	flat_load_dwordx2 v[26:27], v[26:27]
	s_waitcnt vmcnt(0) lgkmcnt(0)
	v_mul_f64 v[26:27], v[26:27], s[10:11]
.LBB170_95:
	v_cvt_f32_f64_e32 v26, v[26:27]
	v_max_f32_e32 v27, v124, v124
	v_min_f32_e32 v26, v26, v27
	v_cvt_f64_f32_e32 v[26:27], v26
	v_lshl_add_u64 v[24:25], v[6:7], 3, v[24:25]
	global_store_dwordx2 v[24:25], v[26:27], off
	v_add_u32_e32 v26, 64, v30
	v_mad_i64_i32 v[24:25], s[2:3], v26, s7, 0
	v_lshl_add_u64 v[24:25], v[24:25], 3, s[0:1]
	v_mad_i64_i32 v[26:27], s[2:3], v26, s6, 0
	v_max_f32_e32 v28, v123, v123
	s_mov_b64 vcc, s[8:9]
	s_cbranch_vccz .LBB170_98
; %bb.96:
	v_min_f32_e32 v29, 0, v28
	v_cvt_f64_f32_e32 v[32:33], v29
	v_lshl_add_u64 v[34:35], v[8:9], 3, v[24:25]
	global_store_dwordx2 v[34:35], v[32:33], off
	s_mov_b64 s[2:3], 0
	v_lshl_add_u64 v[26:27], v[26:27], 3, s[18:19]
	s_cbranch_execz .LBB170_99
; %bb.97:
	v_mov_b64_e32 v[28:29], s[2:3]
	s_branch .LBB170_100
.LBB170_98:
                                        ; implicit-def: $sgpr2_sgpr3
	v_lshl_add_u64 v[26:27], v[26:27], 3, s[18:19]
.LBB170_99:
	v_lshl_add_u64 v[32:33], v[26:27], 0, v[12:13]
	flat_load_dwordx2 v[32:33], v[32:33]
	v_lshl_add_u64 v[34:35], v[24:25], 0, v[12:13]
	s_waitcnt vmcnt(0) lgkmcnt(0)
	v_mul_f64 v[32:33], v[32:33], s[10:11]
	v_cvt_f32_f64_e32 v29, v[32:33]
	v_min_f32_e32 v28, v29, v28
	v_cvt_f64_f32_e32 v[28:29], v28
	global_store_dwordx2 v[34:35], v[28:29], off
	v_lshl_add_u64 v[28:29], v[0:1], 3, v[26:27]
	flat_load_dwordx2 v[28:29], v[28:29]
	s_waitcnt vmcnt(0) lgkmcnt(0)
	v_mul_f64 v[28:29], v[28:29], s[10:11]
.LBB170_100:
	v_cvt_f32_f64_e32 v28, v[28:29]
	v_max_f32_e32 v29, v122, v122
	v_min_f32_e32 v28, v28, v29
	v_cvt_f64_f32_e32 v[28:29], v28
	v_lshl_add_u64 v[32:33], v[0:1], 3, v[24:25]
	global_store_dwordx2 v[32:33], v[28:29], off
	v_max_f32_e32 v28, v121, v121
	s_mov_b64 vcc, s[8:9]
	s_cbranch_vccz .LBB170_103
; %bb.101:
	v_min_f32_e32 v29, 0, v28
	v_cvt_f64_f32_e32 v[32:33], v29
	v_lshl_add_u64 v[34:35], v[10:11], 3, v[24:25]
	global_store_dwordx2 v[34:35], v[32:33], off
	s_mov_b64 s[2:3], 0
	s_cbranch_execz .LBB170_104
; %bb.102:
	v_mov_b64_e32 v[28:29], s[2:3]
	s_branch .LBB170_105
.LBB170_103:
                                        ; implicit-def: $sgpr2_sgpr3
.LBB170_104:
	v_lshl_add_u64 v[32:33], v[26:27], 0, v[16:17]
	flat_load_dwordx2 v[32:33], v[32:33]
	v_lshl_add_u64 v[34:35], v[24:25], 0, v[16:17]
	s_waitcnt vmcnt(0) lgkmcnt(0)
	v_mul_f64 v[32:33], v[32:33], s[10:11]
	v_cvt_f32_f64_e32 v29, v[32:33]
	v_min_f32_e32 v28, v29, v28
	v_cvt_f64_f32_e32 v[28:29], v28
	global_store_dwordx2 v[34:35], v[28:29], off
	v_lshl_add_u64 v[28:29], v[2:3], 3, v[26:27]
	flat_load_dwordx2 v[28:29], v[28:29]
	s_waitcnt vmcnt(0) lgkmcnt(0)
	v_mul_f64 v[28:29], v[28:29], s[10:11]
.LBB170_105:
	v_cvt_f32_f64_e32 v28, v[28:29]
	v_max_f32_e32 v29, v120, v120
	v_min_f32_e32 v28, v28, v29
	v_cvt_f64_f32_e32 v[28:29], v28
	v_lshl_add_u64 v[32:33], v[2:3], 3, v[24:25]
	global_store_dwordx2 v[32:33], v[28:29], off
	v_max_f32_e32 v28, v119, v119
	s_mov_b64 vcc, s[8:9]
	s_cbranch_vccz .LBB170_108
; %bb.106:
	v_min_f32_e32 v29, 0, v28
	v_cvt_f64_f32_e32 v[32:33], v29
	v_lshl_add_u64 v[34:35], v[14:15], 3, v[24:25]
	global_store_dwordx2 v[34:35], v[32:33], off
	s_mov_b64 s[2:3], 0
	s_cbranch_execz .LBB170_109
; %bb.107:
	v_mov_b64_e32 v[28:29], s[2:3]
	s_branch .LBB170_110
.LBB170_108:
                                        ; implicit-def: $sgpr2_sgpr3
.LBB170_109:
	v_lshl_add_u64 v[32:33], v[26:27], 0, v[20:21]
	flat_load_dwordx2 v[32:33], v[32:33]
	v_lshl_add_u64 v[34:35], v[24:25], 0, v[20:21]
	s_waitcnt vmcnt(0) lgkmcnt(0)
	v_mul_f64 v[32:33], v[32:33], s[10:11]
	v_cvt_f32_f64_e32 v29, v[32:33]
	v_min_f32_e32 v28, v29, v28
	v_cvt_f64_f32_e32 v[28:29], v28
	global_store_dwordx2 v[34:35], v[28:29], off
	v_lshl_add_u64 v[28:29], v[4:5], 3, v[26:27]
	flat_load_dwordx2 v[28:29], v[28:29]
	s_waitcnt vmcnt(0) lgkmcnt(0)
	v_mul_f64 v[28:29], v[28:29], s[10:11]
.LBB170_110:
	v_cvt_f32_f64_e32 v28, v[28:29]
	v_max_f32_e32 v29, v118, v118
	v_min_f32_e32 v28, v28, v29
	v_cvt_f64_f32_e32 v[28:29], v28
	v_lshl_add_u64 v[32:33], v[4:5], 3, v[24:25]
	global_store_dwordx2 v[32:33], v[28:29], off
	v_max_f32_e32 v28, v117, v117
	s_mov_b64 vcc, s[8:9]
	s_cbranch_vccz .LBB170_113
; %bb.111:
	v_min_f32_e32 v29, 0, v28
	v_cvt_f64_f32_e32 v[32:33], v29
	v_lshl_add_u64 v[34:35], v[18:19], 3, v[24:25]
	global_store_dwordx2 v[34:35], v[32:33], off
	s_mov_b64 s[2:3], 0
	s_cbranch_execz .LBB170_114
; %bb.112:
	v_mov_b64_e32 v[26:27], s[2:3]
	s_branch .LBB170_115
.LBB170_113:
                                        ; implicit-def: $sgpr2_sgpr3
.LBB170_114:
	v_lshl_add_u64 v[32:33], v[26:27], 0, v[22:23]
	flat_load_dwordx2 v[32:33], v[32:33]
	v_lshl_add_u64 v[34:35], v[24:25], 0, v[22:23]
	v_lshl_add_u64 v[26:27], v[6:7], 3, v[26:27]
	s_waitcnt vmcnt(0) lgkmcnt(0)
	v_mul_f64 v[32:33], v[32:33], s[10:11]
	v_cvt_f32_f64_e32 v29, v[32:33]
	v_min_f32_e32 v28, v29, v28
	v_cvt_f64_f32_e32 v[28:29], v28
	global_store_dwordx2 v[34:35], v[28:29], off
	flat_load_dwordx2 v[26:27], v[26:27]
	s_waitcnt vmcnt(0) lgkmcnt(0)
	v_mul_f64 v[26:27], v[26:27], s[10:11]
.LBB170_115:
	v_cvt_f32_f64_e32 v26, v[26:27]
	v_max_f32_e32 v27, v116, v116
	v_min_f32_e32 v26, v26, v27
	v_cvt_f64_f32_e32 v[26:27], v26
	v_lshl_add_u64 v[24:25], v[6:7], 3, v[24:25]
	global_store_dwordx2 v[24:25], v[26:27], off
	v_add_u32_e32 v26, 0x60, v30
	v_mad_i64_i32 v[24:25], s[2:3], v26, s7, 0
	v_lshl_add_u64 v[24:25], v[24:25], 3, s[0:1]
	v_mad_i64_i32 v[26:27], s[2:3], v26, s6, 0
	v_max_f32_e32 v28, v115, v115
	s_mov_b64 vcc, s[8:9]
	s_cbranch_vccz .LBB170_118
; %bb.116:
	v_min_f32_e32 v29, 0, v28
	v_cvt_f64_f32_e32 v[32:33], v29
	v_lshl_add_u64 v[34:35], v[8:9], 3, v[24:25]
	global_store_dwordx2 v[34:35], v[32:33], off
	s_mov_b64 s[2:3], 0
	v_lshl_add_u64 v[26:27], v[26:27], 3, s[18:19]
	s_cbranch_execz .LBB170_119
; %bb.117:
	v_mov_b64_e32 v[28:29], s[2:3]
	s_branch .LBB170_120
.LBB170_118:
                                        ; implicit-def: $sgpr2_sgpr3
	v_lshl_add_u64 v[26:27], v[26:27], 3, s[18:19]
.LBB170_119:
	v_lshl_add_u64 v[32:33], v[26:27], 0, v[12:13]
	flat_load_dwordx2 v[32:33], v[32:33]
	v_lshl_add_u64 v[34:35], v[24:25], 0, v[12:13]
	s_waitcnt vmcnt(0) lgkmcnt(0)
	v_mul_f64 v[32:33], v[32:33], s[10:11]
	v_cvt_f32_f64_e32 v29, v[32:33]
	v_min_f32_e32 v28, v29, v28
	v_cvt_f64_f32_e32 v[28:29], v28
	global_store_dwordx2 v[34:35], v[28:29], off
	v_lshl_add_u64 v[28:29], v[0:1], 3, v[26:27]
	flat_load_dwordx2 v[28:29], v[28:29]
	s_waitcnt vmcnt(0) lgkmcnt(0)
	v_mul_f64 v[28:29], v[28:29], s[10:11]
.LBB170_120:
	v_cvt_f32_f64_e32 v28, v[28:29]
	v_max_f32_e32 v29, v114, v114
	v_min_f32_e32 v28, v28, v29
	v_cvt_f64_f32_e32 v[28:29], v28
	v_lshl_add_u64 v[32:33], v[0:1], 3, v[24:25]
	global_store_dwordx2 v[32:33], v[28:29], off
	v_max_f32_e32 v28, v113, v113
	s_mov_b64 vcc, s[8:9]
	s_cbranch_vccz .LBB170_123
; %bb.121:
	v_min_f32_e32 v29, 0, v28
	v_cvt_f64_f32_e32 v[32:33], v29
	v_lshl_add_u64 v[34:35], v[10:11], 3, v[24:25]
	global_store_dwordx2 v[34:35], v[32:33], off
	s_mov_b64 s[2:3], 0
	s_cbranch_execz .LBB170_124
; %bb.122:
	v_mov_b64_e32 v[28:29], s[2:3]
	s_branch .LBB170_125
.LBB170_123:
                                        ; implicit-def: $sgpr2_sgpr3
.LBB170_124:
	v_lshl_add_u64 v[32:33], v[26:27], 0, v[16:17]
	flat_load_dwordx2 v[32:33], v[32:33]
	v_lshl_add_u64 v[34:35], v[24:25], 0, v[16:17]
	s_waitcnt vmcnt(0) lgkmcnt(0)
	v_mul_f64 v[32:33], v[32:33], s[10:11]
	v_cvt_f32_f64_e32 v29, v[32:33]
	v_min_f32_e32 v28, v29, v28
	v_cvt_f64_f32_e32 v[28:29], v28
	global_store_dwordx2 v[34:35], v[28:29], off
	v_lshl_add_u64 v[28:29], v[2:3], 3, v[26:27]
	flat_load_dwordx2 v[28:29], v[28:29]
	s_waitcnt vmcnt(0) lgkmcnt(0)
	v_mul_f64 v[28:29], v[28:29], s[10:11]
.LBB170_125:
	v_cvt_f32_f64_e32 v28, v[28:29]
	v_max_f32_e32 v29, v112, v112
	v_min_f32_e32 v28, v28, v29
	v_cvt_f64_f32_e32 v[28:29], v28
	v_lshl_add_u64 v[32:33], v[2:3], 3, v[24:25]
	global_store_dwordx2 v[32:33], v[28:29], off
	v_max_f32_e32 v28, v111, v111
	s_mov_b64 vcc, s[8:9]
	s_cbranch_vccz .LBB170_128
; %bb.126:
	v_min_f32_e32 v29, 0, v28
	v_cvt_f64_f32_e32 v[32:33], v29
	v_lshl_add_u64 v[34:35], v[14:15], 3, v[24:25]
	global_store_dwordx2 v[34:35], v[32:33], off
	s_mov_b64 s[2:3], 0
	s_cbranch_execz .LBB170_129
; %bb.127:
	v_mov_b64_e32 v[28:29], s[2:3]
	s_branch .LBB170_130
.LBB170_128:
                                        ; implicit-def: $sgpr2_sgpr3
.LBB170_129:
	v_lshl_add_u64 v[32:33], v[26:27], 0, v[20:21]
	flat_load_dwordx2 v[32:33], v[32:33]
	v_lshl_add_u64 v[34:35], v[24:25], 0, v[20:21]
	s_waitcnt vmcnt(0) lgkmcnt(0)
	v_mul_f64 v[32:33], v[32:33], s[10:11]
	v_cvt_f32_f64_e32 v29, v[32:33]
	v_min_f32_e32 v28, v29, v28
	v_cvt_f64_f32_e32 v[28:29], v28
	global_store_dwordx2 v[34:35], v[28:29], off
	v_lshl_add_u64 v[28:29], v[4:5], 3, v[26:27]
	flat_load_dwordx2 v[28:29], v[28:29]
	s_waitcnt vmcnt(0) lgkmcnt(0)
	v_mul_f64 v[28:29], v[28:29], s[10:11]
.LBB170_130:
	v_cvt_f32_f64_e32 v28, v[28:29]
	v_max_f32_e32 v29, v110, v110
	v_min_f32_e32 v28, v28, v29
	v_cvt_f64_f32_e32 v[28:29], v28
	v_lshl_add_u64 v[32:33], v[4:5], 3, v[24:25]
	global_store_dwordx2 v[32:33], v[28:29], off
	v_max_f32_e32 v28, v109, v109
	s_mov_b64 vcc, s[8:9]
	s_cbranch_vccz .LBB170_133
; %bb.131:
	v_min_f32_e32 v29, 0, v28
	v_cvt_f64_f32_e32 v[32:33], v29
	v_lshl_add_u64 v[34:35], v[18:19], 3, v[24:25]
	global_store_dwordx2 v[34:35], v[32:33], off
	s_mov_b64 s[2:3], 0
	s_cbranch_execz .LBB170_134
; %bb.132:
	v_mov_b64_e32 v[26:27], s[2:3]
	s_branch .LBB170_135
.LBB170_133:
                                        ; implicit-def: $sgpr2_sgpr3
.LBB170_134:
	v_lshl_add_u64 v[32:33], v[26:27], 0, v[22:23]
	flat_load_dwordx2 v[32:33], v[32:33]
	v_lshl_add_u64 v[34:35], v[24:25], 0, v[22:23]
	v_lshl_add_u64 v[26:27], v[6:7], 3, v[26:27]
	s_waitcnt vmcnt(0) lgkmcnt(0)
	v_mul_f64 v[32:33], v[32:33], s[10:11]
	v_cvt_f32_f64_e32 v29, v[32:33]
	v_min_f32_e32 v28, v29, v28
	v_cvt_f64_f32_e32 v[28:29], v28
	global_store_dwordx2 v[34:35], v[28:29], off
	flat_load_dwordx2 v[26:27], v[26:27]
	s_waitcnt vmcnt(0) lgkmcnt(0)
	v_mul_f64 v[26:27], v[26:27], s[10:11]
.LBB170_135:
	v_cvt_f32_f64_e32 v26, v[26:27]
	v_max_f32_e32 v27, v108, v108
	v_min_f32_e32 v26, v26, v27
	v_cvt_f64_f32_e32 v[26:27], v26
	v_lshl_add_u64 v[24:25], v[6:7], 3, v[24:25]
	global_store_dwordx2 v[24:25], v[26:27], off
	v_add_u32_e32 v26, 0x80, v30
	v_mad_i64_i32 v[24:25], s[2:3], v26, s7, 0
	v_lshl_add_u64 v[24:25], v[24:25], 3, s[0:1]
	v_mad_i64_i32 v[26:27], s[2:3], v26, s6, 0
	v_max_f32_e32 v28, v107, v107
	s_mov_b64 vcc, s[8:9]
	s_cbranch_vccz .LBB170_138
; %bb.136:
	v_min_f32_e32 v29, 0, v28
	v_cvt_f64_f32_e32 v[32:33], v29
	v_lshl_add_u64 v[34:35], v[8:9], 3, v[24:25]
	global_store_dwordx2 v[34:35], v[32:33], off
	s_mov_b64 s[2:3], 0
	v_lshl_add_u64 v[26:27], v[26:27], 3, s[18:19]
	s_cbranch_execz .LBB170_139
; %bb.137:
	v_mov_b64_e32 v[28:29], s[2:3]
	s_branch .LBB170_140
.LBB170_138:
                                        ; implicit-def: $sgpr2_sgpr3
	v_lshl_add_u64 v[26:27], v[26:27], 3, s[18:19]
.LBB170_139:
	v_lshl_add_u64 v[32:33], v[26:27], 0, v[12:13]
	flat_load_dwordx2 v[32:33], v[32:33]
	v_lshl_add_u64 v[34:35], v[24:25], 0, v[12:13]
	s_waitcnt vmcnt(0) lgkmcnt(0)
	v_mul_f64 v[32:33], v[32:33], s[10:11]
	v_cvt_f32_f64_e32 v29, v[32:33]
	v_min_f32_e32 v28, v29, v28
	v_cvt_f64_f32_e32 v[28:29], v28
	global_store_dwordx2 v[34:35], v[28:29], off
	v_lshl_add_u64 v[28:29], v[0:1], 3, v[26:27]
	flat_load_dwordx2 v[28:29], v[28:29]
	s_waitcnt vmcnt(0) lgkmcnt(0)
	v_mul_f64 v[28:29], v[28:29], s[10:11]
.LBB170_140:
	v_cvt_f32_f64_e32 v28, v[28:29]
	v_max_f32_e32 v29, v106, v106
	v_min_f32_e32 v28, v28, v29
	v_cvt_f64_f32_e32 v[28:29], v28
	v_lshl_add_u64 v[32:33], v[0:1], 3, v[24:25]
	global_store_dwordx2 v[32:33], v[28:29], off
	v_max_f32_e32 v28, v105, v105
	s_mov_b64 vcc, s[8:9]
	s_cbranch_vccz .LBB170_143
; %bb.141:
	v_min_f32_e32 v29, 0, v28
	v_cvt_f64_f32_e32 v[32:33], v29
	v_lshl_add_u64 v[34:35], v[10:11], 3, v[24:25]
	global_store_dwordx2 v[34:35], v[32:33], off
	s_mov_b64 s[2:3], 0
	s_cbranch_execz .LBB170_144
; %bb.142:
	v_mov_b64_e32 v[28:29], s[2:3]
	s_branch .LBB170_145
.LBB170_143:
                                        ; implicit-def: $sgpr2_sgpr3
.LBB170_144:
	v_lshl_add_u64 v[32:33], v[26:27], 0, v[16:17]
	flat_load_dwordx2 v[32:33], v[32:33]
	v_lshl_add_u64 v[34:35], v[24:25], 0, v[16:17]
	s_waitcnt vmcnt(0) lgkmcnt(0)
	v_mul_f64 v[32:33], v[32:33], s[10:11]
	v_cvt_f32_f64_e32 v29, v[32:33]
	v_min_f32_e32 v28, v29, v28
	v_cvt_f64_f32_e32 v[28:29], v28
	global_store_dwordx2 v[34:35], v[28:29], off
	v_lshl_add_u64 v[28:29], v[2:3], 3, v[26:27]
	flat_load_dwordx2 v[28:29], v[28:29]
	s_waitcnt vmcnt(0) lgkmcnt(0)
	v_mul_f64 v[28:29], v[28:29], s[10:11]
.LBB170_145:
	v_cvt_f32_f64_e32 v28, v[28:29]
	v_max_f32_e32 v29, v104, v104
	v_min_f32_e32 v28, v28, v29
	v_cvt_f64_f32_e32 v[28:29], v28
	v_lshl_add_u64 v[32:33], v[2:3], 3, v[24:25]
	global_store_dwordx2 v[32:33], v[28:29], off
	v_max_f32_e32 v28, v103, v103
	s_mov_b64 vcc, s[8:9]
	s_cbranch_vccz .LBB170_148
; %bb.146:
	v_min_f32_e32 v29, 0, v28
	v_cvt_f64_f32_e32 v[32:33], v29
	v_lshl_add_u64 v[34:35], v[14:15], 3, v[24:25]
	global_store_dwordx2 v[34:35], v[32:33], off
	s_mov_b64 s[2:3], 0
	s_cbranch_execz .LBB170_149
; %bb.147:
	v_mov_b64_e32 v[28:29], s[2:3]
	s_branch .LBB170_150
.LBB170_148:
                                        ; implicit-def: $sgpr2_sgpr3
.LBB170_149:
	v_lshl_add_u64 v[32:33], v[26:27], 0, v[20:21]
	flat_load_dwordx2 v[32:33], v[32:33]
	v_lshl_add_u64 v[34:35], v[24:25], 0, v[20:21]
	s_waitcnt vmcnt(0) lgkmcnt(0)
	v_mul_f64 v[32:33], v[32:33], s[10:11]
	v_cvt_f32_f64_e32 v29, v[32:33]
	v_min_f32_e32 v28, v29, v28
	v_cvt_f64_f32_e32 v[28:29], v28
	global_store_dwordx2 v[34:35], v[28:29], off
	v_lshl_add_u64 v[28:29], v[4:5], 3, v[26:27]
	flat_load_dwordx2 v[28:29], v[28:29]
	s_waitcnt vmcnt(0) lgkmcnt(0)
	v_mul_f64 v[28:29], v[28:29], s[10:11]
.LBB170_150:
	v_cvt_f32_f64_e32 v28, v[28:29]
	v_max_f32_e32 v29, v102, v102
	v_min_f32_e32 v28, v28, v29
	v_cvt_f64_f32_e32 v[28:29], v28
	v_lshl_add_u64 v[32:33], v[4:5], 3, v[24:25]
	global_store_dwordx2 v[32:33], v[28:29], off
	v_max_f32_e32 v28, v101, v101
	s_mov_b64 vcc, s[8:9]
	s_cbranch_vccz .LBB170_153
; %bb.151:
	v_min_f32_e32 v29, 0, v28
	v_cvt_f64_f32_e32 v[32:33], v29
	v_lshl_add_u64 v[34:35], v[18:19], 3, v[24:25]
	global_store_dwordx2 v[34:35], v[32:33], off
	s_mov_b64 s[2:3], 0
	s_cbranch_execz .LBB170_154
; %bb.152:
	v_mov_b64_e32 v[26:27], s[2:3]
	s_branch .LBB170_155
.LBB170_153:
                                        ; implicit-def: $sgpr2_sgpr3
.LBB170_154:
	v_lshl_add_u64 v[32:33], v[26:27], 0, v[22:23]
	flat_load_dwordx2 v[32:33], v[32:33]
	v_lshl_add_u64 v[34:35], v[24:25], 0, v[22:23]
	v_lshl_add_u64 v[26:27], v[6:7], 3, v[26:27]
	s_waitcnt vmcnt(0) lgkmcnt(0)
	v_mul_f64 v[32:33], v[32:33], s[10:11]
	v_cvt_f32_f64_e32 v29, v[32:33]
	v_min_f32_e32 v28, v29, v28
	v_cvt_f64_f32_e32 v[28:29], v28
	global_store_dwordx2 v[34:35], v[28:29], off
	flat_load_dwordx2 v[26:27], v[26:27]
	s_waitcnt vmcnt(0) lgkmcnt(0)
	v_mul_f64 v[26:27], v[26:27], s[10:11]
.LBB170_155:
	v_cvt_f32_f64_e32 v26, v[26:27]
	v_max_f32_e32 v27, v100, v100
	v_min_f32_e32 v26, v26, v27
	v_cvt_f64_f32_e32 v[26:27], v26
	v_lshl_add_u64 v[24:25], v[6:7], 3, v[24:25]
	global_store_dwordx2 v[24:25], v[26:27], off
	v_add_u32_e32 v26, 0xa0, v30
	v_mad_i64_i32 v[24:25], s[2:3], v26, s7, 0
	v_lshl_add_u64 v[24:25], v[24:25], 3, s[0:1]
	v_mad_i64_i32 v[26:27], s[2:3], v26, s6, 0
	v_max_f32_e32 v28, v99, v99
	s_mov_b64 vcc, s[8:9]
	s_cbranch_vccz .LBB170_158
; %bb.156:
	v_min_f32_e32 v29, 0, v28
	v_cvt_f64_f32_e32 v[32:33], v29
	v_lshl_add_u64 v[34:35], v[8:9], 3, v[24:25]
	global_store_dwordx2 v[34:35], v[32:33], off
	s_mov_b64 s[2:3], 0
	v_lshl_add_u64 v[26:27], v[26:27], 3, s[18:19]
	s_cbranch_execz .LBB170_159
; %bb.157:
	v_mov_b64_e32 v[28:29], s[2:3]
	s_branch .LBB170_160
.LBB170_158:
                                        ; implicit-def: $sgpr2_sgpr3
	v_lshl_add_u64 v[26:27], v[26:27], 3, s[18:19]
.LBB170_159:
	v_lshl_add_u64 v[32:33], v[26:27], 0, v[12:13]
	flat_load_dwordx2 v[32:33], v[32:33]
	v_lshl_add_u64 v[34:35], v[24:25], 0, v[12:13]
	s_waitcnt vmcnt(0) lgkmcnt(0)
	v_mul_f64 v[32:33], v[32:33], s[10:11]
	v_cvt_f32_f64_e32 v29, v[32:33]
	v_min_f32_e32 v28, v29, v28
	v_cvt_f64_f32_e32 v[28:29], v28
	global_store_dwordx2 v[34:35], v[28:29], off
	v_lshl_add_u64 v[28:29], v[0:1], 3, v[26:27]
	flat_load_dwordx2 v[28:29], v[28:29]
	s_waitcnt vmcnt(0) lgkmcnt(0)
	v_mul_f64 v[28:29], v[28:29], s[10:11]
.LBB170_160:
	v_cvt_f32_f64_e32 v28, v[28:29]
	v_max_f32_e32 v29, v98, v98
	v_min_f32_e32 v28, v28, v29
	v_cvt_f64_f32_e32 v[28:29], v28
	v_lshl_add_u64 v[32:33], v[0:1], 3, v[24:25]
	global_store_dwordx2 v[32:33], v[28:29], off
	v_max_f32_e32 v28, v97, v97
	s_mov_b64 vcc, s[8:9]
	s_cbranch_vccz .LBB170_163
; %bb.161:
	v_min_f32_e32 v29, 0, v28
	v_cvt_f64_f32_e32 v[32:33], v29
	v_lshl_add_u64 v[34:35], v[10:11], 3, v[24:25]
	s_mov_b32 s4, 0
	global_store_dwordx2 v[34:35], v[32:33], off
	s_cbranch_execz .LBB170_164
; %bb.162:
	v_mov_b32_e32 v28, s4
	s_branch .LBB170_165
.LBB170_163:
                                        ; implicit-def: $sgpr4
.LBB170_164:
	v_lshl_add_u64 v[32:33], v[26:27], 0, v[16:17]
	flat_load_dwordx2 v[32:33], v[32:33]
	v_lshl_add_u64 v[34:35], v[24:25], 0, v[16:17]
	s_waitcnt vmcnt(0) lgkmcnt(0)
	v_mul_f64 v[32:33], v[32:33], s[10:11]
	v_cvt_f32_f64_e32 v29, v[32:33]
	v_min_f32_e32 v28, v29, v28
	v_cvt_f64_f32_e32 v[28:29], v28
	global_store_dwordx2 v[34:35], v[28:29], off
	v_lshl_add_u64 v[28:29], v[2:3], 3, v[26:27]
	flat_load_dwordx2 v[28:29], v[28:29]
	s_waitcnt vmcnt(0) lgkmcnt(0)
	v_mul_f64 v[28:29], v[28:29], s[10:11]
	v_cvt_f32_f64_e32 v28, v[28:29]
.LBB170_165:
	v_max_f32_e32 v29, v96, v96
	v_max_f32_e32 v28, v28, v28
	v_min_f32_e32 v28, v28, v29
	v_cvt_f64_f32_e32 v[28:29], v28
	v_lshl_add_u64 v[32:33], v[2:3], 3, v[24:25]
	global_store_dwordx2 v[32:33], v[28:29], off
	v_max_f32_e32 v28, v95, v95
	s_mov_b64 vcc, s[8:9]
	s_cbranch_vccz .LBB170_168
; %bb.166:
	v_min_f32_e32 v29, 0, v28
	v_cvt_f64_f32_e32 v[32:33], v29
	v_lshl_add_u64 v[34:35], v[14:15], 3, v[24:25]
	s_mov_b32 s4, 0
	global_store_dwordx2 v[34:35], v[32:33], off
	s_cbranch_execz .LBB170_169
; %bb.167:
	v_mov_b32_e32 v28, s4
	s_branch .LBB170_170
.LBB170_168:
                                        ; implicit-def: $sgpr4
.LBB170_169:
	v_lshl_add_u64 v[32:33], v[26:27], 0, v[20:21]
	flat_load_dwordx2 v[32:33], v[32:33]
	v_lshl_add_u64 v[34:35], v[24:25], 0, v[20:21]
	s_waitcnt vmcnt(0) lgkmcnt(0)
	v_mul_f64 v[32:33], v[32:33], s[10:11]
	v_cvt_f32_f64_e32 v29, v[32:33]
	v_min_f32_e32 v28, v29, v28
	v_cvt_f64_f32_e32 v[28:29], v28
	global_store_dwordx2 v[34:35], v[28:29], off
	v_lshl_add_u64 v[28:29], v[4:5], 3, v[26:27]
	flat_load_dwordx2 v[28:29], v[28:29]
	s_waitcnt vmcnt(0) lgkmcnt(0)
	v_mul_f64 v[28:29], v[28:29], s[10:11]
	v_cvt_f32_f64_e32 v28, v[28:29]
.LBB170_170:
	v_max_f32_e32 v29, v94, v94
	v_max_f32_e32 v28, v28, v28
	v_min_f32_e32 v28, v28, v29
	v_cvt_f64_f32_e32 v[28:29], v28
	v_lshl_add_u64 v[32:33], v[4:5], 3, v[24:25]
	global_store_dwordx2 v[32:33], v[28:29], off
	v_max_f32_e32 v28, v93, v93
	s_mov_b64 vcc, s[8:9]
	s_cbranch_vccz .LBB170_173
; %bb.171:
	v_min_f32_e32 v29, 0, v28
	v_cvt_f64_f32_e32 v[32:33], v29
	v_lshl_add_u64 v[34:35], v[18:19], 3, v[24:25]
	s_mov_b32 s4, 0
	global_store_dwordx2 v[34:35], v[32:33], off
	s_cbranch_execz .LBB170_174
; %bb.172:
	v_mov_b32_e32 v26, s4
	s_branch .LBB170_175
.LBB170_173:
                                        ; implicit-def: $sgpr4
.LBB170_174:
	v_lshl_add_u64 v[32:33], v[26:27], 0, v[22:23]
	flat_load_dwordx2 v[32:33], v[32:33]
	v_lshl_add_u64 v[34:35], v[24:25], 0, v[22:23]
	v_lshl_add_u64 v[26:27], v[6:7], 3, v[26:27]
	s_waitcnt vmcnt(0) lgkmcnt(0)
	v_mul_f64 v[32:33], v[32:33], s[10:11]
	v_cvt_f32_f64_e32 v29, v[32:33]
	v_min_f32_e32 v28, v29, v28
	v_cvt_f64_f32_e32 v[28:29], v28
	global_store_dwordx2 v[34:35], v[28:29], off
	flat_load_dwordx2 v[26:27], v[26:27]
	s_waitcnt vmcnt(0) lgkmcnt(0)
	v_mul_f64 v[26:27], v[26:27], s[10:11]
	v_cvt_f32_f64_e32 v26, v[26:27]
.LBB170_175:
	v_max_f32_e32 v27, v92, v92
	v_max_f32_e32 v26, v26, v26
	v_min_f32_e32 v26, v26, v27
	v_cvt_f64_f32_e32 v[26:27], v26
	v_lshl_add_u64 v[24:25], v[6:7], 3, v[24:25]
	global_store_dwordx2 v[24:25], v[26:27], off
	v_add_u32_e32 v26, 0xc0, v30
	v_mad_i64_i32 v[24:25], s[2:3], v26, s7, 0
	v_lshl_add_u64 v[24:25], v[24:25], 3, s[0:1]
	v_mad_i64_i32 v[26:27], s[2:3], v26, s6, 0
	v_max_f32_e32 v28, v91, v91
	s_mov_b64 vcc, s[8:9]
	s_cbranch_vccz .LBB170_178
; %bb.176:
	v_min_f32_e32 v29, 0, v28
	v_cvt_f64_f32_e32 v[32:33], v29
	v_lshl_add_u64 v[34:35], v[8:9], 3, v[24:25]
	s_mov_b32 s4, 0
	global_store_dwordx2 v[34:35], v[32:33], off
	v_lshl_add_u64 v[26:27], v[26:27], 3, s[18:19]
	s_cbranch_execz .LBB170_179
; %bb.177:
	v_mov_b32_e32 v28, s4
	s_branch .LBB170_180
.LBB170_178:
                                        ; implicit-def: $sgpr4
	v_lshl_add_u64 v[26:27], v[26:27], 3, s[18:19]
.LBB170_179:
	v_lshl_add_u64 v[32:33], v[26:27], 0, v[12:13]
	flat_load_dwordx2 v[32:33], v[32:33]
	v_lshl_add_u64 v[34:35], v[24:25], 0, v[12:13]
	s_waitcnt vmcnt(0) lgkmcnt(0)
	v_mul_f64 v[32:33], v[32:33], s[10:11]
	v_cvt_f32_f64_e32 v29, v[32:33]
	v_min_f32_e32 v28, v29, v28
	v_cvt_f64_f32_e32 v[28:29], v28
	global_store_dwordx2 v[34:35], v[28:29], off
	v_lshl_add_u64 v[28:29], v[0:1], 3, v[26:27]
	flat_load_dwordx2 v[28:29], v[28:29]
	s_waitcnt vmcnt(0) lgkmcnt(0)
	v_mul_f64 v[28:29], v[28:29], s[10:11]
	v_cvt_f32_f64_e32 v28, v[28:29]
.LBB170_180:
	v_max_f32_e32 v29, v90, v90
	v_max_f32_e32 v28, v28, v28
	v_min_f32_e32 v28, v28, v29
	v_cvt_f64_f32_e32 v[28:29], v28
	v_lshl_add_u64 v[32:33], v[0:1], 3, v[24:25]
	global_store_dwordx2 v[32:33], v[28:29], off
	v_max_f32_e32 v28, v89, v89
	s_mov_b64 vcc, s[8:9]
	s_cbranch_vccz .LBB170_183
; %bb.181:
	v_min_f32_e32 v29, 0, v28
	v_cvt_f64_f32_e32 v[32:33], v29
	v_lshl_add_u64 v[34:35], v[10:11], 3, v[24:25]
	s_mov_b32 s4, 0
	global_store_dwordx2 v[34:35], v[32:33], off
	s_cbranch_execz .LBB170_184
; %bb.182:
	v_mov_b32_e32 v28, s4
	s_branch .LBB170_185
.LBB170_183:
                                        ; implicit-def: $sgpr4
.LBB170_184:
	v_lshl_add_u64 v[32:33], v[26:27], 0, v[16:17]
	flat_load_dwordx2 v[32:33], v[32:33]
	v_lshl_add_u64 v[34:35], v[24:25], 0, v[16:17]
	s_waitcnt vmcnt(0) lgkmcnt(0)
	v_mul_f64 v[32:33], v[32:33], s[10:11]
	v_cvt_f32_f64_e32 v29, v[32:33]
	v_min_f32_e32 v28, v29, v28
	v_cvt_f64_f32_e32 v[28:29], v28
	global_store_dwordx2 v[34:35], v[28:29], off
	v_lshl_add_u64 v[28:29], v[2:3], 3, v[26:27]
	flat_load_dwordx2 v[28:29], v[28:29]
	s_waitcnt vmcnt(0) lgkmcnt(0)
	v_mul_f64 v[28:29], v[28:29], s[10:11]
	v_cvt_f32_f64_e32 v28, v[28:29]
.LBB170_185:
	v_max_f32_e32 v29, v88, v88
	v_max_f32_e32 v28, v28, v28
	v_min_f32_e32 v28, v28, v29
	v_cvt_f64_f32_e32 v[28:29], v28
	v_lshl_add_u64 v[32:33], v[2:3], 3, v[24:25]
	global_store_dwordx2 v[32:33], v[28:29], off
	v_max_f32_e32 v28, v87, v87
	s_mov_b64 vcc, s[8:9]
	s_cbranch_vccz .LBB170_188
; %bb.186:
	v_min_f32_e32 v29, 0, v28
	v_cvt_f64_f32_e32 v[32:33], v29
	v_lshl_add_u64 v[34:35], v[14:15], 3, v[24:25]
	s_mov_b32 s4, 0
	global_store_dwordx2 v[34:35], v[32:33], off
	s_cbranch_execz .LBB170_189
; %bb.187:
	v_mov_b32_e32 v28, s4
	s_branch .LBB170_190
.LBB170_188:
                                        ; implicit-def: $sgpr4
.LBB170_189:
	v_lshl_add_u64 v[32:33], v[26:27], 0, v[20:21]
	flat_load_dwordx2 v[32:33], v[32:33]
	v_lshl_add_u64 v[34:35], v[24:25], 0, v[20:21]
	s_waitcnt vmcnt(0) lgkmcnt(0)
	v_mul_f64 v[32:33], v[32:33], s[10:11]
	v_cvt_f32_f64_e32 v29, v[32:33]
	v_min_f32_e32 v28, v29, v28
	v_cvt_f64_f32_e32 v[28:29], v28
	global_store_dwordx2 v[34:35], v[28:29], off
	v_lshl_add_u64 v[28:29], v[4:5], 3, v[26:27]
	flat_load_dwordx2 v[28:29], v[28:29]
	s_waitcnt vmcnt(0) lgkmcnt(0)
	v_mul_f64 v[28:29], v[28:29], s[10:11]
	v_cvt_f32_f64_e32 v28, v[28:29]
.LBB170_190:
	v_max_f32_e32 v29, v86, v86
	v_max_f32_e32 v28, v28, v28
	v_min_f32_e32 v28, v28, v29
	v_cvt_f64_f32_e32 v[28:29], v28
	v_lshl_add_u64 v[32:33], v[4:5], 3, v[24:25]
	global_store_dwordx2 v[32:33], v[28:29], off
	v_max_f32_e32 v28, v85, v85
	s_mov_b64 vcc, s[8:9]
	s_cbranch_vccz .LBB170_193
; %bb.191:
	v_min_f32_e32 v29, 0, v28
	v_cvt_f64_f32_e32 v[32:33], v29
	v_lshl_add_u64 v[34:35], v[18:19], 3, v[24:25]
	s_mov_b32 s4, 0
	global_store_dwordx2 v[34:35], v[32:33], off
	s_cbranch_execz .LBB170_194
; %bb.192:
	v_mov_b32_e32 v26, s4
	s_branch .LBB170_195
.LBB170_193:
                                        ; implicit-def: $sgpr4
.LBB170_194:
	v_lshl_add_u64 v[32:33], v[26:27], 0, v[22:23]
	flat_load_dwordx2 v[32:33], v[32:33]
	v_lshl_add_u64 v[34:35], v[24:25], 0, v[22:23]
	v_lshl_add_u64 v[26:27], v[6:7], 3, v[26:27]
	s_waitcnt vmcnt(0) lgkmcnt(0)
	v_mul_f64 v[32:33], v[32:33], s[10:11]
	v_cvt_f32_f64_e32 v29, v[32:33]
	v_min_f32_e32 v28, v29, v28
	v_cvt_f64_f32_e32 v[28:29], v28
	global_store_dwordx2 v[34:35], v[28:29], off
	flat_load_dwordx2 v[26:27], v[26:27]
	s_waitcnt vmcnt(0) lgkmcnt(0)
	v_mul_f64 v[26:27], v[26:27], s[10:11]
	v_cvt_f32_f64_e32 v26, v[26:27]
.LBB170_195:
	v_max_f32_e32 v27, v84, v84
	v_max_f32_e32 v26, v26, v26
	v_min_f32_e32 v26, v26, v27
	v_cvt_f64_f32_e32 v[26:27], v26
	v_lshl_add_u64 v[24:25], v[6:7], 3, v[24:25]
	global_store_dwordx2 v[24:25], v[26:27], off
	v_add_u32_e32 v26, 0xe0, v30
	v_mad_i64_i32 v[24:25], s[2:3], v26, s7, 0
	v_lshl_add_u64 v[24:25], v[24:25], 3, s[0:1]
	v_mad_i64_i32 v[26:27], s[0:1], v26, s6, 0
	v_max_f32_e32 v28, v83, v83
	s_mov_b64 vcc, s[8:9]
	s_cbranch_vccz .LBB170_198
; %bb.196:
	v_min_f32_e32 v29, 0, v28
	v_cvt_f64_f32_e32 v[30:31], v29
	v_lshl_add_u64 v[8:9], v[8:9], 3, v[24:25]
	s_mov_b32 s2, 0
	global_store_dwordx2 v[8:9], v[30:31], off
	v_lshl_add_u64 v[8:9], v[26:27], 3, s[18:19]
	s_cbranch_execz .LBB170_199
; %bb.197:
	v_mov_b32_e32 v12, s2
	s_branch .LBB170_200
.LBB170_198:
                                        ; implicit-def: $sgpr2
	v_lshl_add_u64 v[8:9], v[26:27], 3, s[18:19]
.LBB170_199:
	v_lshl_add_u64 v[26:27], v[8:9], 0, v[12:13]
	flat_load_dwordx2 v[26:27], v[26:27]
	v_lshl_add_u64 v[12:13], v[24:25], 0, v[12:13]
	s_waitcnt vmcnt(0) lgkmcnt(0)
	v_mul_f64 v[26:27], v[26:27], s[10:11]
	v_cvt_f32_f64_e32 v26, v[26:27]
	v_min_f32_e32 v26, v26, v28
	v_cvt_f64_f32_e32 v[26:27], v26
	global_store_dwordx2 v[12:13], v[26:27], off
	v_lshl_add_u64 v[12:13], v[0:1], 3, v[8:9]
	flat_load_dwordx2 v[12:13], v[12:13]
	s_waitcnt vmcnt(0) lgkmcnt(0)
	v_mul_f64 v[12:13], v[12:13], s[10:11]
	v_cvt_f32_f64_e32 v12, v[12:13]
.LBB170_200:
	v_max_f32_e32 v13, v82, v82
	v_max_f32_e32 v12, v12, v12
	v_min_f32_e32 v12, v12, v13
	v_cvt_f64_f32_e32 v[12:13], v12
	v_lshl_add_u64 v[0:1], v[0:1], 3, v[24:25]
	global_store_dwordx2 v[0:1], v[12:13], off
	v_max_f32_e32 v0, v81, v81
	s_mov_b64 vcc, s[8:9]
	s_cbranch_vccz .LBB170_203
; %bb.201:
	v_min_f32_e32 v1, 0, v0
	v_cvt_f64_f32_e32 v[12:13], v1
	v_lshl_add_u64 v[10:11], v[10:11], 3, v[24:25]
	s_mov_b32 s2, 0
	global_store_dwordx2 v[10:11], v[12:13], off
	s_cbranch_execz .LBB170_204
; %bb.202:
	v_mov_b32_e32 v0, s2
	s_branch .LBB170_205
.LBB170_203:
                                        ; implicit-def: $sgpr2
.LBB170_204:
	v_lshl_add_u64 v[10:11], v[8:9], 0, v[16:17]
	flat_load_dwordx2 v[10:11], v[10:11]
	v_lshl_add_u64 v[12:13], v[24:25], 0, v[16:17]
	s_waitcnt vmcnt(0) lgkmcnt(0)
	v_mul_f64 v[10:11], v[10:11], s[10:11]
	v_cvt_f32_f64_e32 v1, v[10:11]
	v_min_f32_e32 v0, v1, v0
	v_cvt_f64_f32_e32 v[0:1], v0
	global_store_dwordx2 v[12:13], v[0:1], off
	v_lshl_add_u64 v[0:1], v[2:3], 3, v[8:9]
	flat_load_dwordx2 v[0:1], v[0:1]
	s_waitcnt vmcnt(0) lgkmcnt(0)
	v_mul_f64 v[0:1], v[0:1], s[10:11]
	v_cvt_f32_f64_e32 v0, v[0:1]
.LBB170_205:
	v_max_f32_e32 v1, v80, v80
	v_max_f32_e32 v0, v0, v0
	v_min_f32_e32 v0, v0, v1
	v_cvt_f64_f32_e32 v[0:1], v0
	v_lshl_add_u64 v[2:3], v[2:3], 3, v[24:25]
	global_store_dwordx2 v[2:3], v[0:1], off
	v_max_f32_e32 v0, v79, v79
	s_mov_b64 vcc, s[8:9]
	s_cbranch_vccz .LBB170_208
; %bb.206:
	v_min_f32_e32 v1, 0, v0
	v_cvt_f64_f32_e32 v[2:3], v1
	v_lshl_add_u64 v[10:11], v[14:15], 3, v[24:25]
	s_mov_b32 s2, 0
	global_store_dwordx2 v[10:11], v[2:3], off
	s_cbranch_execz .LBB170_209
; %bb.207:
	v_mov_b32_e32 v0, s2
	s_branch .LBB170_210
.LBB170_208:
                                        ; implicit-def: $sgpr2
.LBB170_209:
	v_lshl_add_u64 v[2:3], v[8:9], 0, v[20:21]
	flat_load_dwordx2 v[2:3], v[2:3]
	v_lshl_add_u64 v[10:11], v[24:25], 0, v[20:21]
	s_waitcnt vmcnt(0) lgkmcnt(0)
	v_mul_f64 v[2:3], v[2:3], s[10:11]
	v_cvt_f32_f64_e32 v1, v[2:3]
	v_min_f32_e32 v0, v1, v0
	v_cvt_f64_f32_e32 v[0:1], v0
	global_store_dwordx2 v[10:11], v[0:1], off
	v_lshl_add_u64 v[0:1], v[4:5], 3, v[8:9]
	flat_load_dwordx2 v[0:1], v[0:1]
	s_waitcnt vmcnt(0) lgkmcnt(0)
	v_mul_f64 v[0:1], v[0:1], s[10:11]
	v_cvt_f32_f64_e32 v0, v[0:1]
.LBB170_210:
	;; [unrolled: 37-line block ×3, first 2 shown]
	v_max_f32_e32 v1, v61, v61
	v_max_f32_e32 v0, v0, v0
	v_min_f32_e32 v0, v0, v1
	v_cvt_f64_f32_e32 v[0:1], v0
	v_lshl_add_u64 v[2:3], v[6:7], 3, v[24:25]
	global_store_dwordx2 v[2:3], v[0:1], off
	s_endpgm
	.section	.rodata,"a",@progbits
	.p2align	6, 0x0
	.amdhsa_kernel _ZN12_GLOBAL__N_120geam_min_plus_kernelId15HIP_vector_typeIdLj2EEdLi8ELi32ELi64ELi256ELi4ELi64ELi4ELi64ELi4ELc78ELc84ELb0ELb0ELb1EdKddEEviiiT16_PT17_ilS6_ilS4_S6_ilPT18_ili26rocblas_geam_ex_operation_
		.amdhsa_group_segment_fixed_size 20480
		.amdhsa_private_segment_fixed_size 0
		.amdhsa_kernarg_size 136
		.amdhsa_user_sgpr_count 2
		.amdhsa_user_sgpr_dispatch_ptr 0
		.amdhsa_user_sgpr_queue_ptr 0
		.amdhsa_user_sgpr_kernarg_segment_ptr 1
		.amdhsa_user_sgpr_dispatch_id 0
		.amdhsa_user_sgpr_kernarg_preload_length 0
		.amdhsa_user_sgpr_kernarg_preload_offset 0
		.amdhsa_user_sgpr_private_segment_size 0
		.amdhsa_uses_dynamic_stack 0
		.amdhsa_enable_private_segment 0
		.amdhsa_system_sgpr_workgroup_id_x 1
		.amdhsa_system_sgpr_workgroup_id_y 0
		.amdhsa_system_sgpr_workgroup_id_z 1
		.amdhsa_system_sgpr_workgroup_info 0
		.amdhsa_system_vgpr_workitem_id 1
		.amdhsa_next_free_vgpr 154
		.amdhsa_next_free_sgpr 30
		.amdhsa_accum_offset 156
		.amdhsa_reserve_vcc 1
		.amdhsa_float_round_mode_32 0
		.amdhsa_float_round_mode_16_64 0
		.amdhsa_float_denorm_mode_32 3
		.amdhsa_float_denorm_mode_16_64 3
		.amdhsa_dx10_clamp 1
		.amdhsa_ieee_mode 1
		.amdhsa_fp16_overflow 0
		.amdhsa_tg_split 0
		.amdhsa_exception_fp_ieee_invalid_op 0
		.amdhsa_exception_fp_denorm_src 0
		.amdhsa_exception_fp_ieee_div_zero 0
		.amdhsa_exception_fp_ieee_overflow 0
		.amdhsa_exception_fp_ieee_underflow 0
		.amdhsa_exception_fp_ieee_inexact 0
		.amdhsa_exception_int_div_zero 0
	.end_amdhsa_kernel
	.section	.text._ZN12_GLOBAL__N_120geam_min_plus_kernelId15HIP_vector_typeIdLj2EEdLi8ELi32ELi64ELi256ELi4ELi64ELi4ELi64ELi4ELc78ELc84ELb0ELb0ELb1EdKddEEviiiT16_PT17_ilS6_ilS4_S6_ilPT18_ili26rocblas_geam_ex_operation_,"axG",@progbits,_ZN12_GLOBAL__N_120geam_min_plus_kernelId15HIP_vector_typeIdLj2EEdLi8ELi32ELi64ELi256ELi4ELi64ELi4ELi64ELi4ELc78ELc84ELb0ELb0ELb1EdKddEEviiiT16_PT17_ilS6_ilS4_S6_ilPT18_ili26rocblas_geam_ex_operation_,comdat
.Lfunc_end170:
	.size	_ZN12_GLOBAL__N_120geam_min_plus_kernelId15HIP_vector_typeIdLj2EEdLi8ELi32ELi64ELi256ELi4ELi64ELi4ELi64ELi4ELc78ELc84ELb0ELb0ELb1EdKddEEviiiT16_PT17_ilS6_ilS4_S6_ilPT18_ili26rocblas_geam_ex_operation_, .Lfunc_end170-_ZN12_GLOBAL__N_120geam_min_plus_kernelId15HIP_vector_typeIdLj2EEdLi8ELi32ELi64ELi256ELi4ELi64ELi4ELi64ELi4ELc78ELc84ELb0ELb0ELb1EdKddEEviiiT16_PT17_ilS6_ilS4_S6_ilPT18_ili26rocblas_geam_ex_operation_
                                        ; -- End function
	.section	.AMDGPU.csdata,"",@progbits
; Kernel info:
; codeLenInByte = 17220
; NumSgprs: 36
; NumVgprs: 154
; NumAgprs: 0
; TotalNumVgprs: 154
; ScratchSize: 0
; MemoryBound: 1
; FloatMode: 240
; IeeeMode: 1
; LDSByteSize: 20480 bytes/workgroup (compile time only)
; SGPRBlocks: 4
; VGPRBlocks: 19
; NumSGPRsForWavesPerEU: 36
; NumVGPRsForWavesPerEU: 154
; AccumOffset: 156
; Occupancy: 3
; WaveLimiterHint : 1
; COMPUTE_PGM_RSRC2:SCRATCH_EN: 0
; COMPUTE_PGM_RSRC2:USER_SGPR: 2
; COMPUTE_PGM_RSRC2:TRAP_HANDLER: 0
; COMPUTE_PGM_RSRC2:TGID_X_EN: 1
; COMPUTE_PGM_RSRC2:TGID_Y_EN: 0
; COMPUTE_PGM_RSRC2:TGID_Z_EN: 1
; COMPUTE_PGM_RSRC2:TIDIG_COMP_CNT: 1
; COMPUTE_PGM_RSRC3_GFX90A:ACCUM_OFFSET: 38
; COMPUTE_PGM_RSRC3_GFX90A:TG_SPLIT: 0
	.section	.text._ZN12_GLOBAL__N_120geam_min_plus_kernelId15HIP_vector_typeIdLj2EEdLi8ELi32ELi64ELi256ELi4ELi64ELi4ELi64ELi4ELc78ELc84ELb0ELb1ELb1EPKdS3_dEEviiiT16_PT17_ilS7_ilS5_S7_ilPT18_ili26rocblas_geam_ex_operation_,"axG",@progbits,_ZN12_GLOBAL__N_120geam_min_plus_kernelId15HIP_vector_typeIdLj2EEdLi8ELi32ELi64ELi256ELi4ELi64ELi4ELi64ELi4ELc78ELc84ELb0ELb1ELb1EPKdS3_dEEviiiT16_PT17_ilS7_ilS5_S7_ilPT18_ili26rocblas_geam_ex_operation_,comdat
	.globl	_ZN12_GLOBAL__N_120geam_min_plus_kernelId15HIP_vector_typeIdLj2EEdLi8ELi32ELi64ELi256ELi4ELi64ELi4ELi64ELi4ELc78ELc84ELb0ELb1ELb1EPKdS3_dEEviiiT16_PT17_ilS7_ilS5_S7_ilPT18_ili26rocblas_geam_ex_operation_ ; -- Begin function _ZN12_GLOBAL__N_120geam_min_plus_kernelId15HIP_vector_typeIdLj2EEdLi8ELi32ELi64ELi256ELi4ELi64ELi4ELi64ELi4ELc78ELc84ELb0ELb1ELb1EPKdS3_dEEviiiT16_PT17_ilS7_ilS5_S7_ilPT18_ili26rocblas_geam_ex_operation_
	.p2align	8
	.type	_ZN12_GLOBAL__N_120geam_min_plus_kernelId15HIP_vector_typeIdLj2EEdLi8ELi32ELi64ELi256ELi4ELi64ELi4ELi64ELi4ELc78ELc84ELb0ELb1ELb1EPKdS3_dEEviiiT16_PT17_ilS7_ilS5_S7_ilPT18_ili26rocblas_geam_ex_operation_,@function
_ZN12_GLOBAL__N_120geam_min_plus_kernelId15HIP_vector_typeIdLj2EEdLi8ELi32ELi64ELi256ELi4ELi64ELi4ELi64ELi4ELc78ELc84ELb0ELb1ELb1EPKdS3_dEEviiiT16_PT17_ilS7_ilS5_S7_ilPT18_ili26rocblas_geam_ex_operation_: ; @_ZN12_GLOBAL__N_120geam_min_plus_kernelId15HIP_vector_typeIdLj2EEdLi8ELi32ELi64ELi256ELi4ELi64ELi4ELi64ELi4ELc78ELc84ELb0ELb1ELb1EPKdS3_dEEviiiT16_PT17_ilS7_ilS5_S7_ilPT18_ili26rocblas_geam_ex_operation_
; %bb.0:
	s_load_dwordx4 s[12:15], s[0:1], 0x10
	s_load_dwordx4 s[4:7], s[0:1], 0x28
	s_mov_b32 s16, s3
	s_mov_b32 s17, 0
	s_lshl_b64 s[22:23], s[16:17], 3
	s_waitcnt lgkmcnt(0)
	s_add_u32 s12, s12, s22
	s_load_dwordx4 s[8:11], s[0:1], 0x40
	s_addc_u32 s13, s13, s23
	s_load_dwordx2 s[18:19], s[12:13], 0x0
	s_load_dwordx2 s[20:21], s[0:1], 0x50
	s_mov_b64 s[34:35], 0
	s_mov_b64 s[36:37], 0
	s_waitcnt lgkmcnt(0)
	s_add_u32 s10, s10, s22
	v_cmp_eq_f64_e64 s[30:31], s[18:19], 0
	s_addc_u32 s11, s11, s23
	v_cmp_neq_f64_e64 s[12:13], s[18:19], 0
	s_and_b64 vcc, exec, s[30:31]
	s_cbranch_vccnz .LBB171_2
; %bb.1:
	s_mul_i32 s3, s16, s5
	s_mul_hi_u32 s5, s16, s4
	s_add_i32 s5, s5, s3
	s_mul_i32 s4, s16, s4
	s_lshl_b64 s[4:5], s[4:5], 3
	s_add_u32 s36, s14, s4
	s_addc_u32 s37, s15, s5
.LBB171_2:
	s_load_dwordx2 s[24:25], s[10:11], 0x0
	s_andn2_b64 vcc, exec, s[12:13]
	s_cbranch_vccnz .LBB171_4
; %bb.3:
	s_mul_i32 s3, s16, s9
	s_mul_hi_u32 s4, s16, s8
	s_add_i32 s5, s4, s3
	s_mul_i32 s4, s16, s8
	s_lshl_b64 s[4:5], s[4:5], 3
	s_add_u32 s34, s6, s4
	s_addc_u32 s35, s7, s5
.LBB171_4:
	s_load_dwordx4 s[12:15], s[0:1], 0x60
	s_waitcnt lgkmcnt(0)
	v_cmp_eq_f64_e64 s[4:5], s[24:25], 0
	s_mov_b64 s[26:27], 0
	v_cmp_neq_f64_e64 s[28:29], s[24:25], 0
	s_and_b64 vcc, exec, s[4:5]
	s_cbranch_vccnz .LBB171_6
; %bb.5:
	s_mul_i32 s3, s16, s13
	s_mul_hi_u32 s4, s16, s12
	s_add_i32 s5, s4, s3
	s_mul_i32 s4, s16, s12
	s_lshl_b64 s[4:5], s[4:5], 3
	s_add_u32 s26, s20, s4
	s_addc_u32 s27, s21, s5
.LBB171_6:
	s_load_dwordx4 s[20:23], s[0:1], 0x0
	v_and_b32_e32 v126, 0x3ff, v0
	v_bfe_u32 v127, v0, 10, 10
	s_waitcnt lgkmcnt(0)
	s_load_dword s23, s[0:1], 0x20
	s_add_i32 s4, s20, -1
	s_ashr_i32 s3, s4, 31
	s_lshr_b32 s3, s3, 26
	s_add_i32 s3, s4, s3
	s_ashr_i32 s3, s3, 6
	s_add_i32 s5, s3, 1
	v_cvt_f32_u32_e32 v1, s5
	s_not_b32 s3, s3
	s_waitcnt lgkmcnt(0)
	s_ashr_i32 s40, s23, 31
	v_rcp_iflag_f32_e32 v0, v1
	v_lshl_add_u32 v1, v127, 3, v126
	v_and_b32_e32 v143, 63, v1
	v_lshrrev_b32_e32 v140, 6, v1
	v_mul_f32_e32 v0, 0x4f7ffffe, v0
	v_cvt_u32_f32_e32 v0, v0
	v_cmp_le_i32_e32 vcc, s22, v140
	v_readfirstlane_b32 s6, v0
	s_mul_i32 s3, s3, s6
	s_mul_hi_u32 s3, s6, s3
	s_add_i32 s6, s6, s3
	s_mul_hi_u32 s3, s2, s6
	s_mul_i32 s6, s3, s5
	s_sub_i32 s6, s2, s6
	s_add_i32 s7, s3, 1
	s_sub_i32 s8, s6, s5
	s_cmp_ge_u32 s6, s5
	s_cselect_b32 s3, s7, s3
	s_cselect_b32 s6, s8, s6
	s_add_i32 s7, s3, 1
	s_cmp_ge_u32 s6, s5
	s_cselect_b32 s8, s7, s3
	s_mul_i32 s3, s8, s5
	s_sub_i32 s2, s2, s3
	s_lshl_b32 s17, s2, 6
	v_or_b32_e32 v0, s17, v143
	v_cmp_le_i32_e64 s[2:3], s20, v0
	s_add_i32 s41, s22, -1
	v_min_i32_e32 v62, s4, v0
	s_or_b64 s[4:5], s[2:3], vcc
	v_min_i32_e32 v2, s41, v140
	s_or_b64 s[6:7], s[30:31], s[4:5]
	s_xor_b64 s[6:7], s[6:7], -1
	v_ashrrev_i32_e32 v3, 31, v2
	v_ashrrev_i32_e32 v63, 31, v62
                                        ; implicit-def: $vgpr0_vgpr1
	s_and_saveexec_b64 s[10:11], s[6:7]
	s_xor_b64 s[6:7], exec, s[10:11]
	s_cbranch_execz .LBB171_8
; %bb.7:
	v_mad_i64_i32 v[0:1], s[10:11], s23, v2, 0
	v_lshl_add_u64 v[0:1], v[0:1], 3, s[36:37]
	v_lshl_add_u64 v[0:1], v[62:63], 3, v[0:1]
	flat_load_dwordx2 v[0:1], v[0:1]
	s_waitcnt vmcnt(0) lgkmcnt(0)
	v_mul_f64 v[0:1], s[18:19], v[0:1]
.LBB171_8:
	s_andn2_saveexec_b64 s[6:7], s[6:7]
; %bb.9:
	v_mov_b32_e32 v0, 0x7fefffff
	v_cndmask_b32_e64 v1, 0, v0, s[4:5]
	v_cndmask_b32_e64 v0, 0, -1, s[4:5]
; %bb.10:
	s_or_b64 exec, exec, s[6:7]
	s_load_dword s42, s[0:1], 0x38
	s_lshl_b32 s33, s8, 8
	v_or_b32_e32 v60, s33, v143
	v_ashrrev_i32_e32 v61, 31, v60
	s_waitcnt lgkmcnt(0)
	s_ashr_i32 s43, s42, 31
	v_mul_lo_u32 v4, v3, s42
	v_mul_lo_u32 v5, v2, s43
	v_mad_u64_u32 v[2:3], s[4:5], v2, s42, 0
	v_cmp_le_i32_e64 s[4:5], s21, v60
	s_or_b64 s[6:7], s[4:5], vcc
	v_add3_u32 v3, v3, v5, v4
	v_mov_b32_e32 v4, 0x7fefffff
	s_or_b64 s[8:9], s[30:31], s[6:7]
	v_lshl_add_u64 v[10:11], v[2:3], 3, s[34:35]
	v_cndmask_b32_e64 v3, 0, v4, s[6:7]
	s_xor_b64 s[8:9], s[8:9], -1
	v_cndmask_b32_e64 v2, 0, -1, s[6:7]
	s_and_saveexec_b64 s[6:7], s[8:9]
	s_cbranch_execz .LBB171_12
; %bb.11:
	v_lshl_add_u64 v[2:3], v[60:61], 3, v[10:11]
	flat_load_dwordx2 v[2:3], v[2:3]
	s_waitcnt vmcnt(0) lgkmcnt(0)
	v_mul_f64 v[2:3], s[18:19], v[2:3]
.LBB171_12:
	s_or_b64 exec, exec, s[6:7]
	v_or_b32_e32 v5, 64, v60
	v_cmp_le_i32_e64 s[6:7], s21, v5
	s_or_b64 s[8:9], s[6:7], vcc
	s_or_b64 s[10:11], s[30:31], s[8:9]
	v_cndmask_b32_e64 v5, 0, v4, s[8:9]
	s_xor_b64 s[10:11], s[10:11], -1
	v_cndmask_b32_e64 v4, 0, -1, s[8:9]
	s_and_saveexec_b64 s[8:9], s[10:11]
	s_cbranch_execz .LBB171_14
; %bb.13:
	v_lshl_add_u64 v[4:5], v[60:61], 3, v[10:11]
	flat_load_dwordx2 v[4:5], v[4:5] offset:512
	s_waitcnt vmcnt(0) lgkmcnt(0)
	v_mul_f64 v[4:5], s[18:19], v[4:5]
.LBB171_14:
	s_or_b64 exec, exec, s[8:9]
	v_or_b32_e32 v6, 0x80, v60
	v_cmp_le_i32_e64 s[8:9], s21, v6
	s_or_b64 s[10:11], s[8:9], vcc
	v_mov_b32_e32 v8, 0x7fefffff
	s_or_b64 s[12:13], s[30:31], s[10:11]
	v_cndmask_b32_e64 v7, 0, v8, s[10:11]
	s_xor_b64 s[12:13], s[12:13], -1
	v_cndmask_b32_e64 v6, 0, -1, s[10:11]
	s_and_saveexec_b64 s[10:11], s[12:13]
	s_cbranch_execz .LBB171_16
; %bb.15:
	v_lshl_add_u64 v[6:7], v[60:61], 3, v[10:11]
	flat_load_dwordx2 v[6:7], v[6:7] offset:1024
	s_waitcnt vmcnt(0) lgkmcnt(0)
	v_mul_f64 v[6:7], s[18:19], v[6:7]
.LBB171_16:
	s_or_b64 exec, exec, s[10:11]
	v_or_b32_e32 v9, 0xc0, v60
	v_cmp_le_i32_e64 s[10:11], s21, v9
	s_or_b64 vcc, s[10:11], vcc
	s_or_b64 s[12:13], s[30:31], vcc
	v_cndmask_b32_e32 v9, 0, v8, vcc
	s_xor_b64 s[38:39], s[12:13], -1
	v_cndmask_b32_e64 v8, 0, -1, vcc
	s_and_saveexec_b64 s[12:13], s[38:39]
	s_cbranch_execz .LBB171_18
; %bb.17:
	v_lshl_add_u64 v[8:9], v[60:61], 3, v[10:11]
	flat_load_dwordx2 v[8:9], v[8:9] offset:1536
	s_waitcnt vmcnt(0) lgkmcnt(0)
	v_mul_f64 v[8:9], s[18:19], v[8:9]
.LBB171_18:
	s_or_b64 exec, exec, s[12:13]
	v_add_u32_e32 v10, 4, v140
	v_cmp_le_i32_e32 vcc, s22, v10
	s_or_b64 s[12:13], s[2:3], vcc
	v_min_i32_e32 v10, s41, v10
	s_or_b64 s[38:39], s[30:31], s[12:13]
	s_xor_b64 s[38:39], s[38:39], -1
	v_ashrrev_i32_e32 v11, 31, v10
                                        ; implicit-def: $vgpr64_vgpr65
	s_and_saveexec_b64 s[44:45], s[38:39]
	s_xor_b64 s[38:39], exec, s[44:45]
	s_cbranch_execz .LBB171_20
; %bb.19:
	v_mad_i64_i32 v[12:13], s[44:45], s23, v10, 0
	v_lshl_add_u64 v[12:13], v[12:13], 3, s[36:37]
	v_lshl_add_u64 v[12:13], v[62:63], 3, v[12:13]
	flat_load_dwordx2 v[12:13], v[12:13]
	s_waitcnt vmcnt(0) lgkmcnt(0)
	v_mul_f64 v[64:65], s[18:19], v[12:13]
.LBB171_20:
	s_andn2_saveexec_b64 s[38:39], s[38:39]
; %bb.21:
	v_mov_b32_e32 v12, 0x7fefffff
	v_cndmask_b32_e64 v65, 0, v12, s[12:13]
	v_cndmask_b32_e64 v64, 0, -1, s[12:13]
; %bb.22:
	s_or_b64 exec, exec, s[38:39]
	v_mul_lo_u32 v12, v11, s42
	v_mul_lo_u32 v13, v10, s43
	v_mad_u64_u32 v[10:11], s[12:13], v10, s42, 0
	s_or_b64 s[12:13], s[4:5], vcc
	v_add3_u32 v11, v11, v13, v12
	v_mov_b32_e32 v12, 0x7fefffff
	s_or_b64 s[38:39], s[30:31], s[12:13]
	v_lshl_add_u64 v[10:11], v[10:11], 3, s[34:35]
	v_cndmask_b32_e64 v67, 0, v12, s[12:13]
	s_xor_b64 s[38:39], s[38:39], -1
	v_cndmask_b32_e64 v66, 0, -1, s[12:13]
	s_and_saveexec_b64 s[12:13], s[38:39]
	s_cbranch_execz .LBB171_24
; %bb.23:
	v_lshl_add_u64 v[14:15], v[60:61], 3, v[10:11]
	flat_load_dwordx2 v[14:15], v[14:15]
	s_waitcnt vmcnt(0) lgkmcnt(0)
	v_mul_f64 v[66:67], s[18:19], v[14:15]
.LBB171_24:
	s_or_b64 exec, exec, s[12:13]
	s_or_b64 s[12:13], s[6:7], vcc
	s_or_b64 s[38:39], s[30:31], s[12:13]
	v_cndmask_b32_e64 v69, 0, v12, s[12:13]
	s_xor_b64 s[38:39], s[38:39], -1
	v_cndmask_b32_e64 v68, 0, -1, s[12:13]
	s_and_saveexec_b64 s[12:13], s[38:39]
	s_cbranch_execz .LBB171_26
; %bb.25:
	v_lshl_add_u64 v[12:13], v[60:61], 3, v[10:11]
	flat_load_dwordx2 v[12:13], v[12:13] offset:512
	s_waitcnt vmcnt(0) lgkmcnt(0)
	v_mul_f64 v[68:69], s[18:19], v[12:13]
.LBB171_26:
	s_or_b64 exec, exec, s[12:13]
	s_or_b64 s[12:13], s[8:9], vcc
	v_mov_b32_e32 v12, 0x7fefffff
	s_or_b64 s[38:39], s[30:31], s[12:13]
	v_cndmask_b32_e64 v71, 0, v12, s[12:13]
	s_xor_b64 s[38:39], s[38:39], -1
	v_cndmask_b32_e64 v70, 0, -1, s[12:13]
	s_and_saveexec_b64 s[12:13], s[38:39]
	s_cbranch_execz .LBB171_28
; %bb.27:
	v_lshl_add_u64 v[14:15], v[60:61], 3, v[10:11]
	flat_load_dwordx2 v[14:15], v[14:15] offset:1024
	s_waitcnt vmcnt(0) lgkmcnt(0)
	v_mul_f64 v[70:71], s[18:19], v[14:15]
.LBB171_28:
	s_or_b64 exec, exec, s[12:13]
	s_or_b64 vcc, s[10:11], vcc
	s_or_b64 s[12:13], s[30:31], vcc
	v_cndmask_b32_e32 v73, 0, v12, vcc
	s_xor_b64 s[44:45], s[12:13], -1
	s_mov_b32 s38, 0
	v_cndmask_b32_e64 v72, 0, -1, vcc
	s_and_saveexec_b64 s[12:13], s[44:45]
	s_cbranch_execz .LBB171_30
; %bb.29:
	v_lshl_add_u64 v[10:11], v[60:61], 3, v[10:11]
	flat_load_dwordx2 v[10:11], v[10:11] offset:1536
	s_waitcnt vmcnt(0) lgkmcnt(0)
	v_mul_f64 v[72:73], s[18:19], v[10:11]
.LBB171_30:
	s_or_b64 exec, exec, s[12:13]
	v_lshlrev_b32_e32 v10, 3, v140
	v_lshl_add_u32 v141, v143, 5, v10
	v_or_b32_e32 v142, 0x4000, v141
	s_mov_b64 s[12:13], -1
	v_mov_b32_e32 v74, 0x7f800000
	v_mov_b32_e32 v75, 0x7f800000
	;; [unrolled: 1-line block ×64, first 2 shown]
	ds_write_b64 v141, v[0:1] offset:16384
	ds_write2st64_b64 v141, v[2:3], v[4:5] offset1:4
	ds_write2st64_b64 v141, v[6:7], v[8:9] offset0:8 offset1:12
	s_waitcnt lgkmcnt(0)
	s_barrier
.LBB171_31:                             ; =>This Inner Loop Header: Depth=1
	v_cndmask_b32_e64 v0, 0, 1, s[12:13]
	s_lshl_b32 s12, s38, 3
	v_cmp_ne_u32_e32 vcc, 1, v0
	v_lshl_add_u32 v0, v126, 5, s12
	v_lshl_add_u32 v20, v127, 5, s12
	ds_read_b128 v[32:35], v0 offset:16384
	ds_read_b128 v[28:31], v0 offset:16640
	;; [unrolled: 1-line block ×8, first 2 shown]
	ds_read_b128 v[144:147], v20
	ds_read_b128 v[56:59], v20 offset:1024
	ds_read_b128 v[52:55], v20 offset:2048
	;; [unrolled: 1-line block ×7, first 2 shown]
	s_waitcnt lgkmcnt(7)
	v_add_f64 v[148:149], v[34:35], v[146:147]
	v_add_f64 v[150:151], v[32:33], v[144:145]
	v_cvt_f32_f64_e32 v150, v[150:151]
	v_cvt_f32_f64_e32 v148, v[148:149]
	v_min3_f32 v139, v150, v148, v139
	v_add_f64 v[148:149], v[30:31], v[146:147]
	v_add_f64 v[150:151], v[28:29], v[144:145]
	v_cvt_f32_f64_e32 v150, v[150:151]
	v_cvt_f32_f64_e32 v148, v[148:149]
	v_min3_f32 v138, v150, v148, v138
	v_add_f64 v[148:149], v[26:27], v[146:147]
	v_add_f64 v[150:151], v[24:25], v[144:145]
	v_cvt_f32_f64_e32 v150, v[150:151]
	v_cvt_f32_f64_e32 v148, v[148:149]
	v_min3_f32 v137, v150, v148, v137
	v_add_f64 v[148:149], v[18:19], v[146:147]
	v_add_f64 v[150:151], v[16:17], v[144:145]
	v_cvt_f32_f64_e32 v150, v[150:151]
	v_cvt_f32_f64_e32 v148, v[148:149]
	v_min3_f32 v136, v150, v148, v136
	v_add_f64 v[148:149], v[14:15], v[146:147]
	v_add_f64 v[150:151], v[12:13], v[144:145]
	v_cvt_f32_f64_e32 v150, v[150:151]
	v_cvt_f32_f64_e32 v148, v[148:149]
	v_min3_f32 v135, v150, v148, v135
	v_add_f64 v[148:149], v[10:11], v[146:147]
	v_add_f64 v[150:151], v[8:9], v[144:145]
	v_cvt_f32_f64_e32 v150, v[150:151]
	v_cvt_f32_f64_e32 v148, v[148:149]
	v_min3_f32 v134, v150, v148, v134
	v_add_f64 v[148:149], v[6:7], v[146:147]
	v_add_f64 v[150:151], v[4:5], v[144:145]
	v_add_f64 v[146:147], v[2:3], v[146:147]
	v_add_f64 v[144:145], v[0:1], v[144:145]
	v_cvt_f32_f64_e32 v144, v[144:145]
	v_cvt_f32_f64_e32 v145, v[146:147]
	v_min3_f32 v132, v144, v145, v132
	s_waitcnt lgkmcnt(6)
	v_add_f64 v[144:145], v[34:35], v[58:59]
	v_add_f64 v[146:147], v[32:33], v[56:57]
	v_cvt_f32_f64_e32 v146, v[146:147]
	v_cvt_f32_f64_e32 v144, v[144:145]
	v_min3_f32 v131, v146, v144, v131
	v_add_f64 v[144:145], v[30:31], v[58:59]
	v_add_f64 v[146:147], v[28:29], v[56:57]
	v_cvt_f32_f64_e32 v146, v[146:147]
	v_cvt_f32_f64_e32 v144, v[144:145]
	v_min3_f32 v130, v146, v144, v130
	v_add_f64 v[144:145], v[26:27], v[58:59]
	v_add_f64 v[146:147], v[24:25], v[56:57]
	v_cvt_f32_f64_e32 v146, v[146:147]
	v_cvt_f32_f64_e32 v144, v[144:145]
	v_min3_f32 v129, v146, v144, v129
	v_add_f64 v[144:145], v[18:19], v[58:59]
	v_add_f64 v[146:147], v[16:17], v[56:57]
	v_cvt_f32_f64_e32 v146, v[146:147]
	v_cvt_f32_f64_e32 v144, v[144:145]
	v_min3_f32 v128, v146, v144, v128
	v_add_f64 v[144:145], v[14:15], v[58:59]
	v_add_f64 v[146:147], v[12:13], v[56:57]
	v_cvt_f32_f64_e32 v146, v[146:147]
	v_cvt_f32_f64_e32 v144, v[144:145]
	v_min3_f32 v125, v146, v144, v125
	v_add_f64 v[144:145], v[10:11], v[58:59]
	v_add_f64 v[146:147], v[8:9], v[56:57]
	v_cvt_f32_f64_e32 v146, v[146:147]
	v_cvt_f32_f64_e32 v144, v[144:145]
	v_min3_f32 v124, v146, v144, v124
	v_add_f64 v[144:145], v[6:7], v[58:59]
	v_add_f64 v[146:147], v[4:5], v[56:57]
	v_add_f64 v[58:59], v[2:3], v[58:59]
	v_add_f64 v[56:57], v[0:1], v[56:57]
	v_cvt_f32_f64_e32 v56, v[56:57]
	v_cvt_f32_f64_e32 v57, v[58:59]
	v_min3_f32 v122, v56, v57, v122
	s_waitcnt lgkmcnt(5)
	v_add_f64 v[56:57], v[34:35], v[54:55]
	v_add_f64 v[58:59], v[32:33], v[52:53]
	v_cvt_f32_f64_e32 v58, v[58:59]
	v_cvt_f32_f64_e32 v56, v[56:57]
	v_min3_f32 v121, v58, v56, v121
	v_add_f64 v[56:57], v[30:31], v[54:55]
	v_add_f64 v[58:59], v[28:29], v[52:53]
	v_cvt_f32_f64_e32 v58, v[58:59]
	v_cvt_f32_f64_e32 v56, v[56:57]
	v_min3_f32 v120, v58, v56, v120
	v_add_f64 v[56:57], v[26:27], v[54:55]
	v_add_f64 v[58:59], v[24:25], v[52:53]
	v_cvt_f32_f64_e32 v58, v[58:59]
	v_cvt_f32_f64_e32 v56, v[56:57]
	v_min3_f32 v119, v58, v56, v119
	v_add_f64 v[56:57], v[18:19], v[54:55]
	v_add_f64 v[58:59], v[16:17], v[52:53]
	v_cvt_f32_f64_e32 v58, v[58:59]
	v_cvt_f32_f64_e32 v56, v[56:57]
	v_min3_f32 v118, v58, v56, v118
	v_add_f64 v[56:57], v[14:15], v[54:55]
	v_add_f64 v[58:59], v[12:13], v[52:53]
	v_cvt_f32_f64_e32 v58, v[58:59]
	v_cvt_f32_f64_e32 v56, v[56:57]
	v_min3_f32 v117, v58, v56, v117
	v_add_f64 v[56:57], v[10:11], v[54:55]
	v_add_f64 v[58:59], v[8:9], v[52:53]
	v_cvt_f32_f64_e32 v58, v[58:59]
	v_cvt_f32_f64_e32 v56, v[56:57]
	v_min3_f32 v116, v58, v56, v116
	v_add_f64 v[56:57], v[6:7], v[54:55]
	v_add_f64 v[58:59], v[4:5], v[52:53]
	v_add_f64 v[54:55], v[2:3], v[54:55]
	v_add_f64 v[52:53], v[0:1], v[52:53]
	v_cvt_f32_f64_e32 v52, v[52:53]
	v_cvt_f32_f64_e32 v53, v[54:55]
	v_min3_f32 v114, v52, v53, v114
	s_waitcnt lgkmcnt(4)
	v_add_f64 v[52:53], v[34:35], v[50:51]
	v_add_f64 v[54:55], v[32:33], v[48:49]
	v_cvt_f32_f64_e32 v54, v[54:55]
	v_cvt_f32_f64_e32 v52, v[52:53]
	v_min3_f32 v113, v54, v52, v113
	v_add_f64 v[52:53], v[30:31], v[50:51]
	v_add_f64 v[54:55], v[28:29], v[48:49]
	v_cvt_f32_f64_e32 v54, v[54:55]
	v_cvt_f32_f64_e32 v52, v[52:53]
	v_min3_f32 v112, v54, v52, v112
	v_add_f64 v[52:53], v[26:27], v[50:51]
	v_add_f64 v[54:55], v[24:25], v[48:49]
	v_cvt_f32_f64_e32 v54, v[54:55]
	v_cvt_f32_f64_e32 v52, v[52:53]
	v_min3_f32 v111, v54, v52, v111
	v_add_f64 v[52:53], v[18:19], v[50:51]
	v_add_f64 v[54:55], v[16:17], v[48:49]
	v_cvt_f32_f64_e32 v54, v[54:55]
	v_cvt_f32_f64_e32 v52, v[52:53]
	v_min3_f32 v110, v54, v52, v110
	v_add_f64 v[52:53], v[14:15], v[50:51]
	v_add_f64 v[54:55], v[12:13], v[48:49]
	v_cvt_f32_f64_e32 v54, v[54:55]
	v_cvt_f32_f64_e32 v52, v[52:53]
	v_min3_f32 v109, v54, v52, v109
	v_add_f64 v[52:53], v[10:11], v[50:51]
	v_add_f64 v[54:55], v[8:9], v[48:49]
	v_cvt_f32_f64_e32 v54, v[54:55]
	v_cvt_f32_f64_e32 v52, v[52:53]
	v_min3_f32 v108, v54, v52, v108
	v_add_f64 v[52:53], v[6:7], v[50:51]
	v_add_f64 v[54:55], v[4:5], v[48:49]
	v_add_f64 v[50:51], v[2:3], v[50:51]
	v_add_f64 v[48:49], v[0:1], v[48:49]
	v_cvt_f32_f64_e32 v48, v[48:49]
	v_cvt_f32_f64_e32 v49, v[50:51]
	v_min3_f32 v106, v48, v49, v106
	s_waitcnt lgkmcnt(3)
	v_add_f64 v[48:49], v[34:35], v[46:47]
	v_add_f64 v[50:51], v[32:33], v[44:45]
	v_cvt_f32_f64_e32 v50, v[50:51]
	v_cvt_f32_f64_e32 v48, v[48:49]
	v_min3_f32 v105, v50, v48, v105
	v_add_f64 v[48:49], v[30:31], v[46:47]
	v_add_f64 v[50:51], v[28:29], v[44:45]
	v_cvt_f32_f64_e32 v50, v[50:51]
	v_cvt_f32_f64_e32 v48, v[48:49]
	v_min3_f32 v104, v50, v48, v104
	v_add_f64 v[48:49], v[26:27], v[46:47]
	v_add_f64 v[50:51], v[24:25], v[44:45]
	v_cvt_f32_f64_e32 v50, v[50:51]
	v_cvt_f32_f64_e32 v48, v[48:49]
	v_min3_f32 v103, v50, v48, v103
	v_add_f64 v[48:49], v[18:19], v[46:47]
	v_add_f64 v[50:51], v[16:17], v[44:45]
	v_cvt_f32_f64_e32 v50, v[50:51]
	v_cvt_f32_f64_e32 v48, v[48:49]
	v_min3_f32 v102, v50, v48, v102
	v_add_f64 v[48:49], v[14:15], v[46:47]
	v_add_f64 v[50:51], v[12:13], v[44:45]
	v_cvt_f32_f64_e32 v50, v[50:51]
	v_cvt_f32_f64_e32 v48, v[48:49]
	v_min3_f32 v101, v50, v48, v101
	v_add_f64 v[48:49], v[10:11], v[46:47]
	v_add_f64 v[50:51], v[8:9], v[44:45]
	v_cvt_f32_f64_e32 v50, v[50:51]
	v_cvt_f32_f64_e32 v48, v[48:49]
	v_min3_f32 v100, v50, v48, v100
	v_add_f64 v[48:49], v[6:7], v[46:47]
	v_add_f64 v[50:51], v[4:5], v[44:45]
	v_add_f64 v[46:47], v[2:3], v[46:47]
	v_add_f64 v[44:45], v[0:1], v[44:45]
	v_cvt_f32_f64_e32 v44, v[44:45]
	v_cvt_f32_f64_e32 v45, v[46:47]
	v_min3_f32 v98, v44, v45, v98
	s_waitcnt lgkmcnt(2)
	v_add_f64 v[44:45], v[34:35], v[42:43]
	v_add_f64 v[46:47], v[32:33], v[40:41]
	v_cvt_f32_f64_e32 v46, v[46:47]
	v_cvt_f32_f64_e32 v44, v[44:45]
	v_min3_f32 v97, v46, v44, v97
	v_add_f64 v[44:45], v[30:31], v[42:43]
	v_add_f64 v[46:47], v[28:29], v[40:41]
	v_cvt_f32_f64_e32 v46, v[46:47]
	v_cvt_f32_f64_e32 v44, v[44:45]
	v_min3_f32 v96, v46, v44, v96
	v_add_f64 v[44:45], v[26:27], v[42:43]
	v_add_f64 v[46:47], v[24:25], v[40:41]
	v_cvt_f32_f64_e32 v46, v[46:47]
	v_cvt_f32_f64_e32 v44, v[44:45]
	v_min3_f32 v95, v46, v44, v95
	v_add_f64 v[44:45], v[18:19], v[42:43]
	v_add_f64 v[46:47], v[16:17], v[40:41]
	v_cvt_f32_f64_e32 v46, v[46:47]
	v_cvt_f32_f64_e32 v44, v[44:45]
	v_min3_f32 v94, v46, v44, v94
	v_add_f64 v[44:45], v[14:15], v[42:43]
	v_add_f64 v[46:47], v[12:13], v[40:41]
	v_cvt_f32_f64_e32 v46, v[46:47]
	v_cvt_f32_f64_e32 v44, v[44:45]
	v_min3_f32 v93, v46, v44, v93
	v_add_f64 v[44:45], v[10:11], v[42:43]
	v_add_f64 v[46:47], v[8:9], v[40:41]
	v_cvt_f32_f64_e32 v46, v[46:47]
	v_cvt_f32_f64_e32 v44, v[44:45]
	v_min3_f32 v92, v46, v44, v92
	v_add_f64 v[44:45], v[6:7], v[42:43]
	v_add_f64 v[46:47], v[4:5], v[40:41]
	v_add_f64 v[42:43], v[2:3], v[42:43]
	v_add_f64 v[40:41], v[0:1], v[40:41]
	v_cvt_f32_f64_e32 v40, v[40:41]
	v_cvt_f32_f64_e32 v41, v[42:43]
	v_min3_f32 v90, v40, v41, v90
	s_waitcnt lgkmcnt(1)
	v_add_f64 v[40:41], v[34:35], v[38:39]
	v_add_f64 v[42:43], v[32:33], v[36:37]
	v_cvt_f32_f64_e32 v42, v[42:43]
	v_cvt_f32_f64_e32 v40, v[40:41]
	v_min3_f32 v89, v42, v40, v89
	v_add_f64 v[40:41], v[30:31], v[38:39]
	v_add_f64 v[42:43], v[28:29], v[36:37]
	v_cvt_f32_f64_e32 v42, v[42:43]
	v_cvt_f32_f64_e32 v40, v[40:41]
	v_min3_f32 v88, v42, v40, v88
	;; [unrolled: 5-line block ×6, first 2 shown]
	v_add_f64 v[40:41], v[6:7], v[38:39]
	v_add_f64 v[42:43], v[4:5], v[36:37]
	;; [unrolled: 1-line block ×4, first 2 shown]
	s_waitcnt lgkmcnt(0)
	v_add_f64 v[34:35], v[34:35], v[22:23]
	v_add_f64 v[32:33], v[32:33], v[20:21]
	;; [unrolled: 1-line block ×16, first 2 shown]
	v_cvt_f32_f64_e32 v150, v[150:151]
	v_cvt_f32_f64_e32 v148, v[148:149]
	;; [unrolled: 1-line block ×32, first 2 shown]
	v_min3_f32 v133, v150, v148, v133
	v_min3_f32 v123, v146, v144, v123
	;; [unrolled: 1-line block ×16, first 2 shown]
	s_mov_b32 s38, 2
	s_mov_b64 s[12:13], 0
	s_cbranch_vccz .LBB171_31
; %bb.32:
	v_lshlrev_b32_e32 v0, 5, v143
	v_lshl_add_u32 v0, v140, 3, v0
	s_cmp_gt_i32 s22, 8
	s_mov_b32 s38, 8
	ds_write_b64 v0, v[64:65] offset:18432
	ds_write2st64_b64 v0, v[66:67], v[68:69] offset0:16 offset1:20
	ds_write2st64_b64 v0, v[70:71], v[72:73] offset0:24 offset1:28
	s_waitcnt lgkmcnt(0)
	s_barrier
	s_cbranch_scc0 .LBB171_59
; %bb.33:
	v_add_u32_e32 v143, 0x4800, v0
	v_or_b32_e32 v144, 0x2000, v0
	s_add_i32 s39, s22, -8
	v_lshl_add_u64 v[62:63], v[62:63], 3, s[36:37]
	s_mov_b32 s36, 0
	v_mov_b32_e32 v145, 0x7fefffff
.LBB171_34:                             ; =>This Loop Header: Depth=1
                                        ;     Child Loop BB171_45 Depth 2
                                        ;     Child Loop BB171_57 Depth 2
	v_add_u32_e32 v0, s38, v140
	v_cmp_le_i32_e32 vcc, s22, v0
	s_or_b64 s[12:13], s[2:3], vcc
	s_or_b64 s[44:45], s[30:31], s[12:13]
	v_cndmask_b32_e64 v65, 0, v145, s[12:13]
	s_xor_b64 s[44:45], s[44:45], -1
	v_cndmask_b32_e64 v64, 0, -1, s[12:13]
	s_and_saveexec_b64 s[12:13], s[44:45]
	s_cbranch_execz .LBB171_36
; %bb.35:                               ;   in Loop: Header=BB171_34 Depth=1
	v_mad_u64_u32 v[2:3], s[44:45], v0, s23, 0
	v_mov_b32_e32 v4, v3
	v_mad_u64_u32 v[4:5], s[44:45], v0, s40, v[4:5]
	v_mov_b32_e32 v3, v4
	v_lshl_add_u64 v[2:3], v[2:3], 3, v[62:63]
	flat_load_dwordx2 v[2:3], v[2:3]
	s_waitcnt vmcnt(0) lgkmcnt(0)
	v_mul_f64 v[64:65], s[18:19], v[2:3]
.LBB171_36:                             ;   in Loop: Header=BB171_34 Depth=1
	s_or_b64 exec, exec, s[12:13]
	v_min_i32_e32 v0, s41, v0
	v_mad_i64_i32 v[0:1], s[12:13], v0, s42, 0
	s_or_b64 s[12:13], s[4:5], vcc
	v_lshl_add_u64 v[0:1], v[0:1], 3, s[34:35]
	s_or_b64 s[44:45], s[30:31], s[12:13]
	v_cndmask_b32_e64 v67, 0, v145, s[12:13]
	s_xor_b64 s[44:45], s[44:45], -1
	v_cndmask_b32_e64 v66, 0, -1, s[12:13]
	v_lshl_add_u64 v[0:1], v[60:61], 3, v[0:1]
	s_and_saveexec_b64 s[12:13], s[44:45]
	s_cbranch_execz .LBB171_38
; %bb.37:                               ;   in Loop: Header=BB171_34 Depth=1
	flat_load_dwordx2 v[2:3], v[0:1]
	s_waitcnt vmcnt(0) lgkmcnt(0)
	v_mul_f64 v[66:67], s[18:19], v[2:3]
.LBB171_38:                             ;   in Loop: Header=BB171_34 Depth=1
	s_or_b64 exec, exec, s[12:13]
	s_or_b64 s[12:13], s[6:7], vcc
	s_or_b64 s[44:45], s[30:31], s[12:13]
	v_cndmask_b32_e64 v69, 0, v145, s[12:13]
	s_xor_b64 s[44:45], s[44:45], -1
	v_cndmask_b32_e64 v68, 0, -1, s[12:13]
	s_and_saveexec_b64 s[12:13], s[44:45]
	s_cbranch_execz .LBB171_40
; %bb.39:                               ;   in Loop: Header=BB171_34 Depth=1
	flat_load_dwordx2 v[2:3], v[0:1] offset:512
	s_waitcnt vmcnt(0) lgkmcnt(0)
	v_mul_f64 v[68:69], s[18:19], v[2:3]
.LBB171_40:                             ;   in Loop: Header=BB171_34 Depth=1
	s_or_b64 exec, exec, s[12:13]
	s_or_b64 s[12:13], s[8:9], vcc
	s_or_b64 s[44:45], s[30:31], s[12:13]
	v_cndmask_b32_e64 v71, 0, v145, s[12:13]
	s_xor_b64 s[44:45], s[44:45], -1
	v_cndmask_b32_e64 v70, 0, -1, s[12:13]
	s_and_saveexec_b64 s[12:13], s[44:45]
	s_cbranch_execz .LBB171_42
; %bb.41:                               ;   in Loop: Header=BB171_34 Depth=1
	flat_load_dwordx2 v[2:3], v[0:1] offset:1024
	s_waitcnt vmcnt(0) lgkmcnt(0)
	v_mul_f64 v[70:71], s[18:19], v[2:3]
.LBB171_42:                             ;   in Loop: Header=BB171_34 Depth=1
	s_or_b64 exec, exec, s[12:13]
	s_or_b64 vcc, s[10:11], vcc
	s_or_b64 s[12:13], s[30:31], vcc
	v_cndmask_b32_e32 v73, 0, v145, vcc
	s_xor_b64 s[44:45], s[12:13], -1
	v_cndmask_b32_e64 v72, 0, -1, vcc
	s_and_saveexec_b64 s[12:13], s[44:45]
	s_cbranch_execz .LBB171_44
; %bb.43:                               ;   in Loop: Header=BB171_34 Depth=1
	flat_load_dwordx2 v[0:1], v[0:1] offset:1536
	s_waitcnt vmcnt(0) lgkmcnt(0)
	v_mul_f64 v[72:73], s[18:19], v[0:1]
.LBB171_44:                             ;   in Loop: Header=BB171_34 Depth=1
	s_or_b64 exec, exec, s[12:13]
	s_mov_b32 s37, 0
	s_mov_b64 s[12:13], -1
.LBB171_45:                             ;   Parent Loop BB171_34 Depth=1
                                        ; =>  This Inner Loop Header: Depth=2
	v_cndmask_b32_e64 v0, 0, 1, s[12:13]
	s_lshl_b32 s12, s37, 3
	v_cmp_ne_u32_e32 vcc, 1, v0
	v_lshl_add_u32 v0, v126, 5, s12
	v_lshl_add_u32 v20, v127, 5, s12
	ds_read_b128 v[32:35], v0 offset:18432
	ds_read_b128 v[28:31], v0 offset:18688
	ds_read_b128 v[24:27], v0 offset:18944
	ds_read_b128 v[16:19], v0 offset:19200
	ds_read_b128 v[12:15], v0 offset:19456
	ds_read_b128 v[8:11], v0 offset:19712
	ds_read_b128 v[4:7], v0 offset:19968
	ds_read_b128 v[0:3], v0 offset:20224
	ds_read_b128 v[146:149], v20 offset:8192
	ds_read_b128 v[56:59], v20 offset:9216
	ds_read_b128 v[52:55], v20 offset:10240
	ds_read_b128 v[48:51], v20 offset:11264
	ds_read_b128 v[44:47], v20 offset:12288
	ds_read_b128 v[40:43], v20 offset:13312
	ds_read_b128 v[36:39], v20 offset:14336
	ds_read_b128 v[20:23], v20 offset:15360
	s_waitcnt lgkmcnt(7)
	v_add_f64 v[150:151], v[34:35], v[148:149]
	v_add_f64 v[152:153], v[32:33], v[146:147]
	v_cvt_f32_f64_e32 v152, v[152:153]
	v_cvt_f32_f64_e32 v150, v[150:151]
	v_min3_f32 v139, v152, v150, v139
	v_add_f64 v[150:151], v[30:31], v[148:149]
	v_add_f64 v[152:153], v[28:29], v[146:147]
	v_cvt_f32_f64_e32 v152, v[152:153]
	v_cvt_f32_f64_e32 v150, v[150:151]
	v_min3_f32 v138, v152, v150, v138
	v_add_f64 v[150:151], v[26:27], v[148:149]
	v_add_f64 v[152:153], v[24:25], v[146:147]
	v_cvt_f32_f64_e32 v152, v[152:153]
	v_cvt_f32_f64_e32 v150, v[150:151]
	v_min3_f32 v137, v152, v150, v137
	v_add_f64 v[150:151], v[18:19], v[148:149]
	v_add_f64 v[152:153], v[16:17], v[146:147]
	v_cvt_f32_f64_e32 v152, v[152:153]
	v_cvt_f32_f64_e32 v150, v[150:151]
	v_min3_f32 v136, v152, v150, v136
	v_add_f64 v[150:151], v[14:15], v[148:149]
	v_add_f64 v[152:153], v[12:13], v[146:147]
	v_cvt_f32_f64_e32 v152, v[152:153]
	v_cvt_f32_f64_e32 v150, v[150:151]
	v_min3_f32 v135, v152, v150, v135
	v_add_f64 v[150:151], v[10:11], v[148:149]
	v_add_f64 v[152:153], v[8:9], v[146:147]
	v_cvt_f32_f64_e32 v152, v[152:153]
	v_cvt_f32_f64_e32 v150, v[150:151]
	v_min3_f32 v134, v152, v150, v134
	v_add_f64 v[150:151], v[6:7], v[148:149]
	v_add_f64 v[152:153], v[4:5], v[146:147]
	v_add_f64 v[148:149], v[2:3], v[148:149]
	v_add_f64 v[146:147], v[0:1], v[146:147]
	v_cvt_f32_f64_e32 v146, v[146:147]
	v_cvt_f32_f64_e32 v147, v[148:149]
	v_min3_f32 v132, v146, v147, v132
	s_waitcnt lgkmcnt(6)
	v_add_f64 v[146:147], v[34:35], v[58:59]
	v_add_f64 v[148:149], v[32:33], v[56:57]
	v_cvt_f32_f64_e32 v148, v[148:149]
	v_cvt_f32_f64_e32 v146, v[146:147]
	v_min3_f32 v131, v148, v146, v131
	v_add_f64 v[146:147], v[30:31], v[58:59]
	v_add_f64 v[148:149], v[28:29], v[56:57]
	v_cvt_f32_f64_e32 v148, v[148:149]
	v_cvt_f32_f64_e32 v146, v[146:147]
	v_min3_f32 v130, v148, v146, v130
	v_add_f64 v[146:147], v[26:27], v[58:59]
	v_add_f64 v[148:149], v[24:25], v[56:57]
	v_cvt_f32_f64_e32 v148, v[148:149]
	v_cvt_f32_f64_e32 v146, v[146:147]
	v_min3_f32 v129, v148, v146, v129
	v_add_f64 v[146:147], v[18:19], v[58:59]
	v_add_f64 v[148:149], v[16:17], v[56:57]
	v_cvt_f32_f64_e32 v148, v[148:149]
	v_cvt_f32_f64_e32 v146, v[146:147]
	v_min3_f32 v128, v148, v146, v128
	v_add_f64 v[146:147], v[14:15], v[58:59]
	v_add_f64 v[148:149], v[12:13], v[56:57]
	v_cvt_f32_f64_e32 v148, v[148:149]
	v_cvt_f32_f64_e32 v146, v[146:147]
	v_min3_f32 v125, v148, v146, v125
	v_add_f64 v[146:147], v[10:11], v[58:59]
	v_add_f64 v[148:149], v[8:9], v[56:57]
	v_cvt_f32_f64_e32 v148, v[148:149]
	v_cvt_f32_f64_e32 v146, v[146:147]
	v_min3_f32 v124, v148, v146, v124
	v_add_f64 v[146:147], v[6:7], v[58:59]
	v_add_f64 v[148:149], v[4:5], v[56:57]
	v_add_f64 v[58:59], v[2:3], v[58:59]
	v_add_f64 v[56:57], v[0:1], v[56:57]
	v_cvt_f32_f64_e32 v56, v[56:57]
	v_cvt_f32_f64_e32 v57, v[58:59]
	v_min3_f32 v122, v56, v57, v122
	s_waitcnt lgkmcnt(5)
	v_add_f64 v[56:57], v[34:35], v[54:55]
	v_add_f64 v[58:59], v[32:33], v[52:53]
	v_cvt_f32_f64_e32 v58, v[58:59]
	v_cvt_f32_f64_e32 v56, v[56:57]
	v_min3_f32 v121, v58, v56, v121
	v_add_f64 v[56:57], v[30:31], v[54:55]
	v_add_f64 v[58:59], v[28:29], v[52:53]
	v_cvt_f32_f64_e32 v58, v[58:59]
	v_cvt_f32_f64_e32 v56, v[56:57]
	v_min3_f32 v120, v58, v56, v120
	v_add_f64 v[56:57], v[26:27], v[54:55]
	v_add_f64 v[58:59], v[24:25], v[52:53]
	v_cvt_f32_f64_e32 v58, v[58:59]
	v_cvt_f32_f64_e32 v56, v[56:57]
	v_min3_f32 v119, v58, v56, v119
	v_add_f64 v[56:57], v[18:19], v[54:55]
	v_add_f64 v[58:59], v[16:17], v[52:53]
	v_cvt_f32_f64_e32 v58, v[58:59]
	v_cvt_f32_f64_e32 v56, v[56:57]
	v_min3_f32 v118, v58, v56, v118
	v_add_f64 v[56:57], v[14:15], v[54:55]
	v_add_f64 v[58:59], v[12:13], v[52:53]
	v_cvt_f32_f64_e32 v58, v[58:59]
	v_cvt_f32_f64_e32 v56, v[56:57]
	v_min3_f32 v117, v58, v56, v117
	v_add_f64 v[56:57], v[10:11], v[54:55]
	v_add_f64 v[58:59], v[8:9], v[52:53]
	v_cvt_f32_f64_e32 v58, v[58:59]
	v_cvt_f32_f64_e32 v56, v[56:57]
	v_min3_f32 v116, v58, v56, v116
	v_add_f64 v[56:57], v[6:7], v[54:55]
	v_add_f64 v[58:59], v[4:5], v[52:53]
	v_add_f64 v[54:55], v[2:3], v[54:55]
	v_add_f64 v[52:53], v[0:1], v[52:53]
	v_cvt_f32_f64_e32 v52, v[52:53]
	v_cvt_f32_f64_e32 v53, v[54:55]
	v_min3_f32 v114, v52, v53, v114
	s_waitcnt lgkmcnt(4)
	v_add_f64 v[52:53], v[34:35], v[50:51]
	v_add_f64 v[54:55], v[32:33], v[48:49]
	v_cvt_f32_f64_e32 v54, v[54:55]
	v_cvt_f32_f64_e32 v52, v[52:53]
	v_min3_f32 v113, v54, v52, v113
	v_add_f64 v[52:53], v[30:31], v[50:51]
	v_add_f64 v[54:55], v[28:29], v[48:49]
	v_cvt_f32_f64_e32 v54, v[54:55]
	v_cvt_f32_f64_e32 v52, v[52:53]
	v_min3_f32 v112, v54, v52, v112
	v_add_f64 v[52:53], v[26:27], v[50:51]
	v_add_f64 v[54:55], v[24:25], v[48:49]
	v_cvt_f32_f64_e32 v54, v[54:55]
	v_cvt_f32_f64_e32 v52, v[52:53]
	v_min3_f32 v111, v54, v52, v111
	v_add_f64 v[52:53], v[18:19], v[50:51]
	v_add_f64 v[54:55], v[16:17], v[48:49]
	v_cvt_f32_f64_e32 v54, v[54:55]
	v_cvt_f32_f64_e32 v52, v[52:53]
	v_min3_f32 v110, v54, v52, v110
	v_add_f64 v[52:53], v[14:15], v[50:51]
	v_add_f64 v[54:55], v[12:13], v[48:49]
	v_cvt_f32_f64_e32 v54, v[54:55]
	v_cvt_f32_f64_e32 v52, v[52:53]
	v_min3_f32 v109, v54, v52, v109
	v_add_f64 v[52:53], v[10:11], v[50:51]
	v_add_f64 v[54:55], v[8:9], v[48:49]
	v_cvt_f32_f64_e32 v54, v[54:55]
	v_cvt_f32_f64_e32 v52, v[52:53]
	v_min3_f32 v108, v54, v52, v108
	v_add_f64 v[52:53], v[6:7], v[50:51]
	v_add_f64 v[54:55], v[4:5], v[48:49]
	v_add_f64 v[50:51], v[2:3], v[50:51]
	v_add_f64 v[48:49], v[0:1], v[48:49]
	v_cvt_f32_f64_e32 v48, v[48:49]
	v_cvt_f32_f64_e32 v49, v[50:51]
	v_min3_f32 v106, v48, v49, v106
	s_waitcnt lgkmcnt(3)
	v_add_f64 v[48:49], v[34:35], v[46:47]
	v_add_f64 v[50:51], v[32:33], v[44:45]
	v_cvt_f32_f64_e32 v50, v[50:51]
	v_cvt_f32_f64_e32 v48, v[48:49]
	v_min3_f32 v105, v50, v48, v105
	v_add_f64 v[48:49], v[30:31], v[46:47]
	v_add_f64 v[50:51], v[28:29], v[44:45]
	v_cvt_f32_f64_e32 v50, v[50:51]
	v_cvt_f32_f64_e32 v48, v[48:49]
	v_min3_f32 v104, v50, v48, v104
	v_add_f64 v[48:49], v[26:27], v[46:47]
	v_add_f64 v[50:51], v[24:25], v[44:45]
	v_cvt_f32_f64_e32 v50, v[50:51]
	v_cvt_f32_f64_e32 v48, v[48:49]
	v_min3_f32 v103, v50, v48, v103
	v_add_f64 v[48:49], v[18:19], v[46:47]
	v_add_f64 v[50:51], v[16:17], v[44:45]
	v_cvt_f32_f64_e32 v50, v[50:51]
	v_cvt_f32_f64_e32 v48, v[48:49]
	v_min3_f32 v102, v50, v48, v102
	v_add_f64 v[48:49], v[14:15], v[46:47]
	v_add_f64 v[50:51], v[12:13], v[44:45]
	v_cvt_f32_f64_e32 v50, v[50:51]
	v_cvt_f32_f64_e32 v48, v[48:49]
	v_min3_f32 v101, v50, v48, v101
	v_add_f64 v[48:49], v[10:11], v[46:47]
	v_add_f64 v[50:51], v[8:9], v[44:45]
	v_cvt_f32_f64_e32 v50, v[50:51]
	v_cvt_f32_f64_e32 v48, v[48:49]
	v_min3_f32 v100, v50, v48, v100
	v_add_f64 v[48:49], v[6:7], v[46:47]
	v_add_f64 v[50:51], v[4:5], v[44:45]
	v_add_f64 v[46:47], v[2:3], v[46:47]
	v_add_f64 v[44:45], v[0:1], v[44:45]
	v_cvt_f32_f64_e32 v44, v[44:45]
	v_cvt_f32_f64_e32 v45, v[46:47]
	v_min3_f32 v98, v44, v45, v98
	s_waitcnt lgkmcnt(2)
	v_add_f64 v[44:45], v[34:35], v[42:43]
	v_add_f64 v[46:47], v[32:33], v[40:41]
	v_cvt_f32_f64_e32 v46, v[46:47]
	v_cvt_f32_f64_e32 v44, v[44:45]
	v_min3_f32 v97, v46, v44, v97
	v_add_f64 v[44:45], v[30:31], v[42:43]
	v_add_f64 v[46:47], v[28:29], v[40:41]
	v_cvt_f32_f64_e32 v46, v[46:47]
	v_cvt_f32_f64_e32 v44, v[44:45]
	v_min3_f32 v96, v46, v44, v96
	v_add_f64 v[44:45], v[26:27], v[42:43]
	v_add_f64 v[46:47], v[24:25], v[40:41]
	v_cvt_f32_f64_e32 v46, v[46:47]
	v_cvt_f32_f64_e32 v44, v[44:45]
	v_min3_f32 v95, v46, v44, v95
	v_add_f64 v[44:45], v[18:19], v[42:43]
	v_add_f64 v[46:47], v[16:17], v[40:41]
	v_cvt_f32_f64_e32 v46, v[46:47]
	v_cvt_f32_f64_e32 v44, v[44:45]
	v_min3_f32 v94, v46, v44, v94
	v_add_f64 v[44:45], v[14:15], v[42:43]
	v_add_f64 v[46:47], v[12:13], v[40:41]
	v_cvt_f32_f64_e32 v46, v[46:47]
	v_cvt_f32_f64_e32 v44, v[44:45]
	v_min3_f32 v93, v46, v44, v93
	v_add_f64 v[44:45], v[10:11], v[42:43]
	v_add_f64 v[46:47], v[8:9], v[40:41]
	v_cvt_f32_f64_e32 v46, v[46:47]
	v_cvt_f32_f64_e32 v44, v[44:45]
	v_min3_f32 v92, v46, v44, v92
	v_add_f64 v[44:45], v[6:7], v[42:43]
	v_add_f64 v[46:47], v[4:5], v[40:41]
	v_add_f64 v[42:43], v[2:3], v[42:43]
	v_add_f64 v[40:41], v[0:1], v[40:41]
	v_cvt_f32_f64_e32 v40, v[40:41]
	v_cvt_f32_f64_e32 v41, v[42:43]
	v_min3_f32 v90, v40, v41, v90
	s_waitcnt lgkmcnt(1)
	v_add_f64 v[40:41], v[34:35], v[38:39]
	v_add_f64 v[42:43], v[32:33], v[36:37]
	v_cvt_f32_f64_e32 v42, v[42:43]
	v_cvt_f32_f64_e32 v40, v[40:41]
	v_min3_f32 v89, v42, v40, v89
	v_add_f64 v[40:41], v[30:31], v[38:39]
	v_add_f64 v[42:43], v[28:29], v[36:37]
	v_cvt_f32_f64_e32 v42, v[42:43]
	v_cvt_f32_f64_e32 v40, v[40:41]
	v_min3_f32 v88, v42, v40, v88
	;; [unrolled: 5-line block ×6, first 2 shown]
	v_add_f64 v[40:41], v[6:7], v[38:39]
	v_add_f64 v[42:43], v[4:5], v[36:37]
	;; [unrolled: 1-line block ×4, first 2 shown]
	s_waitcnt lgkmcnt(0)
	v_add_f64 v[34:35], v[34:35], v[22:23]
	v_add_f64 v[32:33], v[32:33], v[20:21]
	;; [unrolled: 1-line block ×16, first 2 shown]
	v_cvt_f32_f64_e32 v152, v[152:153]
	v_cvt_f32_f64_e32 v150, v[150:151]
	;; [unrolled: 1-line block ×32, first 2 shown]
	v_min3_f32 v133, v152, v150, v133
	v_min3_f32 v123, v148, v146, v123
	;; [unrolled: 1-line block ×16, first 2 shown]
	s_mov_b32 s37, 2
	s_mov_b64 s[12:13], 0
	s_cbranch_vccz .LBB171_45
; %bb.46:                               ;   in Loop: Header=BB171_34 Depth=1
	v_add3_u32 v0, v140, s38, 4
	v_cmp_le_i32_e32 vcc, s22, v0
	s_or_b64 s[12:13], s[2:3], vcc
	s_or_b64 s[44:45], s[30:31], s[12:13]
	ds_write_b64 v142, v[64:65]
	ds_write2st64_b64 v141, v[66:67], v[68:69] offset1:4
	ds_write2st64_b64 v141, v[70:71], v[72:73] offset0:8 offset1:12
	v_cndmask_b32_e64 v65, 0, v145, s[12:13]
	s_xor_b64 s[44:45], s[44:45], -1
	v_cndmask_b32_e64 v64, 0, -1, s[12:13]
	s_waitcnt lgkmcnt(0)
	s_barrier
	s_and_saveexec_b64 s[12:13], s[44:45]
	s_cbranch_execz .LBB171_48
; %bb.47:                               ;   in Loop: Header=BB171_34 Depth=1
	v_mad_u64_u32 v[2:3], s[44:45], v0, s23, 0
	v_mov_b32_e32 v4, v3
	v_mad_u64_u32 v[4:5], s[44:45], v0, s40, v[4:5]
	v_mov_b32_e32 v3, v4
	v_lshl_add_u64 v[2:3], v[2:3], 3, v[62:63]
	flat_load_dwordx2 v[2:3], v[2:3]
	s_waitcnt vmcnt(0) lgkmcnt(0)
	v_mul_f64 v[64:65], s[18:19], v[2:3]
.LBB171_48:                             ;   in Loop: Header=BB171_34 Depth=1
	s_or_b64 exec, exec, s[12:13]
	v_min_i32_e32 v0, s41, v0
	v_mad_i64_i32 v[0:1], s[12:13], v0, s42, 0
	s_or_b64 s[12:13], s[4:5], vcc
	v_lshl_add_u64 v[0:1], v[0:1], 3, s[34:35]
	s_or_b64 s[44:45], s[30:31], s[12:13]
	v_cndmask_b32_e64 v67, 0, v145, s[12:13]
	s_xor_b64 s[44:45], s[44:45], -1
	v_cndmask_b32_e64 v66, 0, -1, s[12:13]
	v_lshl_add_u64 v[0:1], v[60:61], 3, v[0:1]
	s_and_saveexec_b64 s[12:13], s[44:45]
	s_cbranch_execz .LBB171_50
; %bb.49:                               ;   in Loop: Header=BB171_34 Depth=1
	flat_load_dwordx2 v[2:3], v[0:1]
	s_waitcnt vmcnt(0) lgkmcnt(0)
	v_mul_f64 v[66:67], s[18:19], v[2:3]
.LBB171_50:                             ;   in Loop: Header=BB171_34 Depth=1
	s_or_b64 exec, exec, s[12:13]
	s_or_b64 s[12:13], s[6:7], vcc
	s_or_b64 s[44:45], s[30:31], s[12:13]
	v_cndmask_b32_e64 v69, 0, v145, s[12:13]
	s_xor_b64 s[44:45], s[44:45], -1
	v_cndmask_b32_e64 v68, 0, -1, s[12:13]
	s_and_saveexec_b64 s[12:13], s[44:45]
	s_cbranch_execz .LBB171_52
; %bb.51:                               ;   in Loop: Header=BB171_34 Depth=1
	flat_load_dwordx2 v[2:3], v[0:1] offset:512
	s_waitcnt vmcnt(0) lgkmcnt(0)
	v_mul_f64 v[68:69], s[18:19], v[2:3]
.LBB171_52:                             ;   in Loop: Header=BB171_34 Depth=1
	s_or_b64 exec, exec, s[12:13]
	s_or_b64 s[12:13], s[8:9], vcc
	s_or_b64 s[44:45], s[30:31], s[12:13]
	v_cndmask_b32_e64 v71, 0, v145, s[12:13]
	s_xor_b64 s[44:45], s[44:45], -1
	v_cndmask_b32_e64 v70, 0, -1, s[12:13]
	s_and_saveexec_b64 s[12:13], s[44:45]
	s_cbranch_execz .LBB171_54
; %bb.53:                               ;   in Loop: Header=BB171_34 Depth=1
	flat_load_dwordx2 v[2:3], v[0:1] offset:1024
	s_waitcnt vmcnt(0) lgkmcnt(0)
	v_mul_f64 v[70:71], s[18:19], v[2:3]
.LBB171_54:                             ;   in Loop: Header=BB171_34 Depth=1
	s_or_b64 exec, exec, s[12:13]
	s_or_b64 vcc, s[10:11], vcc
	s_or_b64 s[12:13], s[30:31], vcc
	v_cndmask_b32_e32 v73, 0, v145, vcc
	s_xor_b64 s[44:45], s[12:13], -1
	v_cndmask_b32_e64 v72, 0, -1, vcc
	s_and_saveexec_b64 s[12:13], s[44:45]
	s_cbranch_execz .LBB171_56
; %bb.55:                               ;   in Loop: Header=BB171_34 Depth=1
	flat_load_dwordx2 v[0:1], v[0:1] offset:1536
	s_waitcnt vmcnt(0) lgkmcnt(0)
	v_mul_f64 v[72:73], s[18:19], v[0:1]
.LBB171_56:                             ;   in Loop: Header=BB171_34 Depth=1
	s_or_b64 exec, exec, s[12:13]
	s_mov_b32 s37, 0
	s_mov_b64 s[12:13], -1
.LBB171_57:                             ;   Parent Loop BB171_34 Depth=1
                                        ; =>  This Inner Loop Header: Depth=2
	v_cndmask_b32_e64 v0, 0, 1, s[12:13]
	s_lshl_b32 s12, s37, 3
	v_cmp_ne_u32_e32 vcc, 1, v0
	v_lshl_add_u32 v0, v126, 5, s12
	v_lshl_add_u32 v20, v127, 5, s12
	ds_read_b128 v[32:35], v0 offset:16384
	ds_read_b128 v[28:31], v0 offset:16640
	ds_read_b128 v[24:27], v0 offset:16896
	ds_read_b128 v[16:19], v0 offset:17152
	ds_read_b128 v[12:15], v0 offset:17408
	ds_read_b128 v[8:11], v0 offset:17664
	ds_read_b128 v[4:7], v0 offset:17920
	ds_read_b128 v[0:3], v0 offset:18176
	ds_read_b128 v[146:149], v20
	ds_read_b128 v[56:59], v20 offset:1024
	ds_read_b128 v[52:55], v20 offset:2048
	;; [unrolled: 1-line block ×7, first 2 shown]
	s_waitcnt lgkmcnt(7)
	v_add_f64 v[150:151], v[34:35], v[148:149]
	v_add_f64 v[152:153], v[32:33], v[146:147]
	v_cvt_f32_f64_e32 v152, v[152:153]
	v_cvt_f32_f64_e32 v150, v[150:151]
	v_min3_f32 v139, v152, v150, v139
	v_add_f64 v[150:151], v[30:31], v[148:149]
	v_add_f64 v[152:153], v[28:29], v[146:147]
	v_cvt_f32_f64_e32 v152, v[152:153]
	v_cvt_f32_f64_e32 v150, v[150:151]
	v_min3_f32 v138, v152, v150, v138
	v_add_f64 v[150:151], v[26:27], v[148:149]
	v_add_f64 v[152:153], v[24:25], v[146:147]
	v_cvt_f32_f64_e32 v152, v[152:153]
	v_cvt_f32_f64_e32 v150, v[150:151]
	v_min3_f32 v137, v152, v150, v137
	v_add_f64 v[150:151], v[18:19], v[148:149]
	v_add_f64 v[152:153], v[16:17], v[146:147]
	v_cvt_f32_f64_e32 v152, v[152:153]
	v_cvt_f32_f64_e32 v150, v[150:151]
	v_min3_f32 v136, v152, v150, v136
	v_add_f64 v[150:151], v[14:15], v[148:149]
	v_add_f64 v[152:153], v[12:13], v[146:147]
	v_cvt_f32_f64_e32 v152, v[152:153]
	v_cvt_f32_f64_e32 v150, v[150:151]
	v_min3_f32 v135, v152, v150, v135
	v_add_f64 v[150:151], v[10:11], v[148:149]
	v_add_f64 v[152:153], v[8:9], v[146:147]
	v_cvt_f32_f64_e32 v152, v[152:153]
	v_cvt_f32_f64_e32 v150, v[150:151]
	v_min3_f32 v134, v152, v150, v134
	v_add_f64 v[150:151], v[6:7], v[148:149]
	v_add_f64 v[152:153], v[4:5], v[146:147]
	v_add_f64 v[148:149], v[2:3], v[148:149]
	v_add_f64 v[146:147], v[0:1], v[146:147]
	v_cvt_f32_f64_e32 v146, v[146:147]
	v_cvt_f32_f64_e32 v147, v[148:149]
	v_min3_f32 v132, v146, v147, v132
	s_waitcnt lgkmcnt(6)
	v_add_f64 v[146:147], v[34:35], v[58:59]
	v_add_f64 v[148:149], v[32:33], v[56:57]
	v_cvt_f32_f64_e32 v148, v[148:149]
	v_cvt_f32_f64_e32 v146, v[146:147]
	v_min3_f32 v131, v148, v146, v131
	v_add_f64 v[146:147], v[30:31], v[58:59]
	v_add_f64 v[148:149], v[28:29], v[56:57]
	v_cvt_f32_f64_e32 v148, v[148:149]
	v_cvt_f32_f64_e32 v146, v[146:147]
	v_min3_f32 v130, v148, v146, v130
	v_add_f64 v[146:147], v[26:27], v[58:59]
	v_add_f64 v[148:149], v[24:25], v[56:57]
	v_cvt_f32_f64_e32 v148, v[148:149]
	v_cvt_f32_f64_e32 v146, v[146:147]
	v_min3_f32 v129, v148, v146, v129
	v_add_f64 v[146:147], v[18:19], v[58:59]
	v_add_f64 v[148:149], v[16:17], v[56:57]
	v_cvt_f32_f64_e32 v148, v[148:149]
	v_cvt_f32_f64_e32 v146, v[146:147]
	v_min3_f32 v128, v148, v146, v128
	v_add_f64 v[146:147], v[14:15], v[58:59]
	v_add_f64 v[148:149], v[12:13], v[56:57]
	v_cvt_f32_f64_e32 v148, v[148:149]
	v_cvt_f32_f64_e32 v146, v[146:147]
	v_min3_f32 v125, v148, v146, v125
	v_add_f64 v[146:147], v[10:11], v[58:59]
	v_add_f64 v[148:149], v[8:9], v[56:57]
	v_cvt_f32_f64_e32 v148, v[148:149]
	v_cvt_f32_f64_e32 v146, v[146:147]
	v_min3_f32 v124, v148, v146, v124
	v_add_f64 v[146:147], v[6:7], v[58:59]
	v_add_f64 v[148:149], v[4:5], v[56:57]
	v_add_f64 v[58:59], v[2:3], v[58:59]
	v_add_f64 v[56:57], v[0:1], v[56:57]
	v_cvt_f32_f64_e32 v56, v[56:57]
	v_cvt_f32_f64_e32 v57, v[58:59]
	v_min3_f32 v122, v56, v57, v122
	;; [unrolled: 38-line block ×6, first 2 shown]
	s_waitcnt lgkmcnt(1)
	v_add_f64 v[40:41], v[34:35], v[38:39]
	v_add_f64 v[42:43], v[32:33], v[36:37]
	v_cvt_f32_f64_e32 v42, v[42:43]
	v_cvt_f32_f64_e32 v40, v[40:41]
	v_min3_f32 v89, v42, v40, v89
	v_add_f64 v[40:41], v[30:31], v[38:39]
	v_add_f64 v[42:43], v[28:29], v[36:37]
	v_cvt_f32_f64_e32 v42, v[42:43]
	v_cvt_f32_f64_e32 v40, v[40:41]
	v_min3_f32 v88, v42, v40, v88
	;; [unrolled: 5-line block ×6, first 2 shown]
	v_add_f64 v[40:41], v[6:7], v[38:39]
	v_add_f64 v[42:43], v[4:5], v[36:37]
	;; [unrolled: 1-line block ×4, first 2 shown]
	s_waitcnt lgkmcnt(0)
	v_add_f64 v[34:35], v[34:35], v[22:23]
	v_add_f64 v[32:33], v[32:33], v[20:21]
	;; [unrolled: 1-line block ×16, first 2 shown]
	v_cvt_f32_f64_e32 v152, v[152:153]
	v_cvt_f32_f64_e32 v150, v[150:151]
	;; [unrolled: 1-line block ×32, first 2 shown]
	v_min3_f32 v133, v152, v150, v133
	v_min3_f32 v123, v148, v146, v123
	;; [unrolled: 1-line block ×16, first 2 shown]
	s_mov_b32 s37, 2
	s_mov_b64 s[12:13], 0
	s_cbranch_vccz .LBB171_57
; %bb.58:                               ;   in Loop: Header=BB171_34 Depth=1
	s_add_i32 s38, s38, 8
	s_add_i32 s36, s36, 8
	s_cmp_ge_i32 s36, s39
	ds_write_b64 v143, v[64:65]
	ds_write2st64_b64 v144, v[66:67], v[68:69] offset1:4
	ds_write2st64_b64 v144, v[70:71], v[72:73] offset0:8 offset1:12
	s_waitcnt lgkmcnt(0)
	s_barrier
	s_cbranch_scc0 .LBB171_34
.LBB171_59:
	s_mov_b32 s4, 0
	s_mov_b64 s[2:3], -1
.LBB171_60:                             ; =>This Inner Loop Header: Depth=1
	v_cndmask_b32_e64 v0, 0, 1, s[2:3]
	s_lshl_b32 s2, s4, 3
	v_cmp_ne_u32_e32 vcc, 1, v0
	v_lshl_add_u32 v0, v126, 5, s2
	v_lshl_add_u32 v20, v127, 5, s2
	ds_read_b128 v[32:35], v0 offset:18432
	ds_read_b128 v[28:31], v0 offset:18688
	;; [unrolled: 1-line block ×16, first 2 shown]
	s_waitcnt lgkmcnt(7)
	v_add_f64 v[64:65], v[34:35], v[62:63]
	v_add_f64 v[66:67], v[32:33], v[60:61]
	v_cvt_f32_f64_e32 v66, v[66:67]
	v_cvt_f32_f64_e32 v64, v[64:65]
	v_min3_f32 v139, v66, v64, v139
	v_add_f64 v[64:65], v[30:31], v[62:63]
	v_add_f64 v[66:67], v[28:29], v[60:61]
	v_cvt_f32_f64_e32 v66, v[66:67]
	v_cvt_f32_f64_e32 v64, v[64:65]
	v_min3_f32 v138, v66, v64, v138
	v_add_f64 v[64:65], v[26:27], v[62:63]
	v_add_f64 v[66:67], v[24:25], v[60:61]
	v_cvt_f32_f64_e32 v66, v[66:67]
	v_cvt_f32_f64_e32 v64, v[64:65]
	v_min3_f32 v137, v66, v64, v137
	v_add_f64 v[64:65], v[18:19], v[62:63]
	v_add_f64 v[66:67], v[16:17], v[60:61]
	v_cvt_f32_f64_e32 v66, v[66:67]
	v_cvt_f32_f64_e32 v64, v[64:65]
	v_min3_f32 v136, v66, v64, v136
	v_add_f64 v[64:65], v[14:15], v[62:63]
	v_add_f64 v[66:67], v[12:13], v[60:61]
	v_cvt_f32_f64_e32 v66, v[66:67]
	v_cvt_f32_f64_e32 v64, v[64:65]
	v_min3_f32 v135, v66, v64, v135
	v_add_f64 v[64:65], v[10:11], v[62:63]
	v_add_f64 v[66:67], v[8:9], v[60:61]
	v_cvt_f32_f64_e32 v66, v[66:67]
	v_cvt_f32_f64_e32 v64, v[64:65]
	v_min3_f32 v134, v66, v64, v134
	v_add_f64 v[64:65], v[6:7], v[62:63]
	v_add_f64 v[66:67], v[4:5], v[60:61]
	v_add_f64 v[62:63], v[2:3], v[62:63]
	v_add_f64 v[60:61], v[0:1], v[60:61]
	v_cvt_f32_f64_e32 v60, v[60:61]
	v_cvt_f32_f64_e32 v61, v[62:63]
	v_min3_f32 v132, v60, v61, v132
	s_waitcnt lgkmcnt(6)
	v_add_f64 v[60:61], v[34:35], v[58:59]
	v_add_f64 v[62:63], v[32:33], v[56:57]
	v_cvt_f32_f64_e32 v62, v[62:63]
	v_cvt_f32_f64_e32 v60, v[60:61]
	v_min3_f32 v131, v62, v60, v131
	v_add_f64 v[60:61], v[30:31], v[58:59]
	v_add_f64 v[62:63], v[28:29], v[56:57]
	v_cvt_f32_f64_e32 v62, v[62:63]
	v_cvt_f32_f64_e32 v60, v[60:61]
	v_min3_f32 v130, v62, v60, v130
	v_add_f64 v[60:61], v[26:27], v[58:59]
	v_add_f64 v[62:63], v[24:25], v[56:57]
	v_cvt_f32_f64_e32 v62, v[62:63]
	v_cvt_f32_f64_e32 v60, v[60:61]
	v_min3_f32 v129, v62, v60, v129
	v_add_f64 v[60:61], v[18:19], v[58:59]
	v_add_f64 v[62:63], v[16:17], v[56:57]
	v_cvt_f32_f64_e32 v62, v[62:63]
	v_cvt_f32_f64_e32 v60, v[60:61]
	v_min3_f32 v128, v62, v60, v128
	v_add_f64 v[60:61], v[14:15], v[58:59]
	v_add_f64 v[62:63], v[12:13], v[56:57]
	v_cvt_f32_f64_e32 v62, v[62:63]
	v_cvt_f32_f64_e32 v60, v[60:61]
	v_min3_f32 v125, v62, v60, v125
	v_add_f64 v[60:61], v[10:11], v[58:59]
	v_add_f64 v[62:63], v[8:9], v[56:57]
	v_cvt_f32_f64_e32 v62, v[62:63]
	v_cvt_f32_f64_e32 v60, v[60:61]
	v_min3_f32 v124, v62, v60, v124
	v_add_f64 v[60:61], v[6:7], v[58:59]
	v_add_f64 v[62:63], v[4:5], v[56:57]
	v_add_f64 v[58:59], v[2:3], v[58:59]
	v_add_f64 v[56:57], v[0:1], v[56:57]
	v_cvt_f32_f64_e32 v56, v[56:57]
	v_cvt_f32_f64_e32 v57, v[58:59]
	v_min3_f32 v122, v56, v57, v122
	;; [unrolled: 38-line block ×6, first 2 shown]
	s_waitcnt lgkmcnt(1)
	v_add_f64 v[40:41], v[34:35], v[38:39]
	v_add_f64 v[42:43], v[32:33], v[36:37]
	v_cvt_f32_f64_e32 v42, v[42:43]
	v_cvt_f32_f64_e32 v40, v[40:41]
	v_min3_f32 v89, v42, v40, v89
	v_add_f64 v[40:41], v[30:31], v[38:39]
	v_add_f64 v[42:43], v[28:29], v[36:37]
	v_cvt_f32_f64_e32 v42, v[42:43]
	v_cvt_f32_f64_e32 v40, v[40:41]
	v_min3_f32 v88, v42, v40, v88
	;; [unrolled: 5-line block ×6, first 2 shown]
	v_add_f64 v[40:41], v[6:7], v[38:39]
	v_add_f64 v[42:43], v[4:5], v[36:37]
	;; [unrolled: 1-line block ×4, first 2 shown]
	s_waitcnt lgkmcnt(0)
	v_add_f64 v[34:35], v[34:35], v[22:23]
	v_add_f64 v[32:33], v[32:33], v[20:21]
	v_add_f64 v[30:31], v[30:31], v[22:23]
	v_add_f64 v[28:29], v[28:29], v[20:21]
	v_add_f64 v[26:27], v[26:27], v[22:23]
	v_add_f64 v[24:25], v[24:25], v[20:21]
	v_add_f64 v[18:19], v[18:19], v[22:23]
	v_add_f64 v[16:17], v[16:17], v[20:21]
	v_add_f64 v[14:15], v[14:15], v[22:23]
	v_add_f64 v[12:13], v[12:13], v[20:21]
	v_add_f64 v[10:11], v[10:11], v[22:23]
	v_add_f64 v[8:9], v[8:9], v[20:21]
	v_add_f64 v[6:7], v[6:7], v[22:23]
	v_add_f64 v[4:5], v[4:5], v[20:21]
	v_add_f64 v[2:3], v[2:3], v[22:23]
	v_add_f64 v[0:1], v[0:1], v[20:21]
	v_cvt_f32_f64_e32 v66, v[66:67]
	v_cvt_f32_f64_e32 v64, v[64:65]
	v_cvt_f32_f64_e32 v62, v[62:63]
	v_cvt_f32_f64_e32 v60, v[60:61]
	v_cvt_f32_f64_e32 v58, v[58:59]
	v_cvt_f32_f64_e32 v56, v[56:57]
	v_cvt_f32_f64_e32 v54, v[54:55]
	v_cvt_f32_f64_e32 v52, v[52:53]
	v_cvt_f32_f64_e32 v50, v[50:51]
	v_cvt_f32_f64_e32 v48, v[48:49]
	v_cvt_f32_f64_e32 v46, v[46:47]
	v_cvt_f32_f64_e32 v44, v[44:45]
	v_cvt_f32_f64_e32 v42, v[42:43]
	v_cvt_f32_f64_e32 v40, v[40:41]
	v_cvt_f32_f64_e32 v36, v[36:37]
	v_cvt_f32_f64_e32 v37, v[38:39]
	v_cvt_f32_f64_e32 v32, v[32:33]
	v_cvt_f32_f64_e32 v33, v[34:35]
	v_cvt_f32_f64_e32 v28, v[28:29]
	v_cvt_f32_f64_e32 v29, v[30:31]
	v_cvt_f32_f64_e32 v24, v[24:25]
	v_cvt_f32_f64_e32 v25, v[26:27]
	v_cvt_f32_f64_e32 v16, v[16:17]
	v_cvt_f32_f64_e32 v17, v[18:19]
	v_cvt_f32_f64_e32 v12, v[12:13]
	v_cvt_f32_f64_e32 v13, v[14:15]
	v_cvt_f32_f64_e32 v8, v[8:9]
	v_cvt_f32_f64_e32 v9, v[10:11]
	v_cvt_f32_f64_e32 v4, v[4:5]
	v_cvt_f32_f64_e32 v5, v[6:7]
	v_cvt_f32_f64_e32 v0, v[0:1]
	v_cvt_f32_f64_e32 v1, v[2:3]
	v_min3_f32 v133, v66, v64, v133
	v_min3_f32 v123, v62, v60, v123
	;; [unrolled: 1-line block ×16, first 2 shown]
	s_mov_b32 s4, 2
	s_mov_b64 s[2:3], 0
	s_cbranch_vccz .LBB171_60
; %bb.61:
	s_load_dwordx2 s[2:3], s[0:1], 0x78
	s_load_dword s31, s[0:1], 0x58
	s_load_dword s30, s[0:1], 0x70
	v_add_u32_e32 v22, s33, v127
	v_add_u32_e32 v0, s17, v126
	s_waitcnt lgkmcnt(0)
	s_mul_i32 s1, s16, s3
	s_mul_hi_u32 s3, s16, s2
	s_mul_i32 s0, s16, s2
	s_add_i32 s1, s3, s1
	s_lshl_b64 s[0:1], s[0:1], 3
	s_add_u32 s22, s14, s0
	s_addc_u32 s23, s15, s1
	v_mad_i64_i32 v[2:3], s[0:1], v22, s31, 0
	v_lshl_add_u64 v[18:19], v[2:3], 3, s[26:27]
	v_mad_i64_i32 v[2:3], s[0:1], v22, s30, 0
	v_cmp_gt_i32_e64 s[2:3], s20, v0
	v_cmp_gt_i32_e64 s[18:19], s21, v22
	v_lshl_add_u64 v[16:17], v[2:3], 3, s[22:23]
	v_cndmask_b32_e64 v2, 0, 1, s[28:29]
	v_ashrrev_i32_e32 v1, 31, v0
	s_and_b64 s[6:7], s[2:3], s[18:19]
	v_cmp_ne_u32_e64 s[0:1], 1, v2
	s_and_saveexec_b64 s[4:5], s[6:7]
	s_cbranch_execz .LBB171_66
; %bb.62:
	s_and_b64 vcc, exec, s[0:1]
	s_cbranch_vccnz .LBB171_64
; %bb.63:
	v_lshl_add_u64 v[2:3], v[0:1], 3, v[18:19]
	flat_load_dwordx2 v[2:3], v[2:3]
	s_waitcnt vmcnt(0) lgkmcnt(0)
	v_mul_f64 v[2:3], s[24:25], v[2:3]
	s_branch .LBB171_65
.LBB171_64:
	v_mov_b64_e32 v[2:3], 0
.LBB171_65:
	v_cvt_f32_f64_e32 v2, v[2:3]
	v_max_f32_e32 v3, v139, v139
	v_min_f32_e32 v2, v2, v3
	v_cvt_f64_f32_e32 v[2:3], v2
	v_lshl_add_u64 v[4:5], v[0:1], 3, v[16:17]
	global_store_dwordx2 v[4:5], v[2:3], off
.LBB171_66:
	s_or_b64 exec, exec, s[4:5]
	v_add_u32_e32 v2, 8, v0
	v_cmp_gt_i32_e64 s[4:5], s20, v2
	v_ashrrev_i32_e32 v3, 31, v2
	s_and_b64 s[8:9], s[4:5], s[18:19]
	s_and_saveexec_b64 s[6:7], s[8:9]
	s_cbranch_execz .LBB171_71
; %bb.67:
	s_and_b64 vcc, exec, s[0:1]
	s_cbranch_vccnz .LBB171_69
; %bb.68:
	v_lshl_add_u64 v[4:5], v[2:3], 3, v[18:19]
	flat_load_dwordx2 v[4:5], v[4:5]
	s_waitcnt vmcnt(0) lgkmcnt(0)
	v_mul_f64 v[4:5], s[24:25], v[4:5]
	s_branch .LBB171_70
.LBB171_69:
	v_mov_b64_e32 v[4:5], 0
.LBB171_70:
	v_cvt_f32_f64_e32 v4, v[4:5]
	v_max_f32_e32 v5, v138, v138
	v_min_f32_e32 v4, v4, v5
	v_cvt_f64_f32_e32 v[4:5], v4
	v_lshl_add_u64 v[6:7], v[2:3], 3, v[16:17]
	global_store_dwordx2 v[6:7], v[4:5], off
.LBB171_71:
	s_or_b64 exec, exec, s[6:7]
	v_add_u32_e32 v4, 16, v0
	v_cmp_gt_i32_e64 s[6:7], s20, v4
	v_ashrrev_i32_e32 v5, 31, v4
	s_and_b64 s[10:11], s[6:7], s[18:19]
	;; [unrolled: 26-line block ×7, first 2 shown]
	s_and_saveexec_b64 s[18:19], s[28:29]
	s_cbranch_execz .LBB171_101
; %bb.97:
	s_and_b64 vcc, exec, s[0:1]
	s_cbranch_vccnz .LBB171_99
; %bb.98:
	v_lshl_add_u64 v[18:19], v[14:15], 3, v[18:19]
	flat_load_dwordx2 v[18:19], v[18:19]
	s_waitcnt vmcnt(0) lgkmcnt(0)
	v_mul_f64 v[18:19], s[24:25], v[18:19]
	s_branch .LBB171_100
.LBB171_99:
	v_mov_b64_e32 v[18:19], 0
.LBB171_100:
	v_cvt_f32_f64_e32 v18, v[18:19]
	v_max_f32_e32 v19, v132, v132
	v_min_f32_e32 v18, v18, v19
	v_cvt_f64_f32_e32 v[18:19], v18
	v_lshl_add_u64 v[16:17], v[14:15], 3, v[16:17]
	global_store_dwordx2 v[16:17], v[18:19], off
.LBB171_101:
	s_or_b64 exec, exec, s[18:19]
	v_add_u32_e32 v20, 32, v22
	v_mad_i64_i32 v[16:17], s[28:29], v20, s31, 0
	v_cmp_gt_i32_e64 s[18:19], s21, v20
	v_lshl_add_u64 v[18:19], v[16:17], 3, s[26:27]
	v_mad_i64_i32 v[16:17], s[28:29], v20, s30, 0
	v_lshl_add_u64 v[16:17], v[16:17], 3, s[22:23]
	s_and_b64 s[34:35], s[2:3], s[18:19]
	s_and_saveexec_b64 s[28:29], s[34:35]
	s_cbranch_execnz .LBB171_109
; %bb.102:
	s_or_b64 exec, exec, s[28:29]
	s_and_b64 s[34:35], s[4:5], s[18:19]
	s_and_saveexec_b64 s[28:29], s[34:35]
	s_cbranch_execnz .LBB171_113
.LBB171_103:
	s_or_b64 exec, exec, s[28:29]
	s_and_b64 s[34:35], s[6:7], s[18:19]
	s_and_saveexec_b64 s[28:29], s[34:35]
	s_cbranch_execnz .LBB171_117
.LBB171_104:
	s_or_b64 exec, exec, s[28:29]
	s_and_b64 s[34:35], s[8:9], s[18:19]
	s_and_saveexec_b64 s[28:29], s[34:35]
	s_cbranch_execnz .LBB171_121
.LBB171_105:
	s_or_b64 exec, exec, s[28:29]
	s_and_b64 s[34:35], s[10:11], s[18:19]
	s_and_saveexec_b64 s[28:29], s[34:35]
	s_cbranch_execnz .LBB171_125
.LBB171_106:
	s_or_b64 exec, exec, s[28:29]
	s_and_b64 s[34:35], s[12:13], s[18:19]
	s_and_saveexec_b64 s[28:29], s[34:35]
	s_cbranch_execnz .LBB171_129
.LBB171_107:
	s_or_b64 exec, exec, s[28:29]
	s_and_b64 s[34:35], s[14:15], s[18:19]
	s_and_saveexec_b64 s[28:29], s[34:35]
	s_cbranch_execnz .LBB171_133
.LBB171_108:
	s_or_b64 exec, exec, s[28:29]
	s_and_b64 s[28:29], s[16:17], s[18:19]
	s_and_saveexec_b64 s[18:19], s[28:29]
	s_cbranch_execnz .LBB171_137
	s_branch .LBB171_141
.LBB171_109:
	s_and_b64 vcc, exec, s[0:1]
	s_cbranch_vccnz .LBB171_111
; %bb.110:
	v_lshl_add_u64 v[20:21], v[0:1], 3, v[18:19]
	flat_load_dwordx2 v[20:21], v[20:21]
	s_waitcnt vmcnt(0) lgkmcnt(0)
	v_mul_f64 v[20:21], s[24:25], v[20:21]
	s_branch .LBB171_112
.LBB171_111:
	v_mov_b64_e32 v[20:21], 0
.LBB171_112:
	v_cvt_f32_f64_e32 v20, v[20:21]
	v_max_f32_e32 v21, v131, v131
	v_min_f32_e32 v20, v20, v21
	v_cvt_f64_f32_e32 v[20:21], v20
	v_lshl_add_u64 v[24:25], v[0:1], 3, v[16:17]
	global_store_dwordx2 v[24:25], v[20:21], off
	s_or_b64 exec, exec, s[28:29]
	s_and_b64 s[34:35], s[4:5], s[18:19]
	s_and_saveexec_b64 s[28:29], s[34:35]
	s_cbranch_execz .LBB171_103
.LBB171_113:
	s_and_b64 vcc, exec, s[0:1]
	s_cbranch_vccnz .LBB171_115
; %bb.114:
	v_lshl_add_u64 v[20:21], v[2:3], 3, v[18:19]
	flat_load_dwordx2 v[20:21], v[20:21]
	s_waitcnt vmcnt(0) lgkmcnt(0)
	v_mul_f64 v[20:21], s[24:25], v[20:21]
	s_branch .LBB171_116
.LBB171_115:
	v_mov_b64_e32 v[20:21], 0
.LBB171_116:
	v_cvt_f32_f64_e32 v20, v[20:21]
	v_max_f32_e32 v21, v130, v130
	v_min_f32_e32 v20, v20, v21
	v_cvt_f64_f32_e32 v[20:21], v20
	v_lshl_add_u64 v[24:25], v[2:3], 3, v[16:17]
	global_store_dwordx2 v[24:25], v[20:21], off
	s_or_b64 exec, exec, s[28:29]
	s_and_b64 s[34:35], s[6:7], s[18:19]
	s_and_saveexec_b64 s[28:29], s[34:35]
	s_cbranch_execz .LBB171_104
.LBB171_117:
	s_and_b64 vcc, exec, s[0:1]
	s_cbranch_vccnz .LBB171_119
; %bb.118:
	v_lshl_add_u64 v[20:21], v[4:5], 3, v[18:19]
	flat_load_dwordx2 v[20:21], v[20:21]
	s_waitcnt vmcnt(0) lgkmcnt(0)
	v_mul_f64 v[20:21], s[24:25], v[20:21]
	s_branch .LBB171_120
.LBB171_119:
	v_mov_b64_e32 v[20:21], 0
.LBB171_120:
	v_cvt_f32_f64_e32 v20, v[20:21]
	v_max_f32_e32 v21, v129, v129
	v_min_f32_e32 v20, v20, v21
	v_cvt_f64_f32_e32 v[20:21], v20
	v_lshl_add_u64 v[24:25], v[4:5], 3, v[16:17]
	global_store_dwordx2 v[24:25], v[20:21], off
	s_or_b64 exec, exec, s[28:29]
	s_and_b64 s[34:35], s[8:9], s[18:19]
	s_and_saveexec_b64 s[28:29], s[34:35]
	s_cbranch_execz .LBB171_105
.LBB171_121:
	s_and_b64 vcc, exec, s[0:1]
	s_cbranch_vccnz .LBB171_123
; %bb.122:
	v_lshl_add_u64 v[20:21], v[6:7], 3, v[18:19]
	flat_load_dwordx2 v[20:21], v[20:21]
	s_waitcnt vmcnt(0) lgkmcnt(0)
	v_mul_f64 v[20:21], s[24:25], v[20:21]
	s_branch .LBB171_124
.LBB171_123:
	v_mov_b64_e32 v[20:21], 0
.LBB171_124:
	v_cvt_f32_f64_e32 v20, v[20:21]
	v_max_f32_e32 v21, v128, v128
	v_min_f32_e32 v20, v20, v21
	v_cvt_f64_f32_e32 v[20:21], v20
	v_lshl_add_u64 v[24:25], v[6:7], 3, v[16:17]
	global_store_dwordx2 v[24:25], v[20:21], off
	s_or_b64 exec, exec, s[28:29]
	s_and_b64 s[34:35], s[10:11], s[18:19]
	s_and_saveexec_b64 s[28:29], s[34:35]
	s_cbranch_execz .LBB171_106
.LBB171_125:
	s_and_b64 vcc, exec, s[0:1]
	s_cbranch_vccnz .LBB171_127
; %bb.126:
	v_lshl_add_u64 v[20:21], v[8:9], 3, v[18:19]
	flat_load_dwordx2 v[20:21], v[20:21]
	s_waitcnt vmcnt(0) lgkmcnt(0)
	v_mul_f64 v[20:21], s[24:25], v[20:21]
	s_branch .LBB171_128
.LBB171_127:
	v_mov_b64_e32 v[20:21], 0
.LBB171_128:
	v_cvt_f32_f64_e32 v20, v[20:21]
	v_max_f32_e32 v21, v125, v125
	v_min_f32_e32 v20, v20, v21
	v_cvt_f64_f32_e32 v[20:21], v20
	v_lshl_add_u64 v[24:25], v[8:9], 3, v[16:17]
	global_store_dwordx2 v[24:25], v[20:21], off
	s_or_b64 exec, exec, s[28:29]
	s_and_b64 s[34:35], s[12:13], s[18:19]
	s_and_saveexec_b64 s[28:29], s[34:35]
	s_cbranch_execz .LBB171_107
.LBB171_129:
	s_and_b64 vcc, exec, s[0:1]
	s_cbranch_vccnz .LBB171_131
; %bb.130:
	v_lshl_add_u64 v[20:21], v[10:11], 3, v[18:19]
	flat_load_dwordx2 v[20:21], v[20:21]
	s_waitcnt vmcnt(0) lgkmcnt(0)
	v_mul_f64 v[20:21], s[24:25], v[20:21]
	s_branch .LBB171_132
.LBB171_131:
	v_mov_b64_e32 v[20:21], 0
.LBB171_132:
	v_cvt_f32_f64_e32 v20, v[20:21]
	v_max_f32_e32 v21, v124, v124
	v_min_f32_e32 v20, v20, v21
	v_cvt_f64_f32_e32 v[20:21], v20
	v_lshl_add_u64 v[24:25], v[10:11], 3, v[16:17]
	global_store_dwordx2 v[24:25], v[20:21], off
	s_or_b64 exec, exec, s[28:29]
	s_and_b64 s[34:35], s[14:15], s[18:19]
	s_and_saveexec_b64 s[28:29], s[34:35]
	s_cbranch_execz .LBB171_108
.LBB171_133:
	s_and_b64 vcc, exec, s[0:1]
	s_cbranch_vccnz .LBB171_135
; %bb.134:
	v_lshl_add_u64 v[20:21], v[12:13], 3, v[18:19]
	flat_load_dwordx2 v[20:21], v[20:21]
	s_waitcnt vmcnt(0) lgkmcnt(0)
	v_mul_f64 v[20:21], s[24:25], v[20:21]
	s_branch .LBB171_136
.LBB171_135:
	v_mov_b64_e32 v[20:21], 0
.LBB171_136:
	v_cvt_f32_f64_e32 v20, v[20:21]
	v_max_f32_e32 v21, v123, v123
	v_min_f32_e32 v20, v20, v21
	v_cvt_f64_f32_e32 v[20:21], v20
	v_lshl_add_u64 v[24:25], v[12:13], 3, v[16:17]
	global_store_dwordx2 v[24:25], v[20:21], off
	s_or_b64 exec, exec, s[28:29]
	s_and_b64 s[28:29], s[16:17], s[18:19]
	s_and_saveexec_b64 s[18:19], s[28:29]
	s_cbranch_execz .LBB171_141
.LBB171_137:
	s_and_b64 vcc, exec, s[0:1]
	s_cbranch_vccnz .LBB171_139
; %bb.138:
	v_lshl_add_u64 v[18:19], v[14:15], 3, v[18:19]
	flat_load_dwordx2 v[18:19], v[18:19]
	s_waitcnt vmcnt(0) lgkmcnt(0)
	v_mul_f64 v[18:19], s[24:25], v[18:19]
	s_branch .LBB171_140
.LBB171_139:
	v_mov_b64_e32 v[18:19], 0
.LBB171_140:
	v_cvt_f32_f64_e32 v18, v[18:19]
	v_max_f32_e32 v19, v122, v122
	v_min_f32_e32 v18, v18, v19
	v_cvt_f64_f32_e32 v[18:19], v18
	v_lshl_add_u64 v[16:17], v[14:15], 3, v[16:17]
	global_store_dwordx2 v[16:17], v[18:19], off
.LBB171_141:
	s_or_b64 exec, exec, s[18:19]
	v_add_u32_e32 v20, 64, v22
	v_mad_i64_i32 v[16:17], s[28:29], v20, s31, 0
	v_cmp_gt_i32_e64 s[18:19], s21, v20
	v_lshl_add_u64 v[18:19], v[16:17], 3, s[26:27]
	v_mad_i64_i32 v[16:17], s[28:29], v20, s30, 0
	v_lshl_add_u64 v[16:17], v[16:17], 3, s[22:23]
	s_and_b64 s[34:35], s[2:3], s[18:19]
	s_and_saveexec_b64 s[28:29], s[34:35]
	s_cbranch_execnz .LBB171_149
; %bb.142:
	s_or_b64 exec, exec, s[28:29]
	s_and_b64 s[34:35], s[4:5], s[18:19]
	s_and_saveexec_b64 s[28:29], s[34:35]
	s_cbranch_execnz .LBB171_153
.LBB171_143:
	s_or_b64 exec, exec, s[28:29]
	s_and_b64 s[34:35], s[6:7], s[18:19]
	s_and_saveexec_b64 s[28:29], s[34:35]
	s_cbranch_execnz .LBB171_157
.LBB171_144:
	s_or_b64 exec, exec, s[28:29]
	s_and_b64 s[34:35], s[8:9], s[18:19]
	s_and_saveexec_b64 s[28:29], s[34:35]
	s_cbranch_execnz .LBB171_161
.LBB171_145:
	s_or_b64 exec, exec, s[28:29]
	s_and_b64 s[34:35], s[10:11], s[18:19]
	s_and_saveexec_b64 s[28:29], s[34:35]
	s_cbranch_execnz .LBB171_165
.LBB171_146:
	s_or_b64 exec, exec, s[28:29]
	s_and_b64 s[34:35], s[12:13], s[18:19]
	s_and_saveexec_b64 s[28:29], s[34:35]
	s_cbranch_execnz .LBB171_169
.LBB171_147:
	s_or_b64 exec, exec, s[28:29]
	s_and_b64 s[34:35], s[14:15], s[18:19]
	s_and_saveexec_b64 s[28:29], s[34:35]
	s_cbranch_execnz .LBB171_173
.LBB171_148:
	s_or_b64 exec, exec, s[28:29]
	s_and_b64 s[28:29], s[16:17], s[18:19]
	s_and_saveexec_b64 s[18:19], s[28:29]
	s_cbranch_execnz .LBB171_177
	s_branch .LBB171_181
.LBB171_149:
	s_and_b64 vcc, exec, s[0:1]
	s_cbranch_vccnz .LBB171_151
; %bb.150:
	v_lshl_add_u64 v[20:21], v[0:1], 3, v[18:19]
	flat_load_dwordx2 v[20:21], v[20:21]
	s_waitcnt vmcnt(0) lgkmcnt(0)
	v_mul_f64 v[20:21], s[24:25], v[20:21]
	s_branch .LBB171_152
.LBB171_151:
	v_mov_b64_e32 v[20:21], 0
.LBB171_152:
	v_cvt_f32_f64_e32 v20, v[20:21]
	v_max_f32_e32 v21, v121, v121
	v_min_f32_e32 v20, v20, v21
	v_cvt_f64_f32_e32 v[20:21], v20
	v_lshl_add_u64 v[24:25], v[0:1], 3, v[16:17]
	global_store_dwordx2 v[24:25], v[20:21], off
	s_or_b64 exec, exec, s[28:29]
	s_and_b64 s[34:35], s[4:5], s[18:19]
	s_and_saveexec_b64 s[28:29], s[34:35]
	s_cbranch_execz .LBB171_143
.LBB171_153:
	s_and_b64 vcc, exec, s[0:1]
	s_cbranch_vccnz .LBB171_155
; %bb.154:
	v_lshl_add_u64 v[20:21], v[2:3], 3, v[18:19]
	flat_load_dwordx2 v[20:21], v[20:21]
	s_waitcnt vmcnt(0) lgkmcnt(0)
	v_mul_f64 v[20:21], s[24:25], v[20:21]
	s_branch .LBB171_156
.LBB171_155:
	v_mov_b64_e32 v[20:21], 0
.LBB171_156:
	v_cvt_f32_f64_e32 v20, v[20:21]
	v_max_f32_e32 v21, v120, v120
	v_min_f32_e32 v20, v20, v21
	v_cvt_f64_f32_e32 v[20:21], v20
	v_lshl_add_u64 v[24:25], v[2:3], 3, v[16:17]
	global_store_dwordx2 v[24:25], v[20:21], off
	s_or_b64 exec, exec, s[28:29]
	s_and_b64 s[34:35], s[6:7], s[18:19]
	s_and_saveexec_b64 s[28:29], s[34:35]
	s_cbranch_execz .LBB171_144
.LBB171_157:
	s_and_b64 vcc, exec, s[0:1]
	s_cbranch_vccnz .LBB171_159
; %bb.158:
	v_lshl_add_u64 v[20:21], v[4:5], 3, v[18:19]
	flat_load_dwordx2 v[20:21], v[20:21]
	s_waitcnt vmcnt(0) lgkmcnt(0)
	v_mul_f64 v[20:21], s[24:25], v[20:21]
	s_branch .LBB171_160
.LBB171_159:
	v_mov_b64_e32 v[20:21], 0
.LBB171_160:
	v_cvt_f32_f64_e32 v20, v[20:21]
	v_max_f32_e32 v21, v119, v119
	v_min_f32_e32 v20, v20, v21
	v_cvt_f64_f32_e32 v[20:21], v20
	v_lshl_add_u64 v[24:25], v[4:5], 3, v[16:17]
	global_store_dwordx2 v[24:25], v[20:21], off
	s_or_b64 exec, exec, s[28:29]
	s_and_b64 s[34:35], s[8:9], s[18:19]
	s_and_saveexec_b64 s[28:29], s[34:35]
	s_cbranch_execz .LBB171_145
.LBB171_161:
	s_and_b64 vcc, exec, s[0:1]
	s_cbranch_vccnz .LBB171_163
; %bb.162:
	v_lshl_add_u64 v[20:21], v[6:7], 3, v[18:19]
	flat_load_dwordx2 v[20:21], v[20:21]
	s_waitcnt vmcnt(0) lgkmcnt(0)
	v_mul_f64 v[20:21], s[24:25], v[20:21]
	s_branch .LBB171_164
.LBB171_163:
	v_mov_b64_e32 v[20:21], 0
.LBB171_164:
	v_cvt_f32_f64_e32 v20, v[20:21]
	v_max_f32_e32 v21, v118, v118
	v_min_f32_e32 v20, v20, v21
	v_cvt_f64_f32_e32 v[20:21], v20
	v_lshl_add_u64 v[24:25], v[6:7], 3, v[16:17]
	global_store_dwordx2 v[24:25], v[20:21], off
	s_or_b64 exec, exec, s[28:29]
	s_and_b64 s[34:35], s[10:11], s[18:19]
	s_and_saveexec_b64 s[28:29], s[34:35]
	s_cbranch_execz .LBB171_146
.LBB171_165:
	s_and_b64 vcc, exec, s[0:1]
	s_cbranch_vccnz .LBB171_167
; %bb.166:
	v_lshl_add_u64 v[20:21], v[8:9], 3, v[18:19]
	flat_load_dwordx2 v[20:21], v[20:21]
	s_waitcnt vmcnt(0) lgkmcnt(0)
	v_mul_f64 v[20:21], s[24:25], v[20:21]
	s_branch .LBB171_168
.LBB171_167:
	v_mov_b64_e32 v[20:21], 0
.LBB171_168:
	v_cvt_f32_f64_e32 v20, v[20:21]
	v_max_f32_e32 v21, v117, v117
	v_min_f32_e32 v20, v20, v21
	v_cvt_f64_f32_e32 v[20:21], v20
	v_lshl_add_u64 v[24:25], v[8:9], 3, v[16:17]
	global_store_dwordx2 v[24:25], v[20:21], off
	s_or_b64 exec, exec, s[28:29]
	s_and_b64 s[34:35], s[12:13], s[18:19]
	s_and_saveexec_b64 s[28:29], s[34:35]
	s_cbranch_execz .LBB171_147
.LBB171_169:
	s_and_b64 vcc, exec, s[0:1]
	s_cbranch_vccnz .LBB171_171
; %bb.170:
	v_lshl_add_u64 v[20:21], v[10:11], 3, v[18:19]
	flat_load_dwordx2 v[20:21], v[20:21]
	s_waitcnt vmcnt(0) lgkmcnt(0)
	v_mul_f64 v[20:21], s[24:25], v[20:21]
	s_branch .LBB171_172
.LBB171_171:
	v_mov_b64_e32 v[20:21], 0
.LBB171_172:
	v_cvt_f32_f64_e32 v20, v[20:21]
	v_max_f32_e32 v21, v116, v116
	v_min_f32_e32 v20, v20, v21
	v_cvt_f64_f32_e32 v[20:21], v20
	v_lshl_add_u64 v[24:25], v[10:11], 3, v[16:17]
	global_store_dwordx2 v[24:25], v[20:21], off
	s_or_b64 exec, exec, s[28:29]
	s_and_b64 s[34:35], s[14:15], s[18:19]
	s_and_saveexec_b64 s[28:29], s[34:35]
	s_cbranch_execz .LBB171_148
.LBB171_173:
	s_and_b64 vcc, exec, s[0:1]
	s_cbranch_vccnz .LBB171_175
; %bb.174:
	v_lshl_add_u64 v[20:21], v[12:13], 3, v[18:19]
	flat_load_dwordx2 v[20:21], v[20:21]
	s_waitcnt vmcnt(0) lgkmcnt(0)
	v_mul_f64 v[20:21], s[24:25], v[20:21]
	s_branch .LBB171_176
.LBB171_175:
	v_mov_b64_e32 v[20:21], 0
.LBB171_176:
	v_cvt_f32_f64_e32 v20, v[20:21]
	v_max_f32_e32 v21, v115, v115
	v_min_f32_e32 v20, v20, v21
	v_cvt_f64_f32_e32 v[20:21], v20
	v_lshl_add_u64 v[24:25], v[12:13], 3, v[16:17]
	global_store_dwordx2 v[24:25], v[20:21], off
	s_or_b64 exec, exec, s[28:29]
	s_and_b64 s[28:29], s[16:17], s[18:19]
	s_and_saveexec_b64 s[18:19], s[28:29]
	s_cbranch_execz .LBB171_181
.LBB171_177:
	s_and_b64 vcc, exec, s[0:1]
	s_cbranch_vccnz .LBB171_179
; %bb.178:
	v_lshl_add_u64 v[18:19], v[14:15], 3, v[18:19]
	flat_load_dwordx2 v[18:19], v[18:19]
	s_waitcnt vmcnt(0) lgkmcnt(0)
	v_mul_f64 v[18:19], s[24:25], v[18:19]
	s_branch .LBB171_180
.LBB171_179:
	v_mov_b64_e32 v[18:19], 0
.LBB171_180:
	v_cvt_f32_f64_e32 v18, v[18:19]
	v_max_f32_e32 v19, v114, v114
	v_min_f32_e32 v18, v18, v19
	v_cvt_f64_f32_e32 v[18:19], v18
	v_lshl_add_u64 v[16:17], v[14:15], 3, v[16:17]
	global_store_dwordx2 v[16:17], v[18:19], off
.LBB171_181:
	s_or_b64 exec, exec, s[18:19]
	v_add_u32_e32 v20, 0x60, v22
	v_mad_i64_i32 v[16:17], s[28:29], v20, s31, 0
	v_cmp_gt_i32_e64 s[18:19], s21, v20
	v_lshl_add_u64 v[18:19], v[16:17], 3, s[26:27]
	v_mad_i64_i32 v[16:17], s[28:29], v20, s30, 0
	v_lshl_add_u64 v[16:17], v[16:17], 3, s[22:23]
	s_and_b64 s[34:35], s[2:3], s[18:19]
	s_and_saveexec_b64 s[28:29], s[34:35]
	s_cbranch_execnz .LBB171_189
; %bb.182:
	s_or_b64 exec, exec, s[28:29]
	s_and_b64 s[34:35], s[4:5], s[18:19]
	s_and_saveexec_b64 s[28:29], s[34:35]
	s_cbranch_execnz .LBB171_193
.LBB171_183:
	s_or_b64 exec, exec, s[28:29]
	s_and_b64 s[34:35], s[6:7], s[18:19]
	s_and_saveexec_b64 s[28:29], s[34:35]
	s_cbranch_execnz .LBB171_197
.LBB171_184:
	s_or_b64 exec, exec, s[28:29]
	s_and_b64 s[34:35], s[8:9], s[18:19]
	s_and_saveexec_b64 s[28:29], s[34:35]
	s_cbranch_execnz .LBB171_201
.LBB171_185:
	s_or_b64 exec, exec, s[28:29]
	s_and_b64 s[34:35], s[10:11], s[18:19]
	s_and_saveexec_b64 s[28:29], s[34:35]
	s_cbranch_execnz .LBB171_205
.LBB171_186:
	s_or_b64 exec, exec, s[28:29]
	s_and_b64 s[34:35], s[12:13], s[18:19]
	s_and_saveexec_b64 s[28:29], s[34:35]
	s_cbranch_execnz .LBB171_209
.LBB171_187:
	s_or_b64 exec, exec, s[28:29]
	s_and_b64 s[34:35], s[14:15], s[18:19]
	s_and_saveexec_b64 s[28:29], s[34:35]
	s_cbranch_execnz .LBB171_213
.LBB171_188:
	s_or_b64 exec, exec, s[28:29]
	s_and_b64 s[28:29], s[16:17], s[18:19]
	s_and_saveexec_b64 s[18:19], s[28:29]
	s_cbranch_execnz .LBB171_217
	s_branch .LBB171_221
.LBB171_189:
	s_and_b64 vcc, exec, s[0:1]
	s_cbranch_vccnz .LBB171_191
; %bb.190:
	v_lshl_add_u64 v[20:21], v[0:1], 3, v[18:19]
	flat_load_dwordx2 v[20:21], v[20:21]
	s_waitcnt vmcnt(0) lgkmcnt(0)
	v_mul_f64 v[20:21], s[24:25], v[20:21]
	s_branch .LBB171_192
.LBB171_191:
	v_mov_b64_e32 v[20:21], 0
.LBB171_192:
	v_cvt_f32_f64_e32 v20, v[20:21]
	v_max_f32_e32 v21, v113, v113
	v_min_f32_e32 v20, v20, v21
	v_cvt_f64_f32_e32 v[20:21], v20
	v_lshl_add_u64 v[24:25], v[0:1], 3, v[16:17]
	global_store_dwordx2 v[24:25], v[20:21], off
	s_or_b64 exec, exec, s[28:29]
	s_and_b64 s[34:35], s[4:5], s[18:19]
	s_and_saveexec_b64 s[28:29], s[34:35]
	s_cbranch_execz .LBB171_183
.LBB171_193:
	s_and_b64 vcc, exec, s[0:1]
	s_cbranch_vccnz .LBB171_195
; %bb.194:
	v_lshl_add_u64 v[20:21], v[2:3], 3, v[18:19]
	flat_load_dwordx2 v[20:21], v[20:21]
	s_waitcnt vmcnt(0) lgkmcnt(0)
	v_mul_f64 v[20:21], s[24:25], v[20:21]
	s_branch .LBB171_196
.LBB171_195:
	v_mov_b64_e32 v[20:21], 0
.LBB171_196:
	v_cvt_f32_f64_e32 v20, v[20:21]
	v_max_f32_e32 v21, v112, v112
	v_min_f32_e32 v20, v20, v21
	v_cvt_f64_f32_e32 v[20:21], v20
	v_lshl_add_u64 v[24:25], v[2:3], 3, v[16:17]
	global_store_dwordx2 v[24:25], v[20:21], off
	s_or_b64 exec, exec, s[28:29]
	s_and_b64 s[34:35], s[6:7], s[18:19]
	s_and_saveexec_b64 s[28:29], s[34:35]
	s_cbranch_execz .LBB171_184
.LBB171_197:
	s_and_b64 vcc, exec, s[0:1]
	s_cbranch_vccnz .LBB171_199
; %bb.198:
	v_lshl_add_u64 v[20:21], v[4:5], 3, v[18:19]
	flat_load_dwordx2 v[20:21], v[20:21]
	s_waitcnt vmcnt(0) lgkmcnt(0)
	v_mul_f64 v[20:21], s[24:25], v[20:21]
	s_branch .LBB171_200
.LBB171_199:
	v_mov_b64_e32 v[20:21], 0
.LBB171_200:
	v_cvt_f32_f64_e32 v20, v[20:21]
	v_max_f32_e32 v21, v111, v111
	v_min_f32_e32 v20, v20, v21
	v_cvt_f64_f32_e32 v[20:21], v20
	v_lshl_add_u64 v[24:25], v[4:5], 3, v[16:17]
	global_store_dwordx2 v[24:25], v[20:21], off
	s_or_b64 exec, exec, s[28:29]
	s_and_b64 s[34:35], s[8:9], s[18:19]
	s_and_saveexec_b64 s[28:29], s[34:35]
	s_cbranch_execz .LBB171_185
.LBB171_201:
	s_and_b64 vcc, exec, s[0:1]
	s_cbranch_vccnz .LBB171_203
; %bb.202:
	v_lshl_add_u64 v[20:21], v[6:7], 3, v[18:19]
	flat_load_dwordx2 v[20:21], v[20:21]
	s_waitcnt vmcnt(0) lgkmcnt(0)
	v_mul_f64 v[20:21], s[24:25], v[20:21]
	s_branch .LBB171_204
.LBB171_203:
	v_mov_b64_e32 v[20:21], 0
.LBB171_204:
	v_cvt_f32_f64_e32 v20, v[20:21]
	v_max_f32_e32 v21, v110, v110
	v_min_f32_e32 v20, v20, v21
	v_cvt_f64_f32_e32 v[20:21], v20
	v_lshl_add_u64 v[24:25], v[6:7], 3, v[16:17]
	global_store_dwordx2 v[24:25], v[20:21], off
	s_or_b64 exec, exec, s[28:29]
	s_and_b64 s[34:35], s[10:11], s[18:19]
	s_and_saveexec_b64 s[28:29], s[34:35]
	s_cbranch_execz .LBB171_186
.LBB171_205:
	s_and_b64 vcc, exec, s[0:1]
	s_cbranch_vccnz .LBB171_207
; %bb.206:
	v_lshl_add_u64 v[20:21], v[8:9], 3, v[18:19]
	flat_load_dwordx2 v[20:21], v[20:21]
	s_waitcnt vmcnt(0) lgkmcnt(0)
	v_mul_f64 v[20:21], s[24:25], v[20:21]
	s_branch .LBB171_208
.LBB171_207:
	v_mov_b64_e32 v[20:21], 0
.LBB171_208:
	v_cvt_f32_f64_e32 v20, v[20:21]
	v_max_f32_e32 v21, v109, v109
	v_min_f32_e32 v20, v20, v21
	v_cvt_f64_f32_e32 v[20:21], v20
	v_lshl_add_u64 v[24:25], v[8:9], 3, v[16:17]
	global_store_dwordx2 v[24:25], v[20:21], off
	s_or_b64 exec, exec, s[28:29]
	s_and_b64 s[34:35], s[12:13], s[18:19]
	s_and_saveexec_b64 s[28:29], s[34:35]
	s_cbranch_execz .LBB171_187
.LBB171_209:
	s_and_b64 vcc, exec, s[0:1]
	s_cbranch_vccnz .LBB171_211
; %bb.210:
	v_lshl_add_u64 v[20:21], v[10:11], 3, v[18:19]
	flat_load_dwordx2 v[20:21], v[20:21]
	s_waitcnt vmcnt(0) lgkmcnt(0)
	v_mul_f64 v[20:21], s[24:25], v[20:21]
	s_branch .LBB171_212
.LBB171_211:
	v_mov_b64_e32 v[20:21], 0
.LBB171_212:
	v_cvt_f32_f64_e32 v20, v[20:21]
	v_max_f32_e32 v21, v108, v108
	v_min_f32_e32 v20, v20, v21
	v_cvt_f64_f32_e32 v[20:21], v20
	v_lshl_add_u64 v[24:25], v[10:11], 3, v[16:17]
	global_store_dwordx2 v[24:25], v[20:21], off
	s_or_b64 exec, exec, s[28:29]
	s_and_b64 s[34:35], s[14:15], s[18:19]
	s_and_saveexec_b64 s[28:29], s[34:35]
	s_cbranch_execz .LBB171_188
.LBB171_213:
	s_and_b64 vcc, exec, s[0:1]
	s_cbranch_vccnz .LBB171_215
; %bb.214:
	v_lshl_add_u64 v[20:21], v[12:13], 3, v[18:19]
	flat_load_dwordx2 v[20:21], v[20:21]
	s_waitcnt vmcnt(0) lgkmcnt(0)
	v_mul_f64 v[20:21], s[24:25], v[20:21]
	s_branch .LBB171_216
.LBB171_215:
	v_mov_b64_e32 v[20:21], 0
.LBB171_216:
	v_cvt_f32_f64_e32 v20, v[20:21]
	v_max_f32_e32 v21, v107, v107
	v_min_f32_e32 v20, v20, v21
	v_cvt_f64_f32_e32 v[20:21], v20
	v_lshl_add_u64 v[24:25], v[12:13], 3, v[16:17]
	global_store_dwordx2 v[24:25], v[20:21], off
	s_or_b64 exec, exec, s[28:29]
	s_and_b64 s[28:29], s[16:17], s[18:19]
	s_and_saveexec_b64 s[18:19], s[28:29]
	s_cbranch_execz .LBB171_221
.LBB171_217:
	s_and_b64 vcc, exec, s[0:1]
	s_cbranch_vccnz .LBB171_219
; %bb.218:
	v_lshl_add_u64 v[18:19], v[14:15], 3, v[18:19]
	flat_load_dwordx2 v[18:19], v[18:19]
	s_waitcnt vmcnt(0) lgkmcnt(0)
	v_mul_f64 v[18:19], s[24:25], v[18:19]
	s_branch .LBB171_220
.LBB171_219:
	v_mov_b64_e32 v[18:19], 0
.LBB171_220:
	v_cvt_f32_f64_e32 v18, v[18:19]
	v_max_f32_e32 v19, v106, v106
	v_min_f32_e32 v18, v18, v19
	v_cvt_f64_f32_e32 v[18:19], v18
	v_lshl_add_u64 v[16:17], v[14:15], 3, v[16:17]
	global_store_dwordx2 v[16:17], v[18:19], off
.LBB171_221:
	s_or_b64 exec, exec, s[18:19]
	v_add_u32_e32 v20, 0x80, v22
	v_mad_i64_i32 v[16:17], s[28:29], v20, s31, 0
	v_cmp_gt_i32_e64 s[18:19], s21, v20
	v_lshl_add_u64 v[18:19], v[16:17], 3, s[26:27]
	v_mad_i64_i32 v[16:17], s[28:29], v20, s30, 0
	v_lshl_add_u64 v[16:17], v[16:17], 3, s[22:23]
	s_and_b64 s[34:35], s[2:3], s[18:19]
	s_and_saveexec_b64 s[28:29], s[34:35]
	s_cbranch_execnz .LBB171_229
; %bb.222:
	s_or_b64 exec, exec, s[28:29]
	s_and_b64 s[34:35], s[4:5], s[18:19]
	s_and_saveexec_b64 s[28:29], s[34:35]
	s_cbranch_execnz .LBB171_233
.LBB171_223:
	s_or_b64 exec, exec, s[28:29]
	s_and_b64 s[34:35], s[6:7], s[18:19]
	s_and_saveexec_b64 s[28:29], s[34:35]
	s_cbranch_execnz .LBB171_237
.LBB171_224:
	s_or_b64 exec, exec, s[28:29]
	s_and_b64 s[34:35], s[8:9], s[18:19]
	s_and_saveexec_b64 s[28:29], s[34:35]
	s_cbranch_execnz .LBB171_241
.LBB171_225:
	s_or_b64 exec, exec, s[28:29]
	s_and_b64 s[34:35], s[10:11], s[18:19]
	s_and_saveexec_b64 s[28:29], s[34:35]
	s_cbranch_execnz .LBB171_245
.LBB171_226:
	s_or_b64 exec, exec, s[28:29]
	s_and_b64 s[34:35], s[12:13], s[18:19]
	s_and_saveexec_b64 s[28:29], s[34:35]
	s_cbranch_execnz .LBB171_249
.LBB171_227:
	s_or_b64 exec, exec, s[28:29]
	s_and_b64 s[34:35], s[14:15], s[18:19]
	s_and_saveexec_b64 s[28:29], s[34:35]
	s_cbranch_execnz .LBB171_253
.LBB171_228:
	s_or_b64 exec, exec, s[28:29]
	s_and_b64 s[28:29], s[16:17], s[18:19]
	s_and_saveexec_b64 s[18:19], s[28:29]
	s_cbranch_execnz .LBB171_257
	s_branch .LBB171_261
.LBB171_229:
	s_and_b64 vcc, exec, s[0:1]
	s_cbranch_vccnz .LBB171_231
; %bb.230:
	v_lshl_add_u64 v[20:21], v[0:1], 3, v[18:19]
	flat_load_dwordx2 v[20:21], v[20:21]
	s_waitcnt vmcnt(0) lgkmcnt(0)
	v_mul_f64 v[20:21], s[24:25], v[20:21]
	s_branch .LBB171_232
.LBB171_231:
	v_mov_b64_e32 v[20:21], 0
.LBB171_232:
	v_cvt_f32_f64_e32 v20, v[20:21]
	v_max_f32_e32 v21, v105, v105
	v_min_f32_e32 v20, v20, v21
	v_cvt_f64_f32_e32 v[20:21], v20
	v_lshl_add_u64 v[24:25], v[0:1], 3, v[16:17]
	global_store_dwordx2 v[24:25], v[20:21], off
	s_or_b64 exec, exec, s[28:29]
	s_and_b64 s[34:35], s[4:5], s[18:19]
	s_and_saveexec_b64 s[28:29], s[34:35]
	s_cbranch_execz .LBB171_223
.LBB171_233:
	s_and_b64 vcc, exec, s[0:1]
	s_cbranch_vccnz .LBB171_235
; %bb.234:
	v_lshl_add_u64 v[20:21], v[2:3], 3, v[18:19]
	flat_load_dwordx2 v[20:21], v[20:21]
	s_waitcnt vmcnt(0) lgkmcnt(0)
	v_mul_f64 v[20:21], s[24:25], v[20:21]
	s_branch .LBB171_236
.LBB171_235:
	v_mov_b64_e32 v[20:21], 0
.LBB171_236:
	v_cvt_f32_f64_e32 v20, v[20:21]
	v_max_f32_e32 v21, v104, v104
	v_min_f32_e32 v20, v20, v21
	v_cvt_f64_f32_e32 v[20:21], v20
	v_lshl_add_u64 v[24:25], v[2:3], 3, v[16:17]
	global_store_dwordx2 v[24:25], v[20:21], off
	s_or_b64 exec, exec, s[28:29]
	s_and_b64 s[34:35], s[6:7], s[18:19]
	s_and_saveexec_b64 s[28:29], s[34:35]
	s_cbranch_execz .LBB171_224
.LBB171_237:
	s_and_b64 vcc, exec, s[0:1]
	s_cbranch_vccnz .LBB171_239
; %bb.238:
	v_lshl_add_u64 v[20:21], v[4:5], 3, v[18:19]
	flat_load_dwordx2 v[20:21], v[20:21]
	s_waitcnt vmcnt(0) lgkmcnt(0)
	v_mul_f64 v[20:21], s[24:25], v[20:21]
	s_branch .LBB171_240
.LBB171_239:
	v_mov_b64_e32 v[20:21], 0
.LBB171_240:
	v_cvt_f32_f64_e32 v20, v[20:21]
	v_max_f32_e32 v21, v103, v103
	v_min_f32_e32 v20, v20, v21
	v_cvt_f64_f32_e32 v[20:21], v20
	v_lshl_add_u64 v[24:25], v[4:5], 3, v[16:17]
	global_store_dwordx2 v[24:25], v[20:21], off
	s_or_b64 exec, exec, s[28:29]
	s_and_b64 s[34:35], s[8:9], s[18:19]
	s_and_saveexec_b64 s[28:29], s[34:35]
	s_cbranch_execz .LBB171_225
.LBB171_241:
	s_and_b64 vcc, exec, s[0:1]
	s_cbranch_vccnz .LBB171_243
; %bb.242:
	v_lshl_add_u64 v[20:21], v[6:7], 3, v[18:19]
	flat_load_dwordx2 v[20:21], v[20:21]
	s_waitcnt vmcnt(0) lgkmcnt(0)
	v_mul_f64 v[20:21], s[24:25], v[20:21]
	s_branch .LBB171_244
.LBB171_243:
	v_mov_b64_e32 v[20:21], 0
.LBB171_244:
	v_cvt_f32_f64_e32 v20, v[20:21]
	v_max_f32_e32 v21, v102, v102
	v_min_f32_e32 v20, v20, v21
	v_cvt_f64_f32_e32 v[20:21], v20
	v_lshl_add_u64 v[24:25], v[6:7], 3, v[16:17]
	global_store_dwordx2 v[24:25], v[20:21], off
	s_or_b64 exec, exec, s[28:29]
	s_and_b64 s[34:35], s[10:11], s[18:19]
	s_and_saveexec_b64 s[28:29], s[34:35]
	s_cbranch_execz .LBB171_226
.LBB171_245:
	s_and_b64 vcc, exec, s[0:1]
	s_cbranch_vccnz .LBB171_247
; %bb.246:
	v_lshl_add_u64 v[20:21], v[8:9], 3, v[18:19]
	flat_load_dwordx2 v[20:21], v[20:21]
	s_waitcnt vmcnt(0) lgkmcnt(0)
	v_mul_f64 v[20:21], s[24:25], v[20:21]
	s_branch .LBB171_248
.LBB171_247:
	v_mov_b64_e32 v[20:21], 0
.LBB171_248:
	v_cvt_f32_f64_e32 v20, v[20:21]
	v_max_f32_e32 v21, v101, v101
	v_min_f32_e32 v20, v20, v21
	v_cvt_f64_f32_e32 v[20:21], v20
	v_lshl_add_u64 v[24:25], v[8:9], 3, v[16:17]
	global_store_dwordx2 v[24:25], v[20:21], off
	s_or_b64 exec, exec, s[28:29]
	s_and_b64 s[34:35], s[12:13], s[18:19]
	s_and_saveexec_b64 s[28:29], s[34:35]
	s_cbranch_execz .LBB171_227
.LBB171_249:
	s_and_b64 vcc, exec, s[0:1]
	s_cbranch_vccnz .LBB171_251
; %bb.250:
	v_lshl_add_u64 v[20:21], v[10:11], 3, v[18:19]
	flat_load_dwordx2 v[20:21], v[20:21]
	s_waitcnt vmcnt(0) lgkmcnt(0)
	v_mul_f64 v[20:21], s[24:25], v[20:21]
	s_branch .LBB171_252
.LBB171_251:
	v_mov_b64_e32 v[20:21], 0
.LBB171_252:
	v_cvt_f32_f64_e32 v20, v[20:21]
	v_max_f32_e32 v21, v100, v100
	v_min_f32_e32 v20, v20, v21
	v_cvt_f64_f32_e32 v[20:21], v20
	v_lshl_add_u64 v[24:25], v[10:11], 3, v[16:17]
	global_store_dwordx2 v[24:25], v[20:21], off
	s_or_b64 exec, exec, s[28:29]
	s_and_b64 s[34:35], s[14:15], s[18:19]
	s_and_saveexec_b64 s[28:29], s[34:35]
	s_cbranch_execz .LBB171_228
.LBB171_253:
	s_and_b64 vcc, exec, s[0:1]
	s_cbranch_vccnz .LBB171_255
; %bb.254:
	v_lshl_add_u64 v[20:21], v[12:13], 3, v[18:19]
	flat_load_dwordx2 v[20:21], v[20:21]
	s_waitcnt vmcnt(0) lgkmcnt(0)
	v_mul_f64 v[20:21], s[24:25], v[20:21]
	s_branch .LBB171_256
.LBB171_255:
	v_mov_b64_e32 v[20:21], 0
.LBB171_256:
	v_cvt_f32_f64_e32 v20, v[20:21]
	v_max_f32_e32 v21, v99, v99
	v_min_f32_e32 v20, v20, v21
	v_cvt_f64_f32_e32 v[20:21], v20
	v_lshl_add_u64 v[24:25], v[12:13], 3, v[16:17]
	global_store_dwordx2 v[24:25], v[20:21], off
	s_or_b64 exec, exec, s[28:29]
	s_and_b64 s[28:29], s[16:17], s[18:19]
	s_and_saveexec_b64 s[18:19], s[28:29]
	s_cbranch_execz .LBB171_261
.LBB171_257:
	s_and_b64 vcc, exec, s[0:1]
	s_cbranch_vccnz .LBB171_259
; %bb.258:
	v_lshl_add_u64 v[18:19], v[14:15], 3, v[18:19]
	flat_load_dwordx2 v[18:19], v[18:19]
	s_waitcnt vmcnt(0) lgkmcnt(0)
	v_mul_f64 v[18:19], s[24:25], v[18:19]
	s_branch .LBB171_260
.LBB171_259:
	v_mov_b64_e32 v[18:19], 0
.LBB171_260:
	v_cvt_f32_f64_e32 v18, v[18:19]
	v_max_f32_e32 v19, v98, v98
	v_min_f32_e32 v18, v18, v19
	v_cvt_f64_f32_e32 v[18:19], v18
	v_lshl_add_u64 v[16:17], v[14:15], 3, v[16:17]
	global_store_dwordx2 v[16:17], v[18:19], off
.LBB171_261:
	s_or_b64 exec, exec, s[18:19]
	v_add_u32_e32 v20, 0xa0, v22
	v_mad_i64_i32 v[16:17], s[28:29], v20, s31, 0
	v_cmp_gt_i32_e64 s[18:19], s21, v20
	v_lshl_add_u64 v[18:19], v[16:17], 3, s[26:27]
	v_mad_i64_i32 v[16:17], s[28:29], v20, s30, 0
	v_lshl_add_u64 v[16:17], v[16:17], 3, s[22:23]
	s_and_b64 s[34:35], s[2:3], s[18:19]
	s_and_saveexec_b64 s[28:29], s[34:35]
	s_cbranch_execnz .LBB171_269
; %bb.262:
	s_or_b64 exec, exec, s[28:29]
	s_and_b64 s[34:35], s[4:5], s[18:19]
	s_and_saveexec_b64 s[28:29], s[34:35]
	s_cbranch_execnz .LBB171_273
.LBB171_263:
	s_or_b64 exec, exec, s[28:29]
	s_and_b64 s[34:35], s[6:7], s[18:19]
	s_and_saveexec_b64 s[28:29], s[34:35]
	s_cbranch_execnz .LBB171_277
.LBB171_264:
	s_or_b64 exec, exec, s[28:29]
	s_and_b64 s[34:35], s[8:9], s[18:19]
	s_and_saveexec_b64 s[28:29], s[34:35]
	s_cbranch_execnz .LBB171_281
.LBB171_265:
	s_or_b64 exec, exec, s[28:29]
	s_and_b64 s[34:35], s[10:11], s[18:19]
	s_and_saveexec_b64 s[28:29], s[34:35]
	s_cbranch_execnz .LBB171_285
.LBB171_266:
	s_or_b64 exec, exec, s[28:29]
	s_and_b64 s[34:35], s[12:13], s[18:19]
	s_and_saveexec_b64 s[28:29], s[34:35]
	s_cbranch_execnz .LBB171_289
.LBB171_267:
	s_or_b64 exec, exec, s[28:29]
	s_and_b64 s[34:35], s[14:15], s[18:19]
	s_and_saveexec_b64 s[28:29], s[34:35]
	s_cbranch_execnz .LBB171_293
.LBB171_268:
	s_or_b64 exec, exec, s[28:29]
	s_and_b64 s[28:29], s[16:17], s[18:19]
	s_and_saveexec_b64 s[18:19], s[28:29]
	s_cbranch_execnz .LBB171_297
	s_branch .LBB171_301
.LBB171_269:
	s_and_b64 vcc, exec, s[0:1]
	s_cbranch_vccnz .LBB171_271
; %bb.270:
	v_lshl_add_u64 v[20:21], v[0:1], 3, v[18:19]
	flat_load_dwordx2 v[20:21], v[20:21]
	s_waitcnt vmcnt(0) lgkmcnt(0)
	v_mul_f64 v[20:21], s[24:25], v[20:21]
	s_branch .LBB171_272
.LBB171_271:
	v_mov_b64_e32 v[20:21], 0
.LBB171_272:
	v_cvt_f32_f64_e32 v20, v[20:21]
	v_max_f32_e32 v21, v97, v97
	v_min_f32_e32 v20, v20, v21
	v_cvt_f64_f32_e32 v[20:21], v20
	v_lshl_add_u64 v[24:25], v[0:1], 3, v[16:17]
	global_store_dwordx2 v[24:25], v[20:21], off
	s_or_b64 exec, exec, s[28:29]
	s_and_b64 s[34:35], s[4:5], s[18:19]
	s_and_saveexec_b64 s[28:29], s[34:35]
	s_cbranch_execz .LBB171_263
.LBB171_273:
	s_and_b64 vcc, exec, s[0:1]
	s_cbranch_vccnz .LBB171_275
; %bb.274:
	v_lshl_add_u64 v[20:21], v[2:3], 3, v[18:19]
	flat_load_dwordx2 v[20:21], v[20:21]
	s_waitcnt vmcnt(0) lgkmcnt(0)
	v_mul_f64 v[20:21], s[24:25], v[20:21]
	s_branch .LBB171_276
.LBB171_275:
	v_mov_b64_e32 v[20:21], 0
.LBB171_276:
	v_cvt_f32_f64_e32 v20, v[20:21]
	v_max_f32_e32 v21, v96, v96
	v_min_f32_e32 v20, v20, v21
	v_cvt_f64_f32_e32 v[20:21], v20
	v_lshl_add_u64 v[24:25], v[2:3], 3, v[16:17]
	global_store_dwordx2 v[24:25], v[20:21], off
	s_or_b64 exec, exec, s[28:29]
	s_and_b64 s[34:35], s[6:7], s[18:19]
	s_and_saveexec_b64 s[28:29], s[34:35]
	s_cbranch_execz .LBB171_264
.LBB171_277:
	s_and_b64 vcc, exec, s[0:1]
	s_cbranch_vccnz .LBB171_279
; %bb.278:
	v_lshl_add_u64 v[20:21], v[4:5], 3, v[18:19]
	flat_load_dwordx2 v[20:21], v[20:21]
	s_waitcnt vmcnt(0) lgkmcnt(0)
	v_mul_f64 v[20:21], s[24:25], v[20:21]
	s_branch .LBB171_280
.LBB171_279:
	v_mov_b64_e32 v[20:21], 0
.LBB171_280:
	v_cvt_f32_f64_e32 v20, v[20:21]
	v_max_f32_e32 v21, v95, v95
	v_min_f32_e32 v20, v20, v21
	v_cvt_f64_f32_e32 v[20:21], v20
	v_lshl_add_u64 v[24:25], v[4:5], 3, v[16:17]
	global_store_dwordx2 v[24:25], v[20:21], off
	s_or_b64 exec, exec, s[28:29]
	s_and_b64 s[34:35], s[8:9], s[18:19]
	s_and_saveexec_b64 s[28:29], s[34:35]
	s_cbranch_execz .LBB171_265
.LBB171_281:
	s_and_b64 vcc, exec, s[0:1]
	s_cbranch_vccnz .LBB171_283
; %bb.282:
	v_lshl_add_u64 v[20:21], v[6:7], 3, v[18:19]
	flat_load_dwordx2 v[20:21], v[20:21]
	s_waitcnt vmcnt(0) lgkmcnt(0)
	v_mul_f64 v[20:21], s[24:25], v[20:21]
	s_branch .LBB171_284
.LBB171_283:
	v_mov_b64_e32 v[20:21], 0
.LBB171_284:
	v_cvt_f32_f64_e32 v20, v[20:21]
	v_max_f32_e32 v21, v94, v94
	v_min_f32_e32 v20, v20, v21
	v_cvt_f64_f32_e32 v[20:21], v20
	v_lshl_add_u64 v[24:25], v[6:7], 3, v[16:17]
	global_store_dwordx2 v[24:25], v[20:21], off
	s_or_b64 exec, exec, s[28:29]
	s_and_b64 s[34:35], s[10:11], s[18:19]
	s_and_saveexec_b64 s[28:29], s[34:35]
	s_cbranch_execz .LBB171_266
.LBB171_285:
	s_and_b64 vcc, exec, s[0:1]
	s_cbranch_vccnz .LBB171_287
; %bb.286:
	v_lshl_add_u64 v[20:21], v[8:9], 3, v[18:19]
	flat_load_dwordx2 v[20:21], v[20:21]
	s_waitcnt vmcnt(0) lgkmcnt(0)
	v_mul_f64 v[20:21], s[24:25], v[20:21]
	s_branch .LBB171_288
.LBB171_287:
	v_mov_b64_e32 v[20:21], 0
.LBB171_288:
	v_cvt_f32_f64_e32 v20, v[20:21]
	v_max_f32_e32 v21, v93, v93
	v_min_f32_e32 v20, v20, v21
	v_cvt_f64_f32_e32 v[20:21], v20
	v_lshl_add_u64 v[24:25], v[8:9], 3, v[16:17]
	global_store_dwordx2 v[24:25], v[20:21], off
	s_or_b64 exec, exec, s[28:29]
	s_and_b64 s[34:35], s[12:13], s[18:19]
	s_and_saveexec_b64 s[28:29], s[34:35]
	s_cbranch_execz .LBB171_267
.LBB171_289:
	s_and_b64 vcc, exec, s[0:1]
	s_cbranch_vccnz .LBB171_291
; %bb.290:
	v_lshl_add_u64 v[20:21], v[10:11], 3, v[18:19]
	flat_load_dwordx2 v[20:21], v[20:21]
	s_waitcnt vmcnt(0) lgkmcnt(0)
	v_mul_f64 v[20:21], s[24:25], v[20:21]
	s_branch .LBB171_292
.LBB171_291:
	v_mov_b64_e32 v[20:21], 0
.LBB171_292:
	v_cvt_f32_f64_e32 v20, v[20:21]
	v_max_f32_e32 v21, v92, v92
	v_min_f32_e32 v20, v20, v21
	v_cvt_f64_f32_e32 v[20:21], v20
	v_lshl_add_u64 v[24:25], v[10:11], 3, v[16:17]
	global_store_dwordx2 v[24:25], v[20:21], off
	s_or_b64 exec, exec, s[28:29]
	s_and_b64 s[34:35], s[14:15], s[18:19]
	s_and_saveexec_b64 s[28:29], s[34:35]
	s_cbranch_execz .LBB171_268
.LBB171_293:
	s_and_b64 vcc, exec, s[0:1]
	s_cbranch_vccnz .LBB171_295
; %bb.294:
	v_lshl_add_u64 v[20:21], v[12:13], 3, v[18:19]
	flat_load_dwordx2 v[20:21], v[20:21]
	s_waitcnt vmcnt(0) lgkmcnt(0)
	v_mul_f64 v[20:21], s[24:25], v[20:21]
	s_branch .LBB171_296
.LBB171_295:
	v_mov_b64_e32 v[20:21], 0
.LBB171_296:
	v_cvt_f32_f64_e32 v20, v[20:21]
	v_max_f32_e32 v21, v91, v91
	v_min_f32_e32 v20, v20, v21
	v_cvt_f64_f32_e32 v[20:21], v20
	v_lshl_add_u64 v[24:25], v[12:13], 3, v[16:17]
	global_store_dwordx2 v[24:25], v[20:21], off
	s_or_b64 exec, exec, s[28:29]
	s_and_b64 s[28:29], s[16:17], s[18:19]
	s_and_saveexec_b64 s[18:19], s[28:29]
	s_cbranch_execz .LBB171_301
.LBB171_297:
	s_and_b64 vcc, exec, s[0:1]
	s_cbranch_vccnz .LBB171_299
; %bb.298:
	v_lshl_add_u64 v[18:19], v[14:15], 3, v[18:19]
	flat_load_dwordx2 v[18:19], v[18:19]
	s_waitcnt vmcnt(0) lgkmcnt(0)
	v_mul_f64 v[18:19], s[24:25], v[18:19]
	s_branch .LBB171_300
.LBB171_299:
	v_mov_b64_e32 v[18:19], 0
.LBB171_300:
	v_cvt_f32_f64_e32 v18, v[18:19]
	v_max_f32_e32 v19, v90, v90
	v_min_f32_e32 v18, v18, v19
	v_cvt_f64_f32_e32 v[18:19], v18
	v_lshl_add_u64 v[16:17], v[14:15], 3, v[16:17]
	global_store_dwordx2 v[16:17], v[18:19], off
.LBB171_301:
	s_or_b64 exec, exec, s[18:19]
	v_add_u32_e32 v20, 0xc0, v22
	v_mad_i64_i32 v[16:17], s[28:29], v20, s31, 0
	v_cmp_gt_i32_e64 s[18:19], s21, v20
	v_lshl_add_u64 v[18:19], v[16:17], 3, s[26:27]
	v_mad_i64_i32 v[16:17], s[28:29], v20, s30, 0
	v_lshl_add_u64 v[16:17], v[16:17], 3, s[22:23]
	s_and_b64 s[34:35], s[2:3], s[18:19]
	s_and_saveexec_b64 s[28:29], s[34:35]
	s_cbranch_execnz .LBB171_309
; %bb.302:
	s_or_b64 exec, exec, s[28:29]
	s_and_b64 s[34:35], s[4:5], s[18:19]
	s_and_saveexec_b64 s[28:29], s[34:35]
	s_cbranch_execnz .LBB171_313
.LBB171_303:
	s_or_b64 exec, exec, s[28:29]
	s_and_b64 s[34:35], s[6:7], s[18:19]
	s_and_saveexec_b64 s[28:29], s[34:35]
	s_cbranch_execnz .LBB171_317
.LBB171_304:
	s_or_b64 exec, exec, s[28:29]
	s_and_b64 s[34:35], s[8:9], s[18:19]
	s_and_saveexec_b64 s[28:29], s[34:35]
	s_cbranch_execnz .LBB171_321
.LBB171_305:
	s_or_b64 exec, exec, s[28:29]
	s_and_b64 s[34:35], s[10:11], s[18:19]
	s_and_saveexec_b64 s[28:29], s[34:35]
	s_cbranch_execnz .LBB171_325
.LBB171_306:
	s_or_b64 exec, exec, s[28:29]
	s_and_b64 s[34:35], s[12:13], s[18:19]
	s_and_saveexec_b64 s[28:29], s[34:35]
	s_cbranch_execnz .LBB171_329
.LBB171_307:
	s_or_b64 exec, exec, s[28:29]
	s_and_b64 s[34:35], s[14:15], s[18:19]
	s_and_saveexec_b64 s[28:29], s[34:35]
	s_cbranch_execnz .LBB171_333
.LBB171_308:
	s_or_b64 exec, exec, s[28:29]
	s_and_b64 s[28:29], s[16:17], s[18:19]
	s_and_saveexec_b64 s[18:19], s[28:29]
	s_cbranch_execnz .LBB171_337
	s_branch .LBB171_341
.LBB171_309:
	s_and_b64 vcc, exec, s[0:1]
	s_cbranch_vccnz .LBB171_311
; %bb.310:
	v_lshl_add_u64 v[20:21], v[0:1], 3, v[18:19]
	flat_load_dwordx2 v[20:21], v[20:21]
	s_waitcnt vmcnt(0) lgkmcnt(0)
	v_mul_f64 v[20:21], s[24:25], v[20:21]
	s_branch .LBB171_312
.LBB171_311:
	v_mov_b64_e32 v[20:21], 0
.LBB171_312:
	v_cvt_f32_f64_e32 v20, v[20:21]
	v_max_f32_e32 v21, v89, v89
	v_min_f32_e32 v20, v20, v21
	v_cvt_f64_f32_e32 v[20:21], v20
	v_lshl_add_u64 v[24:25], v[0:1], 3, v[16:17]
	global_store_dwordx2 v[24:25], v[20:21], off
	s_or_b64 exec, exec, s[28:29]
	s_and_b64 s[34:35], s[4:5], s[18:19]
	s_and_saveexec_b64 s[28:29], s[34:35]
	s_cbranch_execz .LBB171_303
.LBB171_313:
	s_and_b64 vcc, exec, s[0:1]
	s_cbranch_vccnz .LBB171_315
; %bb.314:
	v_lshl_add_u64 v[20:21], v[2:3], 3, v[18:19]
	flat_load_dwordx2 v[20:21], v[20:21]
	s_waitcnt vmcnt(0) lgkmcnt(0)
	v_mul_f64 v[20:21], s[24:25], v[20:21]
	s_branch .LBB171_316
.LBB171_315:
	v_mov_b64_e32 v[20:21], 0
.LBB171_316:
	v_cvt_f32_f64_e32 v20, v[20:21]
	v_max_f32_e32 v21, v88, v88
	v_min_f32_e32 v20, v20, v21
	v_cvt_f64_f32_e32 v[20:21], v20
	v_lshl_add_u64 v[24:25], v[2:3], 3, v[16:17]
	global_store_dwordx2 v[24:25], v[20:21], off
	s_or_b64 exec, exec, s[28:29]
	s_and_b64 s[34:35], s[6:7], s[18:19]
	s_and_saveexec_b64 s[28:29], s[34:35]
	s_cbranch_execz .LBB171_304
.LBB171_317:
	s_and_b64 vcc, exec, s[0:1]
	s_cbranch_vccnz .LBB171_319
; %bb.318:
	v_lshl_add_u64 v[20:21], v[4:5], 3, v[18:19]
	flat_load_dwordx2 v[20:21], v[20:21]
	s_waitcnt vmcnt(0) lgkmcnt(0)
	v_mul_f64 v[20:21], s[24:25], v[20:21]
	s_branch .LBB171_320
.LBB171_319:
	v_mov_b64_e32 v[20:21], 0
.LBB171_320:
	v_cvt_f32_f64_e32 v20, v[20:21]
	v_max_f32_e32 v21, v87, v87
	v_min_f32_e32 v20, v20, v21
	v_cvt_f64_f32_e32 v[20:21], v20
	v_lshl_add_u64 v[24:25], v[4:5], 3, v[16:17]
	global_store_dwordx2 v[24:25], v[20:21], off
	s_or_b64 exec, exec, s[28:29]
	s_and_b64 s[34:35], s[8:9], s[18:19]
	s_and_saveexec_b64 s[28:29], s[34:35]
	s_cbranch_execz .LBB171_305
.LBB171_321:
	s_and_b64 vcc, exec, s[0:1]
	s_cbranch_vccnz .LBB171_323
; %bb.322:
	v_lshl_add_u64 v[20:21], v[6:7], 3, v[18:19]
	flat_load_dwordx2 v[20:21], v[20:21]
	s_waitcnt vmcnt(0) lgkmcnt(0)
	v_mul_f64 v[20:21], s[24:25], v[20:21]
	s_branch .LBB171_324
.LBB171_323:
	v_mov_b64_e32 v[20:21], 0
.LBB171_324:
	v_cvt_f32_f64_e32 v20, v[20:21]
	v_max_f32_e32 v21, v86, v86
	v_min_f32_e32 v20, v20, v21
	v_cvt_f64_f32_e32 v[20:21], v20
	v_lshl_add_u64 v[24:25], v[6:7], 3, v[16:17]
	global_store_dwordx2 v[24:25], v[20:21], off
	s_or_b64 exec, exec, s[28:29]
	s_and_b64 s[34:35], s[10:11], s[18:19]
	s_and_saveexec_b64 s[28:29], s[34:35]
	s_cbranch_execz .LBB171_306
.LBB171_325:
	s_and_b64 vcc, exec, s[0:1]
	s_cbranch_vccnz .LBB171_327
; %bb.326:
	v_lshl_add_u64 v[20:21], v[8:9], 3, v[18:19]
	flat_load_dwordx2 v[20:21], v[20:21]
	s_waitcnt vmcnt(0) lgkmcnt(0)
	v_mul_f64 v[20:21], s[24:25], v[20:21]
	s_branch .LBB171_328
.LBB171_327:
	v_mov_b64_e32 v[20:21], 0
.LBB171_328:
	v_cvt_f32_f64_e32 v20, v[20:21]
	v_max_f32_e32 v21, v85, v85
	v_min_f32_e32 v20, v20, v21
	v_cvt_f64_f32_e32 v[20:21], v20
	v_lshl_add_u64 v[24:25], v[8:9], 3, v[16:17]
	global_store_dwordx2 v[24:25], v[20:21], off
	s_or_b64 exec, exec, s[28:29]
	s_and_b64 s[34:35], s[12:13], s[18:19]
	s_and_saveexec_b64 s[28:29], s[34:35]
	s_cbranch_execz .LBB171_307
.LBB171_329:
	s_and_b64 vcc, exec, s[0:1]
	s_cbranch_vccnz .LBB171_331
; %bb.330:
	v_lshl_add_u64 v[20:21], v[10:11], 3, v[18:19]
	flat_load_dwordx2 v[20:21], v[20:21]
	s_waitcnt vmcnt(0) lgkmcnt(0)
	v_mul_f64 v[20:21], s[24:25], v[20:21]
	s_branch .LBB171_332
.LBB171_331:
	v_mov_b64_e32 v[20:21], 0
.LBB171_332:
	v_cvt_f32_f64_e32 v20, v[20:21]
	v_max_f32_e32 v21, v84, v84
	v_min_f32_e32 v20, v20, v21
	v_cvt_f64_f32_e32 v[20:21], v20
	v_lshl_add_u64 v[24:25], v[10:11], 3, v[16:17]
	global_store_dwordx2 v[24:25], v[20:21], off
	s_or_b64 exec, exec, s[28:29]
	s_and_b64 s[34:35], s[14:15], s[18:19]
	s_and_saveexec_b64 s[28:29], s[34:35]
	s_cbranch_execz .LBB171_308
.LBB171_333:
	s_and_b64 vcc, exec, s[0:1]
	s_cbranch_vccnz .LBB171_335
; %bb.334:
	v_lshl_add_u64 v[20:21], v[12:13], 3, v[18:19]
	flat_load_dwordx2 v[20:21], v[20:21]
	s_waitcnt vmcnt(0) lgkmcnt(0)
	v_mul_f64 v[20:21], s[24:25], v[20:21]
	s_branch .LBB171_336
.LBB171_335:
	v_mov_b64_e32 v[20:21], 0
.LBB171_336:
	v_cvt_f32_f64_e32 v20, v[20:21]
	v_max_f32_e32 v21, v83, v83
	v_min_f32_e32 v20, v20, v21
	v_cvt_f64_f32_e32 v[20:21], v20
	v_lshl_add_u64 v[24:25], v[12:13], 3, v[16:17]
	global_store_dwordx2 v[24:25], v[20:21], off
	s_or_b64 exec, exec, s[28:29]
	s_and_b64 s[28:29], s[16:17], s[18:19]
	s_and_saveexec_b64 s[18:19], s[28:29]
	s_cbranch_execz .LBB171_341
.LBB171_337:
	s_and_b64 vcc, exec, s[0:1]
	s_cbranch_vccnz .LBB171_339
; %bb.338:
	v_lshl_add_u64 v[18:19], v[14:15], 3, v[18:19]
	flat_load_dwordx2 v[18:19], v[18:19]
	s_waitcnt vmcnt(0) lgkmcnt(0)
	v_mul_f64 v[18:19], s[24:25], v[18:19]
	s_branch .LBB171_340
.LBB171_339:
	v_mov_b64_e32 v[18:19], 0
.LBB171_340:
	v_cvt_f32_f64_e32 v18, v[18:19]
	v_max_f32_e32 v19, v82, v82
	v_min_f32_e32 v18, v18, v19
	v_cvt_f64_f32_e32 v[18:19], v18
	v_lshl_add_u64 v[16:17], v[14:15], 3, v[16:17]
	global_store_dwordx2 v[16:17], v[18:19], off
.LBB171_341:
	s_or_b64 exec, exec, s[18:19]
	v_add_u32_e32 v20, 0xe0, v22
	v_cmp_gt_i32_e64 s[18:19], s21, v20
	v_mad_i64_i32 v[16:17], s[20:21], v20, s31, 0
	v_lshl_add_u64 v[18:19], v[16:17], 3, s[26:27]
	v_mad_i64_i32 v[16:17], s[20:21], v20, s30, 0
	v_lshl_add_u64 v[16:17], v[16:17], 3, s[22:23]
	s_and_b64 s[20:21], s[2:3], s[18:19]
	s_and_saveexec_b64 s[2:3], s[20:21]
	s_cbranch_execnz .LBB171_350
; %bb.342:
	s_or_b64 exec, exec, s[2:3]
	s_and_b64 s[4:5], s[4:5], s[18:19]
	s_and_saveexec_b64 s[2:3], s[4:5]
	s_cbranch_execnz .LBB171_354
.LBB171_343:
	s_or_b64 exec, exec, s[2:3]
	s_and_b64 s[4:5], s[6:7], s[18:19]
	s_and_saveexec_b64 s[2:3], s[4:5]
	s_cbranch_execnz .LBB171_358
.LBB171_344:
	s_or_b64 exec, exec, s[2:3]
	s_and_b64 s[4:5], s[8:9], s[18:19]
	s_and_saveexec_b64 s[2:3], s[4:5]
	s_cbranch_execnz .LBB171_362
.LBB171_345:
	s_or_b64 exec, exec, s[2:3]
	s_and_b64 s[4:5], s[10:11], s[18:19]
	s_and_saveexec_b64 s[2:3], s[4:5]
	s_cbranch_execnz .LBB171_366
.LBB171_346:
	s_or_b64 exec, exec, s[2:3]
	s_and_b64 s[4:5], s[12:13], s[18:19]
	s_and_saveexec_b64 s[2:3], s[4:5]
	s_cbranch_execnz .LBB171_370
.LBB171_347:
	s_or_b64 exec, exec, s[2:3]
	s_and_b64 s[4:5], s[14:15], s[18:19]
	s_and_saveexec_b64 s[2:3], s[4:5]
	s_cbranch_execnz .LBB171_374
.LBB171_348:
	s_or_b64 exec, exec, s[2:3]
	s_and_b64 s[2:3], s[16:17], s[18:19]
	s_and_saveexec_b64 s[4:5], s[2:3]
	s_cbranch_execnz .LBB171_378
.LBB171_349:
	s_endpgm
.LBB171_350:
	s_and_b64 vcc, exec, s[0:1]
	s_cbranch_vccnz .LBB171_352
; %bb.351:
	v_lshl_add_u64 v[20:21], v[0:1], 3, v[18:19]
	flat_load_dwordx2 v[20:21], v[20:21]
	s_waitcnt vmcnt(0) lgkmcnt(0)
	v_mul_f64 v[20:21], s[24:25], v[20:21]
	v_cvt_f32_f64_e32 v20, v[20:21]
	s_branch .LBB171_353
.LBB171_352:
	v_mov_b32_e32 v20, 0
.LBB171_353:
	v_max_f32_e32 v21, v81, v81
	v_max_f32_e32 v20, v20, v20
	v_min_f32_e32 v20, v20, v21
	v_cvt_f64_f32_e32 v[20:21], v20
	v_lshl_add_u64 v[0:1], v[0:1], 3, v[16:17]
	global_store_dwordx2 v[0:1], v[20:21], off
	s_or_b64 exec, exec, s[2:3]
	s_and_b64 s[4:5], s[4:5], s[18:19]
	s_and_saveexec_b64 s[2:3], s[4:5]
	s_cbranch_execz .LBB171_343
.LBB171_354:
	s_and_b64 vcc, exec, s[0:1]
	s_cbranch_vccnz .LBB171_356
; %bb.355:
	v_lshl_add_u64 v[0:1], v[2:3], 3, v[18:19]
	flat_load_dwordx2 v[0:1], v[0:1]
	s_waitcnt vmcnt(0) lgkmcnt(0)
	v_mul_f64 v[0:1], s[24:25], v[0:1]
	v_cvt_f32_f64_e32 v0, v[0:1]
	s_branch .LBB171_357
.LBB171_356:
	v_mov_b32_e32 v0, 0
.LBB171_357:
	v_max_f32_e32 v1, v80, v80
	v_max_f32_e32 v0, v0, v0
	v_min_f32_e32 v0, v0, v1
	v_cvt_f64_f32_e32 v[0:1], v0
	v_lshl_add_u64 v[2:3], v[2:3], 3, v[16:17]
	global_store_dwordx2 v[2:3], v[0:1], off
	s_or_b64 exec, exec, s[2:3]
	s_and_b64 s[4:5], s[6:7], s[18:19]
	s_and_saveexec_b64 s[2:3], s[4:5]
	s_cbranch_execz .LBB171_344
.LBB171_358:
	s_and_b64 vcc, exec, s[0:1]
	s_cbranch_vccnz .LBB171_360
; %bb.359:
	v_lshl_add_u64 v[0:1], v[4:5], 3, v[18:19]
	flat_load_dwordx2 v[0:1], v[0:1]
	s_waitcnt vmcnt(0) lgkmcnt(0)
	v_mul_f64 v[0:1], s[24:25], v[0:1]
	v_cvt_f32_f64_e32 v0, v[0:1]
	s_branch .LBB171_361
.LBB171_360:
	v_mov_b32_e32 v0, 0
.LBB171_361:
	v_max_f32_e32 v1, v79, v79
	v_max_f32_e32 v0, v0, v0
	v_min_f32_e32 v0, v0, v1
	v_cvt_f64_f32_e32 v[0:1], v0
	v_lshl_add_u64 v[2:3], v[4:5], 3, v[16:17]
	global_store_dwordx2 v[2:3], v[0:1], off
	s_or_b64 exec, exec, s[2:3]
	s_and_b64 s[4:5], s[8:9], s[18:19]
	s_and_saveexec_b64 s[2:3], s[4:5]
	s_cbranch_execz .LBB171_345
.LBB171_362:
	s_and_b64 vcc, exec, s[0:1]
	s_cbranch_vccnz .LBB171_364
; %bb.363:
	v_lshl_add_u64 v[0:1], v[6:7], 3, v[18:19]
	flat_load_dwordx2 v[0:1], v[0:1]
	s_waitcnt vmcnt(0) lgkmcnt(0)
	v_mul_f64 v[0:1], s[24:25], v[0:1]
	v_cvt_f32_f64_e32 v0, v[0:1]
	s_branch .LBB171_365
.LBB171_364:
	v_mov_b32_e32 v0, 0
.LBB171_365:
	v_max_f32_e32 v1, v78, v78
	v_max_f32_e32 v0, v0, v0
	v_min_f32_e32 v0, v0, v1
	v_cvt_f64_f32_e32 v[0:1], v0
	v_lshl_add_u64 v[2:3], v[6:7], 3, v[16:17]
	global_store_dwordx2 v[2:3], v[0:1], off
	s_or_b64 exec, exec, s[2:3]
	s_and_b64 s[4:5], s[10:11], s[18:19]
	s_and_saveexec_b64 s[2:3], s[4:5]
	s_cbranch_execz .LBB171_346
.LBB171_366:
	s_and_b64 vcc, exec, s[0:1]
	s_cbranch_vccnz .LBB171_368
; %bb.367:
	v_lshl_add_u64 v[0:1], v[8:9], 3, v[18:19]
	flat_load_dwordx2 v[0:1], v[0:1]
	s_waitcnt vmcnt(0) lgkmcnt(0)
	v_mul_f64 v[0:1], s[24:25], v[0:1]
	v_cvt_f32_f64_e32 v0, v[0:1]
	s_branch .LBB171_369
.LBB171_368:
	v_mov_b32_e32 v0, 0
.LBB171_369:
	v_max_f32_e32 v1, v77, v77
	v_max_f32_e32 v0, v0, v0
	v_min_f32_e32 v0, v0, v1
	v_cvt_f64_f32_e32 v[0:1], v0
	v_lshl_add_u64 v[2:3], v[8:9], 3, v[16:17]
	global_store_dwordx2 v[2:3], v[0:1], off
	s_or_b64 exec, exec, s[2:3]
	s_and_b64 s[4:5], s[12:13], s[18:19]
	s_and_saveexec_b64 s[2:3], s[4:5]
	s_cbranch_execz .LBB171_347
.LBB171_370:
	s_and_b64 vcc, exec, s[0:1]
	s_cbranch_vccnz .LBB171_372
; %bb.371:
	v_lshl_add_u64 v[0:1], v[10:11], 3, v[18:19]
	flat_load_dwordx2 v[0:1], v[0:1]
	s_waitcnt vmcnt(0) lgkmcnt(0)
	v_mul_f64 v[0:1], s[24:25], v[0:1]
	v_cvt_f32_f64_e32 v0, v[0:1]
	s_branch .LBB171_373
.LBB171_372:
	v_mov_b32_e32 v0, 0
.LBB171_373:
	v_max_f32_e32 v1, v76, v76
	v_max_f32_e32 v0, v0, v0
	v_min_f32_e32 v0, v0, v1
	v_cvt_f64_f32_e32 v[0:1], v0
	v_lshl_add_u64 v[2:3], v[10:11], 3, v[16:17]
	global_store_dwordx2 v[2:3], v[0:1], off
	s_or_b64 exec, exec, s[2:3]
	s_and_b64 s[4:5], s[14:15], s[18:19]
	s_and_saveexec_b64 s[2:3], s[4:5]
	s_cbranch_execz .LBB171_348
.LBB171_374:
	s_and_b64 vcc, exec, s[0:1]
	s_cbranch_vccnz .LBB171_376
; %bb.375:
	v_lshl_add_u64 v[0:1], v[12:13], 3, v[18:19]
	flat_load_dwordx2 v[0:1], v[0:1]
	s_waitcnt vmcnt(0) lgkmcnt(0)
	v_mul_f64 v[0:1], s[24:25], v[0:1]
	v_cvt_f32_f64_e32 v0, v[0:1]
	s_branch .LBB171_377
.LBB171_376:
	v_mov_b32_e32 v0, 0
.LBB171_377:
	v_max_f32_e32 v1, v75, v75
	v_max_f32_e32 v0, v0, v0
	v_min_f32_e32 v0, v0, v1
	v_cvt_f64_f32_e32 v[0:1], v0
	v_lshl_add_u64 v[2:3], v[12:13], 3, v[16:17]
	global_store_dwordx2 v[2:3], v[0:1], off
	s_or_b64 exec, exec, s[2:3]
	s_and_b64 s[2:3], s[16:17], s[18:19]
	s_and_saveexec_b64 s[4:5], s[2:3]
	s_cbranch_execz .LBB171_349
.LBB171_378:
	s_and_b64 vcc, exec, s[0:1]
	s_cbranch_vccnz .LBB171_380
; %bb.379:
	v_lshl_add_u64 v[0:1], v[14:15], 3, v[18:19]
	flat_load_dwordx2 v[0:1], v[0:1]
	s_waitcnt vmcnt(0) lgkmcnt(0)
	v_mul_f64 v[0:1], s[24:25], v[0:1]
	v_cvt_f32_f64_e32 v0, v[0:1]
	s_branch .LBB171_381
.LBB171_380:
	v_mov_b32_e32 v0, 0
.LBB171_381:
	v_max_f32_e32 v1, v74, v74
	v_max_f32_e32 v0, v0, v0
	v_min_f32_e32 v0, v0, v1
	v_cvt_f64_f32_e32 v[0:1], v0
	v_lshl_add_u64 v[2:3], v[14:15], 3, v[16:17]
	global_store_dwordx2 v[2:3], v[0:1], off
	s_endpgm
	.section	.rodata,"a",@progbits
	.p2align	6, 0x0
	.amdhsa_kernel _ZN12_GLOBAL__N_120geam_min_plus_kernelId15HIP_vector_typeIdLj2EEdLi8ELi32ELi64ELi256ELi4ELi64ELi4ELi64ELi4ELc78ELc84ELb0ELb1ELb1EPKdS3_dEEviiiT16_PT17_ilS7_ilS5_S7_ilPT18_ili26rocblas_geam_ex_operation_
		.amdhsa_group_segment_fixed_size 20480
		.amdhsa_private_segment_fixed_size 0
		.amdhsa_kernarg_size 136
		.amdhsa_user_sgpr_count 2
		.amdhsa_user_sgpr_dispatch_ptr 0
		.amdhsa_user_sgpr_queue_ptr 0
		.amdhsa_user_sgpr_kernarg_segment_ptr 1
		.amdhsa_user_sgpr_dispatch_id 0
		.amdhsa_user_sgpr_kernarg_preload_length 0
		.amdhsa_user_sgpr_kernarg_preload_offset 0
		.amdhsa_user_sgpr_private_segment_size 0
		.amdhsa_uses_dynamic_stack 0
		.amdhsa_enable_private_segment 0
		.amdhsa_system_sgpr_workgroup_id_x 1
		.amdhsa_system_sgpr_workgroup_id_y 0
		.amdhsa_system_sgpr_workgroup_id_z 1
		.amdhsa_system_sgpr_workgroup_info 0
		.amdhsa_system_vgpr_workitem_id 1
		.amdhsa_next_free_vgpr 154
		.amdhsa_next_free_sgpr 46
		.amdhsa_accum_offset 156
		.amdhsa_reserve_vcc 1
		.amdhsa_float_round_mode_32 0
		.amdhsa_float_round_mode_16_64 0
		.amdhsa_float_denorm_mode_32 3
		.amdhsa_float_denorm_mode_16_64 3
		.amdhsa_dx10_clamp 1
		.amdhsa_ieee_mode 1
		.amdhsa_fp16_overflow 0
		.amdhsa_tg_split 0
		.amdhsa_exception_fp_ieee_invalid_op 0
		.amdhsa_exception_fp_denorm_src 0
		.amdhsa_exception_fp_ieee_div_zero 0
		.amdhsa_exception_fp_ieee_overflow 0
		.amdhsa_exception_fp_ieee_underflow 0
		.amdhsa_exception_fp_ieee_inexact 0
		.amdhsa_exception_int_div_zero 0
	.end_amdhsa_kernel
	.section	.text._ZN12_GLOBAL__N_120geam_min_plus_kernelId15HIP_vector_typeIdLj2EEdLi8ELi32ELi64ELi256ELi4ELi64ELi4ELi64ELi4ELc78ELc84ELb0ELb1ELb1EPKdS3_dEEviiiT16_PT17_ilS7_ilS5_S7_ilPT18_ili26rocblas_geam_ex_operation_,"axG",@progbits,_ZN12_GLOBAL__N_120geam_min_plus_kernelId15HIP_vector_typeIdLj2EEdLi8ELi32ELi64ELi256ELi4ELi64ELi4ELi64ELi4ELc78ELc84ELb0ELb1ELb1EPKdS3_dEEviiiT16_PT17_ilS7_ilS5_S7_ilPT18_ili26rocblas_geam_ex_operation_,comdat
.Lfunc_end171:
	.size	_ZN12_GLOBAL__N_120geam_min_plus_kernelId15HIP_vector_typeIdLj2EEdLi8ELi32ELi64ELi256ELi4ELi64ELi4ELi64ELi4ELc78ELc84ELb0ELb1ELb1EPKdS3_dEEviiiT16_PT17_ilS7_ilS5_S7_ilPT18_ili26rocblas_geam_ex_operation_, .Lfunc_end171-_ZN12_GLOBAL__N_120geam_min_plus_kernelId15HIP_vector_typeIdLj2EEdLi8ELi32ELi64ELi256ELi4ELi64ELi4ELi64ELi4ELc78ELc84ELb0ELb1ELb1EPKdS3_dEEviiiT16_PT17_ilS7_ilS5_S7_ilPT18_ili26rocblas_geam_ex_operation_
                                        ; -- End function
	.section	.AMDGPU.csdata,"",@progbits
; Kernel info:
; codeLenInByte = 19224
; NumSgprs: 52
; NumVgprs: 154
; NumAgprs: 0
; TotalNumVgprs: 154
; ScratchSize: 0
; MemoryBound: 0
; FloatMode: 240
; IeeeMode: 1
; LDSByteSize: 20480 bytes/workgroup (compile time only)
; SGPRBlocks: 6
; VGPRBlocks: 19
; NumSGPRsForWavesPerEU: 52
; NumVGPRsForWavesPerEU: 154
; AccumOffset: 156
; Occupancy: 3
; WaveLimiterHint : 0
; COMPUTE_PGM_RSRC2:SCRATCH_EN: 0
; COMPUTE_PGM_RSRC2:USER_SGPR: 2
; COMPUTE_PGM_RSRC2:TRAP_HANDLER: 0
; COMPUTE_PGM_RSRC2:TGID_X_EN: 1
; COMPUTE_PGM_RSRC2:TGID_Y_EN: 0
; COMPUTE_PGM_RSRC2:TGID_Z_EN: 1
; COMPUTE_PGM_RSRC2:TIDIG_COMP_CNT: 1
; COMPUTE_PGM_RSRC3_GFX90A:ACCUM_OFFSET: 38
; COMPUTE_PGM_RSRC3_GFX90A:TG_SPLIT: 0
	.section	.text._ZN12_GLOBAL__N_120geam_min_plus_kernelId15HIP_vector_typeIdLj2EEdLi8ELi32ELi64ELi256ELi4ELi64ELi4ELi64ELi4ELc78ELc84ELb1ELb1ELb1EdKddEEviiiT16_PT17_ilS6_ilS4_S6_ilPT18_ili26rocblas_geam_ex_operation_,"axG",@progbits,_ZN12_GLOBAL__N_120geam_min_plus_kernelId15HIP_vector_typeIdLj2EEdLi8ELi32ELi64ELi256ELi4ELi64ELi4ELi64ELi4ELc78ELc84ELb1ELb1ELb1EdKddEEviiiT16_PT17_ilS6_ilS4_S6_ilPT18_ili26rocblas_geam_ex_operation_,comdat
	.globl	_ZN12_GLOBAL__N_120geam_min_plus_kernelId15HIP_vector_typeIdLj2EEdLi8ELi32ELi64ELi256ELi4ELi64ELi4ELi64ELi4ELc78ELc84ELb1ELb1ELb1EdKddEEviiiT16_PT17_ilS6_ilS4_S6_ilPT18_ili26rocblas_geam_ex_operation_ ; -- Begin function _ZN12_GLOBAL__N_120geam_min_plus_kernelId15HIP_vector_typeIdLj2EEdLi8ELi32ELi64ELi256ELi4ELi64ELi4ELi64ELi4ELc78ELc84ELb1ELb1ELb1EdKddEEviiiT16_PT17_ilS6_ilS4_S6_ilPT18_ili26rocblas_geam_ex_operation_
	.p2align	8
	.type	_ZN12_GLOBAL__N_120geam_min_plus_kernelId15HIP_vector_typeIdLj2EEdLi8ELi32ELi64ELi256ELi4ELi64ELi4ELi64ELi4ELc78ELc84ELb1ELb1ELb1EdKddEEviiiT16_PT17_ilS6_ilS4_S6_ilPT18_ili26rocblas_geam_ex_operation_,@function
_ZN12_GLOBAL__N_120geam_min_plus_kernelId15HIP_vector_typeIdLj2EEdLi8ELi32ELi64ELi256ELi4ELi64ELi4ELi64ELi4ELc78ELc84ELb1ELb1ELb1EdKddEEviiiT16_PT17_ilS6_ilS4_S6_ilPT18_ili26rocblas_geam_ex_operation_: ; @_ZN12_GLOBAL__N_120geam_min_plus_kernelId15HIP_vector_typeIdLj2EEdLi8ELi32ELi64ELi256ELi4ELi64ELi4ELi64ELi4ELc78ELc84ELb1ELb1ELb1EdKddEEviiiT16_PT17_ilS6_ilS4_S6_ilPT18_ili26rocblas_geam_ex_operation_
; %bb.0:
	s_load_dwordx4 s[8:11], s[0:1], 0x10
	s_load_dwordx4 s[4:7], s[0:1], 0x28
	s_mov_b64 s[30:31], 0
	s_waitcnt lgkmcnt(0)
	v_cmp_eq_f64_e64 s[8:9], s[8:9], 0
	s_and_b64 vcc, exec, s[8:9]
	s_cbranch_vccnz .LBB172_2
; %bb.1:
	s_mul_i32 s5, s3, s5
	s_mul_hi_u32 s12, s3, s4
	s_add_i32 s5, s12, s5
	s_mul_i32 s4, s3, s4
	s_lshl_b64 s[4:5], s[4:5], 3
	s_add_u32 s30, s10, s4
	s_addc_u32 s31, s11, s5
.LBB172_2:
	s_load_dwordx4 s[20:23], s[0:1], 0x40
	s_load_dwordx2 s[4:5], s[0:1], 0x50
	s_andn2_b64 vcc, exec, s[8:9]
	s_cbranch_vccnz .LBB172_4
; %bb.3:
	s_mov_b32 s17, 0
	s_mov_b64 s[18:19], 0
	s_cbranch_execz .LBB172_5
	s_branch .LBB172_6
.LBB172_4:
                                        ; implicit-def: $sgpr18_sgpr19
                                        ; implicit-def: $sgpr16_sgpr17
.LBB172_5:
	s_waitcnt lgkmcnt(0)
	s_mul_i32 s8, s3, s21
	s_mul_hi_u32 s9, s3, s20
	s_add_i32 s9, s9, s8
	s_mul_i32 s8, s3, s20
	s_lshl_b64 s[8:9], s[8:9], 3
	s_add_u32 s18, s6, s8
	s_mov_b32 s17, 0
	s_addc_u32 s19, s7, s9
.LBB172_6:
	s_load_dwordx4 s[12:15], s[0:1], 0x60
	s_waitcnt lgkmcnt(0)
	v_cmp_eq_f64_e64 s[6:7], s[22:23], 0
	s_mov_b64 s[20:21], 0
	v_cmp_neq_f64_e64 s[28:29], s[22:23], 0
	s_and_b64 vcc, exec, s[6:7]
	s_cbranch_vccnz .LBB172_8
; %bb.7:
	s_mul_i32 s6, s3, s13
	s_mul_hi_u32 s7, s3, s12
	s_add_i32 s6, s7, s6
	s_mul_i32 s7, s17, s12
	s_add_i32 s7, s6, s7
	s_mul_i32 s6, s3, s12
	s_lshl_b64 s[6:7], s[6:7], 3
	s_add_u32 s20, s4, s6
	s_addc_u32 s21, s5, s7
.LBB172_8:
	s_load_dwordx4 s[24:27], s[0:1], 0x0
	v_and_b32_e32 v130, 0x3ff, v0
	v_bfe_u32 v131, v0, 10, 10
	s_waitcnt lgkmcnt(0)
	s_load_dword s27, s[0:1], 0x20
	s_mov_b32 s6, -1
	s_add_i32 s4, s24, -1
	s_ashr_i32 s5, s4, 31
	s_lshr_b32 s5, s5, 26
	s_add_i32 s4, s4, s5
	s_ashr_i32 s4, s4, 6
	s_add_i32 s5, s4, 1
	v_cvt_f32_u32_e32 v1, s5
	s_not_b32 s4, s4
	s_waitcnt lgkmcnt(0)
	s_ashr_i32 s33, s27, 31
	s_mov_b32 s7, 0x7fefffff
	v_rcp_iflag_f32_e32 v0, v1
	v_lshl_add_u32 v1, v131, 3, v130
	v_and_b32_e32 v143, 63, v1
	v_lshrrev_b32_e32 v140, 6, v1
	v_mul_f32_e32 v0, 0x4f7ffffe, v0
	v_cvt_u32_f32_e32 v0, v0
	v_cmp_le_i32_e32 vcc, s26, v140
	v_readfirstlane_b32 s8, v0
	s_mul_i32 s4, s4, s8
	s_mul_hi_u32 s4, s8, s4
	s_add_i32 s8, s8, s4
	s_mul_hi_u32 s4, s2, s8
	s_mul_i32 s8, s4, s5
	s_sub_i32 s8, s2, s8
	s_add_i32 s9, s4, 1
	s_sub_i32 s10, s8, s5
	s_cmp_ge_u32 s8, s5
	s_cselect_b32 s4, s9, s4
	s_cselect_b32 s8, s10, s8
	s_add_i32 s9, s4, 1
	s_cmp_ge_u32 s8, s5
	s_cselect_b32 s8, s9, s4
	s_mul_i32 s4, s8, s5
	s_sub_i32 s2, s2, s4
	s_lshl_b32 s2, s2, 6
	v_or_b32_e32 v62, s2, v143
	v_cmp_le_i32_e64 s[12:13], s24, v62
	s_or_b64 s[4:5], s[12:13], vcc
	s_xor_b64 s[10:11], s[4:5], -1
	v_mov_b64_e32 v[0:1], s[6:7]
	v_ashrrev_i32_e32 v63, 31, v62
	s_and_saveexec_b64 s[4:5], s[10:11]
	s_cbranch_execz .LBB172_10
; %bb.9:
	v_mad_i64_i32 v[0:1], s[10:11], s27, v140, 0
	v_lshl_add_u64 v[0:1], v[0:1], 3, s[30:31]
	v_lshl_add_u64 v[0:1], v[62:63], 3, v[0:1]
	flat_load_dwordx2 v[0:1], v[0:1]
.LBB172_10:
	s_or_b64 exec, exec, s[4:5]
	s_load_dword s38, s[0:1], 0x38
	s_lshl_b32 s16, s8, 8
	v_or_b32_e32 v60, s16, v143
	v_cmp_le_i32_e64 s[4:5], s25, v60
	v_ashrrev_i32_e32 v61, 31, v60
	s_waitcnt lgkmcnt(0)
	v_mad_i64_i32 v[2:3], s[8:9], v140, s38, 0
	s_or_b64 s[8:9], s[4:5], vcc
	v_lshl_add_u64 v[10:11], v[2:3], 3, s[18:19]
	s_xor_b64 s[8:9], s[8:9], -1
	v_mov_b64_e32 v[2:3], s[6:7]
	s_and_saveexec_b64 s[6:7], s[8:9]
	s_cbranch_execz .LBB172_12
; %bb.11:
	v_lshl_add_u64 v[2:3], v[60:61], 3, v[10:11]
	flat_load_dwordx2 v[2:3], v[2:3]
.LBB172_12:
	s_or_b64 exec, exec, s[6:7]
	v_or_b32_e32 v4, 64, v60
	v_cmp_le_i32_e64 s[6:7], s25, v4
	s_mov_b32 s10, -1
	s_or_b64 s[8:9], s[6:7], vcc
	s_mov_b32 s11, 0x7fefffff
	s_xor_b64 s[34:35], s[8:9], -1
	v_mov_b64_e32 v[4:5], s[10:11]
	s_and_saveexec_b64 s[8:9], s[34:35]
	s_cbranch_execz .LBB172_14
; %bb.13:
	v_lshl_add_u64 v[4:5], v[60:61], 3, v[10:11]
	flat_load_dwordx2 v[4:5], v[4:5] offset:512
.LBB172_14:
	s_or_b64 exec, exec, s[8:9]
	v_or_b32_e32 v6, 0x80, v60
	v_cmp_le_i32_e64 s[8:9], s25, v6
	s_or_b64 s[34:35], s[8:9], vcc
	s_ashr_i32 s39, s38, 31
	s_xor_b64 s[34:35], s[34:35], -1
	v_mov_b64_e32 v[6:7], s[10:11]
	s_and_saveexec_b64 s[10:11], s[34:35]
	s_cbranch_execz .LBB172_16
; %bb.15:
	v_lshl_add_u64 v[6:7], v[60:61], 3, v[10:11]
	flat_load_dwordx2 v[6:7], v[6:7] offset:1024
.LBB172_16:
	s_or_b64 exec, exec, s[10:11]
	v_or_b32_e32 v8, 0xc0, v60
	v_cmp_le_i32_e64 s[10:11], s25, v8
	s_or_b64 s[34:35], s[10:11], vcc
	s_xor_b64 s[40:41], s[34:35], -1
	s_mov_b32 s34, -1
	s_mov_b32 s35, 0x7fefffff
	v_mov_b64_e32 v[8:9], s[34:35]
	s_and_saveexec_b64 s[36:37], s[40:41]
	s_cbranch_execz .LBB172_18
; %bb.17:
	v_lshl_add_u64 v[8:9], v[60:61], 3, v[10:11]
	flat_load_dwordx2 v[8:9], v[8:9] offset:1536
.LBB172_18:
	s_or_b64 exec, exec, s[36:37]
	v_add_u32_e32 v10, 4, v140
	v_cmp_le_i32_e32 vcc, s26, v10
	s_or_b64 s[36:37], s[12:13], vcc
	s_xor_b64 s[36:37], s[36:37], -1
	v_mov_b64_e32 v[64:65], s[34:35]
	s_and_saveexec_b64 s[34:35], s[36:37]
	s_cbranch_execz .LBB172_20
; %bb.19:
	v_mad_i64_i32 v[12:13], s[36:37], s27, v10, 0
	v_lshl_add_u64 v[12:13], v[12:13], 3, s[30:31]
	v_lshl_add_u64 v[12:13], v[62:63], 3, v[12:13]
	flat_load_dwordx2 v[64:65], v[12:13]
.LBB172_20:
	s_or_b64 exec, exec, s[34:35]
	v_mad_i64_i32 v[10:11], s[34:35], v10, s38, 0
	s_or_b64 s[34:35], s[4:5], vcc
	s_xor_b64 s[40:41], s[34:35], -1
	s_mov_b32 s34, -1
	s_mov_b32 s35, 0x7fefffff
	v_lshl_add_u64 v[10:11], v[10:11], 3, s[18:19]
	v_mov_b64_e32 v[66:67], s[34:35]
	s_and_saveexec_b64 s[36:37], s[40:41]
	s_cbranch_execz .LBB172_22
; %bb.21:
	v_lshl_add_u64 v[12:13], v[60:61], 3, v[10:11]
	flat_load_dwordx2 v[66:67], v[12:13]
.LBB172_22:
	s_or_b64 exec, exec, s[36:37]
	s_or_b64 s[36:37], s[6:7], vcc
	s_xor_b64 s[36:37], s[36:37], -1
	v_mov_b64_e32 v[68:69], s[34:35]
	s_and_saveexec_b64 s[34:35], s[36:37]
	s_cbranch_execz .LBB172_24
; %bb.23:
	v_lshl_add_u64 v[12:13], v[60:61], 3, v[10:11]
	flat_load_dwordx2 v[68:69], v[12:13] offset:512
.LBB172_24:
	s_or_b64 exec, exec, s[34:35]
	s_or_b64 s[34:35], s[8:9], vcc
	s_xor_b64 s[40:41], s[34:35], -1
	s_mov_b32 s34, -1
	s_mov_b32 s35, 0x7fefffff
	v_mov_b64_e32 v[70:71], s[34:35]
	s_and_saveexec_b64 s[36:37], s[40:41]
	s_cbranch_execz .LBB172_26
; %bb.25:
	v_lshl_add_u64 v[12:13], v[60:61], 3, v[10:11]
	flat_load_dwordx2 v[70:71], v[12:13] offset:1024
.LBB172_26:
	s_or_b64 exec, exec, s[36:37]
	s_or_b64 s[36:37], s[10:11], vcc
	s_xor_b64 s[36:37], s[36:37], -1
	v_mov_b64_e32 v[72:73], s[34:35]
	s_and_saveexec_b64 s[34:35], s[36:37]
	s_cbranch_execz .LBB172_28
; %bb.27:
	v_lshl_add_u64 v[10:11], v[60:61], 3, v[10:11]
	flat_load_dwordx2 v[72:73], v[10:11] offset:1536
.LBB172_28:
	s_or_b64 exec, exec, s[34:35]
	v_lshlrev_b32_e32 v10, 3, v140
	v_lshl_add_u32 v141, v143, 5, v10
	v_or_b32_e32 v142, 0x4000, v141
	s_mov_b32 s36, 0
	s_mov_b64 s[34:35], -1
	v_mov_b32_e32 v74, 0x7f800000
	v_mov_b32_e32 v75, 0x7f800000
	;; [unrolled: 1-line block ×64, first 2 shown]
	s_waitcnt vmcnt(0)
	ds_write_b64 v141, v[0:1] offset:16384
	s_waitcnt lgkmcnt(0)
	ds_write2st64_b64 v141, v[2:3], v[4:5] offset1:4
	ds_write2st64_b64 v141, v[6:7], v[8:9] offset0:8 offset1:12
	s_waitcnt lgkmcnt(0)
	s_barrier
.LBB172_29:                             ; =>This Inner Loop Header: Depth=1
	v_cndmask_b32_e64 v0, 0, 1, s[34:35]
	s_lshl_b32 s34, s36, 3
	v_cmp_ne_u32_e32 vcc, 1, v0
	v_lshl_add_u32 v0, v130, 5, s34
	v_lshl_add_u32 v20, v131, 5, s34
	ds_read_b128 v[32:35], v0 offset:16384
	ds_read_b128 v[28:31], v0 offset:16640
	;; [unrolled: 1-line block ×8, first 2 shown]
	ds_read_b128 v[144:147], v20
	ds_read_b128 v[56:59], v20 offset:1024
	ds_read_b128 v[52:55], v20 offset:2048
	;; [unrolled: 1-line block ×7, first 2 shown]
	s_waitcnt lgkmcnt(7)
	v_add_f64 v[148:149], v[34:35], v[146:147]
	v_add_f64 v[150:151], v[32:33], v[144:145]
	v_cvt_f32_f64_e32 v150, v[150:151]
	v_cvt_f32_f64_e32 v148, v[148:149]
	v_min3_f32 v139, v150, v148, v139
	v_add_f64 v[148:149], v[30:31], v[146:147]
	v_add_f64 v[150:151], v[28:29], v[144:145]
	v_cvt_f32_f64_e32 v150, v[150:151]
	v_cvt_f32_f64_e32 v148, v[148:149]
	v_min3_f32 v138, v150, v148, v138
	v_add_f64 v[148:149], v[26:27], v[146:147]
	v_add_f64 v[150:151], v[24:25], v[144:145]
	v_cvt_f32_f64_e32 v150, v[150:151]
	v_cvt_f32_f64_e32 v148, v[148:149]
	v_min3_f32 v137, v150, v148, v137
	v_add_f64 v[148:149], v[18:19], v[146:147]
	v_add_f64 v[150:151], v[16:17], v[144:145]
	v_cvt_f32_f64_e32 v150, v[150:151]
	v_cvt_f32_f64_e32 v148, v[148:149]
	v_min3_f32 v136, v150, v148, v136
	v_add_f64 v[148:149], v[14:15], v[146:147]
	v_add_f64 v[150:151], v[12:13], v[144:145]
	v_cvt_f32_f64_e32 v150, v[150:151]
	v_cvt_f32_f64_e32 v148, v[148:149]
	v_min3_f32 v135, v150, v148, v135
	v_add_f64 v[148:149], v[10:11], v[146:147]
	v_add_f64 v[150:151], v[8:9], v[144:145]
	v_cvt_f32_f64_e32 v150, v[150:151]
	v_cvt_f32_f64_e32 v148, v[148:149]
	v_min3_f32 v134, v150, v148, v134
	v_add_f64 v[148:149], v[6:7], v[146:147]
	v_add_f64 v[150:151], v[4:5], v[144:145]
	v_add_f64 v[146:147], v[2:3], v[146:147]
	v_add_f64 v[144:145], v[0:1], v[144:145]
	v_cvt_f32_f64_e32 v144, v[144:145]
	v_cvt_f32_f64_e32 v145, v[146:147]
	v_min3_f32 v132, v144, v145, v132
	s_waitcnt lgkmcnt(6)
	v_add_f64 v[144:145], v[34:35], v[58:59]
	v_add_f64 v[146:147], v[32:33], v[56:57]
	v_cvt_f32_f64_e32 v146, v[146:147]
	v_cvt_f32_f64_e32 v144, v[144:145]
	v_min3_f32 v129, v146, v144, v129
	v_add_f64 v[144:145], v[30:31], v[58:59]
	v_add_f64 v[146:147], v[28:29], v[56:57]
	v_cvt_f32_f64_e32 v146, v[146:147]
	v_cvt_f32_f64_e32 v144, v[144:145]
	v_min3_f32 v128, v146, v144, v128
	v_add_f64 v[144:145], v[26:27], v[58:59]
	v_add_f64 v[146:147], v[24:25], v[56:57]
	v_cvt_f32_f64_e32 v146, v[146:147]
	v_cvt_f32_f64_e32 v144, v[144:145]
	v_min3_f32 v127, v146, v144, v127
	v_add_f64 v[144:145], v[18:19], v[58:59]
	v_add_f64 v[146:147], v[16:17], v[56:57]
	v_cvt_f32_f64_e32 v146, v[146:147]
	v_cvt_f32_f64_e32 v144, v[144:145]
	v_min3_f32 v126, v146, v144, v126
	v_add_f64 v[144:145], v[14:15], v[58:59]
	v_add_f64 v[146:147], v[12:13], v[56:57]
	v_cvt_f32_f64_e32 v146, v[146:147]
	v_cvt_f32_f64_e32 v144, v[144:145]
	v_min3_f32 v125, v146, v144, v125
	v_add_f64 v[144:145], v[10:11], v[58:59]
	v_add_f64 v[146:147], v[8:9], v[56:57]
	v_cvt_f32_f64_e32 v146, v[146:147]
	v_cvt_f32_f64_e32 v144, v[144:145]
	v_min3_f32 v124, v146, v144, v124
	v_add_f64 v[144:145], v[6:7], v[58:59]
	v_add_f64 v[146:147], v[4:5], v[56:57]
	v_add_f64 v[58:59], v[2:3], v[58:59]
	v_add_f64 v[56:57], v[0:1], v[56:57]
	v_cvt_f32_f64_e32 v56, v[56:57]
	v_cvt_f32_f64_e32 v57, v[58:59]
	v_min3_f32 v122, v56, v57, v122
	;; [unrolled: 38-line block ×6, first 2 shown]
	s_waitcnt lgkmcnt(1)
	v_add_f64 v[40:41], v[34:35], v[38:39]
	v_add_f64 v[42:43], v[32:33], v[36:37]
	v_cvt_f32_f64_e32 v42, v[42:43]
	v_cvt_f32_f64_e32 v40, v[40:41]
	v_min3_f32 v89, v42, v40, v89
	v_add_f64 v[40:41], v[30:31], v[38:39]
	v_add_f64 v[42:43], v[28:29], v[36:37]
	v_cvt_f32_f64_e32 v42, v[42:43]
	v_cvt_f32_f64_e32 v40, v[40:41]
	v_min3_f32 v88, v42, v40, v88
	v_add_f64 v[40:41], v[26:27], v[38:39]
	v_add_f64 v[42:43], v[24:25], v[36:37]
	v_cvt_f32_f64_e32 v42, v[42:43]
	v_cvt_f32_f64_e32 v40, v[40:41]
	v_min3_f32 v87, v42, v40, v87
	v_add_f64 v[40:41], v[18:19], v[38:39]
	v_add_f64 v[42:43], v[16:17], v[36:37]
	v_cvt_f32_f64_e32 v42, v[42:43]
	v_cvt_f32_f64_e32 v40, v[40:41]
	v_min3_f32 v86, v42, v40, v86
	v_add_f64 v[40:41], v[14:15], v[38:39]
	v_add_f64 v[42:43], v[12:13], v[36:37]
	v_cvt_f32_f64_e32 v42, v[42:43]
	v_cvt_f32_f64_e32 v40, v[40:41]
	v_min3_f32 v85, v42, v40, v85
	v_add_f64 v[40:41], v[10:11], v[38:39]
	v_add_f64 v[42:43], v[8:9], v[36:37]
	v_cvt_f32_f64_e32 v42, v[42:43]
	v_cvt_f32_f64_e32 v40, v[40:41]
	v_min3_f32 v84, v42, v40, v84
	v_add_f64 v[40:41], v[6:7], v[38:39]
	v_add_f64 v[42:43], v[4:5], v[36:37]
	v_add_f64 v[38:39], v[2:3], v[38:39]
	v_add_f64 v[36:37], v[0:1], v[36:37]
	s_waitcnt lgkmcnt(0)
	v_add_f64 v[34:35], v[34:35], v[22:23]
	v_add_f64 v[32:33], v[32:33], v[20:21]
	;; [unrolled: 1-line block ×16, first 2 shown]
	v_cvt_f32_f64_e32 v150, v[150:151]
	v_cvt_f32_f64_e32 v148, v[148:149]
	;; [unrolled: 1-line block ×32, first 2 shown]
	v_min3_f32 v133, v150, v148, v133
	v_min3_f32 v123, v146, v144, v123
	;; [unrolled: 1-line block ×16, first 2 shown]
	s_mov_b32 s36, 2
	s_mov_b64 s[34:35], 0
	s_cbranch_vccz .LBB172_29
; %bb.30:
	v_lshlrev_b32_e32 v0, 5, v143
	v_lshl_add_u32 v0, v140, 3, v0
	s_cmp_gt_i32 s26, 8
	s_mov_b32 s36, 8
	ds_write_b64 v0, v[64:65] offset:18432
	ds_write2st64_b64 v0, v[66:67], v[68:69] offset0:16 offset1:20
	ds_write2st64_b64 v0, v[70:71], v[72:73] offset0:24 offset1:28
	s_waitcnt lgkmcnt(0)
	s_barrier
	s_cbranch_scc0 .LBB172_57
; %bb.31:
	v_lshl_add_u64 v[62:63], v[62:63], 3, s[30:31]
	s_mov_b32 s30, -1
	v_add_u32_e32 v143, 0x4800, v0
	v_or_b32_e32 v144, 0x2000, v0
	s_add_i32 s37, s26, -8
	s_mov_b32 s40, 0
	s_mov_b32 s31, 0x7fefffff
.LBB172_32:                             ; =>This Loop Header: Depth=1
                                        ;     Child Loop BB172_43 Depth 2
                                        ;     Child Loop BB172_55 Depth 2
	v_add_u32_e32 v0, s36, v140
	v_cmp_le_i32_e32 vcc, s26, v0
	s_or_b64 s[34:35], s[12:13], vcc
	s_xor_b64 s[42:43], s[34:35], -1
	v_mov_b64_e32 v[64:65], s[30:31]
	s_and_saveexec_b64 s[34:35], s[42:43]
	s_cbranch_execz .LBB172_34
; %bb.33:                               ;   in Loop: Header=BB172_32 Depth=1
	v_mad_u64_u32 v[2:3], s[42:43], v0, s27, 0
	v_mov_b32_e32 v4, v3
	v_mad_u64_u32 v[4:5], s[42:43], v0, s33, v[4:5]
	v_mov_b32_e32 v3, v4
	v_lshl_add_u64 v[2:3], v[2:3], 3, v[62:63]
	flat_load_dwordx2 v[64:65], v[2:3]
.LBB172_34:                             ;   in Loop: Header=BB172_32 Depth=1
	s_or_b64 exec, exec, s[34:35]
	v_mad_u64_u32 v[2:3], s[34:35], v0, s38, 0
	v_mov_b32_e32 v4, v3
	v_mad_u64_u32 v[0:1], s[34:35], v0, s39, v[4:5]
	v_mov_b32_e32 v3, v0
	v_lshl_add_u64 v[0:1], v[2:3], 3, s[18:19]
	s_or_b64 s[34:35], s[4:5], vcc
	s_xor_b64 s[42:43], s[34:35], -1
	v_mov_b64_e32 v[66:67], s[30:31]
	v_lshl_add_u64 v[0:1], v[60:61], 3, v[0:1]
	s_and_saveexec_b64 s[34:35], s[42:43]
	s_cbranch_execz .LBB172_36
; %bb.35:                               ;   in Loop: Header=BB172_32 Depth=1
	flat_load_dwordx2 v[66:67], v[0:1]
.LBB172_36:                             ;   in Loop: Header=BB172_32 Depth=1
	s_or_b64 exec, exec, s[34:35]
	s_or_b64 s[34:35], s[6:7], vcc
	s_xor_b64 s[42:43], s[34:35], -1
	v_mov_b64_e32 v[68:69], s[30:31]
	s_and_saveexec_b64 s[34:35], s[42:43]
	s_cbranch_execz .LBB172_38
; %bb.37:                               ;   in Loop: Header=BB172_32 Depth=1
	flat_load_dwordx2 v[68:69], v[0:1] offset:512
.LBB172_38:                             ;   in Loop: Header=BB172_32 Depth=1
	s_or_b64 exec, exec, s[34:35]
	s_or_b64 s[34:35], s[8:9], vcc
	s_xor_b64 s[42:43], s[34:35], -1
	v_mov_b64_e32 v[70:71], s[30:31]
	s_and_saveexec_b64 s[34:35], s[42:43]
	s_cbranch_execz .LBB172_40
; %bb.39:                               ;   in Loop: Header=BB172_32 Depth=1
	flat_load_dwordx2 v[70:71], v[0:1] offset:1024
.LBB172_40:                             ;   in Loop: Header=BB172_32 Depth=1
	;; [unrolled: 9-line block ×3, first 2 shown]
	s_or_b64 exec, exec, s[34:35]
	s_mov_b32 s41, 0
	s_mov_b64 s[34:35], -1
.LBB172_43:                             ;   Parent Loop BB172_32 Depth=1
                                        ; =>  This Inner Loop Header: Depth=2
	v_cndmask_b32_e64 v0, 0, 1, s[34:35]
	s_lshl_b32 s34, s41, 3
	v_cmp_ne_u32_e32 vcc, 1, v0
	v_lshl_add_u32 v0, v130, 5, s34
	v_lshl_add_u32 v20, v131, 5, s34
	ds_read_b128 v[32:35], v0 offset:18432
	ds_read_b128 v[28:31], v0 offset:18688
	ds_read_b128 v[24:27], v0 offset:18944
	ds_read_b128 v[16:19], v0 offset:19200
	ds_read_b128 v[12:15], v0 offset:19456
	ds_read_b128 v[8:11], v0 offset:19712
	ds_read_b128 v[4:7], v0 offset:19968
	ds_read_b128 v[0:3], v0 offset:20224
	ds_read_b128 v[146:149], v20 offset:8192
	ds_read_b128 v[56:59], v20 offset:9216
	ds_read_b128 v[52:55], v20 offset:10240
	ds_read_b128 v[48:51], v20 offset:11264
	ds_read_b128 v[44:47], v20 offset:12288
	ds_read_b128 v[40:43], v20 offset:13312
	ds_read_b128 v[36:39], v20 offset:14336
	ds_read_b128 v[20:23], v20 offset:15360
	s_waitcnt lgkmcnt(0)
	v_add_f64 v[150:151], v[34:35], v[148:149]
	v_add_f64 v[152:153], v[32:33], v[146:147]
	v_cvt_f32_f64_e32 v145, v[152:153]
	v_cvt_f32_f64_e32 v150, v[150:151]
	v_min3_f32 v139, v145, v150, v139
	v_add_f64 v[150:151], v[30:31], v[148:149]
	v_add_f64 v[152:153], v[28:29], v[146:147]
	v_cvt_f32_f64_e32 v145, v[152:153]
	v_cvt_f32_f64_e32 v150, v[150:151]
	v_min3_f32 v138, v145, v150, v138
	v_add_f64 v[150:151], v[26:27], v[148:149]
	v_add_f64 v[152:153], v[24:25], v[146:147]
	v_cvt_f32_f64_e32 v145, v[152:153]
	v_cvt_f32_f64_e32 v150, v[150:151]
	v_min3_f32 v137, v145, v150, v137
	v_add_f64 v[150:151], v[18:19], v[148:149]
	v_add_f64 v[152:153], v[16:17], v[146:147]
	v_cvt_f32_f64_e32 v145, v[152:153]
	v_cvt_f32_f64_e32 v150, v[150:151]
	v_min3_f32 v136, v145, v150, v136
	v_add_f64 v[150:151], v[14:15], v[148:149]
	v_add_f64 v[152:153], v[12:13], v[146:147]
	v_cvt_f32_f64_e32 v145, v[152:153]
	v_cvt_f32_f64_e32 v150, v[150:151]
	v_min3_f32 v135, v145, v150, v135
	v_add_f64 v[150:151], v[10:11], v[148:149]
	v_add_f64 v[152:153], v[8:9], v[146:147]
	v_cvt_f32_f64_e32 v145, v[152:153]
	v_cvt_f32_f64_e32 v150, v[150:151]
	v_min3_f32 v134, v145, v150, v134
	v_add_f64 v[150:151], v[6:7], v[148:149]
	v_add_f64 v[152:153], v[4:5], v[146:147]
	v_cvt_f32_f64_e32 v145, v[152:153]
	v_cvt_f32_f64_e32 v150, v[150:151]
	v_add_f64 v[148:149], v[2:3], v[148:149]
	v_add_f64 v[146:147], v[0:1], v[146:147]
	v_min3_f32 v133, v145, v150, v133
	v_cvt_f32_f64_e32 v145, v[146:147]
	v_cvt_f32_f64_e32 v146, v[148:149]
	v_min3_f32 v132, v145, v146, v132
	v_add_f64 v[146:147], v[34:35], v[58:59]
	v_add_f64 v[148:149], v[32:33], v[56:57]
	v_cvt_f32_f64_e32 v145, v[148:149]
	v_cvt_f32_f64_e32 v146, v[146:147]
	v_min3_f32 v129, v145, v146, v129
	v_add_f64 v[146:147], v[30:31], v[58:59]
	v_add_f64 v[148:149], v[28:29], v[56:57]
	v_cvt_f32_f64_e32 v145, v[148:149]
	v_cvt_f32_f64_e32 v146, v[146:147]
	v_min3_f32 v128, v145, v146, v128
	v_add_f64 v[146:147], v[26:27], v[58:59]
	v_add_f64 v[148:149], v[24:25], v[56:57]
	v_cvt_f32_f64_e32 v145, v[148:149]
	v_cvt_f32_f64_e32 v146, v[146:147]
	v_min3_f32 v127, v145, v146, v127
	v_add_f64 v[146:147], v[18:19], v[58:59]
	v_add_f64 v[148:149], v[16:17], v[56:57]
	v_cvt_f32_f64_e32 v145, v[148:149]
	v_cvt_f32_f64_e32 v146, v[146:147]
	v_min3_f32 v126, v145, v146, v126
	v_add_f64 v[146:147], v[14:15], v[58:59]
	v_add_f64 v[148:149], v[12:13], v[56:57]
	v_cvt_f32_f64_e32 v145, v[148:149]
	v_cvt_f32_f64_e32 v146, v[146:147]
	v_min3_f32 v125, v145, v146, v125
	v_add_f64 v[146:147], v[10:11], v[58:59]
	v_add_f64 v[148:149], v[8:9], v[56:57]
	v_cvt_f32_f64_e32 v145, v[148:149]
	v_cvt_f32_f64_e32 v146, v[146:147]
	v_min3_f32 v124, v145, v146, v124
	v_add_f64 v[146:147], v[6:7], v[58:59]
	v_add_f64 v[148:149], v[4:5], v[56:57]
	v_add_f64 v[58:59], v[2:3], v[58:59]
	v_add_f64 v[56:57], v[0:1], v[56:57]
	v_cvt_f32_f64_e32 v56, v[56:57]
	v_cvt_f32_f64_e32 v57, v[58:59]
	v_min3_f32 v122, v56, v57, v122
	v_add_f64 v[56:57], v[34:35], v[54:55]
	v_add_f64 v[58:59], v[32:33], v[52:53]
	v_cvt_f32_f64_e32 v58, v[58:59]
	v_cvt_f32_f64_e32 v56, v[56:57]
	v_min3_f32 v121, v58, v56, v121
	v_add_f64 v[56:57], v[30:31], v[54:55]
	v_add_f64 v[58:59], v[28:29], v[52:53]
	v_cvt_f32_f64_e32 v58, v[58:59]
	v_cvt_f32_f64_e32 v56, v[56:57]
	v_min3_f32 v120, v58, v56, v120
	v_add_f64 v[56:57], v[26:27], v[54:55]
	v_add_f64 v[58:59], v[24:25], v[52:53]
	v_cvt_f32_f64_e32 v58, v[58:59]
	v_cvt_f32_f64_e32 v56, v[56:57]
	v_min3_f32 v119, v58, v56, v119
	v_add_f64 v[56:57], v[18:19], v[54:55]
	v_add_f64 v[58:59], v[16:17], v[52:53]
	v_cvt_f32_f64_e32 v58, v[58:59]
	v_cvt_f32_f64_e32 v56, v[56:57]
	v_min3_f32 v118, v58, v56, v118
	v_add_f64 v[56:57], v[14:15], v[54:55]
	v_add_f64 v[58:59], v[12:13], v[52:53]
	v_cvt_f32_f64_e32 v58, v[58:59]
	v_cvt_f32_f64_e32 v56, v[56:57]
	v_min3_f32 v117, v58, v56, v117
	v_add_f64 v[56:57], v[10:11], v[54:55]
	v_add_f64 v[58:59], v[8:9], v[52:53]
	v_cvt_f32_f64_e32 v58, v[58:59]
	v_cvt_f32_f64_e32 v56, v[56:57]
	v_min3_f32 v116, v58, v56, v116
	v_add_f64 v[56:57], v[6:7], v[54:55]
	v_add_f64 v[58:59], v[4:5], v[52:53]
	v_add_f64 v[54:55], v[2:3], v[54:55]
	v_add_f64 v[52:53], v[0:1], v[52:53]
	v_cvt_f32_f64_e32 v52, v[52:53]
	v_cvt_f32_f64_e32 v53, v[54:55]
	v_min3_f32 v114, v52, v53, v114
	v_add_f64 v[52:53], v[34:35], v[50:51]
	v_add_f64 v[54:55], v[32:33], v[48:49]
	v_cvt_f32_f64_e32 v54, v[54:55]
	v_cvt_f32_f64_e32 v52, v[52:53]
	v_min3_f32 v113, v54, v52, v113
	v_add_f64 v[52:53], v[30:31], v[50:51]
	v_add_f64 v[54:55], v[28:29], v[48:49]
	v_cvt_f32_f64_e32 v54, v[54:55]
	v_cvt_f32_f64_e32 v52, v[52:53]
	v_min3_f32 v112, v54, v52, v112
	v_add_f64 v[52:53], v[26:27], v[50:51]
	v_add_f64 v[54:55], v[24:25], v[48:49]
	v_cvt_f32_f64_e32 v54, v[54:55]
	v_cvt_f32_f64_e32 v52, v[52:53]
	v_min3_f32 v111, v54, v52, v111
	v_add_f64 v[52:53], v[18:19], v[50:51]
	v_add_f64 v[54:55], v[16:17], v[48:49]
	v_cvt_f32_f64_e32 v54, v[54:55]
	v_cvt_f32_f64_e32 v52, v[52:53]
	v_min3_f32 v110, v54, v52, v110
	v_add_f64 v[52:53], v[14:15], v[50:51]
	v_add_f64 v[54:55], v[12:13], v[48:49]
	v_cvt_f32_f64_e32 v54, v[54:55]
	v_cvt_f32_f64_e32 v52, v[52:53]
	v_min3_f32 v109, v54, v52, v109
	v_add_f64 v[52:53], v[10:11], v[50:51]
	v_add_f64 v[54:55], v[8:9], v[48:49]
	v_cvt_f32_f64_e32 v54, v[54:55]
	v_cvt_f32_f64_e32 v52, v[52:53]
	v_min3_f32 v108, v54, v52, v108
	v_add_f64 v[52:53], v[6:7], v[50:51]
	v_add_f64 v[54:55], v[4:5], v[48:49]
	v_add_f64 v[50:51], v[2:3], v[50:51]
	v_add_f64 v[48:49], v[0:1], v[48:49]
	v_cvt_f32_f64_e32 v48, v[48:49]
	v_cvt_f32_f64_e32 v49, v[50:51]
	v_min3_f32 v106, v48, v49, v106
	v_add_f64 v[48:49], v[34:35], v[46:47]
	v_add_f64 v[50:51], v[32:33], v[44:45]
	v_cvt_f32_f64_e32 v50, v[50:51]
	v_cvt_f32_f64_e32 v48, v[48:49]
	v_min3_f32 v105, v50, v48, v105
	v_add_f64 v[48:49], v[30:31], v[46:47]
	v_add_f64 v[50:51], v[28:29], v[44:45]
	v_cvt_f32_f64_e32 v50, v[50:51]
	v_cvt_f32_f64_e32 v48, v[48:49]
	v_min3_f32 v104, v50, v48, v104
	v_add_f64 v[48:49], v[26:27], v[46:47]
	v_add_f64 v[50:51], v[24:25], v[44:45]
	v_cvt_f32_f64_e32 v50, v[50:51]
	v_cvt_f32_f64_e32 v48, v[48:49]
	v_min3_f32 v103, v50, v48, v103
	v_add_f64 v[48:49], v[18:19], v[46:47]
	v_add_f64 v[50:51], v[16:17], v[44:45]
	v_cvt_f32_f64_e32 v50, v[50:51]
	v_cvt_f32_f64_e32 v48, v[48:49]
	v_min3_f32 v102, v50, v48, v102
	v_add_f64 v[48:49], v[14:15], v[46:47]
	v_add_f64 v[50:51], v[12:13], v[44:45]
	v_cvt_f32_f64_e32 v50, v[50:51]
	v_cvt_f32_f64_e32 v48, v[48:49]
	v_min3_f32 v101, v50, v48, v101
	v_add_f64 v[48:49], v[10:11], v[46:47]
	v_add_f64 v[50:51], v[8:9], v[44:45]
	v_cvt_f32_f64_e32 v50, v[50:51]
	v_cvt_f32_f64_e32 v48, v[48:49]
	v_min3_f32 v100, v50, v48, v100
	v_add_f64 v[48:49], v[6:7], v[46:47]
	v_add_f64 v[50:51], v[4:5], v[44:45]
	v_add_f64 v[46:47], v[2:3], v[46:47]
	v_add_f64 v[44:45], v[0:1], v[44:45]
	v_cvt_f32_f64_e32 v44, v[44:45]
	v_cvt_f32_f64_e32 v45, v[46:47]
	v_min3_f32 v98, v44, v45, v98
	v_add_f64 v[44:45], v[34:35], v[42:43]
	v_add_f64 v[46:47], v[32:33], v[40:41]
	v_cvt_f32_f64_e32 v46, v[46:47]
	v_cvt_f32_f64_e32 v44, v[44:45]
	v_min3_f32 v97, v46, v44, v97
	v_add_f64 v[44:45], v[30:31], v[42:43]
	v_add_f64 v[46:47], v[28:29], v[40:41]
	v_cvt_f32_f64_e32 v46, v[46:47]
	v_cvt_f32_f64_e32 v44, v[44:45]
	v_min3_f32 v96, v46, v44, v96
	v_add_f64 v[44:45], v[26:27], v[42:43]
	v_add_f64 v[46:47], v[24:25], v[40:41]
	v_cvt_f32_f64_e32 v46, v[46:47]
	v_cvt_f32_f64_e32 v44, v[44:45]
	v_min3_f32 v95, v46, v44, v95
	v_add_f64 v[44:45], v[18:19], v[42:43]
	v_add_f64 v[46:47], v[16:17], v[40:41]
	v_cvt_f32_f64_e32 v46, v[46:47]
	v_cvt_f32_f64_e32 v44, v[44:45]
	v_min3_f32 v94, v46, v44, v94
	v_add_f64 v[44:45], v[14:15], v[42:43]
	v_add_f64 v[46:47], v[12:13], v[40:41]
	v_cvt_f32_f64_e32 v46, v[46:47]
	v_cvt_f32_f64_e32 v44, v[44:45]
	v_min3_f32 v93, v46, v44, v93
	v_add_f64 v[44:45], v[10:11], v[42:43]
	v_add_f64 v[46:47], v[8:9], v[40:41]
	v_cvt_f32_f64_e32 v46, v[46:47]
	v_cvt_f32_f64_e32 v44, v[44:45]
	v_min3_f32 v92, v46, v44, v92
	v_add_f64 v[44:45], v[6:7], v[42:43]
	v_add_f64 v[46:47], v[4:5], v[40:41]
	v_add_f64 v[42:43], v[2:3], v[42:43]
	v_add_f64 v[40:41], v[0:1], v[40:41]
	v_cvt_f32_f64_e32 v40, v[40:41]
	v_cvt_f32_f64_e32 v41, v[42:43]
	v_min3_f32 v90, v40, v41, v90
	v_add_f64 v[40:41], v[34:35], v[38:39]
	v_add_f64 v[42:43], v[32:33], v[36:37]
	v_cvt_f32_f64_e32 v42, v[42:43]
	v_cvt_f32_f64_e32 v40, v[40:41]
	v_min3_f32 v89, v42, v40, v89
	v_add_f64 v[40:41], v[30:31], v[38:39]
	v_add_f64 v[42:43], v[28:29], v[36:37]
	v_cvt_f32_f64_e32 v42, v[42:43]
	v_cvt_f32_f64_e32 v40, v[40:41]
	v_min3_f32 v88, v42, v40, v88
	v_add_f64 v[40:41], v[26:27], v[38:39]
	v_add_f64 v[42:43], v[24:25], v[36:37]
	v_cvt_f32_f64_e32 v42, v[42:43]
	v_cvt_f32_f64_e32 v40, v[40:41]
	v_min3_f32 v87, v42, v40, v87
	v_add_f64 v[40:41], v[18:19], v[38:39]
	v_add_f64 v[42:43], v[16:17], v[36:37]
	v_cvt_f32_f64_e32 v42, v[42:43]
	v_cvt_f32_f64_e32 v40, v[40:41]
	v_min3_f32 v86, v42, v40, v86
	v_add_f64 v[40:41], v[14:15], v[38:39]
	v_add_f64 v[42:43], v[12:13], v[36:37]
	v_cvt_f32_f64_e32 v42, v[42:43]
	v_cvt_f32_f64_e32 v40, v[40:41]
	v_min3_f32 v85, v42, v40, v85
	v_add_f64 v[40:41], v[10:11], v[38:39]
	v_add_f64 v[42:43], v[8:9], v[36:37]
	v_cvt_f32_f64_e32 v42, v[42:43]
	v_cvt_f32_f64_e32 v40, v[40:41]
	v_min3_f32 v84, v42, v40, v84
	v_add_f64 v[40:41], v[6:7], v[38:39]
	v_add_f64 v[42:43], v[4:5], v[36:37]
	v_add_f64 v[38:39], v[2:3], v[38:39]
	v_add_f64 v[36:37], v[0:1], v[36:37]
	v_add_f64 v[34:35], v[34:35], v[22:23]
	v_add_f64 v[32:33], v[32:33], v[20:21]
	;; [unrolled: 1-line block ×16, first 2 shown]
	v_cvt_f32_f64_e32 v145, v[148:149]
	v_cvt_f32_f64_e32 v146, v[146:147]
	;; [unrolled: 1-line block ×30, first 2 shown]
	v_min3_f32 v123, v145, v146, v123
	v_min3_f32 v115, v58, v56, v115
	;; [unrolled: 1-line block ×15, first 2 shown]
	s_mov_b32 s41, 2
	s_mov_b64 s[34:35], 0
	s_cbranch_vccz .LBB172_43
; %bb.44:                               ;   in Loop: Header=BB172_32 Depth=1
	v_add3_u32 v0, v140, s36, 4
	v_cmp_le_i32_e32 vcc, s26, v0
	s_or_b64 s[34:35], s[12:13], vcc
	s_waitcnt vmcnt(0)
	ds_write_b64 v142, v[64:65]
	ds_write2st64_b64 v141, v[66:67], v[68:69] offset1:4
	ds_write2st64_b64 v141, v[70:71], v[72:73] offset0:8 offset1:12
	s_xor_b64 s[42:43], s[34:35], -1
	v_mov_b64_e32 v[64:65], s[30:31]
	s_waitcnt lgkmcnt(0)
	s_barrier
	s_and_saveexec_b64 s[34:35], s[42:43]
	s_cbranch_execz .LBB172_46
; %bb.45:                               ;   in Loop: Header=BB172_32 Depth=1
	v_mad_u64_u32 v[2:3], s[42:43], v0, s27, 0
	v_mov_b32_e32 v4, v3
	v_mad_u64_u32 v[4:5], s[42:43], v0, s33, v[4:5]
	v_mov_b32_e32 v3, v4
	v_lshl_add_u64 v[2:3], v[2:3], 3, v[62:63]
	flat_load_dwordx2 v[64:65], v[2:3]
.LBB172_46:                             ;   in Loop: Header=BB172_32 Depth=1
	s_or_b64 exec, exec, s[34:35]
	v_mad_u64_u32 v[2:3], s[34:35], v0, s38, 0
	v_mov_b32_e32 v4, v3
	v_mad_u64_u32 v[0:1], s[34:35], v0, s39, v[4:5]
	v_mov_b32_e32 v3, v0
	v_lshl_add_u64 v[0:1], v[2:3], 3, s[18:19]
	s_or_b64 s[34:35], s[4:5], vcc
	s_xor_b64 s[42:43], s[34:35], -1
	v_mov_b64_e32 v[66:67], s[30:31]
	v_lshl_add_u64 v[0:1], v[60:61], 3, v[0:1]
	s_and_saveexec_b64 s[34:35], s[42:43]
	s_cbranch_execz .LBB172_48
; %bb.47:                               ;   in Loop: Header=BB172_32 Depth=1
	flat_load_dwordx2 v[66:67], v[0:1]
.LBB172_48:                             ;   in Loop: Header=BB172_32 Depth=1
	s_or_b64 exec, exec, s[34:35]
	s_or_b64 s[34:35], s[6:7], vcc
	s_xor_b64 s[42:43], s[34:35], -1
	v_mov_b64_e32 v[68:69], s[30:31]
	s_and_saveexec_b64 s[34:35], s[42:43]
	s_cbranch_execz .LBB172_50
; %bb.49:                               ;   in Loop: Header=BB172_32 Depth=1
	flat_load_dwordx2 v[68:69], v[0:1] offset:512
.LBB172_50:                             ;   in Loop: Header=BB172_32 Depth=1
	s_or_b64 exec, exec, s[34:35]
	s_or_b64 s[34:35], s[8:9], vcc
	s_xor_b64 s[42:43], s[34:35], -1
	v_mov_b64_e32 v[70:71], s[30:31]
	s_and_saveexec_b64 s[34:35], s[42:43]
	s_cbranch_execz .LBB172_52
; %bb.51:                               ;   in Loop: Header=BB172_32 Depth=1
	flat_load_dwordx2 v[70:71], v[0:1] offset:1024
.LBB172_52:                             ;   in Loop: Header=BB172_32 Depth=1
	;; [unrolled: 9-line block ×3, first 2 shown]
	s_or_b64 exec, exec, s[34:35]
	s_mov_b32 s41, 0
	s_mov_b64 s[34:35], -1
.LBB172_55:                             ;   Parent Loop BB172_32 Depth=1
                                        ; =>  This Inner Loop Header: Depth=2
	v_cndmask_b32_e64 v0, 0, 1, s[34:35]
	s_lshl_b32 s34, s41, 3
	v_cmp_ne_u32_e32 vcc, 1, v0
	v_lshl_add_u32 v0, v130, 5, s34
	v_lshl_add_u32 v20, v131, 5, s34
	ds_read_b128 v[32:35], v0 offset:16384
	ds_read_b128 v[28:31], v0 offset:16640
	;; [unrolled: 1-line block ×8, first 2 shown]
	ds_read_b128 v[146:149], v20
	ds_read_b128 v[56:59], v20 offset:1024
	ds_read_b128 v[52:55], v20 offset:2048
	;; [unrolled: 1-line block ×7, first 2 shown]
	s_waitcnt lgkmcnt(0)
	v_add_f64 v[150:151], v[34:35], v[148:149]
	v_add_f64 v[152:153], v[32:33], v[146:147]
	v_cvt_f32_f64_e32 v145, v[152:153]
	v_cvt_f32_f64_e32 v150, v[150:151]
	v_min3_f32 v139, v145, v150, v139
	v_add_f64 v[150:151], v[30:31], v[148:149]
	v_add_f64 v[152:153], v[28:29], v[146:147]
	v_cvt_f32_f64_e32 v145, v[152:153]
	v_cvt_f32_f64_e32 v150, v[150:151]
	v_min3_f32 v138, v145, v150, v138
	v_add_f64 v[150:151], v[26:27], v[148:149]
	v_add_f64 v[152:153], v[24:25], v[146:147]
	v_cvt_f32_f64_e32 v145, v[152:153]
	v_cvt_f32_f64_e32 v150, v[150:151]
	v_min3_f32 v137, v145, v150, v137
	v_add_f64 v[150:151], v[18:19], v[148:149]
	v_add_f64 v[152:153], v[16:17], v[146:147]
	v_cvt_f32_f64_e32 v145, v[152:153]
	v_cvt_f32_f64_e32 v150, v[150:151]
	v_min3_f32 v136, v145, v150, v136
	v_add_f64 v[150:151], v[14:15], v[148:149]
	v_add_f64 v[152:153], v[12:13], v[146:147]
	v_cvt_f32_f64_e32 v145, v[152:153]
	v_cvt_f32_f64_e32 v150, v[150:151]
	v_min3_f32 v135, v145, v150, v135
	v_add_f64 v[150:151], v[10:11], v[148:149]
	v_add_f64 v[152:153], v[8:9], v[146:147]
	v_cvt_f32_f64_e32 v145, v[152:153]
	v_cvt_f32_f64_e32 v150, v[150:151]
	v_min3_f32 v134, v145, v150, v134
	v_add_f64 v[150:151], v[6:7], v[148:149]
	v_add_f64 v[152:153], v[4:5], v[146:147]
	v_cvt_f32_f64_e32 v145, v[152:153]
	v_cvt_f32_f64_e32 v150, v[150:151]
	v_add_f64 v[148:149], v[2:3], v[148:149]
	v_add_f64 v[146:147], v[0:1], v[146:147]
	v_min3_f32 v133, v145, v150, v133
	v_cvt_f32_f64_e32 v145, v[146:147]
	v_cvt_f32_f64_e32 v146, v[148:149]
	v_min3_f32 v132, v145, v146, v132
	v_add_f64 v[146:147], v[34:35], v[58:59]
	v_add_f64 v[148:149], v[32:33], v[56:57]
	v_cvt_f32_f64_e32 v145, v[148:149]
	v_cvt_f32_f64_e32 v146, v[146:147]
	v_min3_f32 v129, v145, v146, v129
	v_add_f64 v[146:147], v[30:31], v[58:59]
	v_add_f64 v[148:149], v[28:29], v[56:57]
	v_cvt_f32_f64_e32 v145, v[148:149]
	v_cvt_f32_f64_e32 v146, v[146:147]
	v_min3_f32 v128, v145, v146, v128
	v_add_f64 v[146:147], v[26:27], v[58:59]
	v_add_f64 v[148:149], v[24:25], v[56:57]
	v_cvt_f32_f64_e32 v145, v[148:149]
	v_cvt_f32_f64_e32 v146, v[146:147]
	v_min3_f32 v127, v145, v146, v127
	v_add_f64 v[146:147], v[18:19], v[58:59]
	v_add_f64 v[148:149], v[16:17], v[56:57]
	v_cvt_f32_f64_e32 v145, v[148:149]
	v_cvt_f32_f64_e32 v146, v[146:147]
	v_min3_f32 v126, v145, v146, v126
	v_add_f64 v[146:147], v[14:15], v[58:59]
	v_add_f64 v[148:149], v[12:13], v[56:57]
	v_cvt_f32_f64_e32 v145, v[148:149]
	v_cvt_f32_f64_e32 v146, v[146:147]
	v_min3_f32 v125, v145, v146, v125
	v_add_f64 v[146:147], v[10:11], v[58:59]
	v_add_f64 v[148:149], v[8:9], v[56:57]
	v_cvt_f32_f64_e32 v145, v[148:149]
	v_cvt_f32_f64_e32 v146, v[146:147]
	v_min3_f32 v124, v145, v146, v124
	v_add_f64 v[146:147], v[6:7], v[58:59]
	v_add_f64 v[148:149], v[4:5], v[56:57]
	v_add_f64 v[58:59], v[2:3], v[58:59]
	v_add_f64 v[56:57], v[0:1], v[56:57]
	v_cvt_f32_f64_e32 v56, v[56:57]
	v_cvt_f32_f64_e32 v57, v[58:59]
	v_min3_f32 v122, v56, v57, v122
	v_add_f64 v[56:57], v[34:35], v[54:55]
	v_add_f64 v[58:59], v[32:33], v[52:53]
	v_cvt_f32_f64_e32 v58, v[58:59]
	v_cvt_f32_f64_e32 v56, v[56:57]
	v_min3_f32 v121, v58, v56, v121
	v_add_f64 v[56:57], v[30:31], v[54:55]
	v_add_f64 v[58:59], v[28:29], v[52:53]
	v_cvt_f32_f64_e32 v58, v[58:59]
	v_cvt_f32_f64_e32 v56, v[56:57]
	v_min3_f32 v120, v58, v56, v120
	v_add_f64 v[56:57], v[26:27], v[54:55]
	v_add_f64 v[58:59], v[24:25], v[52:53]
	v_cvt_f32_f64_e32 v58, v[58:59]
	v_cvt_f32_f64_e32 v56, v[56:57]
	v_min3_f32 v119, v58, v56, v119
	v_add_f64 v[56:57], v[18:19], v[54:55]
	v_add_f64 v[58:59], v[16:17], v[52:53]
	v_cvt_f32_f64_e32 v58, v[58:59]
	v_cvt_f32_f64_e32 v56, v[56:57]
	v_min3_f32 v118, v58, v56, v118
	v_add_f64 v[56:57], v[14:15], v[54:55]
	v_add_f64 v[58:59], v[12:13], v[52:53]
	v_cvt_f32_f64_e32 v58, v[58:59]
	v_cvt_f32_f64_e32 v56, v[56:57]
	v_min3_f32 v117, v58, v56, v117
	v_add_f64 v[56:57], v[10:11], v[54:55]
	v_add_f64 v[58:59], v[8:9], v[52:53]
	v_cvt_f32_f64_e32 v58, v[58:59]
	v_cvt_f32_f64_e32 v56, v[56:57]
	v_min3_f32 v116, v58, v56, v116
	v_add_f64 v[56:57], v[6:7], v[54:55]
	v_add_f64 v[58:59], v[4:5], v[52:53]
	v_add_f64 v[54:55], v[2:3], v[54:55]
	v_add_f64 v[52:53], v[0:1], v[52:53]
	;; [unrolled: 37-line block ×6, first 2 shown]
	v_add_f64 v[34:35], v[34:35], v[22:23]
	v_add_f64 v[32:33], v[32:33], v[20:21]
	;; [unrolled: 1-line block ×16, first 2 shown]
	v_cvt_f32_f64_e32 v145, v[148:149]
	v_cvt_f32_f64_e32 v146, v[146:147]
	;; [unrolled: 1-line block ×30, first 2 shown]
	v_min3_f32 v123, v145, v146, v123
	v_min3_f32 v115, v58, v56, v115
	;; [unrolled: 1-line block ×15, first 2 shown]
	s_mov_b32 s41, 2
	s_mov_b64 s[34:35], 0
	s_cbranch_vccz .LBB172_55
; %bb.56:                               ;   in Loop: Header=BB172_32 Depth=1
	s_add_i32 s36, s36, 8
	s_add_i32 s40, s40, 8
	s_cmp_ge_i32 s40, s37
	s_waitcnt vmcnt(0)
	ds_write_b64 v143, v[64:65]
	ds_write2st64_b64 v144, v[66:67], v[68:69] offset1:4
	ds_write2st64_b64 v144, v[70:71], v[72:73] offset0:8 offset1:12
	s_waitcnt lgkmcnt(0)
	s_barrier
	s_cbranch_scc0 .LBB172_32
.LBB172_57:
	s_mov_b32 s6, 0
	s_mov_b64 s[4:5], -1
.LBB172_58:                             ; =>This Inner Loop Header: Depth=1
	v_cndmask_b32_e64 v0, 0, 1, s[4:5]
	s_lshl_b32 s4, s6, 3
	v_cmp_ne_u32_e32 vcc, 1, v0
	v_lshl_add_u32 v0, v130, 5, s4
	v_lshl_add_u32 v20, v131, 5, s4
	ds_read_b128 v[32:35], v0 offset:18432
	ds_read_b128 v[28:31], v0 offset:18688
	;; [unrolled: 1-line block ×16, first 2 shown]
	s_waitcnt lgkmcnt(7)
	v_add_f64 v[64:65], v[34:35], v[62:63]
	v_add_f64 v[66:67], v[32:33], v[60:61]
	v_cvt_f32_f64_e32 v66, v[66:67]
	v_cvt_f32_f64_e32 v64, v[64:65]
	v_min3_f32 v139, v66, v64, v139
	v_add_f64 v[64:65], v[30:31], v[62:63]
	v_add_f64 v[66:67], v[28:29], v[60:61]
	v_cvt_f32_f64_e32 v66, v[66:67]
	v_cvt_f32_f64_e32 v64, v[64:65]
	v_min3_f32 v138, v66, v64, v138
	v_add_f64 v[64:65], v[26:27], v[62:63]
	v_add_f64 v[66:67], v[24:25], v[60:61]
	v_cvt_f32_f64_e32 v66, v[66:67]
	v_cvt_f32_f64_e32 v64, v[64:65]
	v_min3_f32 v137, v66, v64, v137
	v_add_f64 v[64:65], v[18:19], v[62:63]
	v_add_f64 v[66:67], v[16:17], v[60:61]
	v_cvt_f32_f64_e32 v66, v[66:67]
	v_cvt_f32_f64_e32 v64, v[64:65]
	v_min3_f32 v136, v66, v64, v136
	v_add_f64 v[64:65], v[14:15], v[62:63]
	v_add_f64 v[66:67], v[12:13], v[60:61]
	v_cvt_f32_f64_e32 v66, v[66:67]
	v_cvt_f32_f64_e32 v64, v[64:65]
	v_min3_f32 v135, v66, v64, v135
	v_add_f64 v[64:65], v[10:11], v[62:63]
	v_add_f64 v[66:67], v[8:9], v[60:61]
	v_cvt_f32_f64_e32 v66, v[66:67]
	v_cvt_f32_f64_e32 v64, v[64:65]
	v_min3_f32 v134, v66, v64, v134
	v_add_f64 v[64:65], v[6:7], v[62:63]
	v_add_f64 v[66:67], v[4:5], v[60:61]
	v_add_f64 v[62:63], v[2:3], v[62:63]
	v_add_f64 v[60:61], v[0:1], v[60:61]
	v_cvt_f32_f64_e32 v60, v[60:61]
	v_cvt_f32_f64_e32 v61, v[62:63]
	v_min3_f32 v132, v60, v61, v132
	s_waitcnt lgkmcnt(6)
	v_add_f64 v[60:61], v[34:35], v[58:59]
	v_add_f64 v[62:63], v[32:33], v[56:57]
	v_cvt_f32_f64_e32 v62, v[62:63]
	v_cvt_f32_f64_e32 v60, v[60:61]
	v_min3_f32 v129, v62, v60, v129
	v_add_f64 v[60:61], v[30:31], v[58:59]
	v_add_f64 v[62:63], v[28:29], v[56:57]
	v_cvt_f32_f64_e32 v62, v[62:63]
	v_cvt_f32_f64_e32 v60, v[60:61]
	v_min3_f32 v128, v62, v60, v128
	v_add_f64 v[60:61], v[26:27], v[58:59]
	v_add_f64 v[62:63], v[24:25], v[56:57]
	v_cvt_f32_f64_e32 v62, v[62:63]
	v_cvt_f32_f64_e32 v60, v[60:61]
	v_min3_f32 v127, v62, v60, v127
	v_add_f64 v[60:61], v[18:19], v[58:59]
	v_add_f64 v[62:63], v[16:17], v[56:57]
	v_cvt_f32_f64_e32 v62, v[62:63]
	v_cvt_f32_f64_e32 v60, v[60:61]
	v_min3_f32 v126, v62, v60, v126
	v_add_f64 v[60:61], v[14:15], v[58:59]
	v_add_f64 v[62:63], v[12:13], v[56:57]
	v_cvt_f32_f64_e32 v62, v[62:63]
	v_cvt_f32_f64_e32 v60, v[60:61]
	v_min3_f32 v125, v62, v60, v125
	v_add_f64 v[60:61], v[10:11], v[58:59]
	v_add_f64 v[62:63], v[8:9], v[56:57]
	v_cvt_f32_f64_e32 v62, v[62:63]
	v_cvt_f32_f64_e32 v60, v[60:61]
	v_min3_f32 v124, v62, v60, v124
	v_add_f64 v[60:61], v[6:7], v[58:59]
	v_add_f64 v[62:63], v[4:5], v[56:57]
	v_add_f64 v[58:59], v[2:3], v[58:59]
	v_add_f64 v[56:57], v[0:1], v[56:57]
	v_cvt_f32_f64_e32 v56, v[56:57]
	v_cvt_f32_f64_e32 v57, v[58:59]
	v_min3_f32 v122, v56, v57, v122
	;; [unrolled: 38-line block ×6, first 2 shown]
	s_waitcnt lgkmcnt(1)
	v_add_f64 v[40:41], v[34:35], v[38:39]
	v_add_f64 v[42:43], v[32:33], v[36:37]
	v_cvt_f32_f64_e32 v42, v[42:43]
	v_cvt_f32_f64_e32 v40, v[40:41]
	v_min3_f32 v89, v42, v40, v89
	v_add_f64 v[40:41], v[30:31], v[38:39]
	v_add_f64 v[42:43], v[28:29], v[36:37]
	v_cvt_f32_f64_e32 v42, v[42:43]
	v_cvt_f32_f64_e32 v40, v[40:41]
	v_min3_f32 v88, v42, v40, v88
	v_add_f64 v[40:41], v[26:27], v[38:39]
	v_add_f64 v[42:43], v[24:25], v[36:37]
	v_cvt_f32_f64_e32 v42, v[42:43]
	v_cvt_f32_f64_e32 v40, v[40:41]
	v_min3_f32 v87, v42, v40, v87
	v_add_f64 v[40:41], v[18:19], v[38:39]
	v_add_f64 v[42:43], v[16:17], v[36:37]
	v_cvt_f32_f64_e32 v42, v[42:43]
	v_cvt_f32_f64_e32 v40, v[40:41]
	v_min3_f32 v86, v42, v40, v86
	v_add_f64 v[40:41], v[14:15], v[38:39]
	v_add_f64 v[42:43], v[12:13], v[36:37]
	v_cvt_f32_f64_e32 v42, v[42:43]
	v_cvt_f32_f64_e32 v40, v[40:41]
	v_min3_f32 v85, v42, v40, v85
	v_add_f64 v[40:41], v[10:11], v[38:39]
	v_add_f64 v[42:43], v[8:9], v[36:37]
	v_cvt_f32_f64_e32 v42, v[42:43]
	v_cvt_f32_f64_e32 v40, v[40:41]
	v_min3_f32 v84, v42, v40, v84
	v_add_f64 v[40:41], v[6:7], v[38:39]
	v_add_f64 v[42:43], v[4:5], v[36:37]
	;; [unrolled: 1-line block ×4, first 2 shown]
	s_waitcnt lgkmcnt(0)
	v_add_f64 v[34:35], v[34:35], v[22:23]
	v_add_f64 v[32:33], v[32:33], v[20:21]
	;; [unrolled: 1-line block ×16, first 2 shown]
	v_cvt_f32_f64_e32 v66, v[66:67]
	v_cvt_f32_f64_e32 v64, v[64:65]
	;; [unrolled: 1-line block ×32, first 2 shown]
	v_min3_f32 v133, v66, v64, v133
	v_min3_f32 v123, v62, v60, v123
	;; [unrolled: 1-line block ×16, first 2 shown]
	s_mov_b32 s6, 2
	s_mov_b64 s[4:5], 0
	s_cbranch_vccz .LBB172_58
; %bb.59:
	s_load_dwordx2 s[4:5], s[0:1], 0x78
	s_load_dword s31, s[0:1], 0x58
	s_load_dword s30, s[0:1], 0x70
	v_add_u32_e32 v22, s16, v131
	v_add_u32_e32 v0, s2, v130
	s_waitcnt lgkmcnt(0)
	s_mul_i32 s0, s3, s5
	s_mul_hi_u32 s1, s3, s4
	s_mul_i32 s5, s17, s4
	s_add_i32 s0, s1, s0
	s_add_i32 s1, s0, s5
	s_mul_i32 s0, s3, s4
	s_lshl_b64 s[0:1], s[0:1], 3
	s_add_u32 s26, s14, s0
	s_addc_u32 s27, s15, s1
	v_mad_i64_i32 v[2:3], s[0:1], v22, s31, 0
	v_lshl_add_u64 v[18:19], v[2:3], 3, s[20:21]
	v_mad_i64_i32 v[2:3], s[0:1], v22, s30, 0
	v_cmp_gt_i32_e64 s[2:3], s24, v0
	v_cmp_gt_i32_e64 s[18:19], s25, v22
	v_lshl_add_u64 v[16:17], v[2:3], 3, s[26:27]
	v_cndmask_b32_e64 v2, 0, 1, s[28:29]
	v_ashrrev_i32_e32 v1, 31, v0
	s_and_b64 s[6:7], s[2:3], s[18:19]
	v_cmp_ne_u32_e64 s[0:1], 1, v2
	s_and_saveexec_b64 s[4:5], s[6:7]
	s_cbranch_execz .LBB172_64
; %bb.60:
	s_and_b64 vcc, exec, s[0:1]
	s_cbranch_vccnz .LBB172_62
; %bb.61:
	v_lshl_add_u64 v[2:3], v[0:1], 3, v[18:19]
	flat_load_dwordx2 v[2:3], v[2:3]
	s_waitcnt vmcnt(0) lgkmcnt(0)
	v_mul_f64 v[2:3], v[2:3], s[22:23]
	s_branch .LBB172_63
.LBB172_62:
	v_mov_b64_e32 v[2:3], 0
.LBB172_63:
	v_cvt_f32_f64_e32 v2, v[2:3]
	v_max_f32_e32 v3, v139, v139
	v_min_f32_e32 v2, v2, v3
	v_cvt_f64_f32_e32 v[2:3], v2
	v_lshl_add_u64 v[4:5], v[0:1], 3, v[16:17]
	global_store_dwordx2 v[4:5], v[2:3], off
.LBB172_64:
	s_or_b64 exec, exec, s[4:5]
	v_add_u32_e32 v2, 8, v0
	v_cmp_gt_i32_e64 s[4:5], s24, v2
	v_ashrrev_i32_e32 v3, 31, v2
	s_and_b64 s[8:9], s[4:5], s[18:19]
	s_and_saveexec_b64 s[6:7], s[8:9]
	s_cbranch_execz .LBB172_69
; %bb.65:
	s_and_b64 vcc, exec, s[0:1]
	s_cbranch_vccnz .LBB172_67
; %bb.66:
	v_lshl_add_u64 v[4:5], v[2:3], 3, v[18:19]
	flat_load_dwordx2 v[4:5], v[4:5]
	s_waitcnt vmcnt(0) lgkmcnt(0)
	v_mul_f64 v[4:5], v[4:5], s[22:23]
	s_branch .LBB172_68
.LBB172_67:
	v_mov_b64_e32 v[4:5], 0
.LBB172_68:
	v_cvt_f32_f64_e32 v4, v[4:5]
	v_max_f32_e32 v5, v138, v138
	v_min_f32_e32 v4, v4, v5
	v_cvt_f64_f32_e32 v[4:5], v4
	v_lshl_add_u64 v[6:7], v[2:3], 3, v[16:17]
	global_store_dwordx2 v[6:7], v[4:5], off
.LBB172_69:
	s_or_b64 exec, exec, s[6:7]
	v_add_u32_e32 v4, 16, v0
	v_cmp_gt_i32_e64 s[6:7], s24, v4
	v_ashrrev_i32_e32 v5, 31, v4
	s_and_b64 s[10:11], s[6:7], s[18:19]
	;; [unrolled: 26-line block ×7, first 2 shown]
	s_and_saveexec_b64 s[18:19], s[28:29]
	s_cbranch_execz .LBB172_99
; %bb.95:
	s_and_b64 vcc, exec, s[0:1]
	s_cbranch_vccnz .LBB172_97
; %bb.96:
	v_lshl_add_u64 v[18:19], v[14:15], 3, v[18:19]
	flat_load_dwordx2 v[18:19], v[18:19]
	s_waitcnt vmcnt(0) lgkmcnt(0)
	v_mul_f64 v[18:19], v[18:19], s[22:23]
	s_branch .LBB172_98
.LBB172_97:
	v_mov_b64_e32 v[18:19], 0
.LBB172_98:
	v_cvt_f32_f64_e32 v18, v[18:19]
	v_max_f32_e32 v19, v132, v132
	v_min_f32_e32 v18, v18, v19
	v_cvt_f64_f32_e32 v[18:19], v18
	v_lshl_add_u64 v[16:17], v[14:15], 3, v[16:17]
	global_store_dwordx2 v[16:17], v[18:19], off
.LBB172_99:
	s_or_b64 exec, exec, s[18:19]
	v_add_u32_e32 v20, 32, v22
	v_mad_i64_i32 v[16:17], s[28:29], v20, s31, 0
	v_cmp_gt_i32_e64 s[18:19], s25, v20
	v_lshl_add_u64 v[18:19], v[16:17], 3, s[20:21]
	v_mad_i64_i32 v[16:17], s[28:29], v20, s30, 0
	v_lshl_add_u64 v[16:17], v[16:17], 3, s[26:27]
	s_and_b64 s[34:35], s[2:3], s[18:19]
	s_and_saveexec_b64 s[28:29], s[34:35]
	s_cbranch_execnz .LBB172_107
; %bb.100:
	s_or_b64 exec, exec, s[28:29]
	s_and_b64 s[34:35], s[4:5], s[18:19]
	s_and_saveexec_b64 s[28:29], s[34:35]
	s_cbranch_execnz .LBB172_111
.LBB172_101:
	s_or_b64 exec, exec, s[28:29]
	s_and_b64 s[34:35], s[6:7], s[18:19]
	s_and_saveexec_b64 s[28:29], s[34:35]
	s_cbranch_execnz .LBB172_115
.LBB172_102:
	s_or_b64 exec, exec, s[28:29]
	s_and_b64 s[34:35], s[8:9], s[18:19]
	s_and_saveexec_b64 s[28:29], s[34:35]
	s_cbranch_execnz .LBB172_119
.LBB172_103:
	s_or_b64 exec, exec, s[28:29]
	s_and_b64 s[34:35], s[10:11], s[18:19]
	s_and_saveexec_b64 s[28:29], s[34:35]
	s_cbranch_execnz .LBB172_123
.LBB172_104:
	s_or_b64 exec, exec, s[28:29]
	s_and_b64 s[34:35], s[12:13], s[18:19]
	s_and_saveexec_b64 s[28:29], s[34:35]
	s_cbranch_execnz .LBB172_127
.LBB172_105:
	s_or_b64 exec, exec, s[28:29]
	s_and_b64 s[34:35], s[14:15], s[18:19]
	s_and_saveexec_b64 s[28:29], s[34:35]
	s_cbranch_execnz .LBB172_131
.LBB172_106:
	s_or_b64 exec, exec, s[28:29]
	s_and_b64 s[28:29], s[16:17], s[18:19]
	s_and_saveexec_b64 s[18:19], s[28:29]
	s_cbranch_execnz .LBB172_135
	s_branch .LBB172_139
.LBB172_107:
	s_and_b64 vcc, exec, s[0:1]
	s_cbranch_vccnz .LBB172_109
; %bb.108:
	v_lshl_add_u64 v[20:21], v[0:1], 3, v[18:19]
	flat_load_dwordx2 v[20:21], v[20:21]
	s_waitcnt vmcnt(0) lgkmcnt(0)
	v_mul_f64 v[20:21], v[20:21], s[22:23]
	s_branch .LBB172_110
.LBB172_109:
	v_mov_b64_e32 v[20:21], 0
.LBB172_110:
	v_cvt_f32_f64_e32 v20, v[20:21]
	v_max_f32_e32 v21, v129, v129
	v_min_f32_e32 v20, v20, v21
	v_cvt_f64_f32_e32 v[20:21], v20
	v_lshl_add_u64 v[24:25], v[0:1], 3, v[16:17]
	global_store_dwordx2 v[24:25], v[20:21], off
	s_or_b64 exec, exec, s[28:29]
	s_and_b64 s[34:35], s[4:5], s[18:19]
	s_and_saveexec_b64 s[28:29], s[34:35]
	s_cbranch_execz .LBB172_101
.LBB172_111:
	s_and_b64 vcc, exec, s[0:1]
	s_cbranch_vccnz .LBB172_113
; %bb.112:
	v_lshl_add_u64 v[20:21], v[2:3], 3, v[18:19]
	flat_load_dwordx2 v[20:21], v[20:21]
	s_waitcnt vmcnt(0) lgkmcnt(0)
	v_mul_f64 v[20:21], v[20:21], s[22:23]
	s_branch .LBB172_114
.LBB172_113:
	v_mov_b64_e32 v[20:21], 0
.LBB172_114:
	v_cvt_f32_f64_e32 v20, v[20:21]
	v_max_f32_e32 v21, v128, v128
	v_min_f32_e32 v20, v20, v21
	v_cvt_f64_f32_e32 v[20:21], v20
	v_lshl_add_u64 v[24:25], v[2:3], 3, v[16:17]
	global_store_dwordx2 v[24:25], v[20:21], off
	s_or_b64 exec, exec, s[28:29]
	s_and_b64 s[34:35], s[6:7], s[18:19]
	s_and_saveexec_b64 s[28:29], s[34:35]
	s_cbranch_execz .LBB172_102
.LBB172_115:
	s_and_b64 vcc, exec, s[0:1]
	s_cbranch_vccnz .LBB172_117
; %bb.116:
	v_lshl_add_u64 v[20:21], v[4:5], 3, v[18:19]
	flat_load_dwordx2 v[20:21], v[20:21]
	s_waitcnt vmcnt(0) lgkmcnt(0)
	v_mul_f64 v[20:21], v[20:21], s[22:23]
	s_branch .LBB172_118
.LBB172_117:
	v_mov_b64_e32 v[20:21], 0
.LBB172_118:
	v_cvt_f32_f64_e32 v20, v[20:21]
	v_max_f32_e32 v21, v127, v127
	v_min_f32_e32 v20, v20, v21
	v_cvt_f64_f32_e32 v[20:21], v20
	v_lshl_add_u64 v[24:25], v[4:5], 3, v[16:17]
	global_store_dwordx2 v[24:25], v[20:21], off
	s_or_b64 exec, exec, s[28:29]
	s_and_b64 s[34:35], s[8:9], s[18:19]
	s_and_saveexec_b64 s[28:29], s[34:35]
	s_cbranch_execz .LBB172_103
.LBB172_119:
	s_and_b64 vcc, exec, s[0:1]
	s_cbranch_vccnz .LBB172_121
; %bb.120:
	v_lshl_add_u64 v[20:21], v[6:7], 3, v[18:19]
	flat_load_dwordx2 v[20:21], v[20:21]
	s_waitcnt vmcnt(0) lgkmcnt(0)
	v_mul_f64 v[20:21], v[20:21], s[22:23]
	s_branch .LBB172_122
.LBB172_121:
	v_mov_b64_e32 v[20:21], 0
.LBB172_122:
	v_cvt_f32_f64_e32 v20, v[20:21]
	v_max_f32_e32 v21, v126, v126
	v_min_f32_e32 v20, v20, v21
	v_cvt_f64_f32_e32 v[20:21], v20
	v_lshl_add_u64 v[24:25], v[6:7], 3, v[16:17]
	global_store_dwordx2 v[24:25], v[20:21], off
	s_or_b64 exec, exec, s[28:29]
	s_and_b64 s[34:35], s[10:11], s[18:19]
	s_and_saveexec_b64 s[28:29], s[34:35]
	s_cbranch_execz .LBB172_104
.LBB172_123:
	s_and_b64 vcc, exec, s[0:1]
	s_cbranch_vccnz .LBB172_125
; %bb.124:
	v_lshl_add_u64 v[20:21], v[8:9], 3, v[18:19]
	flat_load_dwordx2 v[20:21], v[20:21]
	s_waitcnt vmcnt(0) lgkmcnt(0)
	v_mul_f64 v[20:21], v[20:21], s[22:23]
	s_branch .LBB172_126
.LBB172_125:
	v_mov_b64_e32 v[20:21], 0
.LBB172_126:
	v_cvt_f32_f64_e32 v20, v[20:21]
	v_max_f32_e32 v21, v125, v125
	v_min_f32_e32 v20, v20, v21
	v_cvt_f64_f32_e32 v[20:21], v20
	v_lshl_add_u64 v[24:25], v[8:9], 3, v[16:17]
	global_store_dwordx2 v[24:25], v[20:21], off
	s_or_b64 exec, exec, s[28:29]
	s_and_b64 s[34:35], s[12:13], s[18:19]
	s_and_saveexec_b64 s[28:29], s[34:35]
	s_cbranch_execz .LBB172_105
.LBB172_127:
	s_and_b64 vcc, exec, s[0:1]
	s_cbranch_vccnz .LBB172_129
; %bb.128:
	v_lshl_add_u64 v[20:21], v[10:11], 3, v[18:19]
	flat_load_dwordx2 v[20:21], v[20:21]
	s_waitcnt vmcnt(0) lgkmcnt(0)
	v_mul_f64 v[20:21], v[20:21], s[22:23]
	s_branch .LBB172_130
.LBB172_129:
	v_mov_b64_e32 v[20:21], 0
.LBB172_130:
	v_cvt_f32_f64_e32 v20, v[20:21]
	v_max_f32_e32 v21, v124, v124
	v_min_f32_e32 v20, v20, v21
	v_cvt_f64_f32_e32 v[20:21], v20
	v_lshl_add_u64 v[24:25], v[10:11], 3, v[16:17]
	global_store_dwordx2 v[24:25], v[20:21], off
	s_or_b64 exec, exec, s[28:29]
	s_and_b64 s[34:35], s[14:15], s[18:19]
	s_and_saveexec_b64 s[28:29], s[34:35]
	s_cbranch_execz .LBB172_106
.LBB172_131:
	s_and_b64 vcc, exec, s[0:1]
	s_cbranch_vccnz .LBB172_133
; %bb.132:
	v_lshl_add_u64 v[20:21], v[12:13], 3, v[18:19]
	flat_load_dwordx2 v[20:21], v[20:21]
	s_waitcnt vmcnt(0) lgkmcnt(0)
	v_mul_f64 v[20:21], v[20:21], s[22:23]
	s_branch .LBB172_134
.LBB172_133:
	v_mov_b64_e32 v[20:21], 0
.LBB172_134:
	v_cvt_f32_f64_e32 v20, v[20:21]
	v_max_f32_e32 v21, v123, v123
	v_min_f32_e32 v20, v20, v21
	v_cvt_f64_f32_e32 v[20:21], v20
	v_lshl_add_u64 v[24:25], v[12:13], 3, v[16:17]
	global_store_dwordx2 v[24:25], v[20:21], off
	s_or_b64 exec, exec, s[28:29]
	s_and_b64 s[28:29], s[16:17], s[18:19]
	s_and_saveexec_b64 s[18:19], s[28:29]
	s_cbranch_execz .LBB172_139
.LBB172_135:
	s_and_b64 vcc, exec, s[0:1]
	s_cbranch_vccnz .LBB172_137
; %bb.136:
	v_lshl_add_u64 v[18:19], v[14:15], 3, v[18:19]
	flat_load_dwordx2 v[18:19], v[18:19]
	s_waitcnt vmcnt(0) lgkmcnt(0)
	v_mul_f64 v[18:19], v[18:19], s[22:23]
	s_branch .LBB172_138
.LBB172_137:
	v_mov_b64_e32 v[18:19], 0
.LBB172_138:
	v_cvt_f32_f64_e32 v18, v[18:19]
	v_max_f32_e32 v19, v122, v122
	v_min_f32_e32 v18, v18, v19
	v_cvt_f64_f32_e32 v[18:19], v18
	v_lshl_add_u64 v[16:17], v[14:15], 3, v[16:17]
	global_store_dwordx2 v[16:17], v[18:19], off
.LBB172_139:
	s_or_b64 exec, exec, s[18:19]
	v_add_u32_e32 v20, 64, v22
	v_mad_i64_i32 v[16:17], s[28:29], v20, s31, 0
	v_cmp_gt_i32_e64 s[18:19], s25, v20
	v_lshl_add_u64 v[18:19], v[16:17], 3, s[20:21]
	v_mad_i64_i32 v[16:17], s[28:29], v20, s30, 0
	v_lshl_add_u64 v[16:17], v[16:17], 3, s[26:27]
	s_and_b64 s[34:35], s[2:3], s[18:19]
	s_and_saveexec_b64 s[28:29], s[34:35]
	s_cbranch_execnz .LBB172_147
; %bb.140:
	s_or_b64 exec, exec, s[28:29]
	s_and_b64 s[34:35], s[4:5], s[18:19]
	s_and_saveexec_b64 s[28:29], s[34:35]
	s_cbranch_execnz .LBB172_151
.LBB172_141:
	s_or_b64 exec, exec, s[28:29]
	s_and_b64 s[34:35], s[6:7], s[18:19]
	s_and_saveexec_b64 s[28:29], s[34:35]
	s_cbranch_execnz .LBB172_155
.LBB172_142:
	s_or_b64 exec, exec, s[28:29]
	s_and_b64 s[34:35], s[8:9], s[18:19]
	s_and_saveexec_b64 s[28:29], s[34:35]
	s_cbranch_execnz .LBB172_159
.LBB172_143:
	s_or_b64 exec, exec, s[28:29]
	s_and_b64 s[34:35], s[10:11], s[18:19]
	s_and_saveexec_b64 s[28:29], s[34:35]
	s_cbranch_execnz .LBB172_163
.LBB172_144:
	s_or_b64 exec, exec, s[28:29]
	s_and_b64 s[34:35], s[12:13], s[18:19]
	s_and_saveexec_b64 s[28:29], s[34:35]
	s_cbranch_execnz .LBB172_167
.LBB172_145:
	s_or_b64 exec, exec, s[28:29]
	s_and_b64 s[34:35], s[14:15], s[18:19]
	s_and_saveexec_b64 s[28:29], s[34:35]
	s_cbranch_execnz .LBB172_171
.LBB172_146:
	s_or_b64 exec, exec, s[28:29]
	s_and_b64 s[28:29], s[16:17], s[18:19]
	s_and_saveexec_b64 s[18:19], s[28:29]
	s_cbranch_execnz .LBB172_175
	s_branch .LBB172_179
.LBB172_147:
	s_and_b64 vcc, exec, s[0:1]
	s_cbranch_vccnz .LBB172_149
; %bb.148:
	v_lshl_add_u64 v[20:21], v[0:1], 3, v[18:19]
	flat_load_dwordx2 v[20:21], v[20:21]
	s_waitcnt vmcnt(0) lgkmcnt(0)
	v_mul_f64 v[20:21], v[20:21], s[22:23]
	s_branch .LBB172_150
.LBB172_149:
	v_mov_b64_e32 v[20:21], 0
.LBB172_150:
	v_cvt_f32_f64_e32 v20, v[20:21]
	v_max_f32_e32 v21, v121, v121
	v_min_f32_e32 v20, v20, v21
	v_cvt_f64_f32_e32 v[20:21], v20
	v_lshl_add_u64 v[24:25], v[0:1], 3, v[16:17]
	global_store_dwordx2 v[24:25], v[20:21], off
	s_or_b64 exec, exec, s[28:29]
	s_and_b64 s[34:35], s[4:5], s[18:19]
	s_and_saveexec_b64 s[28:29], s[34:35]
	s_cbranch_execz .LBB172_141
.LBB172_151:
	s_and_b64 vcc, exec, s[0:1]
	s_cbranch_vccnz .LBB172_153
; %bb.152:
	v_lshl_add_u64 v[20:21], v[2:3], 3, v[18:19]
	flat_load_dwordx2 v[20:21], v[20:21]
	s_waitcnt vmcnt(0) lgkmcnt(0)
	v_mul_f64 v[20:21], v[20:21], s[22:23]
	s_branch .LBB172_154
.LBB172_153:
	v_mov_b64_e32 v[20:21], 0
.LBB172_154:
	v_cvt_f32_f64_e32 v20, v[20:21]
	v_max_f32_e32 v21, v120, v120
	v_min_f32_e32 v20, v20, v21
	v_cvt_f64_f32_e32 v[20:21], v20
	v_lshl_add_u64 v[24:25], v[2:3], 3, v[16:17]
	global_store_dwordx2 v[24:25], v[20:21], off
	s_or_b64 exec, exec, s[28:29]
	s_and_b64 s[34:35], s[6:7], s[18:19]
	s_and_saveexec_b64 s[28:29], s[34:35]
	s_cbranch_execz .LBB172_142
.LBB172_155:
	s_and_b64 vcc, exec, s[0:1]
	s_cbranch_vccnz .LBB172_157
; %bb.156:
	v_lshl_add_u64 v[20:21], v[4:5], 3, v[18:19]
	flat_load_dwordx2 v[20:21], v[20:21]
	s_waitcnt vmcnt(0) lgkmcnt(0)
	v_mul_f64 v[20:21], v[20:21], s[22:23]
	s_branch .LBB172_158
.LBB172_157:
	v_mov_b64_e32 v[20:21], 0
.LBB172_158:
	v_cvt_f32_f64_e32 v20, v[20:21]
	v_max_f32_e32 v21, v119, v119
	v_min_f32_e32 v20, v20, v21
	v_cvt_f64_f32_e32 v[20:21], v20
	v_lshl_add_u64 v[24:25], v[4:5], 3, v[16:17]
	global_store_dwordx2 v[24:25], v[20:21], off
	s_or_b64 exec, exec, s[28:29]
	s_and_b64 s[34:35], s[8:9], s[18:19]
	s_and_saveexec_b64 s[28:29], s[34:35]
	s_cbranch_execz .LBB172_143
.LBB172_159:
	s_and_b64 vcc, exec, s[0:1]
	s_cbranch_vccnz .LBB172_161
; %bb.160:
	v_lshl_add_u64 v[20:21], v[6:7], 3, v[18:19]
	flat_load_dwordx2 v[20:21], v[20:21]
	s_waitcnt vmcnt(0) lgkmcnt(0)
	v_mul_f64 v[20:21], v[20:21], s[22:23]
	s_branch .LBB172_162
.LBB172_161:
	v_mov_b64_e32 v[20:21], 0
.LBB172_162:
	v_cvt_f32_f64_e32 v20, v[20:21]
	v_max_f32_e32 v21, v118, v118
	v_min_f32_e32 v20, v20, v21
	v_cvt_f64_f32_e32 v[20:21], v20
	v_lshl_add_u64 v[24:25], v[6:7], 3, v[16:17]
	global_store_dwordx2 v[24:25], v[20:21], off
	s_or_b64 exec, exec, s[28:29]
	s_and_b64 s[34:35], s[10:11], s[18:19]
	s_and_saveexec_b64 s[28:29], s[34:35]
	s_cbranch_execz .LBB172_144
.LBB172_163:
	s_and_b64 vcc, exec, s[0:1]
	s_cbranch_vccnz .LBB172_165
; %bb.164:
	v_lshl_add_u64 v[20:21], v[8:9], 3, v[18:19]
	flat_load_dwordx2 v[20:21], v[20:21]
	s_waitcnt vmcnt(0) lgkmcnt(0)
	v_mul_f64 v[20:21], v[20:21], s[22:23]
	s_branch .LBB172_166
.LBB172_165:
	v_mov_b64_e32 v[20:21], 0
.LBB172_166:
	v_cvt_f32_f64_e32 v20, v[20:21]
	v_max_f32_e32 v21, v117, v117
	v_min_f32_e32 v20, v20, v21
	v_cvt_f64_f32_e32 v[20:21], v20
	v_lshl_add_u64 v[24:25], v[8:9], 3, v[16:17]
	global_store_dwordx2 v[24:25], v[20:21], off
	s_or_b64 exec, exec, s[28:29]
	s_and_b64 s[34:35], s[12:13], s[18:19]
	s_and_saveexec_b64 s[28:29], s[34:35]
	s_cbranch_execz .LBB172_145
.LBB172_167:
	s_and_b64 vcc, exec, s[0:1]
	s_cbranch_vccnz .LBB172_169
; %bb.168:
	v_lshl_add_u64 v[20:21], v[10:11], 3, v[18:19]
	flat_load_dwordx2 v[20:21], v[20:21]
	s_waitcnt vmcnt(0) lgkmcnt(0)
	v_mul_f64 v[20:21], v[20:21], s[22:23]
	s_branch .LBB172_170
.LBB172_169:
	v_mov_b64_e32 v[20:21], 0
.LBB172_170:
	v_cvt_f32_f64_e32 v20, v[20:21]
	v_max_f32_e32 v21, v116, v116
	v_min_f32_e32 v20, v20, v21
	v_cvt_f64_f32_e32 v[20:21], v20
	v_lshl_add_u64 v[24:25], v[10:11], 3, v[16:17]
	global_store_dwordx2 v[24:25], v[20:21], off
	s_or_b64 exec, exec, s[28:29]
	s_and_b64 s[34:35], s[14:15], s[18:19]
	s_and_saveexec_b64 s[28:29], s[34:35]
	s_cbranch_execz .LBB172_146
.LBB172_171:
	s_and_b64 vcc, exec, s[0:1]
	s_cbranch_vccnz .LBB172_173
; %bb.172:
	v_lshl_add_u64 v[20:21], v[12:13], 3, v[18:19]
	flat_load_dwordx2 v[20:21], v[20:21]
	s_waitcnt vmcnt(0) lgkmcnt(0)
	v_mul_f64 v[20:21], v[20:21], s[22:23]
	s_branch .LBB172_174
.LBB172_173:
	v_mov_b64_e32 v[20:21], 0
.LBB172_174:
	v_cvt_f32_f64_e32 v20, v[20:21]
	v_max_f32_e32 v21, v115, v115
	v_min_f32_e32 v20, v20, v21
	v_cvt_f64_f32_e32 v[20:21], v20
	v_lshl_add_u64 v[24:25], v[12:13], 3, v[16:17]
	global_store_dwordx2 v[24:25], v[20:21], off
	s_or_b64 exec, exec, s[28:29]
	s_and_b64 s[28:29], s[16:17], s[18:19]
	s_and_saveexec_b64 s[18:19], s[28:29]
	s_cbranch_execz .LBB172_179
.LBB172_175:
	s_and_b64 vcc, exec, s[0:1]
	s_cbranch_vccnz .LBB172_177
; %bb.176:
	v_lshl_add_u64 v[18:19], v[14:15], 3, v[18:19]
	flat_load_dwordx2 v[18:19], v[18:19]
	s_waitcnt vmcnt(0) lgkmcnt(0)
	v_mul_f64 v[18:19], v[18:19], s[22:23]
	s_branch .LBB172_178
.LBB172_177:
	v_mov_b64_e32 v[18:19], 0
.LBB172_178:
	v_cvt_f32_f64_e32 v18, v[18:19]
	v_max_f32_e32 v19, v114, v114
	v_min_f32_e32 v18, v18, v19
	v_cvt_f64_f32_e32 v[18:19], v18
	v_lshl_add_u64 v[16:17], v[14:15], 3, v[16:17]
	global_store_dwordx2 v[16:17], v[18:19], off
.LBB172_179:
	s_or_b64 exec, exec, s[18:19]
	v_add_u32_e32 v20, 0x60, v22
	v_mad_i64_i32 v[16:17], s[28:29], v20, s31, 0
	v_cmp_gt_i32_e64 s[18:19], s25, v20
	v_lshl_add_u64 v[18:19], v[16:17], 3, s[20:21]
	v_mad_i64_i32 v[16:17], s[28:29], v20, s30, 0
	v_lshl_add_u64 v[16:17], v[16:17], 3, s[26:27]
	s_and_b64 s[34:35], s[2:3], s[18:19]
	s_and_saveexec_b64 s[28:29], s[34:35]
	s_cbranch_execnz .LBB172_187
; %bb.180:
	s_or_b64 exec, exec, s[28:29]
	s_and_b64 s[34:35], s[4:5], s[18:19]
	s_and_saveexec_b64 s[28:29], s[34:35]
	s_cbranch_execnz .LBB172_191
.LBB172_181:
	s_or_b64 exec, exec, s[28:29]
	s_and_b64 s[34:35], s[6:7], s[18:19]
	s_and_saveexec_b64 s[28:29], s[34:35]
	s_cbranch_execnz .LBB172_195
.LBB172_182:
	s_or_b64 exec, exec, s[28:29]
	s_and_b64 s[34:35], s[8:9], s[18:19]
	s_and_saveexec_b64 s[28:29], s[34:35]
	s_cbranch_execnz .LBB172_199
.LBB172_183:
	s_or_b64 exec, exec, s[28:29]
	s_and_b64 s[34:35], s[10:11], s[18:19]
	s_and_saveexec_b64 s[28:29], s[34:35]
	s_cbranch_execnz .LBB172_203
.LBB172_184:
	s_or_b64 exec, exec, s[28:29]
	s_and_b64 s[34:35], s[12:13], s[18:19]
	s_and_saveexec_b64 s[28:29], s[34:35]
	s_cbranch_execnz .LBB172_207
.LBB172_185:
	s_or_b64 exec, exec, s[28:29]
	s_and_b64 s[34:35], s[14:15], s[18:19]
	s_and_saveexec_b64 s[28:29], s[34:35]
	s_cbranch_execnz .LBB172_211
.LBB172_186:
	s_or_b64 exec, exec, s[28:29]
	s_and_b64 s[28:29], s[16:17], s[18:19]
	s_and_saveexec_b64 s[18:19], s[28:29]
	s_cbranch_execnz .LBB172_215
	s_branch .LBB172_219
.LBB172_187:
	s_and_b64 vcc, exec, s[0:1]
	s_cbranch_vccnz .LBB172_189
; %bb.188:
	v_lshl_add_u64 v[20:21], v[0:1], 3, v[18:19]
	flat_load_dwordx2 v[20:21], v[20:21]
	s_waitcnt vmcnt(0) lgkmcnt(0)
	v_mul_f64 v[20:21], v[20:21], s[22:23]
	s_branch .LBB172_190
.LBB172_189:
	v_mov_b64_e32 v[20:21], 0
.LBB172_190:
	v_cvt_f32_f64_e32 v20, v[20:21]
	v_max_f32_e32 v21, v113, v113
	v_min_f32_e32 v20, v20, v21
	v_cvt_f64_f32_e32 v[20:21], v20
	v_lshl_add_u64 v[24:25], v[0:1], 3, v[16:17]
	global_store_dwordx2 v[24:25], v[20:21], off
	s_or_b64 exec, exec, s[28:29]
	s_and_b64 s[34:35], s[4:5], s[18:19]
	s_and_saveexec_b64 s[28:29], s[34:35]
	s_cbranch_execz .LBB172_181
.LBB172_191:
	s_and_b64 vcc, exec, s[0:1]
	s_cbranch_vccnz .LBB172_193
; %bb.192:
	v_lshl_add_u64 v[20:21], v[2:3], 3, v[18:19]
	flat_load_dwordx2 v[20:21], v[20:21]
	s_waitcnt vmcnt(0) lgkmcnt(0)
	v_mul_f64 v[20:21], v[20:21], s[22:23]
	s_branch .LBB172_194
.LBB172_193:
	v_mov_b64_e32 v[20:21], 0
.LBB172_194:
	v_cvt_f32_f64_e32 v20, v[20:21]
	v_max_f32_e32 v21, v112, v112
	v_min_f32_e32 v20, v20, v21
	v_cvt_f64_f32_e32 v[20:21], v20
	v_lshl_add_u64 v[24:25], v[2:3], 3, v[16:17]
	global_store_dwordx2 v[24:25], v[20:21], off
	s_or_b64 exec, exec, s[28:29]
	s_and_b64 s[34:35], s[6:7], s[18:19]
	s_and_saveexec_b64 s[28:29], s[34:35]
	s_cbranch_execz .LBB172_182
.LBB172_195:
	s_and_b64 vcc, exec, s[0:1]
	s_cbranch_vccnz .LBB172_197
; %bb.196:
	v_lshl_add_u64 v[20:21], v[4:5], 3, v[18:19]
	flat_load_dwordx2 v[20:21], v[20:21]
	s_waitcnt vmcnt(0) lgkmcnt(0)
	v_mul_f64 v[20:21], v[20:21], s[22:23]
	s_branch .LBB172_198
.LBB172_197:
	v_mov_b64_e32 v[20:21], 0
.LBB172_198:
	v_cvt_f32_f64_e32 v20, v[20:21]
	v_max_f32_e32 v21, v111, v111
	v_min_f32_e32 v20, v20, v21
	v_cvt_f64_f32_e32 v[20:21], v20
	v_lshl_add_u64 v[24:25], v[4:5], 3, v[16:17]
	global_store_dwordx2 v[24:25], v[20:21], off
	s_or_b64 exec, exec, s[28:29]
	s_and_b64 s[34:35], s[8:9], s[18:19]
	s_and_saveexec_b64 s[28:29], s[34:35]
	s_cbranch_execz .LBB172_183
.LBB172_199:
	s_and_b64 vcc, exec, s[0:1]
	s_cbranch_vccnz .LBB172_201
; %bb.200:
	v_lshl_add_u64 v[20:21], v[6:7], 3, v[18:19]
	flat_load_dwordx2 v[20:21], v[20:21]
	s_waitcnt vmcnt(0) lgkmcnt(0)
	v_mul_f64 v[20:21], v[20:21], s[22:23]
	s_branch .LBB172_202
.LBB172_201:
	v_mov_b64_e32 v[20:21], 0
.LBB172_202:
	v_cvt_f32_f64_e32 v20, v[20:21]
	v_max_f32_e32 v21, v110, v110
	v_min_f32_e32 v20, v20, v21
	v_cvt_f64_f32_e32 v[20:21], v20
	v_lshl_add_u64 v[24:25], v[6:7], 3, v[16:17]
	global_store_dwordx2 v[24:25], v[20:21], off
	s_or_b64 exec, exec, s[28:29]
	s_and_b64 s[34:35], s[10:11], s[18:19]
	s_and_saveexec_b64 s[28:29], s[34:35]
	s_cbranch_execz .LBB172_184
.LBB172_203:
	s_and_b64 vcc, exec, s[0:1]
	s_cbranch_vccnz .LBB172_205
; %bb.204:
	v_lshl_add_u64 v[20:21], v[8:9], 3, v[18:19]
	flat_load_dwordx2 v[20:21], v[20:21]
	s_waitcnt vmcnt(0) lgkmcnt(0)
	v_mul_f64 v[20:21], v[20:21], s[22:23]
	s_branch .LBB172_206
.LBB172_205:
	v_mov_b64_e32 v[20:21], 0
.LBB172_206:
	v_cvt_f32_f64_e32 v20, v[20:21]
	v_max_f32_e32 v21, v109, v109
	v_min_f32_e32 v20, v20, v21
	v_cvt_f64_f32_e32 v[20:21], v20
	v_lshl_add_u64 v[24:25], v[8:9], 3, v[16:17]
	global_store_dwordx2 v[24:25], v[20:21], off
	s_or_b64 exec, exec, s[28:29]
	s_and_b64 s[34:35], s[12:13], s[18:19]
	s_and_saveexec_b64 s[28:29], s[34:35]
	s_cbranch_execz .LBB172_185
.LBB172_207:
	s_and_b64 vcc, exec, s[0:1]
	s_cbranch_vccnz .LBB172_209
; %bb.208:
	v_lshl_add_u64 v[20:21], v[10:11], 3, v[18:19]
	flat_load_dwordx2 v[20:21], v[20:21]
	s_waitcnt vmcnt(0) lgkmcnt(0)
	v_mul_f64 v[20:21], v[20:21], s[22:23]
	s_branch .LBB172_210
.LBB172_209:
	v_mov_b64_e32 v[20:21], 0
.LBB172_210:
	v_cvt_f32_f64_e32 v20, v[20:21]
	v_max_f32_e32 v21, v108, v108
	v_min_f32_e32 v20, v20, v21
	v_cvt_f64_f32_e32 v[20:21], v20
	v_lshl_add_u64 v[24:25], v[10:11], 3, v[16:17]
	global_store_dwordx2 v[24:25], v[20:21], off
	s_or_b64 exec, exec, s[28:29]
	s_and_b64 s[34:35], s[14:15], s[18:19]
	s_and_saveexec_b64 s[28:29], s[34:35]
	s_cbranch_execz .LBB172_186
.LBB172_211:
	s_and_b64 vcc, exec, s[0:1]
	s_cbranch_vccnz .LBB172_213
; %bb.212:
	v_lshl_add_u64 v[20:21], v[12:13], 3, v[18:19]
	flat_load_dwordx2 v[20:21], v[20:21]
	s_waitcnt vmcnt(0) lgkmcnt(0)
	v_mul_f64 v[20:21], v[20:21], s[22:23]
	s_branch .LBB172_214
.LBB172_213:
	v_mov_b64_e32 v[20:21], 0
.LBB172_214:
	v_cvt_f32_f64_e32 v20, v[20:21]
	v_max_f32_e32 v21, v107, v107
	v_min_f32_e32 v20, v20, v21
	v_cvt_f64_f32_e32 v[20:21], v20
	v_lshl_add_u64 v[24:25], v[12:13], 3, v[16:17]
	global_store_dwordx2 v[24:25], v[20:21], off
	s_or_b64 exec, exec, s[28:29]
	s_and_b64 s[28:29], s[16:17], s[18:19]
	s_and_saveexec_b64 s[18:19], s[28:29]
	s_cbranch_execz .LBB172_219
.LBB172_215:
	s_and_b64 vcc, exec, s[0:1]
	s_cbranch_vccnz .LBB172_217
; %bb.216:
	v_lshl_add_u64 v[18:19], v[14:15], 3, v[18:19]
	flat_load_dwordx2 v[18:19], v[18:19]
	s_waitcnt vmcnt(0) lgkmcnt(0)
	v_mul_f64 v[18:19], v[18:19], s[22:23]
	s_branch .LBB172_218
.LBB172_217:
	v_mov_b64_e32 v[18:19], 0
.LBB172_218:
	v_cvt_f32_f64_e32 v18, v[18:19]
	v_max_f32_e32 v19, v106, v106
	v_min_f32_e32 v18, v18, v19
	v_cvt_f64_f32_e32 v[18:19], v18
	v_lshl_add_u64 v[16:17], v[14:15], 3, v[16:17]
	global_store_dwordx2 v[16:17], v[18:19], off
.LBB172_219:
	s_or_b64 exec, exec, s[18:19]
	v_add_u32_e32 v20, 0x80, v22
	v_mad_i64_i32 v[16:17], s[28:29], v20, s31, 0
	v_cmp_gt_i32_e64 s[18:19], s25, v20
	v_lshl_add_u64 v[18:19], v[16:17], 3, s[20:21]
	v_mad_i64_i32 v[16:17], s[28:29], v20, s30, 0
	v_lshl_add_u64 v[16:17], v[16:17], 3, s[26:27]
	s_and_b64 s[34:35], s[2:3], s[18:19]
	s_and_saveexec_b64 s[28:29], s[34:35]
	s_cbranch_execnz .LBB172_227
; %bb.220:
	s_or_b64 exec, exec, s[28:29]
	s_and_b64 s[34:35], s[4:5], s[18:19]
	s_and_saveexec_b64 s[28:29], s[34:35]
	s_cbranch_execnz .LBB172_231
.LBB172_221:
	s_or_b64 exec, exec, s[28:29]
	s_and_b64 s[34:35], s[6:7], s[18:19]
	s_and_saveexec_b64 s[28:29], s[34:35]
	s_cbranch_execnz .LBB172_235
.LBB172_222:
	s_or_b64 exec, exec, s[28:29]
	s_and_b64 s[34:35], s[8:9], s[18:19]
	s_and_saveexec_b64 s[28:29], s[34:35]
	s_cbranch_execnz .LBB172_239
.LBB172_223:
	s_or_b64 exec, exec, s[28:29]
	s_and_b64 s[34:35], s[10:11], s[18:19]
	s_and_saveexec_b64 s[28:29], s[34:35]
	s_cbranch_execnz .LBB172_243
.LBB172_224:
	s_or_b64 exec, exec, s[28:29]
	s_and_b64 s[34:35], s[12:13], s[18:19]
	s_and_saveexec_b64 s[28:29], s[34:35]
	s_cbranch_execnz .LBB172_247
.LBB172_225:
	s_or_b64 exec, exec, s[28:29]
	s_and_b64 s[34:35], s[14:15], s[18:19]
	s_and_saveexec_b64 s[28:29], s[34:35]
	s_cbranch_execnz .LBB172_251
.LBB172_226:
	s_or_b64 exec, exec, s[28:29]
	s_and_b64 s[28:29], s[16:17], s[18:19]
	s_and_saveexec_b64 s[18:19], s[28:29]
	s_cbranch_execnz .LBB172_255
	s_branch .LBB172_259
.LBB172_227:
	s_and_b64 vcc, exec, s[0:1]
	s_cbranch_vccnz .LBB172_229
; %bb.228:
	v_lshl_add_u64 v[20:21], v[0:1], 3, v[18:19]
	flat_load_dwordx2 v[20:21], v[20:21]
	s_waitcnt vmcnt(0) lgkmcnt(0)
	v_mul_f64 v[20:21], v[20:21], s[22:23]
	s_branch .LBB172_230
.LBB172_229:
	v_mov_b64_e32 v[20:21], 0
.LBB172_230:
	v_cvt_f32_f64_e32 v20, v[20:21]
	v_max_f32_e32 v21, v105, v105
	v_min_f32_e32 v20, v20, v21
	v_cvt_f64_f32_e32 v[20:21], v20
	v_lshl_add_u64 v[24:25], v[0:1], 3, v[16:17]
	global_store_dwordx2 v[24:25], v[20:21], off
	s_or_b64 exec, exec, s[28:29]
	s_and_b64 s[34:35], s[4:5], s[18:19]
	s_and_saveexec_b64 s[28:29], s[34:35]
	s_cbranch_execz .LBB172_221
.LBB172_231:
	s_and_b64 vcc, exec, s[0:1]
	s_cbranch_vccnz .LBB172_233
; %bb.232:
	v_lshl_add_u64 v[20:21], v[2:3], 3, v[18:19]
	flat_load_dwordx2 v[20:21], v[20:21]
	s_waitcnt vmcnt(0) lgkmcnt(0)
	v_mul_f64 v[20:21], v[20:21], s[22:23]
	s_branch .LBB172_234
.LBB172_233:
	v_mov_b64_e32 v[20:21], 0
.LBB172_234:
	v_cvt_f32_f64_e32 v20, v[20:21]
	v_max_f32_e32 v21, v104, v104
	v_min_f32_e32 v20, v20, v21
	v_cvt_f64_f32_e32 v[20:21], v20
	v_lshl_add_u64 v[24:25], v[2:3], 3, v[16:17]
	global_store_dwordx2 v[24:25], v[20:21], off
	s_or_b64 exec, exec, s[28:29]
	s_and_b64 s[34:35], s[6:7], s[18:19]
	s_and_saveexec_b64 s[28:29], s[34:35]
	s_cbranch_execz .LBB172_222
.LBB172_235:
	s_and_b64 vcc, exec, s[0:1]
	s_cbranch_vccnz .LBB172_237
; %bb.236:
	v_lshl_add_u64 v[20:21], v[4:5], 3, v[18:19]
	flat_load_dwordx2 v[20:21], v[20:21]
	s_waitcnt vmcnt(0) lgkmcnt(0)
	v_mul_f64 v[20:21], v[20:21], s[22:23]
	s_branch .LBB172_238
.LBB172_237:
	v_mov_b64_e32 v[20:21], 0
.LBB172_238:
	v_cvt_f32_f64_e32 v20, v[20:21]
	v_max_f32_e32 v21, v103, v103
	v_min_f32_e32 v20, v20, v21
	v_cvt_f64_f32_e32 v[20:21], v20
	v_lshl_add_u64 v[24:25], v[4:5], 3, v[16:17]
	global_store_dwordx2 v[24:25], v[20:21], off
	s_or_b64 exec, exec, s[28:29]
	s_and_b64 s[34:35], s[8:9], s[18:19]
	s_and_saveexec_b64 s[28:29], s[34:35]
	s_cbranch_execz .LBB172_223
.LBB172_239:
	s_and_b64 vcc, exec, s[0:1]
	s_cbranch_vccnz .LBB172_241
; %bb.240:
	v_lshl_add_u64 v[20:21], v[6:7], 3, v[18:19]
	flat_load_dwordx2 v[20:21], v[20:21]
	s_waitcnt vmcnt(0) lgkmcnt(0)
	v_mul_f64 v[20:21], v[20:21], s[22:23]
	s_branch .LBB172_242
.LBB172_241:
	v_mov_b64_e32 v[20:21], 0
.LBB172_242:
	v_cvt_f32_f64_e32 v20, v[20:21]
	v_max_f32_e32 v21, v102, v102
	v_min_f32_e32 v20, v20, v21
	v_cvt_f64_f32_e32 v[20:21], v20
	v_lshl_add_u64 v[24:25], v[6:7], 3, v[16:17]
	global_store_dwordx2 v[24:25], v[20:21], off
	s_or_b64 exec, exec, s[28:29]
	s_and_b64 s[34:35], s[10:11], s[18:19]
	s_and_saveexec_b64 s[28:29], s[34:35]
	s_cbranch_execz .LBB172_224
.LBB172_243:
	s_and_b64 vcc, exec, s[0:1]
	s_cbranch_vccnz .LBB172_245
; %bb.244:
	v_lshl_add_u64 v[20:21], v[8:9], 3, v[18:19]
	flat_load_dwordx2 v[20:21], v[20:21]
	s_waitcnt vmcnt(0) lgkmcnt(0)
	v_mul_f64 v[20:21], v[20:21], s[22:23]
	s_branch .LBB172_246
.LBB172_245:
	v_mov_b64_e32 v[20:21], 0
.LBB172_246:
	v_cvt_f32_f64_e32 v20, v[20:21]
	v_max_f32_e32 v21, v101, v101
	v_min_f32_e32 v20, v20, v21
	v_cvt_f64_f32_e32 v[20:21], v20
	v_lshl_add_u64 v[24:25], v[8:9], 3, v[16:17]
	global_store_dwordx2 v[24:25], v[20:21], off
	s_or_b64 exec, exec, s[28:29]
	s_and_b64 s[34:35], s[12:13], s[18:19]
	s_and_saveexec_b64 s[28:29], s[34:35]
	s_cbranch_execz .LBB172_225
.LBB172_247:
	s_and_b64 vcc, exec, s[0:1]
	s_cbranch_vccnz .LBB172_249
; %bb.248:
	v_lshl_add_u64 v[20:21], v[10:11], 3, v[18:19]
	flat_load_dwordx2 v[20:21], v[20:21]
	s_waitcnt vmcnt(0) lgkmcnt(0)
	v_mul_f64 v[20:21], v[20:21], s[22:23]
	s_branch .LBB172_250
.LBB172_249:
	v_mov_b64_e32 v[20:21], 0
.LBB172_250:
	v_cvt_f32_f64_e32 v20, v[20:21]
	v_max_f32_e32 v21, v100, v100
	v_min_f32_e32 v20, v20, v21
	v_cvt_f64_f32_e32 v[20:21], v20
	v_lshl_add_u64 v[24:25], v[10:11], 3, v[16:17]
	global_store_dwordx2 v[24:25], v[20:21], off
	s_or_b64 exec, exec, s[28:29]
	s_and_b64 s[34:35], s[14:15], s[18:19]
	s_and_saveexec_b64 s[28:29], s[34:35]
	s_cbranch_execz .LBB172_226
.LBB172_251:
	s_and_b64 vcc, exec, s[0:1]
	s_cbranch_vccnz .LBB172_253
; %bb.252:
	v_lshl_add_u64 v[20:21], v[12:13], 3, v[18:19]
	flat_load_dwordx2 v[20:21], v[20:21]
	s_waitcnt vmcnt(0) lgkmcnt(0)
	v_mul_f64 v[20:21], v[20:21], s[22:23]
	s_branch .LBB172_254
.LBB172_253:
	v_mov_b64_e32 v[20:21], 0
.LBB172_254:
	v_cvt_f32_f64_e32 v20, v[20:21]
	v_max_f32_e32 v21, v99, v99
	v_min_f32_e32 v20, v20, v21
	v_cvt_f64_f32_e32 v[20:21], v20
	v_lshl_add_u64 v[24:25], v[12:13], 3, v[16:17]
	global_store_dwordx2 v[24:25], v[20:21], off
	s_or_b64 exec, exec, s[28:29]
	s_and_b64 s[28:29], s[16:17], s[18:19]
	s_and_saveexec_b64 s[18:19], s[28:29]
	s_cbranch_execz .LBB172_259
.LBB172_255:
	s_and_b64 vcc, exec, s[0:1]
	s_cbranch_vccnz .LBB172_257
; %bb.256:
	v_lshl_add_u64 v[18:19], v[14:15], 3, v[18:19]
	flat_load_dwordx2 v[18:19], v[18:19]
	s_waitcnt vmcnt(0) lgkmcnt(0)
	v_mul_f64 v[18:19], v[18:19], s[22:23]
	s_branch .LBB172_258
.LBB172_257:
	v_mov_b64_e32 v[18:19], 0
.LBB172_258:
	v_cvt_f32_f64_e32 v18, v[18:19]
	v_max_f32_e32 v19, v98, v98
	v_min_f32_e32 v18, v18, v19
	v_cvt_f64_f32_e32 v[18:19], v18
	v_lshl_add_u64 v[16:17], v[14:15], 3, v[16:17]
	global_store_dwordx2 v[16:17], v[18:19], off
.LBB172_259:
	s_or_b64 exec, exec, s[18:19]
	v_add_u32_e32 v20, 0xa0, v22
	v_mad_i64_i32 v[16:17], s[28:29], v20, s31, 0
	v_cmp_gt_i32_e64 s[18:19], s25, v20
	v_lshl_add_u64 v[18:19], v[16:17], 3, s[20:21]
	v_mad_i64_i32 v[16:17], s[28:29], v20, s30, 0
	v_lshl_add_u64 v[16:17], v[16:17], 3, s[26:27]
	s_and_b64 s[34:35], s[2:3], s[18:19]
	s_and_saveexec_b64 s[28:29], s[34:35]
	s_cbranch_execnz .LBB172_267
; %bb.260:
	s_or_b64 exec, exec, s[28:29]
	s_and_b64 s[34:35], s[4:5], s[18:19]
	s_and_saveexec_b64 s[28:29], s[34:35]
	s_cbranch_execnz .LBB172_271
.LBB172_261:
	s_or_b64 exec, exec, s[28:29]
	s_and_b64 s[34:35], s[6:7], s[18:19]
	s_and_saveexec_b64 s[28:29], s[34:35]
	s_cbranch_execnz .LBB172_275
.LBB172_262:
	s_or_b64 exec, exec, s[28:29]
	s_and_b64 s[34:35], s[8:9], s[18:19]
	s_and_saveexec_b64 s[28:29], s[34:35]
	s_cbranch_execnz .LBB172_279
.LBB172_263:
	s_or_b64 exec, exec, s[28:29]
	s_and_b64 s[34:35], s[10:11], s[18:19]
	s_and_saveexec_b64 s[28:29], s[34:35]
	s_cbranch_execnz .LBB172_283
.LBB172_264:
	s_or_b64 exec, exec, s[28:29]
	s_and_b64 s[34:35], s[12:13], s[18:19]
	s_and_saveexec_b64 s[28:29], s[34:35]
	s_cbranch_execnz .LBB172_287
.LBB172_265:
	s_or_b64 exec, exec, s[28:29]
	s_and_b64 s[34:35], s[14:15], s[18:19]
	s_and_saveexec_b64 s[28:29], s[34:35]
	s_cbranch_execnz .LBB172_291
.LBB172_266:
	s_or_b64 exec, exec, s[28:29]
	s_and_b64 s[28:29], s[16:17], s[18:19]
	s_and_saveexec_b64 s[18:19], s[28:29]
	s_cbranch_execnz .LBB172_295
	s_branch .LBB172_299
.LBB172_267:
	s_and_b64 vcc, exec, s[0:1]
	s_cbranch_vccnz .LBB172_269
; %bb.268:
	v_lshl_add_u64 v[20:21], v[0:1], 3, v[18:19]
	flat_load_dwordx2 v[20:21], v[20:21]
	s_waitcnt vmcnt(0) lgkmcnt(0)
	v_mul_f64 v[20:21], v[20:21], s[22:23]
	s_branch .LBB172_270
.LBB172_269:
	v_mov_b64_e32 v[20:21], 0
.LBB172_270:
	v_cvt_f32_f64_e32 v20, v[20:21]
	v_max_f32_e32 v21, v97, v97
	v_min_f32_e32 v20, v20, v21
	v_cvt_f64_f32_e32 v[20:21], v20
	v_lshl_add_u64 v[24:25], v[0:1], 3, v[16:17]
	global_store_dwordx2 v[24:25], v[20:21], off
	s_or_b64 exec, exec, s[28:29]
	s_and_b64 s[34:35], s[4:5], s[18:19]
	s_and_saveexec_b64 s[28:29], s[34:35]
	s_cbranch_execz .LBB172_261
.LBB172_271:
	s_and_b64 vcc, exec, s[0:1]
	s_cbranch_vccnz .LBB172_273
; %bb.272:
	v_lshl_add_u64 v[20:21], v[2:3], 3, v[18:19]
	flat_load_dwordx2 v[20:21], v[20:21]
	s_waitcnt vmcnt(0) lgkmcnt(0)
	v_mul_f64 v[20:21], v[20:21], s[22:23]
	s_branch .LBB172_274
.LBB172_273:
	v_mov_b64_e32 v[20:21], 0
.LBB172_274:
	v_cvt_f32_f64_e32 v20, v[20:21]
	v_max_f32_e32 v21, v96, v96
	v_min_f32_e32 v20, v20, v21
	v_cvt_f64_f32_e32 v[20:21], v20
	v_lshl_add_u64 v[24:25], v[2:3], 3, v[16:17]
	global_store_dwordx2 v[24:25], v[20:21], off
	s_or_b64 exec, exec, s[28:29]
	s_and_b64 s[34:35], s[6:7], s[18:19]
	s_and_saveexec_b64 s[28:29], s[34:35]
	s_cbranch_execz .LBB172_262
.LBB172_275:
	s_and_b64 vcc, exec, s[0:1]
	s_cbranch_vccnz .LBB172_277
; %bb.276:
	v_lshl_add_u64 v[20:21], v[4:5], 3, v[18:19]
	flat_load_dwordx2 v[20:21], v[20:21]
	s_waitcnt vmcnt(0) lgkmcnt(0)
	v_mul_f64 v[20:21], v[20:21], s[22:23]
	s_branch .LBB172_278
.LBB172_277:
	v_mov_b64_e32 v[20:21], 0
.LBB172_278:
	v_cvt_f32_f64_e32 v20, v[20:21]
	v_max_f32_e32 v21, v95, v95
	v_min_f32_e32 v20, v20, v21
	v_cvt_f64_f32_e32 v[20:21], v20
	v_lshl_add_u64 v[24:25], v[4:5], 3, v[16:17]
	global_store_dwordx2 v[24:25], v[20:21], off
	s_or_b64 exec, exec, s[28:29]
	s_and_b64 s[34:35], s[8:9], s[18:19]
	s_and_saveexec_b64 s[28:29], s[34:35]
	s_cbranch_execz .LBB172_263
.LBB172_279:
	s_and_b64 vcc, exec, s[0:1]
	s_cbranch_vccnz .LBB172_281
; %bb.280:
	v_lshl_add_u64 v[20:21], v[6:7], 3, v[18:19]
	flat_load_dwordx2 v[20:21], v[20:21]
	s_waitcnt vmcnt(0) lgkmcnt(0)
	v_mul_f64 v[20:21], v[20:21], s[22:23]
	s_branch .LBB172_282
.LBB172_281:
	v_mov_b64_e32 v[20:21], 0
.LBB172_282:
	v_cvt_f32_f64_e32 v20, v[20:21]
	v_max_f32_e32 v21, v94, v94
	v_min_f32_e32 v20, v20, v21
	v_cvt_f64_f32_e32 v[20:21], v20
	v_lshl_add_u64 v[24:25], v[6:7], 3, v[16:17]
	global_store_dwordx2 v[24:25], v[20:21], off
	s_or_b64 exec, exec, s[28:29]
	s_and_b64 s[34:35], s[10:11], s[18:19]
	s_and_saveexec_b64 s[28:29], s[34:35]
	s_cbranch_execz .LBB172_264
.LBB172_283:
	s_and_b64 vcc, exec, s[0:1]
	s_cbranch_vccnz .LBB172_285
; %bb.284:
	v_lshl_add_u64 v[20:21], v[8:9], 3, v[18:19]
	flat_load_dwordx2 v[20:21], v[20:21]
	s_waitcnt vmcnt(0) lgkmcnt(0)
	v_mul_f64 v[20:21], v[20:21], s[22:23]
	s_branch .LBB172_286
.LBB172_285:
	v_mov_b64_e32 v[20:21], 0
.LBB172_286:
	v_cvt_f32_f64_e32 v20, v[20:21]
	v_max_f32_e32 v21, v93, v93
	v_min_f32_e32 v20, v20, v21
	v_cvt_f64_f32_e32 v[20:21], v20
	v_lshl_add_u64 v[24:25], v[8:9], 3, v[16:17]
	global_store_dwordx2 v[24:25], v[20:21], off
	s_or_b64 exec, exec, s[28:29]
	s_and_b64 s[34:35], s[12:13], s[18:19]
	s_and_saveexec_b64 s[28:29], s[34:35]
	s_cbranch_execz .LBB172_265
.LBB172_287:
	s_and_b64 vcc, exec, s[0:1]
	s_cbranch_vccnz .LBB172_289
; %bb.288:
	v_lshl_add_u64 v[20:21], v[10:11], 3, v[18:19]
	flat_load_dwordx2 v[20:21], v[20:21]
	s_waitcnt vmcnt(0) lgkmcnt(0)
	v_mul_f64 v[20:21], v[20:21], s[22:23]
	s_branch .LBB172_290
.LBB172_289:
	v_mov_b64_e32 v[20:21], 0
.LBB172_290:
	v_cvt_f32_f64_e32 v20, v[20:21]
	v_max_f32_e32 v21, v92, v92
	v_min_f32_e32 v20, v20, v21
	v_cvt_f64_f32_e32 v[20:21], v20
	v_lshl_add_u64 v[24:25], v[10:11], 3, v[16:17]
	global_store_dwordx2 v[24:25], v[20:21], off
	s_or_b64 exec, exec, s[28:29]
	s_and_b64 s[34:35], s[14:15], s[18:19]
	s_and_saveexec_b64 s[28:29], s[34:35]
	s_cbranch_execz .LBB172_266
.LBB172_291:
	s_and_b64 vcc, exec, s[0:1]
	s_cbranch_vccnz .LBB172_293
; %bb.292:
	v_lshl_add_u64 v[20:21], v[12:13], 3, v[18:19]
	flat_load_dwordx2 v[20:21], v[20:21]
	s_waitcnt vmcnt(0) lgkmcnt(0)
	v_mul_f64 v[20:21], v[20:21], s[22:23]
	s_branch .LBB172_294
.LBB172_293:
	v_mov_b64_e32 v[20:21], 0
.LBB172_294:
	v_cvt_f32_f64_e32 v20, v[20:21]
	v_max_f32_e32 v21, v91, v91
	v_min_f32_e32 v20, v20, v21
	v_cvt_f64_f32_e32 v[20:21], v20
	v_lshl_add_u64 v[24:25], v[12:13], 3, v[16:17]
	global_store_dwordx2 v[24:25], v[20:21], off
	s_or_b64 exec, exec, s[28:29]
	s_and_b64 s[28:29], s[16:17], s[18:19]
	s_and_saveexec_b64 s[18:19], s[28:29]
	s_cbranch_execz .LBB172_299
.LBB172_295:
	s_and_b64 vcc, exec, s[0:1]
	s_cbranch_vccnz .LBB172_297
; %bb.296:
	v_lshl_add_u64 v[18:19], v[14:15], 3, v[18:19]
	flat_load_dwordx2 v[18:19], v[18:19]
	s_waitcnt vmcnt(0) lgkmcnt(0)
	v_mul_f64 v[18:19], v[18:19], s[22:23]
	s_branch .LBB172_298
.LBB172_297:
	v_mov_b64_e32 v[18:19], 0
.LBB172_298:
	v_cvt_f32_f64_e32 v18, v[18:19]
	v_max_f32_e32 v19, v90, v90
	v_min_f32_e32 v18, v18, v19
	v_cvt_f64_f32_e32 v[18:19], v18
	v_lshl_add_u64 v[16:17], v[14:15], 3, v[16:17]
	global_store_dwordx2 v[16:17], v[18:19], off
.LBB172_299:
	s_or_b64 exec, exec, s[18:19]
	v_add_u32_e32 v20, 0xc0, v22
	v_mad_i64_i32 v[16:17], s[28:29], v20, s31, 0
	v_cmp_gt_i32_e64 s[18:19], s25, v20
	v_lshl_add_u64 v[18:19], v[16:17], 3, s[20:21]
	v_mad_i64_i32 v[16:17], s[28:29], v20, s30, 0
	v_lshl_add_u64 v[16:17], v[16:17], 3, s[26:27]
	s_and_b64 s[34:35], s[2:3], s[18:19]
	s_and_saveexec_b64 s[28:29], s[34:35]
	s_cbranch_execnz .LBB172_307
; %bb.300:
	s_or_b64 exec, exec, s[28:29]
	s_and_b64 s[34:35], s[4:5], s[18:19]
	s_and_saveexec_b64 s[28:29], s[34:35]
	s_cbranch_execnz .LBB172_311
.LBB172_301:
	s_or_b64 exec, exec, s[28:29]
	s_and_b64 s[34:35], s[6:7], s[18:19]
	s_and_saveexec_b64 s[28:29], s[34:35]
	s_cbranch_execnz .LBB172_315
.LBB172_302:
	s_or_b64 exec, exec, s[28:29]
	s_and_b64 s[34:35], s[8:9], s[18:19]
	s_and_saveexec_b64 s[28:29], s[34:35]
	s_cbranch_execnz .LBB172_319
.LBB172_303:
	s_or_b64 exec, exec, s[28:29]
	s_and_b64 s[34:35], s[10:11], s[18:19]
	s_and_saveexec_b64 s[28:29], s[34:35]
	s_cbranch_execnz .LBB172_323
.LBB172_304:
	s_or_b64 exec, exec, s[28:29]
	s_and_b64 s[34:35], s[12:13], s[18:19]
	s_and_saveexec_b64 s[28:29], s[34:35]
	s_cbranch_execnz .LBB172_327
.LBB172_305:
	s_or_b64 exec, exec, s[28:29]
	s_and_b64 s[34:35], s[14:15], s[18:19]
	s_and_saveexec_b64 s[28:29], s[34:35]
	s_cbranch_execnz .LBB172_331
.LBB172_306:
	s_or_b64 exec, exec, s[28:29]
	s_and_b64 s[28:29], s[16:17], s[18:19]
	s_and_saveexec_b64 s[18:19], s[28:29]
	s_cbranch_execnz .LBB172_335
	s_branch .LBB172_339
.LBB172_307:
	s_and_b64 vcc, exec, s[0:1]
	s_cbranch_vccnz .LBB172_309
; %bb.308:
	v_lshl_add_u64 v[20:21], v[0:1], 3, v[18:19]
	flat_load_dwordx2 v[20:21], v[20:21]
	s_waitcnt vmcnt(0) lgkmcnt(0)
	v_mul_f64 v[20:21], v[20:21], s[22:23]
	s_branch .LBB172_310
.LBB172_309:
	v_mov_b64_e32 v[20:21], 0
.LBB172_310:
	v_cvt_f32_f64_e32 v20, v[20:21]
	v_max_f32_e32 v21, v89, v89
	v_min_f32_e32 v20, v20, v21
	v_cvt_f64_f32_e32 v[20:21], v20
	v_lshl_add_u64 v[24:25], v[0:1], 3, v[16:17]
	global_store_dwordx2 v[24:25], v[20:21], off
	s_or_b64 exec, exec, s[28:29]
	s_and_b64 s[34:35], s[4:5], s[18:19]
	s_and_saveexec_b64 s[28:29], s[34:35]
	s_cbranch_execz .LBB172_301
.LBB172_311:
	s_and_b64 vcc, exec, s[0:1]
	s_cbranch_vccnz .LBB172_313
; %bb.312:
	v_lshl_add_u64 v[20:21], v[2:3], 3, v[18:19]
	flat_load_dwordx2 v[20:21], v[20:21]
	s_waitcnt vmcnt(0) lgkmcnt(0)
	v_mul_f64 v[20:21], v[20:21], s[22:23]
	s_branch .LBB172_314
.LBB172_313:
	v_mov_b64_e32 v[20:21], 0
.LBB172_314:
	v_cvt_f32_f64_e32 v20, v[20:21]
	v_max_f32_e32 v21, v88, v88
	v_min_f32_e32 v20, v20, v21
	v_cvt_f64_f32_e32 v[20:21], v20
	v_lshl_add_u64 v[24:25], v[2:3], 3, v[16:17]
	global_store_dwordx2 v[24:25], v[20:21], off
	s_or_b64 exec, exec, s[28:29]
	s_and_b64 s[34:35], s[6:7], s[18:19]
	s_and_saveexec_b64 s[28:29], s[34:35]
	s_cbranch_execz .LBB172_302
.LBB172_315:
	s_and_b64 vcc, exec, s[0:1]
	s_cbranch_vccnz .LBB172_317
; %bb.316:
	v_lshl_add_u64 v[20:21], v[4:5], 3, v[18:19]
	flat_load_dwordx2 v[20:21], v[20:21]
	s_waitcnt vmcnt(0) lgkmcnt(0)
	v_mul_f64 v[20:21], v[20:21], s[22:23]
	s_branch .LBB172_318
.LBB172_317:
	v_mov_b64_e32 v[20:21], 0
.LBB172_318:
	v_cvt_f32_f64_e32 v20, v[20:21]
	v_max_f32_e32 v21, v87, v87
	v_min_f32_e32 v20, v20, v21
	v_cvt_f64_f32_e32 v[20:21], v20
	v_lshl_add_u64 v[24:25], v[4:5], 3, v[16:17]
	global_store_dwordx2 v[24:25], v[20:21], off
	s_or_b64 exec, exec, s[28:29]
	s_and_b64 s[34:35], s[8:9], s[18:19]
	s_and_saveexec_b64 s[28:29], s[34:35]
	s_cbranch_execz .LBB172_303
.LBB172_319:
	s_and_b64 vcc, exec, s[0:1]
	s_cbranch_vccnz .LBB172_321
; %bb.320:
	v_lshl_add_u64 v[20:21], v[6:7], 3, v[18:19]
	flat_load_dwordx2 v[20:21], v[20:21]
	s_waitcnt vmcnt(0) lgkmcnt(0)
	v_mul_f64 v[20:21], v[20:21], s[22:23]
	s_branch .LBB172_322
.LBB172_321:
	v_mov_b64_e32 v[20:21], 0
.LBB172_322:
	v_cvt_f32_f64_e32 v20, v[20:21]
	v_max_f32_e32 v21, v86, v86
	v_min_f32_e32 v20, v20, v21
	v_cvt_f64_f32_e32 v[20:21], v20
	v_lshl_add_u64 v[24:25], v[6:7], 3, v[16:17]
	global_store_dwordx2 v[24:25], v[20:21], off
	s_or_b64 exec, exec, s[28:29]
	s_and_b64 s[34:35], s[10:11], s[18:19]
	s_and_saveexec_b64 s[28:29], s[34:35]
	s_cbranch_execz .LBB172_304
.LBB172_323:
	s_and_b64 vcc, exec, s[0:1]
	s_cbranch_vccnz .LBB172_325
; %bb.324:
	v_lshl_add_u64 v[20:21], v[8:9], 3, v[18:19]
	flat_load_dwordx2 v[20:21], v[20:21]
	s_waitcnt vmcnt(0) lgkmcnt(0)
	v_mul_f64 v[20:21], v[20:21], s[22:23]
	s_branch .LBB172_326
.LBB172_325:
	v_mov_b64_e32 v[20:21], 0
.LBB172_326:
	v_cvt_f32_f64_e32 v20, v[20:21]
	v_max_f32_e32 v21, v85, v85
	v_min_f32_e32 v20, v20, v21
	v_cvt_f64_f32_e32 v[20:21], v20
	v_lshl_add_u64 v[24:25], v[8:9], 3, v[16:17]
	global_store_dwordx2 v[24:25], v[20:21], off
	s_or_b64 exec, exec, s[28:29]
	s_and_b64 s[34:35], s[12:13], s[18:19]
	s_and_saveexec_b64 s[28:29], s[34:35]
	s_cbranch_execz .LBB172_305
.LBB172_327:
	s_and_b64 vcc, exec, s[0:1]
	s_cbranch_vccnz .LBB172_329
; %bb.328:
	v_lshl_add_u64 v[20:21], v[10:11], 3, v[18:19]
	flat_load_dwordx2 v[20:21], v[20:21]
	s_waitcnt vmcnt(0) lgkmcnt(0)
	v_mul_f64 v[20:21], v[20:21], s[22:23]
	s_branch .LBB172_330
.LBB172_329:
	v_mov_b64_e32 v[20:21], 0
.LBB172_330:
	v_cvt_f32_f64_e32 v20, v[20:21]
	v_max_f32_e32 v21, v84, v84
	v_min_f32_e32 v20, v20, v21
	v_cvt_f64_f32_e32 v[20:21], v20
	v_lshl_add_u64 v[24:25], v[10:11], 3, v[16:17]
	global_store_dwordx2 v[24:25], v[20:21], off
	s_or_b64 exec, exec, s[28:29]
	s_and_b64 s[34:35], s[14:15], s[18:19]
	s_and_saveexec_b64 s[28:29], s[34:35]
	s_cbranch_execz .LBB172_306
.LBB172_331:
	s_and_b64 vcc, exec, s[0:1]
	s_cbranch_vccnz .LBB172_333
; %bb.332:
	v_lshl_add_u64 v[20:21], v[12:13], 3, v[18:19]
	flat_load_dwordx2 v[20:21], v[20:21]
	s_waitcnt vmcnt(0) lgkmcnt(0)
	v_mul_f64 v[20:21], v[20:21], s[22:23]
	s_branch .LBB172_334
.LBB172_333:
	v_mov_b64_e32 v[20:21], 0
.LBB172_334:
	v_cvt_f32_f64_e32 v20, v[20:21]
	v_max_f32_e32 v21, v83, v83
	v_min_f32_e32 v20, v20, v21
	v_cvt_f64_f32_e32 v[20:21], v20
	v_lshl_add_u64 v[24:25], v[12:13], 3, v[16:17]
	global_store_dwordx2 v[24:25], v[20:21], off
	s_or_b64 exec, exec, s[28:29]
	s_and_b64 s[28:29], s[16:17], s[18:19]
	s_and_saveexec_b64 s[18:19], s[28:29]
	s_cbranch_execz .LBB172_339
.LBB172_335:
	s_and_b64 vcc, exec, s[0:1]
	s_cbranch_vccnz .LBB172_337
; %bb.336:
	v_lshl_add_u64 v[18:19], v[14:15], 3, v[18:19]
	flat_load_dwordx2 v[18:19], v[18:19]
	s_waitcnt vmcnt(0) lgkmcnt(0)
	v_mul_f64 v[18:19], v[18:19], s[22:23]
	s_branch .LBB172_338
.LBB172_337:
	v_mov_b64_e32 v[18:19], 0
.LBB172_338:
	v_cvt_f32_f64_e32 v18, v[18:19]
	v_max_f32_e32 v19, v82, v82
	v_min_f32_e32 v18, v18, v19
	v_cvt_f64_f32_e32 v[18:19], v18
	v_lshl_add_u64 v[16:17], v[14:15], 3, v[16:17]
	global_store_dwordx2 v[16:17], v[18:19], off
.LBB172_339:
	s_or_b64 exec, exec, s[18:19]
	v_add_u32_e32 v20, 0xe0, v22
	v_cmp_gt_i32_e64 s[18:19], s25, v20
	v_mad_i64_i32 v[16:17], s[24:25], v20, s31, 0
	v_lshl_add_u64 v[18:19], v[16:17], 3, s[20:21]
	v_mad_i64_i32 v[16:17], s[20:21], v20, s30, 0
	v_lshl_add_u64 v[16:17], v[16:17], 3, s[26:27]
	s_and_b64 s[20:21], s[2:3], s[18:19]
	s_and_saveexec_b64 s[2:3], s[20:21]
	s_cbranch_execnz .LBB172_348
; %bb.340:
	s_or_b64 exec, exec, s[2:3]
	s_and_b64 s[4:5], s[4:5], s[18:19]
	s_and_saveexec_b64 s[2:3], s[4:5]
	s_cbranch_execnz .LBB172_352
.LBB172_341:
	s_or_b64 exec, exec, s[2:3]
	s_and_b64 s[4:5], s[6:7], s[18:19]
	s_and_saveexec_b64 s[2:3], s[4:5]
	s_cbranch_execnz .LBB172_356
.LBB172_342:
	s_or_b64 exec, exec, s[2:3]
	s_and_b64 s[4:5], s[8:9], s[18:19]
	s_and_saveexec_b64 s[2:3], s[4:5]
	s_cbranch_execnz .LBB172_360
.LBB172_343:
	s_or_b64 exec, exec, s[2:3]
	s_and_b64 s[4:5], s[10:11], s[18:19]
	s_and_saveexec_b64 s[2:3], s[4:5]
	s_cbranch_execnz .LBB172_364
.LBB172_344:
	s_or_b64 exec, exec, s[2:3]
	s_and_b64 s[4:5], s[12:13], s[18:19]
	s_and_saveexec_b64 s[2:3], s[4:5]
	s_cbranch_execnz .LBB172_368
.LBB172_345:
	s_or_b64 exec, exec, s[2:3]
	s_and_b64 s[4:5], s[14:15], s[18:19]
	s_and_saveexec_b64 s[2:3], s[4:5]
	s_cbranch_execnz .LBB172_372
.LBB172_346:
	s_or_b64 exec, exec, s[2:3]
	s_and_b64 s[2:3], s[16:17], s[18:19]
	s_and_saveexec_b64 s[4:5], s[2:3]
	s_cbranch_execnz .LBB172_376
.LBB172_347:
	s_endpgm
.LBB172_348:
	s_and_b64 vcc, exec, s[0:1]
	s_cbranch_vccnz .LBB172_350
; %bb.349:
	v_lshl_add_u64 v[20:21], v[0:1], 3, v[18:19]
	flat_load_dwordx2 v[20:21], v[20:21]
	s_waitcnt vmcnt(0) lgkmcnt(0)
	v_mul_f64 v[20:21], v[20:21], s[22:23]
	v_cvt_f32_f64_e32 v20, v[20:21]
	s_branch .LBB172_351
.LBB172_350:
	v_mov_b32_e32 v20, 0
.LBB172_351:
	v_max_f32_e32 v21, v81, v81
	v_max_f32_e32 v20, v20, v20
	v_min_f32_e32 v20, v20, v21
	v_cvt_f64_f32_e32 v[20:21], v20
	v_lshl_add_u64 v[0:1], v[0:1], 3, v[16:17]
	global_store_dwordx2 v[0:1], v[20:21], off
	s_or_b64 exec, exec, s[2:3]
	s_and_b64 s[4:5], s[4:5], s[18:19]
	s_and_saveexec_b64 s[2:3], s[4:5]
	s_cbranch_execz .LBB172_341
.LBB172_352:
	s_and_b64 vcc, exec, s[0:1]
	s_cbranch_vccnz .LBB172_354
; %bb.353:
	v_lshl_add_u64 v[0:1], v[2:3], 3, v[18:19]
	flat_load_dwordx2 v[0:1], v[0:1]
	s_waitcnt vmcnt(0) lgkmcnt(0)
	v_mul_f64 v[0:1], v[0:1], s[22:23]
	v_cvt_f32_f64_e32 v0, v[0:1]
	s_branch .LBB172_355
.LBB172_354:
	v_mov_b32_e32 v0, 0
.LBB172_355:
	v_max_f32_e32 v1, v80, v80
	v_max_f32_e32 v0, v0, v0
	v_min_f32_e32 v0, v0, v1
	v_cvt_f64_f32_e32 v[0:1], v0
	v_lshl_add_u64 v[2:3], v[2:3], 3, v[16:17]
	global_store_dwordx2 v[2:3], v[0:1], off
	s_or_b64 exec, exec, s[2:3]
	s_and_b64 s[4:5], s[6:7], s[18:19]
	s_and_saveexec_b64 s[2:3], s[4:5]
	s_cbranch_execz .LBB172_342
.LBB172_356:
	s_and_b64 vcc, exec, s[0:1]
	s_cbranch_vccnz .LBB172_358
; %bb.357:
	v_lshl_add_u64 v[0:1], v[4:5], 3, v[18:19]
	flat_load_dwordx2 v[0:1], v[0:1]
	s_waitcnt vmcnt(0) lgkmcnt(0)
	v_mul_f64 v[0:1], v[0:1], s[22:23]
	v_cvt_f32_f64_e32 v0, v[0:1]
	s_branch .LBB172_359
.LBB172_358:
	v_mov_b32_e32 v0, 0
.LBB172_359:
	v_max_f32_e32 v1, v79, v79
	v_max_f32_e32 v0, v0, v0
	v_min_f32_e32 v0, v0, v1
	v_cvt_f64_f32_e32 v[0:1], v0
	v_lshl_add_u64 v[2:3], v[4:5], 3, v[16:17]
	global_store_dwordx2 v[2:3], v[0:1], off
	s_or_b64 exec, exec, s[2:3]
	s_and_b64 s[4:5], s[8:9], s[18:19]
	s_and_saveexec_b64 s[2:3], s[4:5]
	s_cbranch_execz .LBB172_343
.LBB172_360:
	s_and_b64 vcc, exec, s[0:1]
	s_cbranch_vccnz .LBB172_362
; %bb.361:
	v_lshl_add_u64 v[0:1], v[6:7], 3, v[18:19]
	flat_load_dwordx2 v[0:1], v[0:1]
	s_waitcnt vmcnt(0) lgkmcnt(0)
	v_mul_f64 v[0:1], v[0:1], s[22:23]
	v_cvt_f32_f64_e32 v0, v[0:1]
	s_branch .LBB172_363
.LBB172_362:
	v_mov_b32_e32 v0, 0
.LBB172_363:
	v_max_f32_e32 v1, v78, v78
	v_max_f32_e32 v0, v0, v0
	v_min_f32_e32 v0, v0, v1
	v_cvt_f64_f32_e32 v[0:1], v0
	v_lshl_add_u64 v[2:3], v[6:7], 3, v[16:17]
	global_store_dwordx2 v[2:3], v[0:1], off
	s_or_b64 exec, exec, s[2:3]
	s_and_b64 s[4:5], s[10:11], s[18:19]
	s_and_saveexec_b64 s[2:3], s[4:5]
	s_cbranch_execz .LBB172_344
.LBB172_364:
	s_and_b64 vcc, exec, s[0:1]
	s_cbranch_vccnz .LBB172_366
; %bb.365:
	v_lshl_add_u64 v[0:1], v[8:9], 3, v[18:19]
	flat_load_dwordx2 v[0:1], v[0:1]
	s_waitcnt vmcnt(0) lgkmcnt(0)
	v_mul_f64 v[0:1], v[0:1], s[22:23]
	v_cvt_f32_f64_e32 v0, v[0:1]
	s_branch .LBB172_367
.LBB172_366:
	v_mov_b32_e32 v0, 0
.LBB172_367:
	v_max_f32_e32 v1, v77, v77
	v_max_f32_e32 v0, v0, v0
	v_min_f32_e32 v0, v0, v1
	v_cvt_f64_f32_e32 v[0:1], v0
	v_lshl_add_u64 v[2:3], v[8:9], 3, v[16:17]
	global_store_dwordx2 v[2:3], v[0:1], off
	s_or_b64 exec, exec, s[2:3]
	s_and_b64 s[4:5], s[12:13], s[18:19]
	s_and_saveexec_b64 s[2:3], s[4:5]
	s_cbranch_execz .LBB172_345
.LBB172_368:
	s_and_b64 vcc, exec, s[0:1]
	s_cbranch_vccnz .LBB172_370
; %bb.369:
	v_lshl_add_u64 v[0:1], v[10:11], 3, v[18:19]
	flat_load_dwordx2 v[0:1], v[0:1]
	s_waitcnt vmcnt(0) lgkmcnt(0)
	v_mul_f64 v[0:1], v[0:1], s[22:23]
	v_cvt_f32_f64_e32 v0, v[0:1]
	s_branch .LBB172_371
.LBB172_370:
	v_mov_b32_e32 v0, 0
.LBB172_371:
	v_max_f32_e32 v1, v76, v76
	v_max_f32_e32 v0, v0, v0
	v_min_f32_e32 v0, v0, v1
	v_cvt_f64_f32_e32 v[0:1], v0
	v_lshl_add_u64 v[2:3], v[10:11], 3, v[16:17]
	global_store_dwordx2 v[2:3], v[0:1], off
	s_or_b64 exec, exec, s[2:3]
	s_and_b64 s[4:5], s[14:15], s[18:19]
	s_and_saveexec_b64 s[2:3], s[4:5]
	s_cbranch_execz .LBB172_346
.LBB172_372:
	s_and_b64 vcc, exec, s[0:1]
	s_cbranch_vccnz .LBB172_374
; %bb.373:
	v_lshl_add_u64 v[0:1], v[12:13], 3, v[18:19]
	flat_load_dwordx2 v[0:1], v[0:1]
	s_waitcnt vmcnt(0) lgkmcnt(0)
	v_mul_f64 v[0:1], v[0:1], s[22:23]
	v_cvt_f32_f64_e32 v0, v[0:1]
	s_branch .LBB172_375
.LBB172_374:
	v_mov_b32_e32 v0, 0
.LBB172_375:
	v_max_f32_e32 v1, v75, v75
	v_max_f32_e32 v0, v0, v0
	v_min_f32_e32 v0, v0, v1
	v_cvt_f64_f32_e32 v[0:1], v0
	v_lshl_add_u64 v[2:3], v[12:13], 3, v[16:17]
	global_store_dwordx2 v[2:3], v[0:1], off
	s_or_b64 exec, exec, s[2:3]
	s_and_b64 s[2:3], s[16:17], s[18:19]
	s_and_saveexec_b64 s[4:5], s[2:3]
	s_cbranch_execz .LBB172_347
.LBB172_376:
	s_and_b64 vcc, exec, s[0:1]
	s_cbranch_vccnz .LBB172_378
; %bb.377:
	v_lshl_add_u64 v[0:1], v[14:15], 3, v[18:19]
	flat_load_dwordx2 v[0:1], v[0:1]
	s_waitcnt vmcnt(0) lgkmcnt(0)
	v_mul_f64 v[0:1], v[0:1], s[22:23]
	v_cvt_f32_f64_e32 v0, v[0:1]
	s_branch .LBB172_379
.LBB172_378:
	v_mov_b32_e32 v0, 0
.LBB172_379:
	v_max_f32_e32 v1, v74, v74
	v_max_f32_e32 v0, v0, v0
	v_min_f32_e32 v0, v0, v1
	v_cvt_f64_f32_e32 v[0:1], v0
	v_lshl_add_u64 v[2:3], v[14:15], 3, v[16:17]
	global_store_dwordx2 v[2:3], v[0:1], off
	s_endpgm
	.section	.rodata,"a",@progbits
	.p2align	6, 0x0
	.amdhsa_kernel _ZN12_GLOBAL__N_120geam_min_plus_kernelId15HIP_vector_typeIdLj2EEdLi8ELi32ELi64ELi256ELi4ELi64ELi4ELi64ELi4ELc78ELc84ELb1ELb1ELb1EdKddEEviiiT16_PT17_ilS6_ilS4_S6_ilPT18_ili26rocblas_geam_ex_operation_
		.amdhsa_group_segment_fixed_size 20480
		.amdhsa_private_segment_fixed_size 0
		.amdhsa_kernarg_size 136
		.amdhsa_user_sgpr_count 2
		.amdhsa_user_sgpr_dispatch_ptr 0
		.amdhsa_user_sgpr_queue_ptr 0
		.amdhsa_user_sgpr_kernarg_segment_ptr 1
		.amdhsa_user_sgpr_dispatch_id 0
		.amdhsa_user_sgpr_kernarg_preload_length 0
		.amdhsa_user_sgpr_kernarg_preload_offset 0
		.amdhsa_user_sgpr_private_segment_size 0
		.amdhsa_uses_dynamic_stack 0
		.amdhsa_enable_private_segment 0
		.amdhsa_system_sgpr_workgroup_id_x 1
		.amdhsa_system_sgpr_workgroup_id_y 0
		.amdhsa_system_sgpr_workgroup_id_z 1
		.amdhsa_system_sgpr_workgroup_info 0
		.amdhsa_system_vgpr_workitem_id 1
		.amdhsa_next_free_vgpr 154
		.amdhsa_next_free_sgpr 44
		.amdhsa_accum_offset 156
		.amdhsa_reserve_vcc 1
		.amdhsa_float_round_mode_32 0
		.amdhsa_float_round_mode_16_64 0
		.amdhsa_float_denorm_mode_32 3
		.amdhsa_float_denorm_mode_16_64 3
		.amdhsa_dx10_clamp 1
		.amdhsa_ieee_mode 1
		.amdhsa_fp16_overflow 0
		.amdhsa_tg_split 0
		.amdhsa_exception_fp_ieee_invalid_op 0
		.amdhsa_exception_fp_denorm_src 0
		.amdhsa_exception_fp_ieee_div_zero 0
		.amdhsa_exception_fp_ieee_overflow 0
		.amdhsa_exception_fp_ieee_underflow 0
		.amdhsa_exception_fp_ieee_inexact 0
		.amdhsa_exception_int_div_zero 0
	.end_amdhsa_kernel
	.section	.text._ZN12_GLOBAL__N_120geam_min_plus_kernelId15HIP_vector_typeIdLj2EEdLi8ELi32ELi64ELi256ELi4ELi64ELi4ELi64ELi4ELc78ELc84ELb1ELb1ELb1EdKddEEviiiT16_PT17_ilS6_ilS4_S6_ilPT18_ili26rocblas_geam_ex_operation_,"axG",@progbits,_ZN12_GLOBAL__N_120geam_min_plus_kernelId15HIP_vector_typeIdLj2EEdLi8ELi32ELi64ELi256ELi4ELi64ELi4ELi64ELi4ELc78ELc84ELb1ELb1ELb1EdKddEEviiiT16_PT17_ilS6_ilS4_S6_ilPT18_ili26rocblas_geam_ex_operation_,comdat
.Lfunc_end172:
	.size	_ZN12_GLOBAL__N_120geam_min_plus_kernelId15HIP_vector_typeIdLj2EEdLi8ELi32ELi64ELi256ELi4ELi64ELi4ELi64ELi4ELc78ELc84ELb1ELb1ELb1EdKddEEviiiT16_PT17_ilS6_ilS4_S6_ilPT18_ili26rocblas_geam_ex_operation_, .Lfunc_end172-_ZN12_GLOBAL__N_120geam_min_plus_kernelId15HIP_vector_typeIdLj2EEdLi8ELi32ELi64ELi256ELi4ELi64ELi4ELi64ELi4ELc78ELc84ELb1ELb1ELb1EdKddEEviiiT16_PT17_ilS6_ilS4_S6_ilPT18_ili26rocblas_geam_ex_operation_
                                        ; -- End function
	.section	.AMDGPU.csdata,"",@progbits
; Kernel info:
; codeLenInByte = 18572
; NumSgprs: 50
; NumVgprs: 154
; NumAgprs: 0
; TotalNumVgprs: 154
; ScratchSize: 0
; MemoryBound: 0
; FloatMode: 240
; IeeeMode: 1
; LDSByteSize: 20480 bytes/workgroup (compile time only)
; SGPRBlocks: 6
; VGPRBlocks: 19
; NumSGPRsForWavesPerEU: 50
; NumVGPRsForWavesPerEU: 154
; AccumOffset: 156
; Occupancy: 3
; WaveLimiterHint : 0
; COMPUTE_PGM_RSRC2:SCRATCH_EN: 0
; COMPUTE_PGM_RSRC2:USER_SGPR: 2
; COMPUTE_PGM_RSRC2:TRAP_HANDLER: 0
; COMPUTE_PGM_RSRC2:TGID_X_EN: 1
; COMPUTE_PGM_RSRC2:TGID_Y_EN: 0
; COMPUTE_PGM_RSRC2:TGID_Z_EN: 1
; COMPUTE_PGM_RSRC2:TIDIG_COMP_CNT: 1
; COMPUTE_PGM_RSRC3_GFX90A:ACCUM_OFFSET: 38
; COMPUTE_PGM_RSRC3_GFX90A:TG_SPLIT: 0
	.section	.text._ZN12_GLOBAL__N_120geam_min_plus_kernelId15HIP_vector_typeIdLj2EEdLi8ELi32ELi64ELi256ELi4ELi64ELi4ELi64ELi4ELc78ELc84ELb0ELb1ELb1EdKddEEviiiT16_PT17_ilS6_ilS4_S6_ilPT18_ili26rocblas_geam_ex_operation_,"axG",@progbits,_ZN12_GLOBAL__N_120geam_min_plus_kernelId15HIP_vector_typeIdLj2EEdLi8ELi32ELi64ELi256ELi4ELi64ELi4ELi64ELi4ELc78ELc84ELb0ELb1ELb1EdKddEEviiiT16_PT17_ilS6_ilS4_S6_ilPT18_ili26rocblas_geam_ex_operation_,comdat
	.globl	_ZN12_GLOBAL__N_120geam_min_plus_kernelId15HIP_vector_typeIdLj2EEdLi8ELi32ELi64ELi256ELi4ELi64ELi4ELi64ELi4ELc78ELc84ELb0ELb1ELb1EdKddEEviiiT16_PT17_ilS6_ilS4_S6_ilPT18_ili26rocblas_geam_ex_operation_ ; -- Begin function _ZN12_GLOBAL__N_120geam_min_plus_kernelId15HIP_vector_typeIdLj2EEdLi8ELi32ELi64ELi256ELi4ELi64ELi4ELi64ELi4ELc78ELc84ELb0ELb1ELb1EdKddEEviiiT16_PT17_ilS6_ilS4_S6_ilPT18_ili26rocblas_geam_ex_operation_
	.p2align	8
	.type	_ZN12_GLOBAL__N_120geam_min_plus_kernelId15HIP_vector_typeIdLj2EEdLi8ELi32ELi64ELi256ELi4ELi64ELi4ELi64ELi4ELc78ELc84ELb0ELb1ELb1EdKddEEviiiT16_PT17_ilS6_ilS4_S6_ilPT18_ili26rocblas_geam_ex_operation_,@function
_ZN12_GLOBAL__N_120geam_min_plus_kernelId15HIP_vector_typeIdLj2EEdLi8ELi32ELi64ELi256ELi4ELi64ELi4ELi64ELi4ELc78ELc84ELb0ELb1ELb1EdKddEEviiiT16_PT17_ilS6_ilS4_S6_ilPT18_ili26rocblas_geam_ex_operation_: ; @_ZN12_GLOBAL__N_120geam_min_plus_kernelId15HIP_vector_typeIdLj2EEdLi8ELi32ELi64ELi256ELi4ELi64ELi4ELi64ELi4ELc78ELc84ELb0ELb1ELb1EdKddEEviiiT16_PT17_ilS6_ilS4_S6_ilPT18_ili26rocblas_geam_ex_operation_
; %bb.0:
	s_load_dwordx4 s[28:31], s[0:1], 0x10
	s_load_dwordx4 s[4:7], s[0:1], 0x28
	s_mov_b64 s[40:41], 0
	s_waitcnt lgkmcnt(0)
	v_cmp_eq_f64_e64 s[36:37], s[28:29], 0
	v_cmp_neq_f64_e64 s[8:9], s[28:29], 0
	s_and_b64 vcc, exec, s[36:37]
	s_cbranch_vccnz .LBB173_2
; %bb.1:
	s_mul_i32 s5, s3, s5
	s_mul_hi_u32 s10, s3, s4
	s_add_i32 s5, s10, s5
	s_mul_i32 s4, s3, s4
	s_lshl_b64 s[4:5], s[4:5], 3
	s_add_u32 s40, s30, s4
	s_addc_u32 s41, s31, s5
.LBB173_2:
	s_load_dwordx4 s[20:23], s[0:1], 0x40
	s_load_dwordx2 s[4:5], s[0:1], 0x50
	s_and_b64 vcc, exec, s[8:9]
	s_cbranch_vccz .LBB173_4
; %bb.3:
	s_waitcnt lgkmcnt(0)
	s_mul_i32 s8, s3, s21
	s_mul_hi_u32 s9, s3, s20
	s_add_i32 s9, s9, s8
	s_mul_i32 s8, s3, s20
	s_lshl_b64 s[8:9], s[8:9], 3
	s_add_u32 s38, s6, s8
	s_mov_b32 s31, 0
	s_addc_u32 s39, s7, s9
	s_cbranch_execz .LBB173_5
	s_branch .LBB173_6
.LBB173_4:
                                        ; implicit-def: $sgpr38_sgpr39
                                        ; implicit-def: $sgpr30_sgpr31
.LBB173_5:
	s_mov_b32 s31, 0
	s_mov_b64 s[38:39], 0
.LBB173_6:
	s_load_dwordx4 s[16:19], s[0:1], 0x60
	s_waitcnt lgkmcnt(0)
	v_cmp_eq_f64_e64 s[6:7], s[22:23], 0
	s_mov_b64 s[20:21], 0
	v_cmp_neq_f64_e64 s[34:35], s[22:23], 0
	s_and_b64 vcc, exec, s[6:7]
	s_cbranch_vccnz .LBB173_8
; %bb.7:
	s_mul_i32 s6, s3, s17
	s_mul_hi_u32 s7, s3, s16
	s_add_i32 s6, s7, s6
	s_mul_i32 s7, s31, s16
	s_add_i32 s7, s6, s7
	s_mul_i32 s6, s3, s16
	s_lshl_b64 s[6:7], s[6:7], 3
	s_add_u32 s20, s4, s6
	s_addc_u32 s21, s5, s7
.LBB173_8:
	s_load_dwordx4 s[24:27], s[0:1], 0x0
	v_and_b32_e32 v126, 0x3ff, v0
	v_bfe_u32 v127, v0, 10, 10
	s_waitcnt lgkmcnt(0)
	s_load_dword s27, s[0:1], 0x20
	s_add_i32 s4, s24, -1
	s_ashr_i32 s5, s4, 31
	s_lshr_b32 s5, s5, 26
	s_add_i32 s5, s4, s5
	s_ashr_i32 s5, s5, 6
	s_add_i32 s6, s5, 1
	v_cvt_f32_u32_e32 v1, s6
	s_not_b32 s5, s5
	s_waitcnt lgkmcnt(0)
	s_ashr_i32 s33, s27, 31
	v_rcp_iflag_f32_e32 v0, v1
	v_lshl_add_u32 v1, v127, 3, v126
	v_and_b32_e32 v143, 63, v1
	v_lshrrev_b32_e32 v140, 6, v1
	v_mul_f32_e32 v0, 0x4f7ffffe, v0
	v_cvt_u32_f32_e32 v0, v0
	v_cmp_le_i32_e32 vcc, s26, v140
	v_readfirstlane_b32 s7, v0
	s_mul_i32 s5, s5, s7
	s_mul_hi_u32 s5, s7, s5
	s_add_i32 s7, s7, s5
	s_mul_hi_u32 s5, s2, s7
	s_mul_i32 s7, s5, s6
	s_sub_i32 s7, s2, s7
	s_add_i32 s8, s5, 1
	s_sub_i32 s9, s7, s6
	s_cmp_ge_u32 s7, s6
	s_cselect_b32 s5, s8, s5
	s_cselect_b32 s7, s9, s7
	s_add_i32 s8, s5, 1
	s_cmp_ge_u32 s7, s6
	s_cselect_b32 s8, s8, s5
	s_mul_i32 s5, s8, s6
	s_sub_i32 s2, s2, s5
	s_lshl_b32 s2, s2, 6
	v_or_b32_e32 v0, s2, v143
	v_cmp_le_i32_e64 s[14:15], s24, v0
	s_add_i32 s42, s26, -1
	v_min_i32_e32 v62, s4, v0
	s_or_b64 s[4:5], s[14:15], vcc
	v_min_i32_e32 v2, s42, v140
	s_or_b64 s[6:7], s[36:37], s[4:5]
	s_xor_b64 s[6:7], s[6:7], -1
	v_ashrrev_i32_e32 v3, 31, v2
	v_ashrrev_i32_e32 v63, 31, v62
                                        ; implicit-def: $vgpr0_vgpr1
	s_and_saveexec_b64 s[10:11], s[6:7]
	s_xor_b64 s[6:7], exec, s[10:11]
	s_cbranch_execz .LBB173_10
; %bb.9:
	v_mad_i64_i32 v[0:1], s[10:11], s27, v2, 0
	v_lshl_add_u64 v[0:1], v[0:1], 3, s[40:41]
	v_lshl_add_u64 v[0:1], v[62:63], 3, v[0:1]
	flat_load_dwordx2 v[0:1], v[0:1]
	s_waitcnt vmcnt(0) lgkmcnt(0)
	v_mul_f64 v[0:1], v[0:1], s[28:29]
.LBB173_10:
	s_andn2_saveexec_b64 s[6:7], s[6:7]
; %bb.11:
	v_mov_b32_e32 v0, 0x7fefffff
	v_cndmask_b32_e64 v1, 0, v0, s[4:5]
	v_cndmask_b32_e64 v0, 0, -1, s[4:5]
; %bb.12:
	s_or_b64 exec, exec, s[6:7]
	s_load_dword s43, s[0:1], 0x38
	s_lshl_b32 s30, s8, 8
	v_or_b32_e32 v60, s30, v143
	v_ashrrev_i32_e32 v61, 31, v60
	s_waitcnt lgkmcnt(0)
	s_ashr_i32 s44, s43, 31
	v_mul_lo_u32 v4, v3, s43
	v_mul_lo_u32 v5, v2, s44
	v_mad_u64_u32 v[2:3], s[4:5], v2, s43, 0
	v_cmp_le_i32_e64 s[4:5], s25, v60
	s_or_b64 s[6:7], s[4:5], vcc
	v_add3_u32 v3, v3, v5, v4
	v_mov_b32_e32 v4, 0x7fefffff
	s_or_b64 s[8:9], s[36:37], s[6:7]
	v_lshl_add_u64 v[10:11], v[2:3], 3, s[38:39]
	v_cndmask_b32_e64 v3, 0, v4, s[6:7]
	s_xor_b64 s[8:9], s[8:9], -1
	v_cndmask_b32_e64 v2, 0, -1, s[6:7]
	s_and_saveexec_b64 s[6:7], s[8:9]
	s_cbranch_execz .LBB173_14
; %bb.13:
	v_lshl_add_u64 v[2:3], v[60:61], 3, v[10:11]
	flat_load_dwordx2 v[2:3], v[2:3]
	s_waitcnt vmcnt(0) lgkmcnt(0)
	v_mul_f64 v[2:3], v[2:3], s[28:29]
.LBB173_14:
	s_or_b64 exec, exec, s[6:7]
	v_or_b32_e32 v5, 64, v60
	v_cmp_le_i32_e64 s[6:7], s25, v5
	s_or_b64 s[8:9], s[6:7], vcc
	s_or_b64 s[10:11], s[36:37], s[8:9]
	v_cndmask_b32_e64 v5, 0, v4, s[8:9]
	s_xor_b64 s[10:11], s[10:11], -1
	v_cndmask_b32_e64 v4, 0, -1, s[8:9]
	s_and_saveexec_b64 s[8:9], s[10:11]
	s_cbranch_execz .LBB173_16
; %bb.15:
	v_lshl_add_u64 v[4:5], v[60:61], 3, v[10:11]
	flat_load_dwordx2 v[4:5], v[4:5] offset:512
	s_waitcnt vmcnt(0) lgkmcnt(0)
	v_mul_f64 v[4:5], v[4:5], s[28:29]
.LBB173_16:
	s_or_b64 exec, exec, s[8:9]
	v_or_b32_e32 v6, 0x80, v60
	v_cmp_le_i32_e64 s[8:9], s25, v6
	s_or_b64 s[10:11], s[8:9], vcc
	v_mov_b32_e32 v8, 0x7fefffff
	s_or_b64 s[12:13], s[36:37], s[10:11]
	v_cndmask_b32_e64 v7, 0, v8, s[10:11]
	s_xor_b64 s[12:13], s[12:13], -1
	v_cndmask_b32_e64 v6, 0, -1, s[10:11]
	s_and_saveexec_b64 s[10:11], s[12:13]
	s_cbranch_execz .LBB173_18
; %bb.17:
	v_lshl_add_u64 v[6:7], v[60:61], 3, v[10:11]
	flat_load_dwordx2 v[6:7], v[6:7] offset:1024
	s_waitcnt vmcnt(0) lgkmcnt(0)
	v_mul_f64 v[6:7], v[6:7], s[28:29]
.LBB173_18:
	s_or_b64 exec, exec, s[10:11]
	v_or_b32_e32 v9, 0xc0, v60
	v_cmp_le_i32_e64 s[10:11], s25, v9
	s_or_b64 vcc, s[10:11], vcc
	s_or_b64 s[12:13], s[36:37], vcc
	v_cndmask_b32_e32 v9, 0, v8, vcc
	s_xor_b64 s[16:17], s[12:13], -1
	v_cndmask_b32_e64 v8, 0, -1, vcc
	s_and_saveexec_b64 s[12:13], s[16:17]
	s_cbranch_execz .LBB173_20
; %bb.19:
	v_lshl_add_u64 v[8:9], v[60:61], 3, v[10:11]
	flat_load_dwordx2 v[8:9], v[8:9] offset:1536
	s_waitcnt vmcnt(0) lgkmcnt(0)
	v_mul_f64 v[8:9], v[8:9], s[28:29]
.LBB173_20:
	s_or_b64 exec, exec, s[12:13]
	v_add_u32_e32 v10, 4, v140
	v_cmp_le_i32_e32 vcc, s26, v10
	s_or_b64 s[12:13], s[14:15], vcc
	v_min_i32_e32 v10, s42, v10
	s_or_b64 s[16:17], s[36:37], s[12:13]
	s_xor_b64 s[16:17], s[16:17], -1
	v_ashrrev_i32_e32 v11, 31, v10
                                        ; implicit-def: $vgpr64_vgpr65
	s_and_saveexec_b64 s[46:47], s[16:17]
	s_xor_b64 s[16:17], exec, s[46:47]
	s_cbranch_execz .LBB173_22
; %bb.21:
	v_mad_i64_i32 v[12:13], s[46:47], s27, v10, 0
	v_lshl_add_u64 v[12:13], v[12:13], 3, s[40:41]
	v_lshl_add_u64 v[12:13], v[62:63], 3, v[12:13]
	flat_load_dwordx2 v[12:13], v[12:13]
	s_waitcnt vmcnt(0) lgkmcnt(0)
	v_mul_f64 v[64:65], v[12:13], s[28:29]
.LBB173_22:
	s_andn2_saveexec_b64 s[16:17], s[16:17]
; %bb.23:
	v_mov_b32_e32 v12, 0x7fefffff
	v_cndmask_b32_e64 v65, 0, v12, s[12:13]
	v_cndmask_b32_e64 v64, 0, -1, s[12:13]
; %bb.24:
	s_or_b64 exec, exec, s[16:17]
	v_mul_lo_u32 v12, v11, s43
	v_mul_lo_u32 v13, v10, s44
	v_mad_u64_u32 v[10:11], s[12:13], v10, s43, 0
	s_or_b64 s[12:13], s[4:5], vcc
	v_add3_u32 v11, v11, v13, v12
	v_mov_b32_e32 v12, 0x7fefffff
	s_or_b64 s[16:17], s[36:37], s[12:13]
	v_lshl_add_u64 v[10:11], v[10:11], 3, s[38:39]
	v_cndmask_b32_e64 v67, 0, v12, s[12:13]
	s_xor_b64 s[16:17], s[16:17], -1
	v_cndmask_b32_e64 v66, 0, -1, s[12:13]
	s_and_saveexec_b64 s[12:13], s[16:17]
	s_cbranch_execz .LBB173_26
; %bb.25:
	v_lshl_add_u64 v[14:15], v[60:61], 3, v[10:11]
	flat_load_dwordx2 v[14:15], v[14:15]
	s_waitcnt vmcnt(0) lgkmcnt(0)
	v_mul_f64 v[66:67], v[14:15], s[28:29]
.LBB173_26:
	s_or_b64 exec, exec, s[12:13]
	s_or_b64 s[12:13], s[6:7], vcc
	s_or_b64 s[16:17], s[36:37], s[12:13]
	v_cndmask_b32_e64 v69, 0, v12, s[12:13]
	s_xor_b64 s[16:17], s[16:17], -1
	v_cndmask_b32_e64 v68, 0, -1, s[12:13]
	s_and_saveexec_b64 s[12:13], s[16:17]
	s_cbranch_execz .LBB173_28
; %bb.27:
	v_lshl_add_u64 v[12:13], v[60:61], 3, v[10:11]
	flat_load_dwordx2 v[12:13], v[12:13] offset:512
	s_waitcnt vmcnt(0) lgkmcnt(0)
	v_mul_f64 v[68:69], v[12:13], s[28:29]
.LBB173_28:
	s_or_b64 exec, exec, s[12:13]
	s_or_b64 s[12:13], s[8:9], vcc
	v_mov_b32_e32 v12, 0x7fefffff
	s_or_b64 s[16:17], s[36:37], s[12:13]
	v_cndmask_b32_e64 v71, 0, v12, s[12:13]
	s_xor_b64 s[16:17], s[16:17], -1
	v_cndmask_b32_e64 v70, 0, -1, s[12:13]
	s_and_saveexec_b64 s[12:13], s[16:17]
	s_cbranch_execz .LBB173_30
; %bb.29:
	v_lshl_add_u64 v[14:15], v[60:61], 3, v[10:11]
	flat_load_dwordx2 v[14:15], v[14:15] offset:1024
	s_waitcnt vmcnt(0) lgkmcnt(0)
	v_mul_f64 v[70:71], v[14:15], s[28:29]
.LBB173_30:
	s_or_b64 exec, exec, s[12:13]
	s_or_b64 vcc, s[10:11], vcc
	s_or_b64 s[12:13], s[36:37], vcc
	v_cndmask_b32_e32 v73, 0, v12, vcc
	s_xor_b64 s[44:45], s[12:13], -1
	s_mov_b32 s16, 0
	v_cndmask_b32_e64 v72, 0, -1, vcc
	s_and_saveexec_b64 s[12:13], s[44:45]
	s_cbranch_execz .LBB173_32
; %bb.31:
	v_lshl_add_u64 v[10:11], v[60:61], 3, v[10:11]
	flat_load_dwordx2 v[10:11], v[10:11] offset:1536
	s_waitcnt vmcnt(0) lgkmcnt(0)
	v_mul_f64 v[72:73], v[10:11], s[28:29]
.LBB173_32:
	s_or_b64 exec, exec, s[12:13]
	v_lshlrev_b32_e32 v10, 3, v140
	v_lshl_add_u32 v141, v143, 5, v10
	v_or_b32_e32 v142, 0x4000, v141
	s_mov_b64 s[12:13], -1
	v_mov_b32_e32 v74, 0x7f800000
	v_mov_b32_e32 v75, 0x7f800000
	;; [unrolled: 1-line block ×64, first 2 shown]
	ds_write_b64 v141, v[0:1] offset:16384
	ds_write2st64_b64 v141, v[2:3], v[4:5] offset1:4
	ds_write2st64_b64 v141, v[6:7], v[8:9] offset0:8 offset1:12
	s_waitcnt lgkmcnt(0)
	s_barrier
.LBB173_33:                             ; =>This Inner Loop Header: Depth=1
	v_cndmask_b32_e64 v0, 0, 1, s[12:13]
	s_lshl_b32 s12, s16, 3
	v_cmp_ne_u32_e32 vcc, 1, v0
	v_lshl_add_u32 v0, v126, 5, s12
	v_lshl_add_u32 v20, v127, 5, s12
	ds_read_b128 v[32:35], v0 offset:16384
	ds_read_b128 v[28:31], v0 offset:16640
	ds_read_b128 v[24:27], v0 offset:16896
	ds_read_b128 v[16:19], v0 offset:17152
	ds_read_b128 v[12:15], v0 offset:17408
	ds_read_b128 v[8:11], v0 offset:17664
	ds_read_b128 v[4:7], v0 offset:17920
	ds_read_b128 v[0:3], v0 offset:18176
	ds_read_b128 v[144:147], v20
	ds_read_b128 v[56:59], v20 offset:1024
	ds_read_b128 v[52:55], v20 offset:2048
	ds_read_b128 v[48:51], v20 offset:3072
	ds_read_b128 v[44:47], v20 offset:4096
	ds_read_b128 v[40:43], v20 offset:5120
	ds_read_b128 v[36:39], v20 offset:6144
	ds_read_b128 v[20:23], v20 offset:7168
	s_waitcnt lgkmcnt(7)
	v_add_f64 v[148:149], v[34:35], v[146:147]
	v_add_f64 v[150:151], v[32:33], v[144:145]
	v_cvt_f32_f64_e32 v150, v[150:151]
	v_cvt_f32_f64_e32 v148, v[148:149]
	v_min3_f32 v139, v150, v148, v139
	v_add_f64 v[148:149], v[30:31], v[146:147]
	v_add_f64 v[150:151], v[28:29], v[144:145]
	v_cvt_f32_f64_e32 v150, v[150:151]
	v_cvt_f32_f64_e32 v148, v[148:149]
	v_min3_f32 v138, v150, v148, v138
	v_add_f64 v[148:149], v[26:27], v[146:147]
	v_add_f64 v[150:151], v[24:25], v[144:145]
	v_cvt_f32_f64_e32 v150, v[150:151]
	v_cvt_f32_f64_e32 v148, v[148:149]
	v_min3_f32 v137, v150, v148, v137
	v_add_f64 v[148:149], v[18:19], v[146:147]
	v_add_f64 v[150:151], v[16:17], v[144:145]
	v_cvt_f32_f64_e32 v150, v[150:151]
	v_cvt_f32_f64_e32 v148, v[148:149]
	v_min3_f32 v136, v150, v148, v136
	v_add_f64 v[148:149], v[14:15], v[146:147]
	v_add_f64 v[150:151], v[12:13], v[144:145]
	v_cvt_f32_f64_e32 v150, v[150:151]
	v_cvt_f32_f64_e32 v148, v[148:149]
	v_min3_f32 v135, v150, v148, v135
	v_add_f64 v[148:149], v[10:11], v[146:147]
	v_add_f64 v[150:151], v[8:9], v[144:145]
	v_cvt_f32_f64_e32 v150, v[150:151]
	v_cvt_f32_f64_e32 v148, v[148:149]
	v_min3_f32 v134, v150, v148, v134
	v_add_f64 v[148:149], v[6:7], v[146:147]
	v_add_f64 v[150:151], v[4:5], v[144:145]
	v_add_f64 v[146:147], v[2:3], v[146:147]
	v_add_f64 v[144:145], v[0:1], v[144:145]
	v_cvt_f32_f64_e32 v144, v[144:145]
	v_cvt_f32_f64_e32 v145, v[146:147]
	v_min3_f32 v132, v144, v145, v132
	s_waitcnt lgkmcnt(6)
	v_add_f64 v[144:145], v[34:35], v[58:59]
	v_add_f64 v[146:147], v[32:33], v[56:57]
	v_cvt_f32_f64_e32 v146, v[146:147]
	v_cvt_f32_f64_e32 v144, v[144:145]
	v_min3_f32 v131, v146, v144, v131
	v_add_f64 v[144:145], v[30:31], v[58:59]
	v_add_f64 v[146:147], v[28:29], v[56:57]
	v_cvt_f32_f64_e32 v146, v[146:147]
	v_cvt_f32_f64_e32 v144, v[144:145]
	v_min3_f32 v130, v146, v144, v130
	v_add_f64 v[144:145], v[26:27], v[58:59]
	v_add_f64 v[146:147], v[24:25], v[56:57]
	v_cvt_f32_f64_e32 v146, v[146:147]
	v_cvt_f32_f64_e32 v144, v[144:145]
	v_min3_f32 v129, v146, v144, v129
	v_add_f64 v[144:145], v[18:19], v[58:59]
	v_add_f64 v[146:147], v[16:17], v[56:57]
	v_cvt_f32_f64_e32 v146, v[146:147]
	v_cvt_f32_f64_e32 v144, v[144:145]
	v_min3_f32 v128, v146, v144, v128
	v_add_f64 v[144:145], v[14:15], v[58:59]
	v_add_f64 v[146:147], v[12:13], v[56:57]
	v_cvt_f32_f64_e32 v146, v[146:147]
	v_cvt_f32_f64_e32 v144, v[144:145]
	v_min3_f32 v125, v146, v144, v125
	v_add_f64 v[144:145], v[10:11], v[58:59]
	v_add_f64 v[146:147], v[8:9], v[56:57]
	v_cvt_f32_f64_e32 v146, v[146:147]
	v_cvt_f32_f64_e32 v144, v[144:145]
	v_min3_f32 v124, v146, v144, v124
	v_add_f64 v[144:145], v[6:7], v[58:59]
	v_add_f64 v[146:147], v[4:5], v[56:57]
	v_add_f64 v[58:59], v[2:3], v[58:59]
	v_add_f64 v[56:57], v[0:1], v[56:57]
	v_cvt_f32_f64_e32 v56, v[56:57]
	v_cvt_f32_f64_e32 v57, v[58:59]
	v_min3_f32 v122, v56, v57, v122
	;; [unrolled: 38-line block ×6, first 2 shown]
	s_waitcnt lgkmcnt(1)
	v_add_f64 v[40:41], v[34:35], v[38:39]
	v_add_f64 v[42:43], v[32:33], v[36:37]
	v_cvt_f32_f64_e32 v42, v[42:43]
	v_cvt_f32_f64_e32 v40, v[40:41]
	v_min3_f32 v89, v42, v40, v89
	v_add_f64 v[40:41], v[30:31], v[38:39]
	v_add_f64 v[42:43], v[28:29], v[36:37]
	v_cvt_f32_f64_e32 v42, v[42:43]
	v_cvt_f32_f64_e32 v40, v[40:41]
	v_min3_f32 v88, v42, v40, v88
	;; [unrolled: 5-line block ×6, first 2 shown]
	v_add_f64 v[40:41], v[6:7], v[38:39]
	v_add_f64 v[42:43], v[4:5], v[36:37]
	v_add_f64 v[38:39], v[2:3], v[38:39]
	v_add_f64 v[36:37], v[0:1], v[36:37]
	s_waitcnt lgkmcnt(0)
	v_add_f64 v[34:35], v[34:35], v[22:23]
	v_add_f64 v[32:33], v[32:33], v[20:21]
	;; [unrolled: 1-line block ×16, first 2 shown]
	v_cvt_f32_f64_e32 v150, v[150:151]
	v_cvt_f32_f64_e32 v148, v[148:149]
	;; [unrolled: 1-line block ×32, first 2 shown]
	v_min3_f32 v133, v150, v148, v133
	v_min3_f32 v123, v146, v144, v123
	;; [unrolled: 1-line block ×16, first 2 shown]
	s_mov_b32 s16, 2
	s_mov_b64 s[12:13], 0
	s_cbranch_vccz .LBB173_33
; %bb.34:
	v_lshlrev_b32_e32 v0, 5, v143
	v_lshl_add_u32 v0, v140, 3, v0
	s_cmp_gt_i32 s26, 8
	s_mov_b32 s16, 8
	ds_write_b64 v0, v[64:65] offset:18432
	ds_write2st64_b64 v0, v[66:67], v[68:69] offset0:16 offset1:20
	ds_write2st64_b64 v0, v[70:71], v[72:73] offset0:24 offset1:28
	s_waitcnt lgkmcnt(0)
	s_barrier
	s_cbranch_scc0 .LBB173_61
; %bb.35:
	v_add_u32_e32 v143, 0x4800, v0
	v_or_b32_e32 v144, 0x2000, v0
	s_add_i32 s17, s26, -8
	v_lshl_add_u64 v[62:63], v[62:63], 3, s[40:41]
	s_mov_b32 s40, 0
	v_mov_b32_e32 v145, 0x7fefffff
.LBB173_36:                             ; =>This Loop Header: Depth=1
                                        ;     Child Loop BB173_47 Depth 2
                                        ;     Child Loop BB173_59 Depth 2
	v_add_u32_e32 v0, s16, v140
	v_cmp_le_i32_e32 vcc, s26, v0
	s_or_b64 s[12:13], s[14:15], vcc
	s_or_b64 s[44:45], s[36:37], s[12:13]
	v_cndmask_b32_e64 v65, 0, v145, s[12:13]
	s_xor_b64 s[44:45], s[44:45], -1
	v_cndmask_b32_e64 v64, 0, -1, s[12:13]
	s_and_saveexec_b64 s[12:13], s[44:45]
	s_cbranch_execz .LBB173_38
; %bb.37:                               ;   in Loop: Header=BB173_36 Depth=1
	v_mad_u64_u32 v[2:3], s[44:45], v0, s27, 0
	v_mov_b32_e32 v4, v3
	v_mad_u64_u32 v[4:5], s[44:45], v0, s33, v[4:5]
	v_mov_b32_e32 v3, v4
	v_lshl_add_u64 v[2:3], v[2:3], 3, v[62:63]
	flat_load_dwordx2 v[2:3], v[2:3]
	s_waitcnt vmcnt(0) lgkmcnt(0)
	v_mul_f64 v[64:65], v[2:3], s[28:29]
.LBB173_38:                             ;   in Loop: Header=BB173_36 Depth=1
	s_or_b64 exec, exec, s[12:13]
	v_min_i32_e32 v0, s42, v0
	v_mad_i64_i32 v[0:1], s[12:13], v0, s43, 0
	s_or_b64 s[12:13], s[4:5], vcc
	v_lshl_add_u64 v[0:1], v[0:1], 3, s[38:39]
	s_or_b64 s[44:45], s[36:37], s[12:13]
	v_cndmask_b32_e64 v67, 0, v145, s[12:13]
	s_xor_b64 s[44:45], s[44:45], -1
	v_cndmask_b32_e64 v66, 0, -1, s[12:13]
	v_lshl_add_u64 v[0:1], v[60:61], 3, v[0:1]
	s_and_saveexec_b64 s[12:13], s[44:45]
	s_cbranch_execz .LBB173_40
; %bb.39:                               ;   in Loop: Header=BB173_36 Depth=1
	flat_load_dwordx2 v[2:3], v[0:1]
	s_waitcnt vmcnt(0) lgkmcnt(0)
	v_mul_f64 v[66:67], v[2:3], s[28:29]
.LBB173_40:                             ;   in Loop: Header=BB173_36 Depth=1
	s_or_b64 exec, exec, s[12:13]
	s_or_b64 s[12:13], s[6:7], vcc
	s_or_b64 s[44:45], s[36:37], s[12:13]
	v_cndmask_b32_e64 v69, 0, v145, s[12:13]
	s_xor_b64 s[44:45], s[44:45], -1
	v_cndmask_b32_e64 v68, 0, -1, s[12:13]
	s_and_saveexec_b64 s[12:13], s[44:45]
	s_cbranch_execz .LBB173_42
; %bb.41:                               ;   in Loop: Header=BB173_36 Depth=1
	flat_load_dwordx2 v[2:3], v[0:1] offset:512
	s_waitcnt vmcnt(0) lgkmcnt(0)
	v_mul_f64 v[68:69], v[2:3], s[28:29]
.LBB173_42:                             ;   in Loop: Header=BB173_36 Depth=1
	s_or_b64 exec, exec, s[12:13]
	s_or_b64 s[12:13], s[8:9], vcc
	s_or_b64 s[44:45], s[36:37], s[12:13]
	v_cndmask_b32_e64 v71, 0, v145, s[12:13]
	s_xor_b64 s[44:45], s[44:45], -1
	v_cndmask_b32_e64 v70, 0, -1, s[12:13]
	s_and_saveexec_b64 s[12:13], s[44:45]
	s_cbranch_execz .LBB173_44
; %bb.43:                               ;   in Loop: Header=BB173_36 Depth=1
	flat_load_dwordx2 v[2:3], v[0:1] offset:1024
	s_waitcnt vmcnt(0) lgkmcnt(0)
	v_mul_f64 v[70:71], v[2:3], s[28:29]
.LBB173_44:                             ;   in Loop: Header=BB173_36 Depth=1
	s_or_b64 exec, exec, s[12:13]
	s_or_b64 vcc, s[10:11], vcc
	s_or_b64 s[12:13], s[36:37], vcc
	v_cndmask_b32_e32 v73, 0, v145, vcc
	s_xor_b64 s[44:45], s[12:13], -1
	v_cndmask_b32_e64 v72, 0, -1, vcc
	s_and_saveexec_b64 s[12:13], s[44:45]
	s_cbranch_execz .LBB173_46
; %bb.45:                               ;   in Loop: Header=BB173_36 Depth=1
	flat_load_dwordx2 v[0:1], v[0:1] offset:1536
	s_waitcnt vmcnt(0) lgkmcnt(0)
	v_mul_f64 v[72:73], v[0:1], s[28:29]
.LBB173_46:                             ;   in Loop: Header=BB173_36 Depth=1
	s_or_b64 exec, exec, s[12:13]
	s_mov_b32 s41, 0
	s_mov_b64 s[12:13], -1
.LBB173_47:                             ;   Parent Loop BB173_36 Depth=1
                                        ; =>  This Inner Loop Header: Depth=2
	v_cndmask_b32_e64 v0, 0, 1, s[12:13]
	s_lshl_b32 s12, s41, 3
	v_cmp_ne_u32_e32 vcc, 1, v0
	v_lshl_add_u32 v0, v126, 5, s12
	v_lshl_add_u32 v20, v127, 5, s12
	ds_read_b128 v[32:35], v0 offset:18432
	ds_read_b128 v[28:31], v0 offset:18688
	;; [unrolled: 1-line block ×16, first 2 shown]
	s_waitcnt lgkmcnt(7)
	v_add_f64 v[150:151], v[34:35], v[148:149]
	v_add_f64 v[152:153], v[32:33], v[146:147]
	v_cvt_f32_f64_e32 v152, v[152:153]
	v_cvt_f32_f64_e32 v150, v[150:151]
	v_min3_f32 v139, v152, v150, v139
	v_add_f64 v[150:151], v[30:31], v[148:149]
	v_add_f64 v[152:153], v[28:29], v[146:147]
	v_cvt_f32_f64_e32 v152, v[152:153]
	v_cvt_f32_f64_e32 v150, v[150:151]
	v_min3_f32 v138, v152, v150, v138
	v_add_f64 v[150:151], v[26:27], v[148:149]
	v_add_f64 v[152:153], v[24:25], v[146:147]
	v_cvt_f32_f64_e32 v152, v[152:153]
	v_cvt_f32_f64_e32 v150, v[150:151]
	v_min3_f32 v137, v152, v150, v137
	v_add_f64 v[150:151], v[18:19], v[148:149]
	v_add_f64 v[152:153], v[16:17], v[146:147]
	v_cvt_f32_f64_e32 v152, v[152:153]
	v_cvt_f32_f64_e32 v150, v[150:151]
	v_min3_f32 v136, v152, v150, v136
	v_add_f64 v[150:151], v[14:15], v[148:149]
	v_add_f64 v[152:153], v[12:13], v[146:147]
	v_cvt_f32_f64_e32 v152, v[152:153]
	v_cvt_f32_f64_e32 v150, v[150:151]
	v_min3_f32 v135, v152, v150, v135
	v_add_f64 v[150:151], v[10:11], v[148:149]
	v_add_f64 v[152:153], v[8:9], v[146:147]
	v_cvt_f32_f64_e32 v152, v[152:153]
	v_cvt_f32_f64_e32 v150, v[150:151]
	v_min3_f32 v134, v152, v150, v134
	v_add_f64 v[150:151], v[6:7], v[148:149]
	v_add_f64 v[152:153], v[4:5], v[146:147]
	v_add_f64 v[148:149], v[2:3], v[148:149]
	v_add_f64 v[146:147], v[0:1], v[146:147]
	v_cvt_f32_f64_e32 v146, v[146:147]
	v_cvt_f32_f64_e32 v147, v[148:149]
	v_min3_f32 v132, v146, v147, v132
	s_waitcnt lgkmcnt(6)
	v_add_f64 v[146:147], v[34:35], v[58:59]
	v_add_f64 v[148:149], v[32:33], v[56:57]
	v_cvt_f32_f64_e32 v148, v[148:149]
	v_cvt_f32_f64_e32 v146, v[146:147]
	v_min3_f32 v131, v148, v146, v131
	v_add_f64 v[146:147], v[30:31], v[58:59]
	v_add_f64 v[148:149], v[28:29], v[56:57]
	v_cvt_f32_f64_e32 v148, v[148:149]
	v_cvt_f32_f64_e32 v146, v[146:147]
	v_min3_f32 v130, v148, v146, v130
	v_add_f64 v[146:147], v[26:27], v[58:59]
	v_add_f64 v[148:149], v[24:25], v[56:57]
	v_cvt_f32_f64_e32 v148, v[148:149]
	v_cvt_f32_f64_e32 v146, v[146:147]
	v_min3_f32 v129, v148, v146, v129
	v_add_f64 v[146:147], v[18:19], v[58:59]
	v_add_f64 v[148:149], v[16:17], v[56:57]
	v_cvt_f32_f64_e32 v148, v[148:149]
	v_cvt_f32_f64_e32 v146, v[146:147]
	v_min3_f32 v128, v148, v146, v128
	v_add_f64 v[146:147], v[14:15], v[58:59]
	v_add_f64 v[148:149], v[12:13], v[56:57]
	v_cvt_f32_f64_e32 v148, v[148:149]
	v_cvt_f32_f64_e32 v146, v[146:147]
	v_min3_f32 v125, v148, v146, v125
	v_add_f64 v[146:147], v[10:11], v[58:59]
	v_add_f64 v[148:149], v[8:9], v[56:57]
	v_cvt_f32_f64_e32 v148, v[148:149]
	v_cvt_f32_f64_e32 v146, v[146:147]
	v_min3_f32 v124, v148, v146, v124
	v_add_f64 v[146:147], v[6:7], v[58:59]
	v_add_f64 v[148:149], v[4:5], v[56:57]
	v_add_f64 v[58:59], v[2:3], v[58:59]
	v_add_f64 v[56:57], v[0:1], v[56:57]
	v_cvt_f32_f64_e32 v56, v[56:57]
	v_cvt_f32_f64_e32 v57, v[58:59]
	v_min3_f32 v122, v56, v57, v122
	;; [unrolled: 38-line block ×6, first 2 shown]
	s_waitcnt lgkmcnt(1)
	v_add_f64 v[40:41], v[34:35], v[38:39]
	v_add_f64 v[42:43], v[32:33], v[36:37]
	v_cvt_f32_f64_e32 v42, v[42:43]
	v_cvt_f32_f64_e32 v40, v[40:41]
	v_min3_f32 v89, v42, v40, v89
	v_add_f64 v[40:41], v[30:31], v[38:39]
	v_add_f64 v[42:43], v[28:29], v[36:37]
	v_cvt_f32_f64_e32 v42, v[42:43]
	v_cvt_f32_f64_e32 v40, v[40:41]
	v_min3_f32 v88, v42, v40, v88
	;; [unrolled: 5-line block ×6, first 2 shown]
	v_add_f64 v[40:41], v[6:7], v[38:39]
	v_add_f64 v[42:43], v[4:5], v[36:37]
	;; [unrolled: 1-line block ×4, first 2 shown]
	s_waitcnt lgkmcnt(0)
	v_add_f64 v[34:35], v[34:35], v[22:23]
	v_add_f64 v[32:33], v[32:33], v[20:21]
	;; [unrolled: 1-line block ×16, first 2 shown]
	v_cvt_f32_f64_e32 v152, v[152:153]
	v_cvt_f32_f64_e32 v150, v[150:151]
	;; [unrolled: 1-line block ×32, first 2 shown]
	v_min3_f32 v133, v152, v150, v133
	v_min3_f32 v123, v148, v146, v123
	;; [unrolled: 1-line block ×16, first 2 shown]
	s_mov_b32 s41, 2
	s_mov_b64 s[12:13], 0
	s_cbranch_vccz .LBB173_47
; %bb.48:                               ;   in Loop: Header=BB173_36 Depth=1
	v_add3_u32 v0, v140, s16, 4
	v_cmp_le_i32_e32 vcc, s26, v0
	s_or_b64 s[12:13], s[14:15], vcc
	s_or_b64 s[44:45], s[36:37], s[12:13]
	ds_write_b64 v142, v[64:65]
	ds_write2st64_b64 v141, v[66:67], v[68:69] offset1:4
	ds_write2st64_b64 v141, v[70:71], v[72:73] offset0:8 offset1:12
	v_cndmask_b32_e64 v65, 0, v145, s[12:13]
	s_xor_b64 s[44:45], s[44:45], -1
	v_cndmask_b32_e64 v64, 0, -1, s[12:13]
	s_waitcnt lgkmcnt(0)
	s_barrier
	s_and_saveexec_b64 s[12:13], s[44:45]
	s_cbranch_execz .LBB173_50
; %bb.49:                               ;   in Loop: Header=BB173_36 Depth=1
	v_mad_u64_u32 v[2:3], s[44:45], v0, s27, 0
	v_mov_b32_e32 v4, v3
	v_mad_u64_u32 v[4:5], s[44:45], v0, s33, v[4:5]
	v_mov_b32_e32 v3, v4
	v_lshl_add_u64 v[2:3], v[2:3], 3, v[62:63]
	flat_load_dwordx2 v[2:3], v[2:3]
	s_waitcnt vmcnt(0) lgkmcnt(0)
	v_mul_f64 v[64:65], v[2:3], s[28:29]
.LBB173_50:                             ;   in Loop: Header=BB173_36 Depth=1
	s_or_b64 exec, exec, s[12:13]
	v_min_i32_e32 v0, s42, v0
	v_mad_i64_i32 v[0:1], s[12:13], v0, s43, 0
	s_or_b64 s[12:13], s[4:5], vcc
	v_lshl_add_u64 v[0:1], v[0:1], 3, s[38:39]
	s_or_b64 s[44:45], s[36:37], s[12:13]
	v_cndmask_b32_e64 v67, 0, v145, s[12:13]
	s_xor_b64 s[44:45], s[44:45], -1
	v_cndmask_b32_e64 v66, 0, -1, s[12:13]
	v_lshl_add_u64 v[0:1], v[60:61], 3, v[0:1]
	s_and_saveexec_b64 s[12:13], s[44:45]
	s_cbranch_execz .LBB173_52
; %bb.51:                               ;   in Loop: Header=BB173_36 Depth=1
	flat_load_dwordx2 v[2:3], v[0:1]
	s_waitcnt vmcnt(0) lgkmcnt(0)
	v_mul_f64 v[66:67], v[2:3], s[28:29]
.LBB173_52:                             ;   in Loop: Header=BB173_36 Depth=1
	s_or_b64 exec, exec, s[12:13]
	s_or_b64 s[12:13], s[6:7], vcc
	s_or_b64 s[44:45], s[36:37], s[12:13]
	v_cndmask_b32_e64 v69, 0, v145, s[12:13]
	s_xor_b64 s[44:45], s[44:45], -1
	v_cndmask_b32_e64 v68, 0, -1, s[12:13]
	s_and_saveexec_b64 s[12:13], s[44:45]
	s_cbranch_execz .LBB173_54
; %bb.53:                               ;   in Loop: Header=BB173_36 Depth=1
	flat_load_dwordx2 v[2:3], v[0:1] offset:512
	s_waitcnt vmcnt(0) lgkmcnt(0)
	v_mul_f64 v[68:69], v[2:3], s[28:29]
.LBB173_54:                             ;   in Loop: Header=BB173_36 Depth=1
	s_or_b64 exec, exec, s[12:13]
	s_or_b64 s[12:13], s[8:9], vcc
	s_or_b64 s[44:45], s[36:37], s[12:13]
	v_cndmask_b32_e64 v71, 0, v145, s[12:13]
	s_xor_b64 s[44:45], s[44:45], -1
	v_cndmask_b32_e64 v70, 0, -1, s[12:13]
	s_and_saveexec_b64 s[12:13], s[44:45]
	s_cbranch_execz .LBB173_56
; %bb.55:                               ;   in Loop: Header=BB173_36 Depth=1
	flat_load_dwordx2 v[2:3], v[0:1] offset:1024
	s_waitcnt vmcnt(0) lgkmcnt(0)
	v_mul_f64 v[70:71], v[2:3], s[28:29]
.LBB173_56:                             ;   in Loop: Header=BB173_36 Depth=1
	s_or_b64 exec, exec, s[12:13]
	s_or_b64 vcc, s[10:11], vcc
	s_or_b64 s[12:13], s[36:37], vcc
	v_cndmask_b32_e32 v73, 0, v145, vcc
	s_xor_b64 s[44:45], s[12:13], -1
	v_cndmask_b32_e64 v72, 0, -1, vcc
	s_and_saveexec_b64 s[12:13], s[44:45]
	s_cbranch_execz .LBB173_58
; %bb.57:                               ;   in Loop: Header=BB173_36 Depth=1
	flat_load_dwordx2 v[0:1], v[0:1] offset:1536
	s_waitcnt vmcnt(0) lgkmcnt(0)
	v_mul_f64 v[72:73], v[0:1], s[28:29]
.LBB173_58:                             ;   in Loop: Header=BB173_36 Depth=1
	s_or_b64 exec, exec, s[12:13]
	s_mov_b32 s41, 0
	s_mov_b64 s[12:13], -1
.LBB173_59:                             ;   Parent Loop BB173_36 Depth=1
                                        ; =>  This Inner Loop Header: Depth=2
	v_cndmask_b32_e64 v0, 0, 1, s[12:13]
	s_lshl_b32 s12, s41, 3
	v_cmp_ne_u32_e32 vcc, 1, v0
	v_lshl_add_u32 v0, v126, 5, s12
	v_lshl_add_u32 v20, v127, 5, s12
	ds_read_b128 v[32:35], v0 offset:16384
	ds_read_b128 v[28:31], v0 offset:16640
	;; [unrolled: 1-line block ×8, first 2 shown]
	ds_read_b128 v[146:149], v20
	ds_read_b128 v[56:59], v20 offset:1024
	ds_read_b128 v[52:55], v20 offset:2048
	;; [unrolled: 1-line block ×7, first 2 shown]
	s_waitcnt lgkmcnt(7)
	v_add_f64 v[150:151], v[34:35], v[148:149]
	v_add_f64 v[152:153], v[32:33], v[146:147]
	v_cvt_f32_f64_e32 v152, v[152:153]
	v_cvt_f32_f64_e32 v150, v[150:151]
	v_min3_f32 v139, v152, v150, v139
	v_add_f64 v[150:151], v[30:31], v[148:149]
	v_add_f64 v[152:153], v[28:29], v[146:147]
	v_cvt_f32_f64_e32 v152, v[152:153]
	v_cvt_f32_f64_e32 v150, v[150:151]
	v_min3_f32 v138, v152, v150, v138
	v_add_f64 v[150:151], v[26:27], v[148:149]
	v_add_f64 v[152:153], v[24:25], v[146:147]
	v_cvt_f32_f64_e32 v152, v[152:153]
	v_cvt_f32_f64_e32 v150, v[150:151]
	v_min3_f32 v137, v152, v150, v137
	v_add_f64 v[150:151], v[18:19], v[148:149]
	v_add_f64 v[152:153], v[16:17], v[146:147]
	v_cvt_f32_f64_e32 v152, v[152:153]
	v_cvt_f32_f64_e32 v150, v[150:151]
	v_min3_f32 v136, v152, v150, v136
	v_add_f64 v[150:151], v[14:15], v[148:149]
	v_add_f64 v[152:153], v[12:13], v[146:147]
	v_cvt_f32_f64_e32 v152, v[152:153]
	v_cvt_f32_f64_e32 v150, v[150:151]
	v_min3_f32 v135, v152, v150, v135
	v_add_f64 v[150:151], v[10:11], v[148:149]
	v_add_f64 v[152:153], v[8:9], v[146:147]
	v_cvt_f32_f64_e32 v152, v[152:153]
	v_cvt_f32_f64_e32 v150, v[150:151]
	v_min3_f32 v134, v152, v150, v134
	v_add_f64 v[150:151], v[6:7], v[148:149]
	v_add_f64 v[152:153], v[4:5], v[146:147]
	v_add_f64 v[148:149], v[2:3], v[148:149]
	v_add_f64 v[146:147], v[0:1], v[146:147]
	v_cvt_f32_f64_e32 v146, v[146:147]
	v_cvt_f32_f64_e32 v147, v[148:149]
	v_min3_f32 v132, v146, v147, v132
	s_waitcnt lgkmcnt(6)
	v_add_f64 v[146:147], v[34:35], v[58:59]
	v_add_f64 v[148:149], v[32:33], v[56:57]
	v_cvt_f32_f64_e32 v148, v[148:149]
	v_cvt_f32_f64_e32 v146, v[146:147]
	v_min3_f32 v131, v148, v146, v131
	v_add_f64 v[146:147], v[30:31], v[58:59]
	v_add_f64 v[148:149], v[28:29], v[56:57]
	v_cvt_f32_f64_e32 v148, v[148:149]
	v_cvt_f32_f64_e32 v146, v[146:147]
	v_min3_f32 v130, v148, v146, v130
	v_add_f64 v[146:147], v[26:27], v[58:59]
	v_add_f64 v[148:149], v[24:25], v[56:57]
	v_cvt_f32_f64_e32 v148, v[148:149]
	v_cvt_f32_f64_e32 v146, v[146:147]
	v_min3_f32 v129, v148, v146, v129
	v_add_f64 v[146:147], v[18:19], v[58:59]
	v_add_f64 v[148:149], v[16:17], v[56:57]
	v_cvt_f32_f64_e32 v148, v[148:149]
	v_cvt_f32_f64_e32 v146, v[146:147]
	v_min3_f32 v128, v148, v146, v128
	v_add_f64 v[146:147], v[14:15], v[58:59]
	v_add_f64 v[148:149], v[12:13], v[56:57]
	v_cvt_f32_f64_e32 v148, v[148:149]
	v_cvt_f32_f64_e32 v146, v[146:147]
	v_min3_f32 v125, v148, v146, v125
	v_add_f64 v[146:147], v[10:11], v[58:59]
	v_add_f64 v[148:149], v[8:9], v[56:57]
	v_cvt_f32_f64_e32 v148, v[148:149]
	v_cvt_f32_f64_e32 v146, v[146:147]
	v_min3_f32 v124, v148, v146, v124
	v_add_f64 v[146:147], v[6:7], v[58:59]
	v_add_f64 v[148:149], v[4:5], v[56:57]
	v_add_f64 v[58:59], v[2:3], v[58:59]
	v_add_f64 v[56:57], v[0:1], v[56:57]
	v_cvt_f32_f64_e32 v56, v[56:57]
	v_cvt_f32_f64_e32 v57, v[58:59]
	v_min3_f32 v122, v56, v57, v122
	;; [unrolled: 38-line block ×6, first 2 shown]
	s_waitcnt lgkmcnt(1)
	v_add_f64 v[40:41], v[34:35], v[38:39]
	v_add_f64 v[42:43], v[32:33], v[36:37]
	v_cvt_f32_f64_e32 v42, v[42:43]
	v_cvt_f32_f64_e32 v40, v[40:41]
	v_min3_f32 v89, v42, v40, v89
	v_add_f64 v[40:41], v[30:31], v[38:39]
	v_add_f64 v[42:43], v[28:29], v[36:37]
	v_cvt_f32_f64_e32 v42, v[42:43]
	v_cvt_f32_f64_e32 v40, v[40:41]
	v_min3_f32 v88, v42, v40, v88
	;; [unrolled: 5-line block ×6, first 2 shown]
	v_add_f64 v[40:41], v[6:7], v[38:39]
	v_add_f64 v[42:43], v[4:5], v[36:37]
	;; [unrolled: 1-line block ×4, first 2 shown]
	s_waitcnt lgkmcnt(0)
	v_add_f64 v[34:35], v[34:35], v[22:23]
	v_add_f64 v[32:33], v[32:33], v[20:21]
	;; [unrolled: 1-line block ×16, first 2 shown]
	v_cvt_f32_f64_e32 v152, v[152:153]
	v_cvt_f32_f64_e32 v150, v[150:151]
	;; [unrolled: 1-line block ×32, first 2 shown]
	v_min3_f32 v133, v152, v150, v133
	v_min3_f32 v123, v148, v146, v123
	;; [unrolled: 1-line block ×16, first 2 shown]
	s_mov_b32 s41, 2
	s_mov_b64 s[12:13], 0
	s_cbranch_vccz .LBB173_59
; %bb.60:                               ;   in Loop: Header=BB173_36 Depth=1
	s_add_i32 s16, s16, 8
	s_add_i32 s40, s40, 8
	s_cmp_ge_i32 s40, s17
	ds_write_b64 v143, v[64:65]
	ds_write2st64_b64 v144, v[66:67], v[68:69] offset1:4
	ds_write2st64_b64 v144, v[70:71], v[72:73] offset0:8 offset1:12
	s_waitcnt lgkmcnt(0)
	s_barrier
	s_cbranch_scc0 .LBB173_36
.LBB173_61:
	s_mov_b32 s6, 0
	s_mov_b64 s[4:5], -1
.LBB173_62:                             ; =>This Inner Loop Header: Depth=1
	v_cndmask_b32_e64 v0, 0, 1, s[4:5]
	s_lshl_b32 s4, s6, 3
	v_cmp_ne_u32_e32 vcc, 1, v0
	v_lshl_add_u32 v0, v126, 5, s4
	v_lshl_add_u32 v20, v127, 5, s4
	ds_read_b128 v[32:35], v0 offset:18432
	ds_read_b128 v[28:31], v0 offset:18688
	;; [unrolled: 1-line block ×16, first 2 shown]
	s_waitcnt lgkmcnt(7)
	v_add_f64 v[64:65], v[34:35], v[62:63]
	v_add_f64 v[66:67], v[32:33], v[60:61]
	v_cvt_f32_f64_e32 v66, v[66:67]
	v_cvt_f32_f64_e32 v64, v[64:65]
	v_min3_f32 v139, v66, v64, v139
	v_add_f64 v[64:65], v[30:31], v[62:63]
	v_add_f64 v[66:67], v[28:29], v[60:61]
	v_cvt_f32_f64_e32 v66, v[66:67]
	v_cvt_f32_f64_e32 v64, v[64:65]
	v_min3_f32 v138, v66, v64, v138
	v_add_f64 v[64:65], v[26:27], v[62:63]
	v_add_f64 v[66:67], v[24:25], v[60:61]
	v_cvt_f32_f64_e32 v66, v[66:67]
	v_cvt_f32_f64_e32 v64, v[64:65]
	v_min3_f32 v137, v66, v64, v137
	v_add_f64 v[64:65], v[18:19], v[62:63]
	v_add_f64 v[66:67], v[16:17], v[60:61]
	v_cvt_f32_f64_e32 v66, v[66:67]
	v_cvt_f32_f64_e32 v64, v[64:65]
	v_min3_f32 v136, v66, v64, v136
	v_add_f64 v[64:65], v[14:15], v[62:63]
	v_add_f64 v[66:67], v[12:13], v[60:61]
	v_cvt_f32_f64_e32 v66, v[66:67]
	v_cvt_f32_f64_e32 v64, v[64:65]
	v_min3_f32 v135, v66, v64, v135
	v_add_f64 v[64:65], v[10:11], v[62:63]
	v_add_f64 v[66:67], v[8:9], v[60:61]
	v_cvt_f32_f64_e32 v66, v[66:67]
	v_cvt_f32_f64_e32 v64, v[64:65]
	v_min3_f32 v134, v66, v64, v134
	v_add_f64 v[64:65], v[6:7], v[62:63]
	v_add_f64 v[66:67], v[4:5], v[60:61]
	v_add_f64 v[62:63], v[2:3], v[62:63]
	v_add_f64 v[60:61], v[0:1], v[60:61]
	v_cvt_f32_f64_e32 v60, v[60:61]
	v_cvt_f32_f64_e32 v61, v[62:63]
	v_min3_f32 v132, v60, v61, v132
	s_waitcnt lgkmcnt(6)
	v_add_f64 v[60:61], v[34:35], v[58:59]
	v_add_f64 v[62:63], v[32:33], v[56:57]
	v_cvt_f32_f64_e32 v62, v[62:63]
	v_cvt_f32_f64_e32 v60, v[60:61]
	v_min3_f32 v131, v62, v60, v131
	v_add_f64 v[60:61], v[30:31], v[58:59]
	v_add_f64 v[62:63], v[28:29], v[56:57]
	v_cvt_f32_f64_e32 v62, v[62:63]
	v_cvt_f32_f64_e32 v60, v[60:61]
	v_min3_f32 v130, v62, v60, v130
	v_add_f64 v[60:61], v[26:27], v[58:59]
	v_add_f64 v[62:63], v[24:25], v[56:57]
	v_cvt_f32_f64_e32 v62, v[62:63]
	v_cvt_f32_f64_e32 v60, v[60:61]
	v_min3_f32 v129, v62, v60, v129
	v_add_f64 v[60:61], v[18:19], v[58:59]
	v_add_f64 v[62:63], v[16:17], v[56:57]
	v_cvt_f32_f64_e32 v62, v[62:63]
	v_cvt_f32_f64_e32 v60, v[60:61]
	v_min3_f32 v128, v62, v60, v128
	v_add_f64 v[60:61], v[14:15], v[58:59]
	v_add_f64 v[62:63], v[12:13], v[56:57]
	v_cvt_f32_f64_e32 v62, v[62:63]
	v_cvt_f32_f64_e32 v60, v[60:61]
	v_min3_f32 v125, v62, v60, v125
	v_add_f64 v[60:61], v[10:11], v[58:59]
	v_add_f64 v[62:63], v[8:9], v[56:57]
	v_cvt_f32_f64_e32 v62, v[62:63]
	v_cvt_f32_f64_e32 v60, v[60:61]
	v_min3_f32 v124, v62, v60, v124
	v_add_f64 v[60:61], v[6:7], v[58:59]
	v_add_f64 v[62:63], v[4:5], v[56:57]
	v_add_f64 v[58:59], v[2:3], v[58:59]
	v_add_f64 v[56:57], v[0:1], v[56:57]
	v_cvt_f32_f64_e32 v56, v[56:57]
	v_cvt_f32_f64_e32 v57, v[58:59]
	v_min3_f32 v122, v56, v57, v122
	;; [unrolled: 38-line block ×6, first 2 shown]
	s_waitcnt lgkmcnt(1)
	v_add_f64 v[40:41], v[34:35], v[38:39]
	v_add_f64 v[42:43], v[32:33], v[36:37]
	v_cvt_f32_f64_e32 v42, v[42:43]
	v_cvt_f32_f64_e32 v40, v[40:41]
	v_min3_f32 v89, v42, v40, v89
	v_add_f64 v[40:41], v[30:31], v[38:39]
	v_add_f64 v[42:43], v[28:29], v[36:37]
	v_cvt_f32_f64_e32 v42, v[42:43]
	v_cvt_f32_f64_e32 v40, v[40:41]
	v_min3_f32 v88, v42, v40, v88
	;; [unrolled: 5-line block ×6, first 2 shown]
	v_add_f64 v[40:41], v[6:7], v[38:39]
	v_add_f64 v[42:43], v[4:5], v[36:37]
	;; [unrolled: 1-line block ×4, first 2 shown]
	s_waitcnt lgkmcnt(0)
	v_add_f64 v[34:35], v[34:35], v[22:23]
	v_add_f64 v[32:33], v[32:33], v[20:21]
	;; [unrolled: 1-line block ×16, first 2 shown]
	v_cvt_f32_f64_e32 v66, v[66:67]
	v_cvt_f32_f64_e32 v64, v[64:65]
	;; [unrolled: 1-line block ×32, first 2 shown]
	v_min3_f32 v133, v66, v64, v133
	v_min3_f32 v123, v62, v60, v123
	;; [unrolled: 1-line block ×16, first 2 shown]
	s_mov_b32 s6, 2
	s_mov_b64 s[4:5], 0
	s_cbranch_vccz .LBB173_62
; %bb.63:
	s_load_dwordx2 s[4:5], s[0:1], 0x78
	s_load_dword s36, s[0:1], 0x58
	s_load_dword s33, s[0:1], 0x70
	v_add_u32_e32 v22, s30, v127
	v_add_u32_e32 v0, s2, v126
	s_waitcnt lgkmcnt(0)
	s_mul_i32 s0, s3, s5
	s_mul_hi_u32 s1, s3, s4
	s_mul_i32 s5, s31, s4
	s_add_i32 s0, s1, s0
	s_add_i32 s1, s0, s5
	s_mul_i32 s0, s3, s4
	s_lshl_b64 s[0:1], s[0:1], 3
	s_add_u32 s26, s18, s0
	s_addc_u32 s27, s19, s1
	v_mad_i64_i32 v[2:3], s[0:1], v22, s36, 0
	v_lshl_add_u64 v[18:19], v[2:3], 3, s[20:21]
	v_mad_i64_i32 v[2:3], s[0:1], v22, s33, 0
	v_cmp_gt_i32_e64 s[2:3], s24, v0
	v_cmp_gt_i32_e64 s[18:19], s25, v22
	v_lshl_add_u64 v[16:17], v[2:3], 3, s[26:27]
	v_cndmask_b32_e64 v2, 0, 1, s[34:35]
	v_ashrrev_i32_e32 v1, 31, v0
	s_and_b64 s[6:7], s[2:3], s[18:19]
	v_cmp_ne_u32_e64 s[0:1], 1, v2
	s_and_saveexec_b64 s[4:5], s[6:7]
	s_cbranch_execz .LBB173_68
; %bb.64:
	s_and_b64 vcc, exec, s[0:1]
	s_cbranch_vccnz .LBB173_66
; %bb.65:
	v_lshl_add_u64 v[2:3], v[0:1], 3, v[18:19]
	flat_load_dwordx2 v[2:3], v[2:3]
	s_waitcnt vmcnt(0) lgkmcnt(0)
	v_mul_f64 v[2:3], v[2:3], s[22:23]
	s_branch .LBB173_67
.LBB173_66:
	v_mov_b64_e32 v[2:3], 0
.LBB173_67:
	v_cvt_f32_f64_e32 v2, v[2:3]
	v_max_f32_e32 v3, v139, v139
	v_min_f32_e32 v2, v2, v3
	v_cvt_f64_f32_e32 v[2:3], v2
	v_lshl_add_u64 v[4:5], v[0:1], 3, v[16:17]
	global_store_dwordx2 v[4:5], v[2:3], off
.LBB173_68:
	s_or_b64 exec, exec, s[4:5]
	v_add_u32_e32 v2, 8, v0
	v_cmp_gt_i32_e64 s[4:5], s24, v2
	v_ashrrev_i32_e32 v3, 31, v2
	s_and_b64 s[8:9], s[4:5], s[18:19]
	s_and_saveexec_b64 s[6:7], s[8:9]
	s_cbranch_execz .LBB173_73
; %bb.69:
	s_and_b64 vcc, exec, s[0:1]
	s_cbranch_vccnz .LBB173_71
; %bb.70:
	v_lshl_add_u64 v[4:5], v[2:3], 3, v[18:19]
	flat_load_dwordx2 v[4:5], v[4:5]
	s_waitcnt vmcnt(0) lgkmcnt(0)
	v_mul_f64 v[4:5], v[4:5], s[22:23]
	s_branch .LBB173_72
.LBB173_71:
	v_mov_b64_e32 v[4:5], 0
.LBB173_72:
	v_cvt_f32_f64_e32 v4, v[4:5]
	v_max_f32_e32 v5, v138, v138
	v_min_f32_e32 v4, v4, v5
	v_cvt_f64_f32_e32 v[4:5], v4
	v_lshl_add_u64 v[6:7], v[2:3], 3, v[16:17]
	global_store_dwordx2 v[6:7], v[4:5], off
.LBB173_73:
	s_or_b64 exec, exec, s[6:7]
	v_add_u32_e32 v4, 16, v0
	v_cmp_gt_i32_e64 s[6:7], s24, v4
	v_ashrrev_i32_e32 v5, 31, v4
	s_and_b64 s[10:11], s[6:7], s[18:19]
	s_and_saveexec_b64 s[8:9], s[10:11]
	s_cbranch_execz .LBB173_78
; %bb.74:
	s_and_b64 vcc, exec, s[0:1]
	s_cbranch_vccnz .LBB173_76
; %bb.75:
	v_lshl_add_u64 v[6:7], v[4:5], 3, v[18:19]
	flat_load_dwordx2 v[6:7], v[6:7]
	s_waitcnt vmcnt(0) lgkmcnt(0)
	v_mul_f64 v[6:7], v[6:7], s[22:23]
	s_branch .LBB173_77
.LBB173_76:
	v_mov_b64_e32 v[6:7], 0
.LBB173_77:
	v_cvt_f32_f64_e32 v6, v[6:7]
	v_max_f32_e32 v7, v137, v137
	v_min_f32_e32 v6, v6, v7
	v_cvt_f64_f32_e32 v[6:7], v6
	v_lshl_add_u64 v[8:9], v[4:5], 3, v[16:17]
	global_store_dwordx2 v[8:9], v[6:7], off
.LBB173_78:
	s_or_b64 exec, exec, s[8:9]
	v_add_u32_e32 v6, 24, v0
	v_cmp_gt_i32_e64 s[8:9], s24, v6
	v_ashrrev_i32_e32 v7, 31, v6
	s_and_b64 s[12:13], s[8:9], s[18:19]
	s_and_saveexec_b64 s[10:11], s[12:13]
	s_cbranch_execz .LBB173_83
; %bb.79:
	s_and_b64 vcc, exec, s[0:1]
	s_cbranch_vccnz .LBB173_81
; %bb.80:
	v_lshl_add_u64 v[8:9], v[6:7], 3, v[18:19]
	flat_load_dwordx2 v[8:9], v[8:9]
	s_waitcnt vmcnt(0) lgkmcnt(0)
	v_mul_f64 v[8:9], v[8:9], s[22:23]
	s_branch .LBB173_82
.LBB173_81:
	v_mov_b64_e32 v[8:9], 0
.LBB173_82:
	v_cvt_f32_f64_e32 v8, v[8:9]
	v_max_f32_e32 v9, v136, v136
	v_min_f32_e32 v8, v8, v9
	v_cvt_f64_f32_e32 v[8:9], v8
	v_lshl_add_u64 v[10:11], v[6:7], 3, v[16:17]
	global_store_dwordx2 v[10:11], v[8:9], off
.LBB173_83:
	s_or_b64 exec, exec, s[10:11]
	v_add_u32_e32 v8, 32, v0
	v_cmp_gt_i32_e64 s[10:11], s24, v8
	v_ashrrev_i32_e32 v9, 31, v8
	s_and_b64 s[14:15], s[10:11], s[18:19]
	s_and_saveexec_b64 s[12:13], s[14:15]
	s_cbranch_execz .LBB173_88
; %bb.84:
	s_and_b64 vcc, exec, s[0:1]
	s_cbranch_vccnz .LBB173_86
; %bb.85:
	v_lshl_add_u64 v[10:11], v[8:9], 3, v[18:19]
	flat_load_dwordx2 v[10:11], v[10:11]
	s_waitcnt vmcnt(0) lgkmcnt(0)
	v_mul_f64 v[10:11], v[10:11], s[22:23]
	s_branch .LBB173_87
.LBB173_86:
	v_mov_b64_e32 v[10:11], 0
.LBB173_87:
	v_cvt_f32_f64_e32 v10, v[10:11]
	v_max_f32_e32 v11, v135, v135
	v_min_f32_e32 v10, v10, v11
	v_cvt_f64_f32_e32 v[10:11], v10
	v_lshl_add_u64 v[12:13], v[8:9], 3, v[16:17]
	global_store_dwordx2 v[12:13], v[10:11], off
.LBB173_88:
	s_or_b64 exec, exec, s[12:13]
	v_add_u32_e32 v10, 40, v0
	v_cmp_gt_i32_e64 s[12:13], s24, v10
	v_ashrrev_i32_e32 v11, 31, v10
	s_and_b64 s[16:17], s[12:13], s[18:19]
	s_and_saveexec_b64 s[14:15], s[16:17]
	s_cbranch_execz .LBB173_93
; %bb.89:
	s_and_b64 vcc, exec, s[0:1]
	s_cbranch_vccnz .LBB173_91
; %bb.90:
	v_lshl_add_u64 v[12:13], v[10:11], 3, v[18:19]
	flat_load_dwordx2 v[12:13], v[12:13]
	s_waitcnt vmcnt(0) lgkmcnt(0)
	v_mul_f64 v[12:13], v[12:13], s[22:23]
	s_branch .LBB173_92
.LBB173_91:
	v_mov_b64_e32 v[12:13], 0
.LBB173_92:
	v_cvt_f32_f64_e32 v12, v[12:13]
	v_max_f32_e32 v13, v134, v134
	v_min_f32_e32 v12, v12, v13
	v_cvt_f64_f32_e32 v[12:13], v12
	v_lshl_add_u64 v[14:15], v[10:11], 3, v[16:17]
	global_store_dwordx2 v[14:15], v[12:13], off
.LBB173_93:
	s_or_b64 exec, exec, s[14:15]
	v_add_u32_e32 v12, 48, v0
	v_cmp_gt_i32_e64 s[14:15], s24, v12
	v_ashrrev_i32_e32 v13, 31, v12
	s_and_b64 s[28:29], s[14:15], s[18:19]
	s_and_saveexec_b64 s[16:17], s[28:29]
	s_cbranch_execz .LBB173_98
; %bb.94:
	s_and_b64 vcc, exec, s[0:1]
	s_cbranch_vccnz .LBB173_96
; %bb.95:
	v_lshl_add_u64 v[14:15], v[12:13], 3, v[18:19]
	flat_load_dwordx2 v[14:15], v[14:15]
	s_waitcnt vmcnt(0) lgkmcnt(0)
	v_mul_f64 v[14:15], v[14:15], s[22:23]
	s_branch .LBB173_97
.LBB173_96:
	v_mov_b64_e32 v[14:15], 0
.LBB173_97:
	v_cvt_f32_f64_e32 v14, v[14:15]
	v_max_f32_e32 v15, v133, v133
	v_min_f32_e32 v14, v14, v15
	v_cvt_f64_f32_e32 v[14:15], v14
	v_lshl_add_u64 v[20:21], v[12:13], 3, v[16:17]
	global_store_dwordx2 v[20:21], v[14:15], off
.LBB173_98:
	s_or_b64 exec, exec, s[16:17]
	v_add_u32_e32 v14, 56, v0
	v_cmp_gt_i32_e64 s[16:17], s24, v14
	v_ashrrev_i32_e32 v15, 31, v14
	s_and_b64 s[28:29], s[16:17], s[18:19]
	s_and_saveexec_b64 s[18:19], s[28:29]
	s_cbranch_execz .LBB173_103
; %bb.99:
	s_and_b64 vcc, exec, s[0:1]
	s_cbranch_vccnz .LBB173_101
; %bb.100:
	v_lshl_add_u64 v[18:19], v[14:15], 3, v[18:19]
	flat_load_dwordx2 v[18:19], v[18:19]
	s_waitcnt vmcnt(0) lgkmcnt(0)
	v_mul_f64 v[18:19], v[18:19], s[22:23]
	s_branch .LBB173_102
.LBB173_101:
	v_mov_b64_e32 v[18:19], 0
.LBB173_102:
	v_cvt_f32_f64_e32 v18, v[18:19]
	v_max_f32_e32 v19, v132, v132
	v_min_f32_e32 v18, v18, v19
	v_cvt_f64_f32_e32 v[18:19], v18
	v_lshl_add_u64 v[16:17], v[14:15], 3, v[16:17]
	global_store_dwordx2 v[16:17], v[18:19], off
.LBB173_103:
	s_or_b64 exec, exec, s[18:19]
	v_add_u32_e32 v20, 32, v22
	v_mad_i64_i32 v[16:17], s[28:29], v20, s36, 0
	v_cmp_gt_i32_e64 s[18:19], s25, v20
	v_lshl_add_u64 v[18:19], v[16:17], 3, s[20:21]
	v_mad_i64_i32 v[16:17], s[28:29], v20, s33, 0
	v_lshl_add_u64 v[16:17], v[16:17], 3, s[26:27]
	s_and_b64 s[30:31], s[2:3], s[18:19]
	s_and_saveexec_b64 s[28:29], s[30:31]
	s_cbranch_execnz .LBB173_111
; %bb.104:
	s_or_b64 exec, exec, s[28:29]
	s_and_b64 s[30:31], s[4:5], s[18:19]
	s_and_saveexec_b64 s[28:29], s[30:31]
	s_cbranch_execnz .LBB173_115
.LBB173_105:
	s_or_b64 exec, exec, s[28:29]
	s_and_b64 s[30:31], s[6:7], s[18:19]
	s_and_saveexec_b64 s[28:29], s[30:31]
	s_cbranch_execnz .LBB173_119
.LBB173_106:
	s_or_b64 exec, exec, s[28:29]
	s_and_b64 s[30:31], s[8:9], s[18:19]
	s_and_saveexec_b64 s[28:29], s[30:31]
	s_cbranch_execnz .LBB173_123
.LBB173_107:
	s_or_b64 exec, exec, s[28:29]
	s_and_b64 s[30:31], s[10:11], s[18:19]
	s_and_saveexec_b64 s[28:29], s[30:31]
	s_cbranch_execnz .LBB173_127
.LBB173_108:
	s_or_b64 exec, exec, s[28:29]
	s_and_b64 s[30:31], s[12:13], s[18:19]
	s_and_saveexec_b64 s[28:29], s[30:31]
	s_cbranch_execnz .LBB173_131
.LBB173_109:
	s_or_b64 exec, exec, s[28:29]
	s_and_b64 s[30:31], s[14:15], s[18:19]
	s_and_saveexec_b64 s[28:29], s[30:31]
	s_cbranch_execnz .LBB173_135
.LBB173_110:
	s_or_b64 exec, exec, s[28:29]
	s_and_b64 s[28:29], s[16:17], s[18:19]
	s_and_saveexec_b64 s[18:19], s[28:29]
	s_cbranch_execnz .LBB173_139
	s_branch .LBB173_143
.LBB173_111:
	s_and_b64 vcc, exec, s[0:1]
	s_cbranch_vccnz .LBB173_113
; %bb.112:
	v_lshl_add_u64 v[20:21], v[0:1], 3, v[18:19]
	flat_load_dwordx2 v[20:21], v[20:21]
	s_waitcnt vmcnt(0) lgkmcnt(0)
	v_mul_f64 v[20:21], v[20:21], s[22:23]
	s_branch .LBB173_114
.LBB173_113:
	v_mov_b64_e32 v[20:21], 0
.LBB173_114:
	v_cvt_f32_f64_e32 v20, v[20:21]
	v_max_f32_e32 v21, v131, v131
	v_min_f32_e32 v20, v20, v21
	v_cvt_f64_f32_e32 v[20:21], v20
	v_lshl_add_u64 v[24:25], v[0:1], 3, v[16:17]
	global_store_dwordx2 v[24:25], v[20:21], off
	s_or_b64 exec, exec, s[28:29]
	s_and_b64 s[30:31], s[4:5], s[18:19]
	s_and_saveexec_b64 s[28:29], s[30:31]
	s_cbranch_execz .LBB173_105
.LBB173_115:
	s_and_b64 vcc, exec, s[0:1]
	s_cbranch_vccnz .LBB173_117
; %bb.116:
	v_lshl_add_u64 v[20:21], v[2:3], 3, v[18:19]
	flat_load_dwordx2 v[20:21], v[20:21]
	s_waitcnt vmcnt(0) lgkmcnt(0)
	v_mul_f64 v[20:21], v[20:21], s[22:23]
	s_branch .LBB173_118
.LBB173_117:
	v_mov_b64_e32 v[20:21], 0
.LBB173_118:
	v_cvt_f32_f64_e32 v20, v[20:21]
	v_max_f32_e32 v21, v130, v130
	v_min_f32_e32 v20, v20, v21
	v_cvt_f64_f32_e32 v[20:21], v20
	v_lshl_add_u64 v[24:25], v[2:3], 3, v[16:17]
	global_store_dwordx2 v[24:25], v[20:21], off
	s_or_b64 exec, exec, s[28:29]
	s_and_b64 s[30:31], s[6:7], s[18:19]
	s_and_saveexec_b64 s[28:29], s[30:31]
	s_cbranch_execz .LBB173_106
.LBB173_119:
	s_and_b64 vcc, exec, s[0:1]
	s_cbranch_vccnz .LBB173_121
; %bb.120:
	v_lshl_add_u64 v[20:21], v[4:5], 3, v[18:19]
	flat_load_dwordx2 v[20:21], v[20:21]
	s_waitcnt vmcnt(0) lgkmcnt(0)
	v_mul_f64 v[20:21], v[20:21], s[22:23]
	s_branch .LBB173_122
.LBB173_121:
	v_mov_b64_e32 v[20:21], 0
.LBB173_122:
	v_cvt_f32_f64_e32 v20, v[20:21]
	v_max_f32_e32 v21, v129, v129
	v_min_f32_e32 v20, v20, v21
	v_cvt_f64_f32_e32 v[20:21], v20
	v_lshl_add_u64 v[24:25], v[4:5], 3, v[16:17]
	global_store_dwordx2 v[24:25], v[20:21], off
	s_or_b64 exec, exec, s[28:29]
	s_and_b64 s[30:31], s[8:9], s[18:19]
	s_and_saveexec_b64 s[28:29], s[30:31]
	s_cbranch_execz .LBB173_107
.LBB173_123:
	s_and_b64 vcc, exec, s[0:1]
	s_cbranch_vccnz .LBB173_125
; %bb.124:
	v_lshl_add_u64 v[20:21], v[6:7], 3, v[18:19]
	flat_load_dwordx2 v[20:21], v[20:21]
	s_waitcnt vmcnt(0) lgkmcnt(0)
	v_mul_f64 v[20:21], v[20:21], s[22:23]
	s_branch .LBB173_126
.LBB173_125:
	v_mov_b64_e32 v[20:21], 0
.LBB173_126:
	v_cvt_f32_f64_e32 v20, v[20:21]
	v_max_f32_e32 v21, v128, v128
	v_min_f32_e32 v20, v20, v21
	v_cvt_f64_f32_e32 v[20:21], v20
	v_lshl_add_u64 v[24:25], v[6:7], 3, v[16:17]
	global_store_dwordx2 v[24:25], v[20:21], off
	s_or_b64 exec, exec, s[28:29]
	s_and_b64 s[30:31], s[10:11], s[18:19]
	s_and_saveexec_b64 s[28:29], s[30:31]
	s_cbranch_execz .LBB173_108
.LBB173_127:
	s_and_b64 vcc, exec, s[0:1]
	s_cbranch_vccnz .LBB173_129
; %bb.128:
	v_lshl_add_u64 v[20:21], v[8:9], 3, v[18:19]
	flat_load_dwordx2 v[20:21], v[20:21]
	s_waitcnt vmcnt(0) lgkmcnt(0)
	v_mul_f64 v[20:21], v[20:21], s[22:23]
	s_branch .LBB173_130
.LBB173_129:
	v_mov_b64_e32 v[20:21], 0
.LBB173_130:
	v_cvt_f32_f64_e32 v20, v[20:21]
	v_max_f32_e32 v21, v125, v125
	v_min_f32_e32 v20, v20, v21
	v_cvt_f64_f32_e32 v[20:21], v20
	v_lshl_add_u64 v[24:25], v[8:9], 3, v[16:17]
	global_store_dwordx2 v[24:25], v[20:21], off
	s_or_b64 exec, exec, s[28:29]
	s_and_b64 s[30:31], s[12:13], s[18:19]
	s_and_saveexec_b64 s[28:29], s[30:31]
	s_cbranch_execz .LBB173_109
.LBB173_131:
	s_and_b64 vcc, exec, s[0:1]
	s_cbranch_vccnz .LBB173_133
; %bb.132:
	v_lshl_add_u64 v[20:21], v[10:11], 3, v[18:19]
	flat_load_dwordx2 v[20:21], v[20:21]
	s_waitcnt vmcnt(0) lgkmcnt(0)
	v_mul_f64 v[20:21], v[20:21], s[22:23]
	s_branch .LBB173_134
.LBB173_133:
	v_mov_b64_e32 v[20:21], 0
.LBB173_134:
	v_cvt_f32_f64_e32 v20, v[20:21]
	v_max_f32_e32 v21, v124, v124
	v_min_f32_e32 v20, v20, v21
	v_cvt_f64_f32_e32 v[20:21], v20
	v_lshl_add_u64 v[24:25], v[10:11], 3, v[16:17]
	global_store_dwordx2 v[24:25], v[20:21], off
	s_or_b64 exec, exec, s[28:29]
	s_and_b64 s[30:31], s[14:15], s[18:19]
	s_and_saveexec_b64 s[28:29], s[30:31]
	s_cbranch_execz .LBB173_110
.LBB173_135:
	s_and_b64 vcc, exec, s[0:1]
	s_cbranch_vccnz .LBB173_137
; %bb.136:
	v_lshl_add_u64 v[20:21], v[12:13], 3, v[18:19]
	flat_load_dwordx2 v[20:21], v[20:21]
	s_waitcnt vmcnt(0) lgkmcnt(0)
	v_mul_f64 v[20:21], v[20:21], s[22:23]
	s_branch .LBB173_138
.LBB173_137:
	v_mov_b64_e32 v[20:21], 0
.LBB173_138:
	v_cvt_f32_f64_e32 v20, v[20:21]
	v_max_f32_e32 v21, v123, v123
	v_min_f32_e32 v20, v20, v21
	v_cvt_f64_f32_e32 v[20:21], v20
	v_lshl_add_u64 v[24:25], v[12:13], 3, v[16:17]
	global_store_dwordx2 v[24:25], v[20:21], off
	s_or_b64 exec, exec, s[28:29]
	s_and_b64 s[28:29], s[16:17], s[18:19]
	s_and_saveexec_b64 s[18:19], s[28:29]
	s_cbranch_execz .LBB173_143
.LBB173_139:
	s_and_b64 vcc, exec, s[0:1]
	s_cbranch_vccnz .LBB173_141
; %bb.140:
	v_lshl_add_u64 v[18:19], v[14:15], 3, v[18:19]
	flat_load_dwordx2 v[18:19], v[18:19]
	s_waitcnt vmcnt(0) lgkmcnt(0)
	v_mul_f64 v[18:19], v[18:19], s[22:23]
	s_branch .LBB173_142
.LBB173_141:
	v_mov_b64_e32 v[18:19], 0
.LBB173_142:
	v_cvt_f32_f64_e32 v18, v[18:19]
	v_max_f32_e32 v19, v122, v122
	v_min_f32_e32 v18, v18, v19
	v_cvt_f64_f32_e32 v[18:19], v18
	v_lshl_add_u64 v[16:17], v[14:15], 3, v[16:17]
	global_store_dwordx2 v[16:17], v[18:19], off
.LBB173_143:
	s_or_b64 exec, exec, s[18:19]
	v_add_u32_e32 v20, 64, v22
	v_mad_i64_i32 v[16:17], s[28:29], v20, s36, 0
	v_cmp_gt_i32_e64 s[18:19], s25, v20
	v_lshl_add_u64 v[18:19], v[16:17], 3, s[20:21]
	v_mad_i64_i32 v[16:17], s[28:29], v20, s33, 0
	v_lshl_add_u64 v[16:17], v[16:17], 3, s[26:27]
	s_and_b64 s[30:31], s[2:3], s[18:19]
	s_and_saveexec_b64 s[28:29], s[30:31]
	s_cbranch_execnz .LBB173_151
; %bb.144:
	s_or_b64 exec, exec, s[28:29]
	s_and_b64 s[30:31], s[4:5], s[18:19]
	s_and_saveexec_b64 s[28:29], s[30:31]
	s_cbranch_execnz .LBB173_155
.LBB173_145:
	s_or_b64 exec, exec, s[28:29]
	s_and_b64 s[30:31], s[6:7], s[18:19]
	s_and_saveexec_b64 s[28:29], s[30:31]
	s_cbranch_execnz .LBB173_159
.LBB173_146:
	s_or_b64 exec, exec, s[28:29]
	s_and_b64 s[30:31], s[8:9], s[18:19]
	s_and_saveexec_b64 s[28:29], s[30:31]
	s_cbranch_execnz .LBB173_163
.LBB173_147:
	s_or_b64 exec, exec, s[28:29]
	s_and_b64 s[30:31], s[10:11], s[18:19]
	s_and_saveexec_b64 s[28:29], s[30:31]
	s_cbranch_execnz .LBB173_167
.LBB173_148:
	s_or_b64 exec, exec, s[28:29]
	s_and_b64 s[30:31], s[12:13], s[18:19]
	s_and_saveexec_b64 s[28:29], s[30:31]
	s_cbranch_execnz .LBB173_171
.LBB173_149:
	s_or_b64 exec, exec, s[28:29]
	s_and_b64 s[30:31], s[14:15], s[18:19]
	s_and_saveexec_b64 s[28:29], s[30:31]
	s_cbranch_execnz .LBB173_175
.LBB173_150:
	s_or_b64 exec, exec, s[28:29]
	s_and_b64 s[28:29], s[16:17], s[18:19]
	s_and_saveexec_b64 s[18:19], s[28:29]
	s_cbranch_execnz .LBB173_179
	s_branch .LBB173_183
.LBB173_151:
	s_and_b64 vcc, exec, s[0:1]
	s_cbranch_vccnz .LBB173_153
; %bb.152:
	v_lshl_add_u64 v[20:21], v[0:1], 3, v[18:19]
	flat_load_dwordx2 v[20:21], v[20:21]
	s_waitcnt vmcnt(0) lgkmcnt(0)
	v_mul_f64 v[20:21], v[20:21], s[22:23]
	s_branch .LBB173_154
.LBB173_153:
	v_mov_b64_e32 v[20:21], 0
.LBB173_154:
	v_cvt_f32_f64_e32 v20, v[20:21]
	v_max_f32_e32 v21, v121, v121
	v_min_f32_e32 v20, v20, v21
	v_cvt_f64_f32_e32 v[20:21], v20
	v_lshl_add_u64 v[24:25], v[0:1], 3, v[16:17]
	global_store_dwordx2 v[24:25], v[20:21], off
	s_or_b64 exec, exec, s[28:29]
	s_and_b64 s[30:31], s[4:5], s[18:19]
	s_and_saveexec_b64 s[28:29], s[30:31]
	s_cbranch_execz .LBB173_145
.LBB173_155:
	s_and_b64 vcc, exec, s[0:1]
	s_cbranch_vccnz .LBB173_157
; %bb.156:
	v_lshl_add_u64 v[20:21], v[2:3], 3, v[18:19]
	flat_load_dwordx2 v[20:21], v[20:21]
	s_waitcnt vmcnt(0) lgkmcnt(0)
	v_mul_f64 v[20:21], v[20:21], s[22:23]
	s_branch .LBB173_158
.LBB173_157:
	v_mov_b64_e32 v[20:21], 0
.LBB173_158:
	v_cvt_f32_f64_e32 v20, v[20:21]
	v_max_f32_e32 v21, v120, v120
	v_min_f32_e32 v20, v20, v21
	v_cvt_f64_f32_e32 v[20:21], v20
	v_lshl_add_u64 v[24:25], v[2:3], 3, v[16:17]
	global_store_dwordx2 v[24:25], v[20:21], off
	s_or_b64 exec, exec, s[28:29]
	s_and_b64 s[30:31], s[6:7], s[18:19]
	s_and_saveexec_b64 s[28:29], s[30:31]
	s_cbranch_execz .LBB173_146
.LBB173_159:
	s_and_b64 vcc, exec, s[0:1]
	s_cbranch_vccnz .LBB173_161
; %bb.160:
	v_lshl_add_u64 v[20:21], v[4:5], 3, v[18:19]
	flat_load_dwordx2 v[20:21], v[20:21]
	s_waitcnt vmcnt(0) lgkmcnt(0)
	v_mul_f64 v[20:21], v[20:21], s[22:23]
	s_branch .LBB173_162
.LBB173_161:
	v_mov_b64_e32 v[20:21], 0
.LBB173_162:
	v_cvt_f32_f64_e32 v20, v[20:21]
	v_max_f32_e32 v21, v119, v119
	v_min_f32_e32 v20, v20, v21
	v_cvt_f64_f32_e32 v[20:21], v20
	v_lshl_add_u64 v[24:25], v[4:5], 3, v[16:17]
	global_store_dwordx2 v[24:25], v[20:21], off
	s_or_b64 exec, exec, s[28:29]
	s_and_b64 s[30:31], s[8:9], s[18:19]
	s_and_saveexec_b64 s[28:29], s[30:31]
	s_cbranch_execz .LBB173_147
.LBB173_163:
	s_and_b64 vcc, exec, s[0:1]
	s_cbranch_vccnz .LBB173_165
; %bb.164:
	v_lshl_add_u64 v[20:21], v[6:7], 3, v[18:19]
	flat_load_dwordx2 v[20:21], v[20:21]
	s_waitcnt vmcnt(0) lgkmcnt(0)
	v_mul_f64 v[20:21], v[20:21], s[22:23]
	s_branch .LBB173_166
.LBB173_165:
	v_mov_b64_e32 v[20:21], 0
.LBB173_166:
	v_cvt_f32_f64_e32 v20, v[20:21]
	v_max_f32_e32 v21, v118, v118
	v_min_f32_e32 v20, v20, v21
	v_cvt_f64_f32_e32 v[20:21], v20
	v_lshl_add_u64 v[24:25], v[6:7], 3, v[16:17]
	global_store_dwordx2 v[24:25], v[20:21], off
	s_or_b64 exec, exec, s[28:29]
	s_and_b64 s[30:31], s[10:11], s[18:19]
	s_and_saveexec_b64 s[28:29], s[30:31]
	s_cbranch_execz .LBB173_148
.LBB173_167:
	s_and_b64 vcc, exec, s[0:1]
	s_cbranch_vccnz .LBB173_169
; %bb.168:
	v_lshl_add_u64 v[20:21], v[8:9], 3, v[18:19]
	flat_load_dwordx2 v[20:21], v[20:21]
	s_waitcnt vmcnt(0) lgkmcnt(0)
	v_mul_f64 v[20:21], v[20:21], s[22:23]
	s_branch .LBB173_170
.LBB173_169:
	v_mov_b64_e32 v[20:21], 0
.LBB173_170:
	v_cvt_f32_f64_e32 v20, v[20:21]
	v_max_f32_e32 v21, v117, v117
	v_min_f32_e32 v20, v20, v21
	v_cvt_f64_f32_e32 v[20:21], v20
	v_lshl_add_u64 v[24:25], v[8:9], 3, v[16:17]
	global_store_dwordx2 v[24:25], v[20:21], off
	s_or_b64 exec, exec, s[28:29]
	s_and_b64 s[30:31], s[12:13], s[18:19]
	s_and_saveexec_b64 s[28:29], s[30:31]
	s_cbranch_execz .LBB173_149
.LBB173_171:
	s_and_b64 vcc, exec, s[0:1]
	s_cbranch_vccnz .LBB173_173
; %bb.172:
	v_lshl_add_u64 v[20:21], v[10:11], 3, v[18:19]
	flat_load_dwordx2 v[20:21], v[20:21]
	s_waitcnt vmcnt(0) lgkmcnt(0)
	v_mul_f64 v[20:21], v[20:21], s[22:23]
	s_branch .LBB173_174
.LBB173_173:
	v_mov_b64_e32 v[20:21], 0
.LBB173_174:
	v_cvt_f32_f64_e32 v20, v[20:21]
	v_max_f32_e32 v21, v116, v116
	v_min_f32_e32 v20, v20, v21
	v_cvt_f64_f32_e32 v[20:21], v20
	v_lshl_add_u64 v[24:25], v[10:11], 3, v[16:17]
	global_store_dwordx2 v[24:25], v[20:21], off
	s_or_b64 exec, exec, s[28:29]
	s_and_b64 s[30:31], s[14:15], s[18:19]
	s_and_saveexec_b64 s[28:29], s[30:31]
	s_cbranch_execz .LBB173_150
.LBB173_175:
	s_and_b64 vcc, exec, s[0:1]
	s_cbranch_vccnz .LBB173_177
; %bb.176:
	v_lshl_add_u64 v[20:21], v[12:13], 3, v[18:19]
	flat_load_dwordx2 v[20:21], v[20:21]
	s_waitcnt vmcnt(0) lgkmcnt(0)
	v_mul_f64 v[20:21], v[20:21], s[22:23]
	s_branch .LBB173_178
.LBB173_177:
	v_mov_b64_e32 v[20:21], 0
.LBB173_178:
	v_cvt_f32_f64_e32 v20, v[20:21]
	v_max_f32_e32 v21, v115, v115
	v_min_f32_e32 v20, v20, v21
	v_cvt_f64_f32_e32 v[20:21], v20
	v_lshl_add_u64 v[24:25], v[12:13], 3, v[16:17]
	global_store_dwordx2 v[24:25], v[20:21], off
	s_or_b64 exec, exec, s[28:29]
	s_and_b64 s[28:29], s[16:17], s[18:19]
	s_and_saveexec_b64 s[18:19], s[28:29]
	s_cbranch_execz .LBB173_183
.LBB173_179:
	s_and_b64 vcc, exec, s[0:1]
	s_cbranch_vccnz .LBB173_181
; %bb.180:
	v_lshl_add_u64 v[18:19], v[14:15], 3, v[18:19]
	flat_load_dwordx2 v[18:19], v[18:19]
	s_waitcnt vmcnt(0) lgkmcnt(0)
	v_mul_f64 v[18:19], v[18:19], s[22:23]
	s_branch .LBB173_182
.LBB173_181:
	v_mov_b64_e32 v[18:19], 0
.LBB173_182:
	v_cvt_f32_f64_e32 v18, v[18:19]
	v_max_f32_e32 v19, v114, v114
	v_min_f32_e32 v18, v18, v19
	v_cvt_f64_f32_e32 v[18:19], v18
	v_lshl_add_u64 v[16:17], v[14:15], 3, v[16:17]
	global_store_dwordx2 v[16:17], v[18:19], off
.LBB173_183:
	s_or_b64 exec, exec, s[18:19]
	v_add_u32_e32 v20, 0x60, v22
	v_mad_i64_i32 v[16:17], s[28:29], v20, s36, 0
	v_cmp_gt_i32_e64 s[18:19], s25, v20
	v_lshl_add_u64 v[18:19], v[16:17], 3, s[20:21]
	v_mad_i64_i32 v[16:17], s[28:29], v20, s33, 0
	v_lshl_add_u64 v[16:17], v[16:17], 3, s[26:27]
	s_and_b64 s[30:31], s[2:3], s[18:19]
	s_and_saveexec_b64 s[28:29], s[30:31]
	s_cbranch_execnz .LBB173_191
; %bb.184:
	s_or_b64 exec, exec, s[28:29]
	s_and_b64 s[30:31], s[4:5], s[18:19]
	s_and_saveexec_b64 s[28:29], s[30:31]
	s_cbranch_execnz .LBB173_195
.LBB173_185:
	s_or_b64 exec, exec, s[28:29]
	s_and_b64 s[30:31], s[6:7], s[18:19]
	s_and_saveexec_b64 s[28:29], s[30:31]
	s_cbranch_execnz .LBB173_199
.LBB173_186:
	s_or_b64 exec, exec, s[28:29]
	s_and_b64 s[30:31], s[8:9], s[18:19]
	s_and_saveexec_b64 s[28:29], s[30:31]
	s_cbranch_execnz .LBB173_203
.LBB173_187:
	s_or_b64 exec, exec, s[28:29]
	s_and_b64 s[30:31], s[10:11], s[18:19]
	s_and_saveexec_b64 s[28:29], s[30:31]
	s_cbranch_execnz .LBB173_207
.LBB173_188:
	s_or_b64 exec, exec, s[28:29]
	s_and_b64 s[30:31], s[12:13], s[18:19]
	s_and_saveexec_b64 s[28:29], s[30:31]
	s_cbranch_execnz .LBB173_211
.LBB173_189:
	s_or_b64 exec, exec, s[28:29]
	s_and_b64 s[30:31], s[14:15], s[18:19]
	s_and_saveexec_b64 s[28:29], s[30:31]
	s_cbranch_execnz .LBB173_215
.LBB173_190:
	s_or_b64 exec, exec, s[28:29]
	s_and_b64 s[28:29], s[16:17], s[18:19]
	s_and_saveexec_b64 s[18:19], s[28:29]
	s_cbranch_execnz .LBB173_219
	s_branch .LBB173_223
.LBB173_191:
	s_and_b64 vcc, exec, s[0:1]
	s_cbranch_vccnz .LBB173_193
; %bb.192:
	v_lshl_add_u64 v[20:21], v[0:1], 3, v[18:19]
	flat_load_dwordx2 v[20:21], v[20:21]
	s_waitcnt vmcnt(0) lgkmcnt(0)
	v_mul_f64 v[20:21], v[20:21], s[22:23]
	s_branch .LBB173_194
.LBB173_193:
	v_mov_b64_e32 v[20:21], 0
.LBB173_194:
	v_cvt_f32_f64_e32 v20, v[20:21]
	v_max_f32_e32 v21, v113, v113
	v_min_f32_e32 v20, v20, v21
	v_cvt_f64_f32_e32 v[20:21], v20
	v_lshl_add_u64 v[24:25], v[0:1], 3, v[16:17]
	global_store_dwordx2 v[24:25], v[20:21], off
	s_or_b64 exec, exec, s[28:29]
	s_and_b64 s[30:31], s[4:5], s[18:19]
	s_and_saveexec_b64 s[28:29], s[30:31]
	s_cbranch_execz .LBB173_185
.LBB173_195:
	s_and_b64 vcc, exec, s[0:1]
	s_cbranch_vccnz .LBB173_197
; %bb.196:
	v_lshl_add_u64 v[20:21], v[2:3], 3, v[18:19]
	flat_load_dwordx2 v[20:21], v[20:21]
	s_waitcnt vmcnt(0) lgkmcnt(0)
	v_mul_f64 v[20:21], v[20:21], s[22:23]
	s_branch .LBB173_198
.LBB173_197:
	v_mov_b64_e32 v[20:21], 0
.LBB173_198:
	v_cvt_f32_f64_e32 v20, v[20:21]
	v_max_f32_e32 v21, v112, v112
	v_min_f32_e32 v20, v20, v21
	v_cvt_f64_f32_e32 v[20:21], v20
	v_lshl_add_u64 v[24:25], v[2:3], 3, v[16:17]
	global_store_dwordx2 v[24:25], v[20:21], off
	s_or_b64 exec, exec, s[28:29]
	s_and_b64 s[30:31], s[6:7], s[18:19]
	s_and_saveexec_b64 s[28:29], s[30:31]
	s_cbranch_execz .LBB173_186
.LBB173_199:
	s_and_b64 vcc, exec, s[0:1]
	s_cbranch_vccnz .LBB173_201
; %bb.200:
	v_lshl_add_u64 v[20:21], v[4:5], 3, v[18:19]
	flat_load_dwordx2 v[20:21], v[20:21]
	s_waitcnt vmcnt(0) lgkmcnt(0)
	v_mul_f64 v[20:21], v[20:21], s[22:23]
	s_branch .LBB173_202
.LBB173_201:
	v_mov_b64_e32 v[20:21], 0
.LBB173_202:
	v_cvt_f32_f64_e32 v20, v[20:21]
	v_max_f32_e32 v21, v111, v111
	v_min_f32_e32 v20, v20, v21
	v_cvt_f64_f32_e32 v[20:21], v20
	v_lshl_add_u64 v[24:25], v[4:5], 3, v[16:17]
	global_store_dwordx2 v[24:25], v[20:21], off
	s_or_b64 exec, exec, s[28:29]
	s_and_b64 s[30:31], s[8:9], s[18:19]
	s_and_saveexec_b64 s[28:29], s[30:31]
	s_cbranch_execz .LBB173_187
.LBB173_203:
	s_and_b64 vcc, exec, s[0:1]
	s_cbranch_vccnz .LBB173_205
; %bb.204:
	v_lshl_add_u64 v[20:21], v[6:7], 3, v[18:19]
	flat_load_dwordx2 v[20:21], v[20:21]
	s_waitcnt vmcnt(0) lgkmcnt(0)
	v_mul_f64 v[20:21], v[20:21], s[22:23]
	s_branch .LBB173_206
.LBB173_205:
	v_mov_b64_e32 v[20:21], 0
.LBB173_206:
	v_cvt_f32_f64_e32 v20, v[20:21]
	v_max_f32_e32 v21, v110, v110
	v_min_f32_e32 v20, v20, v21
	v_cvt_f64_f32_e32 v[20:21], v20
	v_lshl_add_u64 v[24:25], v[6:7], 3, v[16:17]
	global_store_dwordx2 v[24:25], v[20:21], off
	s_or_b64 exec, exec, s[28:29]
	s_and_b64 s[30:31], s[10:11], s[18:19]
	s_and_saveexec_b64 s[28:29], s[30:31]
	s_cbranch_execz .LBB173_188
.LBB173_207:
	s_and_b64 vcc, exec, s[0:1]
	s_cbranch_vccnz .LBB173_209
; %bb.208:
	v_lshl_add_u64 v[20:21], v[8:9], 3, v[18:19]
	flat_load_dwordx2 v[20:21], v[20:21]
	s_waitcnt vmcnt(0) lgkmcnt(0)
	v_mul_f64 v[20:21], v[20:21], s[22:23]
	s_branch .LBB173_210
.LBB173_209:
	v_mov_b64_e32 v[20:21], 0
.LBB173_210:
	v_cvt_f32_f64_e32 v20, v[20:21]
	v_max_f32_e32 v21, v109, v109
	v_min_f32_e32 v20, v20, v21
	v_cvt_f64_f32_e32 v[20:21], v20
	v_lshl_add_u64 v[24:25], v[8:9], 3, v[16:17]
	global_store_dwordx2 v[24:25], v[20:21], off
	s_or_b64 exec, exec, s[28:29]
	s_and_b64 s[30:31], s[12:13], s[18:19]
	s_and_saveexec_b64 s[28:29], s[30:31]
	s_cbranch_execz .LBB173_189
.LBB173_211:
	s_and_b64 vcc, exec, s[0:1]
	s_cbranch_vccnz .LBB173_213
; %bb.212:
	v_lshl_add_u64 v[20:21], v[10:11], 3, v[18:19]
	flat_load_dwordx2 v[20:21], v[20:21]
	s_waitcnt vmcnt(0) lgkmcnt(0)
	v_mul_f64 v[20:21], v[20:21], s[22:23]
	s_branch .LBB173_214
.LBB173_213:
	v_mov_b64_e32 v[20:21], 0
.LBB173_214:
	v_cvt_f32_f64_e32 v20, v[20:21]
	v_max_f32_e32 v21, v108, v108
	v_min_f32_e32 v20, v20, v21
	v_cvt_f64_f32_e32 v[20:21], v20
	v_lshl_add_u64 v[24:25], v[10:11], 3, v[16:17]
	global_store_dwordx2 v[24:25], v[20:21], off
	s_or_b64 exec, exec, s[28:29]
	s_and_b64 s[30:31], s[14:15], s[18:19]
	s_and_saveexec_b64 s[28:29], s[30:31]
	s_cbranch_execz .LBB173_190
.LBB173_215:
	s_and_b64 vcc, exec, s[0:1]
	s_cbranch_vccnz .LBB173_217
; %bb.216:
	v_lshl_add_u64 v[20:21], v[12:13], 3, v[18:19]
	flat_load_dwordx2 v[20:21], v[20:21]
	s_waitcnt vmcnt(0) lgkmcnt(0)
	v_mul_f64 v[20:21], v[20:21], s[22:23]
	s_branch .LBB173_218
.LBB173_217:
	v_mov_b64_e32 v[20:21], 0
.LBB173_218:
	v_cvt_f32_f64_e32 v20, v[20:21]
	v_max_f32_e32 v21, v107, v107
	v_min_f32_e32 v20, v20, v21
	v_cvt_f64_f32_e32 v[20:21], v20
	v_lshl_add_u64 v[24:25], v[12:13], 3, v[16:17]
	global_store_dwordx2 v[24:25], v[20:21], off
	s_or_b64 exec, exec, s[28:29]
	s_and_b64 s[28:29], s[16:17], s[18:19]
	s_and_saveexec_b64 s[18:19], s[28:29]
	s_cbranch_execz .LBB173_223
.LBB173_219:
	s_and_b64 vcc, exec, s[0:1]
	s_cbranch_vccnz .LBB173_221
; %bb.220:
	v_lshl_add_u64 v[18:19], v[14:15], 3, v[18:19]
	flat_load_dwordx2 v[18:19], v[18:19]
	s_waitcnt vmcnt(0) lgkmcnt(0)
	v_mul_f64 v[18:19], v[18:19], s[22:23]
	s_branch .LBB173_222
.LBB173_221:
	v_mov_b64_e32 v[18:19], 0
.LBB173_222:
	v_cvt_f32_f64_e32 v18, v[18:19]
	v_max_f32_e32 v19, v106, v106
	v_min_f32_e32 v18, v18, v19
	v_cvt_f64_f32_e32 v[18:19], v18
	v_lshl_add_u64 v[16:17], v[14:15], 3, v[16:17]
	global_store_dwordx2 v[16:17], v[18:19], off
.LBB173_223:
	s_or_b64 exec, exec, s[18:19]
	v_add_u32_e32 v20, 0x80, v22
	v_mad_i64_i32 v[16:17], s[28:29], v20, s36, 0
	v_cmp_gt_i32_e64 s[18:19], s25, v20
	v_lshl_add_u64 v[18:19], v[16:17], 3, s[20:21]
	v_mad_i64_i32 v[16:17], s[28:29], v20, s33, 0
	v_lshl_add_u64 v[16:17], v[16:17], 3, s[26:27]
	s_and_b64 s[30:31], s[2:3], s[18:19]
	s_and_saveexec_b64 s[28:29], s[30:31]
	s_cbranch_execnz .LBB173_231
; %bb.224:
	s_or_b64 exec, exec, s[28:29]
	s_and_b64 s[30:31], s[4:5], s[18:19]
	s_and_saveexec_b64 s[28:29], s[30:31]
	s_cbranch_execnz .LBB173_235
.LBB173_225:
	s_or_b64 exec, exec, s[28:29]
	s_and_b64 s[30:31], s[6:7], s[18:19]
	s_and_saveexec_b64 s[28:29], s[30:31]
	s_cbranch_execnz .LBB173_239
.LBB173_226:
	s_or_b64 exec, exec, s[28:29]
	s_and_b64 s[30:31], s[8:9], s[18:19]
	s_and_saveexec_b64 s[28:29], s[30:31]
	s_cbranch_execnz .LBB173_243
.LBB173_227:
	s_or_b64 exec, exec, s[28:29]
	s_and_b64 s[30:31], s[10:11], s[18:19]
	s_and_saveexec_b64 s[28:29], s[30:31]
	s_cbranch_execnz .LBB173_247
.LBB173_228:
	s_or_b64 exec, exec, s[28:29]
	s_and_b64 s[30:31], s[12:13], s[18:19]
	s_and_saveexec_b64 s[28:29], s[30:31]
	s_cbranch_execnz .LBB173_251
.LBB173_229:
	s_or_b64 exec, exec, s[28:29]
	s_and_b64 s[30:31], s[14:15], s[18:19]
	s_and_saveexec_b64 s[28:29], s[30:31]
	s_cbranch_execnz .LBB173_255
.LBB173_230:
	s_or_b64 exec, exec, s[28:29]
	s_and_b64 s[28:29], s[16:17], s[18:19]
	s_and_saveexec_b64 s[18:19], s[28:29]
	s_cbranch_execnz .LBB173_259
	s_branch .LBB173_263
.LBB173_231:
	s_and_b64 vcc, exec, s[0:1]
	s_cbranch_vccnz .LBB173_233
; %bb.232:
	v_lshl_add_u64 v[20:21], v[0:1], 3, v[18:19]
	flat_load_dwordx2 v[20:21], v[20:21]
	s_waitcnt vmcnt(0) lgkmcnt(0)
	v_mul_f64 v[20:21], v[20:21], s[22:23]
	s_branch .LBB173_234
.LBB173_233:
	v_mov_b64_e32 v[20:21], 0
.LBB173_234:
	v_cvt_f32_f64_e32 v20, v[20:21]
	v_max_f32_e32 v21, v105, v105
	v_min_f32_e32 v20, v20, v21
	v_cvt_f64_f32_e32 v[20:21], v20
	v_lshl_add_u64 v[24:25], v[0:1], 3, v[16:17]
	global_store_dwordx2 v[24:25], v[20:21], off
	s_or_b64 exec, exec, s[28:29]
	s_and_b64 s[30:31], s[4:5], s[18:19]
	s_and_saveexec_b64 s[28:29], s[30:31]
	s_cbranch_execz .LBB173_225
.LBB173_235:
	s_and_b64 vcc, exec, s[0:1]
	s_cbranch_vccnz .LBB173_237
; %bb.236:
	v_lshl_add_u64 v[20:21], v[2:3], 3, v[18:19]
	flat_load_dwordx2 v[20:21], v[20:21]
	s_waitcnt vmcnt(0) lgkmcnt(0)
	v_mul_f64 v[20:21], v[20:21], s[22:23]
	s_branch .LBB173_238
.LBB173_237:
	v_mov_b64_e32 v[20:21], 0
.LBB173_238:
	v_cvt_f32_f64_e32 v20, v[20:21]
	v_max_f32_e32 v21, v104, v104
	v_min_f32_e32 v20, v20, v21
	v_cvt_f64_f32_e32 v[20:21], v20
	v_lshl_add_u64 v[24:25], v[2:3], 3, v[16:17]
	global_store_dwordx2 v[24:25], v[20:21], off
	s_or_b64 exec, exec, s[28:29]
	s_and_b64 s[30:31], s[6:7], s[18:19]
	s_and_saveexec_b64 s[28:29], s[30:31]
	s_cbranch_execz .LBB173_226
.LBB173_239:
	s_and_b64 vcc, exec, s[0:1]
	s_cbranch_vccnz .LBB173_241
; %bb.240:
	v_lshl_add_u64 v[20:21], v[4:5], 3, v[18:19]
	flat_load_dwordx2 v[20:21], v[20:21]
	s_waitcnt vmcnt(0) lgkmcnt(0)
	v_mul_f64 v[20:21], v[20:21], s[22:23]
	s_branch .LBB173_242
.LBB173_241:
	v_mov_b64_e32 v[20:21], 0
.LBB173_242:
	v_cvt_f32_f64_e32 v20, v[20:21]
	v_max_f32_e32 v21, v103, v103
	v_min_f32_e32 v20, v20, v21
	v_cvt_f64_f32_e32 v[20:21], v20
	v_lshl_add_u64 v[24:25], v[4:5], 3, v[16:17]
	global_store_dwordx2 v[24:25], v[20:21], off
	s_or_b64 exec, exec, s[28:29]
	s_and_b64 s[30:31], s[8:9], s[18:19]
	s_and_saveexec_b64 s[28:29], s[30:31]
	s_cbranch_execz .LBB173_227
.LBB173_243:
	s_and_b64 vcc, exec, s[0:1]
	s_cbranch_vccnz .LBB173_245
; %bb.244:
	v_lshl_add_u64 v[20:21], v[6:7], 3, v[18:19]
	flat_load_dwordx2 v[20:21], v[20:21]
	s_waitcnt vmcnt(0) lgkmcnt(0)
	v_mul_f64 v[20:21], v[20:21], s[22:23]
	s_branch .LBB173_246
.LBB173_245:
	v_mov_b64_e32 v[20:21], 0
.LBB173_246:
	v_cvt_f32_f64_e32 v20, v[20:21]
	v_max_f32_e32 v21, v102, v102
	v_min_f32_e32 v20, v20, v21
	v_cvt_f64_f32_e32 v[20:21], v20
	v_lshl_add_u64 v[24:25], v[6:7], 3, v[16:17]
	global_store_dwordx2 v[24:25], v[20:21], off
	s_or_b64 exec, exec, s[28:29]
	s_and_b64 s[30:31], s[10:11], s[18:19]
	s_and_saveexec_b64 s[28:29], s[30:31]
	s_cbranch_execz .LBB173_228
.LBB173_247:
	s_and_b64 vcc, exec, s[0:1]
	s_cbranch_vccnz .LBB173_249
; %bb.248:
	v_lshl_add_u64 v[20:21], v[8:9], 3, v[18:19]
	flat_load_dwordx2 v[20:21], v[20:21]
	s_waitcnt vmcnt(0) lgkmcnt(0)
	v_mul_f64 v[20:21], v[20:21], s[22:23]
	s_branch .LBB173_250
.LBB173_249:
	v_mov_b64_e32 v[20:21], 0
.LBB173_250:
	v_cvt_f32_f64_e32 v20, v[20:21]
	v_max_f32_e32 v21, v101, v101
	v_min_f32_e32 v20, v20, v21
	v_cvt_f64_f32_e32 v[20:21], v20
	v_lshl_add_u64 v[24:25], v[8:9], 3, v[16:17]
	global_store_dwordx2 v[24:25], v[20:21], off
	s_or_b64 exec, exec, s[28:29]
	s_and_b64 s[30:31], s[12:13], s[18:19]
	s_and_saveexec_b64 s[28:29], s[30:31]
	s_cbranch_execz .LBB173_229
.LBB173_251:
	s_and_b64 vcc, exec, s[0:1]
	s_cbranch_vccnz .LBB173_253
; %bb.252:
	v_lshl_add_u64 v[20:21], v[10:11], 3, v[18:19]
	flat_load_dwordx2 v[20:21], v[20:21]
	s_waitcnt vmcnt(0) lgkmcnt(0)
	v_mul_f64 v[20:21], v[20:21], s[22:23]
	s_branch .LBB173_254
.LBB173_253:
	v_mov_b64_e32 v[20:21], 0
.LBB173_254:
	v_cvt_f32_f64_e32 v20, v[20:21]
	v_max_f32_e32 v21, v100, v100
	v_min_f32_e32 v20, v20, v21
	v_cvt_f64_f32_e32 v[20:21], v20
	v_lshl_add_u64 v[24:25], v[10:11], 3, v[16:17]
	global_store_dwordx2 v[24:25], v[20:21], off
	s_or_b64 exec, exec, s[28:29]
	s_and_b64 s[30:31], s[14:15], s[18:19]
	s_and_saveexec_b64 s[28:29], s[30:31]
	s_cbranch_execz .LBB173_230
.LBB173_255:
	s_and_b64 vcc, exec, s[0:1]
	s_cbranch_vccnz .LBB173_257
; %bb.256:
	v_lshl_add_u64 v[20:21], v[12:13], 3, v[18:19]
	flat_load_dwordx2 v[20:21], v[20:21]
	s_waitcnt vmcnt(0) lgkmcnt(0)
	v_mul_f64 v[20:21], v[20:21], s[22:23]
	s_branch .LBB173_258
.LBB173_257:
	v_mov_b64_e32 v[20:21], 0
.LBB173_258:
	v_cvt_f32_f64_e32 v20, v[20:21]
	v_max_f32_e32 v21, v99, v99
	v_min_f32_e32 v20, v20, v21
	v_cvt_f64_f32_e32 v[20:21], v20
	v_lshl_add_u64 v[24:25], v[12:13], 3, v[16:17]
	global_store_dwordx2 v[24:25], v[20:21], off
	s_or_b64 exec, exec, s[28:29]
	s_and_b64 s[28:29], s[16:17], s[18:19]
	s_and_saveexec_b64 s[18:19], s[28:29]
	s_cbranch_execz .LBB173_263
.LBB173_259:
	s_and_b64 vcc, exec, s[0:1]
	s_cbranch_vccnz .LBB173_261
; %bb.260:
	v_lshl_add_u64 v[18:19], v[14:15], 3, v[18:19]
	flat_load_dwordx2 v[18:19], v[18:19]
	s_waitcnt vmcnt(0) lgkmcnt(0)
	v_mul_f64 v[18:19], v[18:19], s[22:23]
	s_branch .LBB173_262
.LBB173_261:
	v_mov_b64_e32 v[18:19], 0
.LBB173_262:
	v_cvt_f32_f64_e32 v18, v[18:19]
	v_max_f32_e32 v19, v98, v98
	v_min_f32_e32 v18, v18, v19
	v_cvt_f64_f32_e32 v[18:19], v18
	v_lshl_add_u64 v[16:17], v[14:15], 3, v[16:17]
	global_store_dwordx2 v[16:17], v[18:19], off
.LBB173_263:
	s_or_b64 exec, exec, s[18:19]
	v_add_u32_e32 v20, 0xa0, v22
	v_mad_i64_i32 v[16:17], s[28:29], v20, s36, 0
	v_cmp_gt_i32_e64 s[18:19], s25, v20
	v_lshl_add_u64 v[18:19], v[16:17], 3, s[20:21]
	v_mad_i64_i32 v[16:17], s[28:29], v20, s33, 0
	v_lshl_add_u64 v[16:17], v[16:17], 3, s[26:27]
	s_and_b64 s[30:31], s[2:3], s[18:19]
	s_and_saveexec_b64 s[28:29], s[30:31]
	s_cbranch_execnz .LBB173_271
; %bb.264:
	s_or_b64 exec, exec, s[28:29]
	s_and_b64 s[30:31], s[4:5], s[18:19]
	s_and_saveexec_b64 s[28:29], s[30:31]
	s_cbranch_execnz .LBB173_275
.LBB173_265:
	s_or_b64 exec, exec, s[28:29]
	s_and_b64 s[30:31], s[6:7], s[18:19]
	s_and_saveexec_b64 s[28:29], s[30:31]
	s_cbranch_execnz .LBB173_279
.LBB173_266:
	s_or_b64 exec, exec, s[28:29]
	s_and_b64 s[30:31], s[8:9], s[18:19]
	s_and_saveexec_b64 s[28:29], s[30:31]
	s_cbranch_execnz .LBB173_283
.LBB173_267:
	s_or_b64 exec, exec, s[28:29]
	s_and_b64 s[30:31], s[10:11], s[18:19]
	s_and_saveexec_b64 s[28:29], s[30:31]
	s_cbranch_execnz .LBB173_287
.LBB173_268:
	s_or_b64 exec, exec, s[28:29]
	s_and_b64 s[30:31], s[12:13], s[18:19]
	s_and_saveexec_b64 s[28:29], s[30:31]
	s_cbranch_execnz .LBB173_291
.LBB173_269:
	s_or_b64 exec, exec, s[28:29]
	s_and_b64 s[30:31], s[14:15], s[18:19]
	s_and_saveexec_b64 s[28:29], s[30:31]
	s_cbranch_execnz .LBB173_295
.LBB173_270:
	s_or_b64 exec, exec, s[28:29]
	s_and_b64 s[28:29], s[16:17], s[18:19]
	s_and_saveexec_b64 s[18:19], s[28:29]
	s_cbranch_execnz .LBB173_299
	s_branch .LBB173_303
.LBB173_271:
	s_and_b64 vcc, exec, s[0:1]
	s_cbranch_vccnz .LBB173_273
; %bb.272:
	v_lshl_add_u64 v[20:21], v[0:1], 3, v[18:19]
	flat_load_dwordx2 v[20:21], v[20:21]
	s_waitcnt vmcnt(0) lgkmcnt(0)
	v_mul_f64 v[20:21], v[20:21], s[22:23]
	s_branch .LBB173_274
.LBB173_273:
	v_mov_b64_e32 v[20:21], 0
.LBB173_274:
	v_cvt_f32_f64_e32 v20, v[20:21]
	v_max_f32_e32 v21, v97, v97
	v_min_f32_e32 v20, v20, v21
	v_cvt_f64_f32_e32 v[20:21], v20
	v_lshl_add_u64 v[24:25], v[0:1], 3, v[16:17]
	global_store_dwordx2 v[24:25], v[20:21], off
	s_or_b64 exec, exec, s[28:29]
	s_and_b64 s[30:31], s[4:5], s[18:19]
	s_and_saveexec_b64 s[28:29], s[30:31]
	s_cbranch_execz .LBB173_265
.LBB173_275:
	s_and_b64 vcc, exec, s[0:1]
	s_cbranch_vccnz .LBB173_277
; %bb.276:
	v_lshl_add_u64 v[20:21], v[2:3], 3, v[18:19]
	flat_load_dwordx2 v[20:21], v[20:21]
	s_waitcnt vmcnt(0) lgkmcnt(0)
	v_mul_f64 v[20:21], v[20:21], s[22:23]
	s_branch .LBB173_278
.LBB173_277:
	v_mov_b64_e32 v[20:21], 0
.LBB173_278:
	v_cvt_f32_f64_e32 v20, v[20:21]
	v_max_f32_e32 v21, v96, v96
	v_min_f32_e32 v20, v20, v21
	v_cvt_f64_f32_e32 v[20:21], v20
	v_lshl_add_u64 v[24:25], v[2:3], 3, v[16:17]
	global_store_dwordx2 v[24:25], v[20:21], off
	s_or_b64 exec, exec, s[28:29]
	s_and_b64 s[30:31], s[6:7], s[18:19]
	s_and_saveexec_b64 s[28:29], s[30:31]
	s_cbranch_execz .LBB173_266
.LBB173_279:
	s_and_b64 vcc, exec, s[0:1]
	s_cbranch_vccnz .LBB173_281
; %bb.280:
	v_lshl_add_u64 v[20:21], v[4:5], 3, v[18:19]
	flat_load_dwordx2 v[20:21], v[20:21]
	s_waitcnt vmcnt(0) lgkmcnt(0)
	v_mul_f64 v[20:21], v[20:21], s[22:23]
	s_branch .LBB173_282
.LBB173_281:
	v_mov_b64_e32 v[20:21], 0
.LBB173_282:
	v_cvt_f32_f64_e32 v20, v[20:21]
	v_max_f32_e32 v21, v95, v95
	v_min_f32_e32 v20, v20, v21
	v_cvt_f64_f32_e32 v[20:21], v20
	v_lshl_add_u64 v[24:25], v[4:5], 3, v[16:17]
	global_store_dwordx2 v[24:25], v[20:21], off
	s_or_b64 exec, exec, s[28:29]
	s_and_b64 s[30:31], s[8:9], s[18:19]
	s_and_saveexec_b64 s[28:29], s[30:31]
	s_cbranch_execz .LBB173_267
.LBB173_283:
	s_and_b64 vcc, exec, s[0:1]
	s_cbranch_vccnz .LBB173_285
; %bb.284:
	v_lshl_add_u64 v[20:21], v[6:7], 3, v[18:19]
	flat_load_dwordx2 v[20:21], v[20:21]
	s_waitcnt vmcnt(0) lgkmcnt(0)
	v_mul_f64 v[20:21], v[20:21], s[22:23]
	s_branch .LBB173_286
.LBB173_285:
	v_mov_b64_e32 v[20:21], 0
.LBB173_286:
	v_cvt_f32_f64_e32 v20, v[20:21]
	v_max_f32_e32 v21, v94, v94
	v_min_f32_e32 v20, v20, v21
	v_cvt_f64_f32_e32 v[20:21], v20
	v_lshl_add_u64 v[24:25], v[6:7], 3, v[16:17]
	global_store_dwordx2 v[24:25], v[20:21], off
	s_or_b64 exec, exec, s[28:29]
	s_and_b64 s[30:31], s[10:11], s[18:19]
	s_and_saveexec_b64 s[28:29], s[30:31]
	s_cbranch_execz .LBB173_268
.LBB173_287:
	s_and_b64 vcc, exec, s[0:1]
	s_cbranch_vccnz .LBB173_289
; %bb.288:
	v_lshl_add_u64 v[20:21], v[8:9], 3, v[18:19]
	flat_load_dwordx2 v[20:21], v[20:21]
	s_waitcnt vmcnt(0) lgkmcnt(0)
	v_mul_f64 v[20:21], v[20:21], s[22:23]
	s_branch .LBB173_290
.LBB173_289:
	v_mov_b64_e32 v[20:21], 0
.LBB173_290:
	v_cvt_f32_f64_e32 v20, v[20:21]
	v_max_f32_e32 v21, v93, v93
	v_min_f32_e32 v20, v20, v21
	v_cvt_f64_f32_e32 v[20:21], v20
	v_lshl_add_u64 v[24:25], v[8:9], 3, v[16:17]
	global_store_dwordx2 v[24:25], v[20:21], off
	s_or_b64 exec, exec, s[28:29]
	s_and_b64 s[30:31], s[12:13], s[18:19]
	s_and_saveexec_b64 s[28:29], s[30:31]
	s_cbranch_execz .LBB173_269
.LBB173_291:
	s_and_b64 vcc, exec, s[0:1]
	s_cbranch_vccnz .LBB173_293
; %bb.292:
	v_lshl_add_u64 v[20:21], v[10:11], 3, v[18:19]
	flat_load_dwordx2 v[20:21], v[20:21]
	s_waitcnt vmcnt(0) lgkmcnt(0)
	v_mul_f64 v[20:21], v[20:21], s[22:23]
	s_branch .LBB173_294
.LBB173_293:
	v_mov_b64_e32 v[20:21], 0
.LBB173_294:
	v_cvt_f32_f64_e32 v20, v[20:21]
	v_max_f32_e32 v21, v92, v92
	v_min_f32_e32 v20, v20, v21
	v_cvt_f64_f32_e32 v[20:21], v20
	v_lshl_add_u64 v[24:25], v[10:11], 3, v[16:17]
	global_store_dwordx2 v[24:25], v[20:21], off
	s_or_b64 exec, exec, s[28:29]
	s_and_b64 s[30:31], s[14:15], s[18:19]
	s_and_saveexec_b64 s[28:29], s[30:31]
	s_cbranch_execz .LBB173_270
.LBB173_295:
	s_and_b64 vcc, exec, s[0:1]
	s_cbranch_vccnz .LBB173_297
; %bb.296:
	v_lshl_add_u64 v[20:21], v[12:13], 3, v[18:19]
	flat_load_dwordx2 v[20:21], v[20:21]
	s_waitcnt vmcnt(0) lgkmcnt(0)
	v_mul_f64 v[20:21], v[20:21], s[22:23]
	s_branch .LBB173_298
.LBB173_297:
	v_mov_b64_e32 v[20:21], 0
.LBB173_298:
	v_cvt_f32_f64_e32 v20, v[20:21]
	v_max_f32_e32 v21, v91, v91
	v_min_f32_e32 v20, v20, v21
	v_cvt_f64_f32_e32 v[20:21], v20
	v_lshl_add_u64 v[24:25], v[12:13], 3, v[16:17]
	global_store_dwordx2 v[24:25], v[20:21], off
	s_or_b64 exec, exec, s[28:29]
	s_and_b64 s[28:29], s[16:17], s[18:19]
	s_and_saveexec_b64 s[18:19], s[28:29]
	s_cbranch_execz .LBB173_303
.LBB173_299:
	s_and_b64 vcc, exec, s[0:1]
	s_cbranch_vccnz .LBB173_301
; %bb.300:
	v_lshl_add_u64 v[18:19], v[14:15], 3, v[18:19]
	flat_load_dwordx2 v[18:19], v[18:19]
	s_waitcnt vmcnt(0) lgkmcnt(0)
	v_mul_f64 v[18:19], v[18:19], s[22:23]
	s_branch .LBB173_302
.LBB173_301:
	v_mov_b64_e32 v[18:19], 0
.LBB173_302:
	v_cvt_f32_f64_e32 v18, v[18:19]
	v_max_f32_e32 v19, v90, v90
	v_min_f32_e32 v18, v18, v19
	v_cvt_f64_f32_e32 v[18:19], v18
	v_lshl_add_u64 v[16:17], v[14:15], 3, v[16:17]
	global_store_dwordx2 v[16:17], v[18:19], off
.LBB173_303:
	s_or_b64 exec, exec, s[18:19]
	v_add_u32_e32 v20, 0xc0, v22
	v_mad_i64_i32 v[16:17], s[28:29], v20, s36, 0
	v_cmp_gt_i32_e64 s[18:19], s25, v20
	v_lshl_add_u64 v[18:19], v[16:17], 3, s[20:21]
	v_mad_i64_i32 v[16:17], s[28:29], v20, s33, 0
	v_lshl_add_u64 v[16:17], v[16:17], 3, s[26:27]
	s_and_b64 s[30:31], s[2:3], s[18:19]
	s_and_saveexec_b64 s[28:29], s[30:31]
	s_cbranch_execnz .LBB173_311
; %bb.304:
	s_or_b64 exec, exec, s[28:29]
	s_and_b64 s[30:31], s[4:5], s[18:19]
	s_and_saveexec_b64 s[28:29], s[30:31]
	s_cbranch_execnz .LBB173_315
.LBB173_305:
	s_or_b64 exec, exec, s[28:29]
	s_and_b64 s[30:31], s[6:7], s[18:19]
	s_and_saveexec_b64 s[28:29], s[30:31]
	s_cbranch_execnz .LBB173_319
.LBB173_306:
	s_or_b64 exec, exec, s[28:29]
	s_and_b64 s[30:31], s[8:9], s[18:19]
	s_and_saveexec_b64 s[28:29], s[30:31]
	s_cbranch_execnz .LBB173_323
.LBB173_307:
	s_or_b64 exec, exec, s[28:29]
	s_and_b64 s[30:31], s[10:11], s[18:19]
	s_and_saveexec_b64 s[28:29], s[30:31]
	s_cbranch_execnz .LBB173_327
.LBB173_308:
	s_or_b64 exec, exec, s[28:29]
	s_and_b64 s[30:31], s[12:13], s[18:19]
	s_and_saveexec_b64 s[28:29], s[30:31]
	s_cbranch_execnz .LBB173_331
.LBB173_309:
	s_or_b64 exec, exec, s[28:29]
	s_and_b64 s[30:31], s[14:15], s[18:19]
	s_and_saveexec_b64 s[28:29], s[30:31]
	s_cbranch_execnz .LBB173_335
.LBB173_310:
	s_or_b64 exec, exec, s[28:29]
	s_and_b64 s[28:29], s[16:17], s[18:19]
	s_and_saveexec_b64 s[18:19], s[28:29]
	s_cbranch_execnz .LBB173_339
	s_branch .LBB173_343
.LBB173_311:
	s_and_b64 vcc, exec, s[0:1]
	s_cbranch_vccnz .LBB173_313
; %bb.312:
	v_lshl_add_u64 v[20:21], v[0:1], 3, v[18:19]
	flat_load_dwordx2 v[20:21], v[20:21]
	s_waitcnt vmcnt(0) lgkmcnt(0)
	v_mul_f64 v[20:21], v[20:21], s[22:23]
	s_branch .LBB173_314
.LBB173_313:
	v_mov_b64_e32 v[20:21], 0
.LBB173_314:
	v_cvt_f32_f64_e32 v20, v[20:21]
	v_max_f32_e32 v21, v89, v89
	v_min_f32_e32 v20, v20, v21
	v_cvt_f64_f32_e32 v[20:21], v20
	v_lshl_add_u64 v[24:25], v[0:1], 3, v[16:17]
	global_store_dwordx2 v[24:25], v[20:21], off
	s_or_b64 exec, exec, s[28:29]
	s_and_b64 s[30:31], s[4:5], s[18:19]
	s_and_saveexec_b64 s[28:29], s[30:31]
	s_cbranch_execz .LBB173_305
.LBB173_315:
	s_and_b64 vcc, exec, s[0:1]
	s_cbranch_vccnz .LBB173_317
; %bb.316:
	v_lshl_add_u64 v[20:21], v[2:3], 3, v[18:19]
	flat_load_dwordx2 v[20:21], v[20:21]
	s_waitcnt vmcnt(0) lgkmcnt(0)
	v_mul_f64 v[20:21], v[20:21], s[22:23]
	s_branch .LBB173_318
.LBB173_317:
	v_mov_b64_e32 v[20:21], 0
.LBB173_318:
	v_cvt_f32_f64_e32 v20, v[20:21]
	v_max_f32_e32 v21, v88, v88
	v_min_f32_e32 v20, v20, v21
	v_cvt_f64_f32_e32 v[20:21], v20
	v_lshl_add_u64 v[24:25], v[2:3], 3, v[16:17]
	global_store_dwordx2 v[24:25], v[20:21], off
	s_or_b64 exec, exec, s[28:29]
	s_and_b64 s[30:31], s[6:7], s[18:19]
	s_and_saveexec_b64 s[28:29], s[30:31]
	s_cbranch_execz .LBB173_306
.LBB173_319:
	s_and_b64 vcc, exec, s[0:1]
	s_cbranch_vccnz .LBB173_321
; %bb.320:
	v_lshl_add_u64 v[20:21], v[4:5], 3, v[18:19]
	flat_load_dwordx2 v[20:21], v[20:21]
	s_waitcnt vmcnt(0) lgkmcnt(0)
	v_mul_f64 v[20:21], v[20:21], s[22:23]
	s_branch .LBB173_322
.LBB173_321:
	v_mov_b64_e32 v[20:21], 0
.LBB173_322:
	v_cvt_f32_f64_e32 v20, v[20:21]
	v_max_f32_e32 v21, v87, v87
	v_min_f32_e32 v20, v20, v21
	v_cvt_f64_f32_e32 v[20:21], v20
	v_lshl_add_u64 v[24:25], v[4:5], 3, v[16:17]
	global_store_dwordx2 v[24:25], v[20:21], off
	s_or_b64 exec, exec, s[28:29]
	s_and_b64 s[30:31], s[8:9], s[18:19]
	s_and_saveexec_b64 s[28:29], s[30:31]
	s_cbranch_execz .LBB173_307
.LBB173_323:
	s_and_b64 vcc, exec, s[0:1]
	s_cbranch_vccnz .LBB173_325
; %bb.324:
	v_lshl_add_u64 v[20:21], v[6:7], 3, v[18:19]
	flat_load_dwordx2 v[20:21], v[20:21]
	s_waitcnt vmcnt(0) lgkmcnt(0)
	v_mul_f64 v[20:21], v[20:21], s[22:23]
	s_branch .LBB173_326
.LBB173_325:
	v_mov_b64_e32 v[20:21], 0
.LBB173_326:
	v_cvt_f32_f64_e32 v20, v[20:21]
	v_max_f32_e32 v21, v86, v86
	v_min_f32_e32 v20, v20, v21
	v_cvt_f64_f32_e32 v[20:21], v20
	v_lshl_add_u64 v[24:25], v[6:7], 3, v[16:17]
	global_store_dwordx2 v[24:25], v[20:21], off
	s_or_b64 exec, exec, s[28:29]
	s_and_b64 s[30:31], s[10:11], s[18:19]
	s_and_saveexec_b64 s[28:29], s[30:31]
	s_cbranch_execz .LBB173_308
.LBB173_327:
	s_and_b64 vcc, exec, s[0:1]
	s_cbranch_vccnz .LBB173_329
; %bb.328:
	v_lshl_add_u64 v[20:21], v[8:9], 3, v[18:19]
	flat_load_dwordx2 v[20:21], v[20:21]
	s_waitcnt vmcnt(0) lgkmcnt(0)
	v_mul_f64 v[20:21], v[20:21], s[22:23]
	s_branch .LBB173_330
.LBB173_329:
	v_mov_b64_e32 v[20:21], 0
.LBB173_330:
	v_cvt_f32_f64_e32 v20, v[20:21]
	v_max_f32_e32 v21, v85, v85
	v_min_f32_e32 v20, v20, v21
	v_cvt_f64_f32_e32 v[20:21], v20
	v_lshl_add_u64 v[24:25], v[8:9], 3, v[16:17]
	global_store_dwordx2 v[24:25], v[20:21], off
	s_or_b64 exec, exec, s[28:29]
	s_and_b64 s[30:31], s[12:13], s[18:19]
	s_and_saveexec_b64 s[28:29], s[30:31]
	s_cbranch_execz .LBB173_309
.LBB173_331:
	s_and_b64 vcc, exec, s[0:1]
	s_cbranch_vccnz .LBB173_333
; %bb.332:
	v_lshl_add_u64 v[20:21], v[10:11], 3, v[18:19]
	flat_load_dwordx2 v[20:21], v[20:21]
	s_waitcnt vmcnt(0) lgkmcnt(0)
	v_mul_f64 v[20:21], v[20:21], s[22:23]
	s_branch .LBB173_334
.LBB173_333:
	v_mov_b64_e32 v[20:21], 0
.LBB173_334:
	v_cvt_f32_f64_e32 v20, v[20:21]
	v_max_f32_e32 v21, v84, v84
	v_min_f32_e32 v20, v20, v21
	v_cvt_f64_f32_e32 v[20:21], v20
	v_lshl_add_u64 v[24:25], v[10:11], 3, v[16:17]
	global_store_dwordx2 v[24:25], v[20:21], off
	s_or_b64 exec, exec, s[28:29]
	s_and_b64 s[30:31], s[14:15], s[18:19]
	s_and_saveexec_b64 s[28:29], s[30:31]
	s_cbranch_execz .LBB173_310
.LBB173_335:
	s_and_b64 vcc, exec, s[0:1]
	s_cbranch_vccnz .LBB173_337
; %bb.336:
	v_lshl_add_u64 v[20:21], v[12:13], 3, v[18:19]
	flat_load_dwordx2 v[20:21], v[20:21]
	s_waitcnt vmcnt(0) lgkmcnt(0)
	v_mul_f64 v[20:21], v[20:21], s[22:23]
	s_branch .LBB173_338
.LBB173_337:
	v_mov_b64_e32 v[20:21], 0
.LBB173_338:
	v_cvt_f32_f64_e32 v20, v[20:21]
	v_max_f32_e32 v21, v83, v83
	v_min_f32_e32 v20, v20, v21
	v_cvt_f64_f32_e32 v[20:21], v20
	v_lshl_add_u64 v[24:25], v[12:13], 3, v[16:17]
	global_store_dwordx2 v[24:25], v[20:21], off
	s_or_b64 exec, exec, s[28:29]
	s_and_b64 s[28:29], s[16:17], s[18:19]
	s_and_saveexec_b64 s[18:19], s[28:29]
	s_cbranch_execz .LBB173_343
.LBB173_339:
	s_and_b64 vcc, exec, s[0:1]
	s_cbranch_vccnz .LBB173_341
; %bb.340:
	v_lshl_add_u64 v[18:19], v[14:15], 3, v[18:19]
	flat_load_dwordx2 v[18:19], v[18:19]
	s_waitcnt vmcnt(0) lgkmcnt(0)
	v_mul_f64 v[18:19], v[18:19], s[22:23]
	s_branch .LBB173_342
.LBB173_341:
	v_mov_b64_e32 v[18:19], 0
.LBB173_342:
	v_cvt_f32_f64_e32 v18, v[18:19]
	v_max_f32_e32 v19, v82, v82
	v_min_f32_e32 v18, v18, v19
	v_cvt_f64_f32_e32 v[18:19], v18
	v_lshl_add_u64 v[16:17], v[14:15], 3, v[16:17]
	global_store_dwordx2 v[16:17], v[18:19], off
.LBB173_343:
	s_or_b64 exec, exec, s[18:19]
	v_add_u32_e32 v20, 0xe0, v22
	v_cmp_gt_i32_e64 s[18:19], s25, v20
	v_mad_i64_i32 v[16:17], s[24:25], v20, s36, 0
	v_lshl_add_u64 v[18:19], v[16:17], 3, s[20:21]
	v_mad_i64_i32 v[16:17], s[20:21], v20, s33, 0
	v_lshl_add_u64 v[16:17], v[16:17], 3, s[26:27]
	s_and_b64 s[20:21], s[2:3], s[18:19]
	s_and_saveexec_b64 s[2:3], s[20:21]
	s_cbranch_execnz .LBB173_352
; %bb.344:
	s_or_b64 exec, exec, s[2:3]
	s_and_b64 s[4:5], s[4:5], s[18:19]
	s_and_saveexec_b64 s[2:3], s[4:5]
	s_cbranch_execnz .LBB173_356
.LBB173_345:
	s_or_b64 exec, exec, s[2:3]
	s_and_b64 s[4:5], s[6:7], s[18:19]
	s_and_saveexec_b64 s[2:3], s[4:5]
	s_cbranch_execnz .LBB173_360
.LBB173_346:
	s_or_b64 exec, exec, s[2:3]
	s_and_b64 s[4:5], s[8:9], s[18:19]
	s_and_saveexec_b64 s[2:3], s[4:5]
	s_cbranch_execnz .LBB173_364
.LBB173_347:
	s_or_b64 exec, exec, s[2:3]
	s_and_b64 s[4:5], s[10:11], s[18:19]
	s_and_saveexec_b64 s[2:3], s[4:5]
	s_cbranch_execnz .LBB173_368
.LBB173_348:
	s_or_b64 exec, exec, s[2:3]
	s_and_b64 s[4:5], s[12:13], s[18:19]
	s_and_saveexec_b64 s[2:3], s[4:5]
	s_cbranch_execnz .LBB173_372
.LBB173_349:
	s_or_b64 exec, exec, s[2:3]
	s_and_b64 s[4:5], s[14:15], s[18:19]
	s_and_saveexec_b64 s[2:3], s[4:5]
	s_cbranch_execnz .LBB173_376
.LBB173_350:
	s_or_b64 exec, exec, s[2:3]
	s_and_b64 s[2:3], s[16:17], s[18:19]
	s_and_saveexec_b64 s[4:5], s[2:3]
	s_cbranch_execnz .LBB173_380
.LBB173_351:
	s_endpgm
.LBB173_352:
	s_and_b64 vcc, exec, s[0:1]
	s_cbranch_vccnz .LBB173_354
; %bb.353:
	v_lshl_add_u64 v[20:21], v[0:1], 3, v[18:19]
	flat_load_dwordx2 v[20:21], v[20:21]
	s_waitcnt vmcnt(0) lgkmcnt(0)
	v_mul_f64 v[20:21], v[20:21], s[22:23]
	v_cvt_f32_f64_e32 v20, v[20:21]
	s_branch .LBB173_355
.LBB173_354:
	v_mov_b32_e32 v20, 0
.LBB173_355:
	v_max_f32_e32 v21, v81, v81
	v_max_f32_e32 v20, v20, v20
	v_min_f32_e32 v20, v20, v21
	v_cvt_f64_f32_e32 v[20:21], v20
	v_lshl_add_u64 v[0:1], v[0:1], 3, v[16:17]
	global_store_dwordx2 v[0:1], v[20:21], off
	s_or_b64 exec, exec, s[2:3]
	s_and_b64 s[4:5], s[4:5], s[18:19]
	s_and_saveexec_b64 s[2:3], s[4:5]
	s_cbranch_execz .LBB173_345
.LBB173_356:
	s_and_b64 vcc, exec, s[0:1]
	s_cbranch_vccnz .LBB173_358
; %bb.357:
	v_lshl_add_u64 v[0:1], v[2:3], 3, v[18:19]
	flat_load_dwordx2 v[0:1], v[0:1]
	s_waitcnt vmcnt(0) lgkmcnt(0)
	v_mul_f64 v[0:1], v[0:1], s[22:23]
	v_cvt_f32_f64_e32 v0, v[0:1]
	s_branch .LBB173_359
.LBB173_358:
	v_mov_b32_e32 v0, 0
.LBB173_359:
	v_max_f32_e32 v1, v80, v80
	v_max_f32_e32 v0, v0, v0
	v_min_f32_e32 v0, v0, v1
	v_cvt_f64_f32_e32 v[0:1], v0
	v_lshl_add_u64 v[2:3], v[2:3], 3, v[16:17]
	global_store_dwordx2 v[2:3], v[0:1], off
	s_or_b64 exec, exec, s[2:3]
	s_and_b64 s[4:5], s[6:7], s[18:19]
	s_and_saveexec_b64 s[2:3], s[4:5]
	s_cbranch_execz .LBB173_346
.LBB173_360:
	s_and_b64 vcc, exec, s[0:1]
	s_cbranch_vccnz .LBB173_362
; %bb.361:
	v_lshl_add_u64 v[0:1], v[4:5], 3, v[18:19]
	flat_load_dwordx2 v[0:1], v[0:1]
	s_waitcnt vmcnt(0) lgkmcnt(0)
	v_mul_f64 v[0:1], v[0:1], s[22:23]
	v_cvt_f32_f64_e32 v0, v[0:1]
	s_branch .LBB173_363
.LBB173_362:
	v_mov_b32_e32 v0, 0
.LBB173_363:
	v_max_f32_e32 v1, v79, v79
	v_max_f32_e32 v0, v0, v0
	v_min_f32_e32 v0, v0, v1
	v_cvt_f64_f32_e32 v[0:1], v0
	v_lshl_add_u64 v[2:3], v[4:5], 3, v[16:17]
	global_store_dwordx2 v[2:3], v[0:1], off
	s_or_b64 exec, exec, s[2:3]
	s_and_b64 s[4:5], s[8:9], s[18:19]
	s_and_saveexec_b64 s[2:3], s[4:5]
	s_cbranch_execz .LBB173_347
.LBB173_364:
	s_and_b64 vcc, exec, s[0:1]
	s_cbranch_vccnz .LBB173_366
; %bb.365:
	v_lshl_add_u64 v[0:1], v[6:7], 3, v[18:19]
	flat_load_dwordx2 v[0:1], v[0:1]
	s_waitcnt vmcnt(0) lgkmcnt(0)
	v_mul_f64 v[0:1], v[0:1], s[22:23]
	v_cvt_f32_f64_e32 v0, v[0:1]
	s_branch .LBB173_367
.LBB173_366:
	v_mov_b32_e32 v0, 0
.LBB173_367:
	v_max_f32_e32 v1, v78, v78
	v_max_f32_e32 v0, v0, v0
	v_min_f32_e32 v0, v0, v1
	v_cvt_f64_f32_e32 v[0:1], v0
	v_lshl_add_u64 v[2:3], v[6:7], 3, v[16:17]
	global_store_dwordx2 v[2:3], v[0:1], off
	s_or_b64 exec, exec, s[2:3]
	s_and_b64 s[4:5], s[10:11], s[18:19]
	s_and_saveexec_b64 s[2:3], s[4:5]
	s_cbranch_execz .LBB173_348
.LBB173_368:
	s_and_b64 vcc, exec, s[0:1]
	s_cbranch_vccnz .LBB173_370
; %bb.369:
	v_lshl_add_u64 v[0:1], v[8:9], 3, v[18:19]
	flat_load_dwordx2 v[0:1], v[0:1]
	s_waitcnt vmcnt(0) lgkmcnt(0)
	v_mul_f64 v[0:1], v[0:1], s[22:23]
	v_cvt_f32_f64_e32 v0, v[0:1]
	s_branch .LBB173_371
.LBB173_370:
	v_mov_b32_e32 v0, 0
.LBB173_371:
	v_max_f32_e32 v1, v77, v77
	v_max_f32_e32 v0, v0, v0
	v_min_f32_e32 v0, v0, v1
	v_cvt_f64_f32_e32 v[0:1], v0
	v_lshl_add_u64 v[2:3], v[8:9], 3, v[16:17]
	global_store_dwordx2 v[2:3], v[0:1], off
	s_or_b64 exec, exec, s[2:3]
	s_and_b64 s[4:5], s[12:13], s[18:19]
	s_and_saveexec_b64 s[2:3], s[4:5]
	s_cbranch_execz .LBB173_349
.LBB173_372:
	s_and_b64 vcc, exec, s[0:1]
	s_cbranch_vccnz .LBB173_374
; %bb.373:
	v_lshl_add_u64 v[0:1], v[10:11], 3, v[18:19]
	flat_load_dwordx2 v[0:1], v[0:1]
	s_waitcnt vmcnt(0) lgkmcnt(0)
	v_mul_f64 v[0:1], v[0:1], s[22:23]
	v_cvt_f32_f64_e32 v0, v[0:1]
	s_branch .LBB173_375
.LBB173_374:
	v_mov_b32_e32 v0, 0
.LBB173_375:
	v_max_f32_e32 v1, v76, v76
	v_max_f32_e32 v0, v0, v0
	v_min_f32_e32 v0, v0, v1
	v_cvt_f64_f32_e32 v[0:1], v0
	v_lshl_add_u64 v[2:3], v[10:11], 3, v[16:17]
	global_store_dwordx2 v[2:3], v[0:1], off
	s_or_b64 exec, exec, s[2:3]
	s_and_b64 s[4:5], s[14:15], s[18:19]
	s_and_saveexec_b64 s[2:3], s[4:5]
	s_cbranch_execz .LBB173_350
.LBB173_376:
	s_and_b64 vcc, exec, s[0:1]
	s_cbranch_vccnz .LBB173_378
; %bb.377:
	v_lshl_add_u64 v[0:1], v[12:13], 3, v[18:19]
	flat_load_dwordx2 v[0:1], v[0:1]
	s_waitcnt vmcnt(0) lgkmcnt(0)
	v_mul_f64 v[0:1], v[0:1], s[22:23]
	v_cvt_f32_f64_e32 v0, v[0:1]
	s_branch .LBB173_379
.LBB173_378:
	v_mov_b32_e32 v0, 0
.LBB173_379:
	v_max_f32_e32 v1, v75, v75
	v_max_f32_e32 v0, v0, v0
	v_min_f32_e32 v0, v0, v1
	v_cvt_f64_f32_e32 v[0:1], v0
	v_lshl_add_u64 v[2:3], v[12:13], 3, v[16:17]
	global_store_dwordx2 v[2:3], v[0:1], off
	s_or_b64 exec, exec, s[2:3]
	s_and_b64 s[2:3], s[16:17], s[18:19]
	s_and_saveexec_b64 s[4:5], s[2:3]
	s_cbranch_execz .LBB173_351
.LBB173_380:
	s_and_b64 vcc, exec, s[0:1]
	s_cbranch_vccnz .LBB173_382
; %bb.381:
	v_lshl_add_u64 v[0:1], v[14:15], 3, v[18:19]
	flat_load_dwordx2 v[0:1], v[0:1]
	s_waitcnt vmcnt(0) lgkmcnt(0)
	v_mul_f64 v[0:1], v[0:1], s[22:23]
	v_cvt_f32_f64_e32 v0, v[0:1]
	s_branch .LBB173_383
.LBB173_382:
	v_mov_b32_e32 v0, 0
.LBB173_383:
	v_max_f32_e32 v1, v74, v74
	v_max_f32_e32 v0, v0, v0
	v_min_f32_e32 v0, v0, v1
	v_cvt_f64_f32_e32 v[0:1], v0
	v_lshl_add_u64 v[2:3], v[14:15], 3, v[16:17]
	global_store_dwordx2 v[2:3], v[0:1], off
	s_endpgm
	.section	.rodata,"a",@progbits
	.p2align	6, 0x0
	.amdhsa_kernel _ZN12_GLOBAL__N_120geam_min_plus_kernelId15HIP_vector_typeIdLj2EEdLi8ELi32ELi64ELi256ELi4ELi64ELi4ELi64ELi4ELc78ELc84ELb0ELb1ELb1EdKddEEviiiT16_PT17_ilS6_ilS4_S6_ilPT18_ili26rocblas_geam_ex_operation_
		.amdhsa_group_segment_fixed_size 20480
		.amdhsa_private_segment_fixed_size 0
		.amdhsa_kernarg_size 136
		.amdhsa_user_sgpr_count 2
		.amdhsa_user_sgpr_dispatch_ptr 0
		.amdhsa_user_sgpr_queue_ptr 0
		.amdhsa_user_sgpr_kernarg_segment_ptr 1
		.amdhsa_user_sgpr_dispatch_id 0
		.amdhsa_user_sgpr_kernarg_preload_length 0
		.amdhsa_user_sgpr_kernarg_preload_offset 0
		.amdhsa_user_sgpr_private_segment_size 0
		.amdhsa_uses_dynamic_stack 0
		.amdhsa_enable_private_segment 0
		.amdhsa_system_sgpr_workgroup_id_x 1
		.amdhsa_system_sgpr_workgroup_id_y 0
		.amdhsa_system_sgpr_workgroup_id_z 1
		.amdhsa_system_sgpr_workgroup_info 0
		.amdhsa_system_vgpr_workitem_id 1
		.amdhsa_next_free_vgpr 154
		.amdhsa_next_free_sgpr 48
		.amdhsa_accum_offset 156
		.amdhsa_reserve_vcc 1
		.amdhsa_float_round_mode_32 0
		.amdhsa_float_round_mode_16_64 0
		.amdhsa_float_denorm_mode_32 3
		.amdhsa_float_denorm_mode_16_64 3
		.amdhsa_dx10_clamp 1
		.amdhsa_ieee_mode 1
		.amdhsa_fp16_overflow 0
		.amdhsa_tg_split 0
		.amdhsa_exception_fp_ieee_invalid_op 0
		.amdhsa_exception_fp_denorm_src 0
		.amdhsa_exception_fp_ieee_div_zero 0
		.amdhsa_exception_fp_ieee_overflow 0
		.amdhsa_exception_fp_ieee_underflow 0
		.amdhsa_exception_fp_ieee_inexact 0
		.amdhsa_exception_int_div_zero 0
	.end_amdhsa_kernel
	.section	.text._ZN12_GLOBAL__N_120geam_min_plus_kernelId15HIP_vector_typeIdLj2EEdLi8ELi32ELi64ELi256ELi4ELi64ELi4ELi64ELi4ELc78ELc84ELb0ELb1ELb1EdKddEEviiiT16_PT17_ilS6_ilS4_S6_ilPT18_ili26rocblas_geam_ex_operation_,"axG",@progbits,_ZN12_GLOBAL__N_120geam_min_plus_kernelId15HIP_vector_typeIdLj2EEdLi8ELi32ELi64ELi256ELi4ELi64ELi4ELi64ELi4ELc78ELc84ELb0ELb1ELb1EdKddEEviiiT16_PT17_ilS6_ilS4_S6_ilPT18_ili26rocblas_geam_ex_operation_,comdat
.Lfunc_end173:
	.size	_ZN12_GLOBAL__N_120geam_min_plus_kernelId15HIP_vector_typeIdLj2EEdLi8ELi32ELi64ELi256ELi4ELi64ELi4ELi64ELi4ELc78ELc84ELb0ELb1ELb1EdKddEEviiiT16_PT17_ilS6_ilS4_S6_ilPT18_ili26rocblas_geam_ex_operation_, .Lfunc_end173-_ZN12_GLOBAL__N_120geam_min_plus_kernelId15HIP_vector_typeIdLj2EEdLi8ELi32ELi64ELi256ELi4ELi64ELi4ELi64ELi4ELc78ELc84ELb0ELb1ELb1EdKddEEviiiT16_PT17_ilS6_ilS4_S6_ilPT18_ili26rocblas_geam_ex_operation_
                                        ; -- End function
	.section	.AMDGPU.csdata,"",@progbits
; Kernel info:
; codeLenInByte = 19212
; NumSgprs: 54
; NumVgprs: 154
; NumAgprs: 0
; TotalNumVgprs: 154
; ScratchSize: 0
; MemoryBound: 0
; FloatMode: 240
; IeeeMode: 1
; LDSByteSize: 20480 bytes/workgroup (compile time only)
; SGPRBlocks: 6
; VGPRBlocks: 19
; NumSGPRsForWavesPerEU: 54
; NumVGPRsForWavesPerEU: 154
; AccumOffset: 156
; Occupancy: 3
; WaveLimiterHint : 0
; COMPUTE_PGM_RSRC2:SCRATCH_EN: 0
; COMPUTE_PGM_RSRC2:USER_SGPR: 2
; COMPUTE_PGM_RSRC2:TRAP_HANDLER: 0
; COMPUTE_PGM_RSRC2:TGID_X_EN: 1
; COMPUTE_PGM_RSRC2:TGID_Y_EN: 0
; COMPUTE_PGM_RSRC2:TGID_Z_EN: 1
; COMPUTE_PGM_RSRC2:TIDIG_COMP_CNT: 1
; COMPUTE_PGM_RSRC3_GFX90A:ACCUM_OFFSET: 38
; COMPUTE_PGM_RSRC3_GFX90A:TG_SPLIT: 0
	.section	.text._ZN12_GLOBAL__N_120geam_min_plus_kernelId15HIP_vector_typeIdLj2EEdLi8ELi32ELi64ELi256ELi4ELi4ELi64ELi64ELi4ELc84ELc84ELb0ELb0ELb1EPKdS3_dEEviiiT16_PT17_ilS7_ilS5_S7_ilPT18_ili26rocblas_geam_ex_operation_,"axG",@progbits,_ZN12_GLOBAL__N_120geam_min_plus_kernelId15HIP_vector_typeIdLj2EEdLi8ELi32ELi64ELi256ELi4ELi4ELi64ELi64ELi4ELc84ELc84ELb0ELb0ELb1EPKdS3_dEEviiiT16_PT17_ilS7_ilS5_S7_ilPT18_ili26rocblas_geam_ex_operation_,comdat
	.globl	_ZN12_GLOBAL__N_120geam_min_plus_kernelId15HIP_vector_typeIdLj2EEdLi8ELi32ELi64ELi256ELi4ELi4ELi64ELi64ELi4ELc84ELc84ELb0ELb0ELb1EPKdS3_dEEviiiT16_PT17_ilS7_ilS5_S7_ilPT18_ili26rocblas_geam_ex_operation_ ; -- Begin function _ZN12_GLOBAL__N_120geam_min_plus_kernelId15HIP_vector_typeIdLj2EEdLi8ELi32ELi64ELi256ELi4ELi4ELi64ELi64ELi4ELc84ELc84ELb0ELb0ELb1EPKdS3_dEEviiiT16_PT17_ilS7_ilS5_S7_ilPT18_ili26rocblas_geam_ex_operation_
	.p2align	8
	.type	_ZN12_GLOBAL__N_120geam_min_plus_kernelId15HIP_vector_typeIdLj2EEdLi8ELi32ELi64ELi256ELi4ELi4ELi64ELi64ELi4ELc84ELc84ELb0ELb0ELb1EPKdS3_dEEviiiT16_PT17_ilS7_ilS5_S7_ilPT18_ili26rocblas_geam_ex_operation_,@function
_ZN12_GLOBAL__N_120geam_min_plus_kernelId15HIP_vector_typeIdLj2EEdLi8ELi32ELi64ELi256ELi4ELi4ELi64ELi64ELi4ELc84ELc84ELb0ELb0ELb1EPKdS3_dEEviiiT16_PT17_ilS7_ilS5_S7_ilPT18_ili26rocblas_geam_ex_operation_: ; @_ZN12_GLOBAL__N_120geam_min_plus_kernelId15HIP_vector_typeIdLj2EEdLi8ELi32ELi64ELi256ELi4ELi4ELi64ELi64ELi4ELc84ELc84ELb0ELb0ELb1EPKdS3_dEEviiiT16_PT17_ilS7_ilS5_S7_ilPT18_ili26rocblas_geam_ex_operation_
; %bb.0:
	s_load_dwordx4 s[12:15], s[0:1], 0x10
	s_load_dwordx4 s[4:7], s[0:1], 0x28
	s_mov_b32 s16, s3
	s_mov_b32 s17, 0
	s_lshl_b64 s[20:21], s[16:17], 3
	s_waitcnt lgkmcnt(0)
	s_add_u32 s12, s12, s20
	s_load_dwordx4 s[8:11], s[0:1], 0x40
	s_addc_u32 s13, s13, s21
	s_load_dwordx2 s[18:19], s[12:13], 0x0
	s_load_dwordx2 s[24:25], s[0:1], 0x50
	s_mov_b64 s[22:23], 0
	s_waitcnt lgkmcnt(0)
	s_add_u32 s10, s10, s20
	v_cmp_eq_f64_e64 s[12:13], s[18:19], 0
	s_addc_u32 s11, s11, s21
	s_mov_b64 s[20:21], 0
	v_cmp_neq_f64_e64 s[26:27], s[18:19], 0
	s_and_b64 vcc, exec, s[12:13]
	s_cbranch_vccnz .LBB174_2
; %bb.1:
	s_mul_i32 s3, s16, s5
	s_mul_hi_u32 s5, s16, s4
	s_add_i32 s5, s5, s3
	s_mul_i32 s4, s16, s4
	s_lshl_b64 s[4:5], s[4:5], 3
	s_add_u32 s22, s14, s4
	s_addc_u32 s23, s15, s5
.LBB174_2:
	s_load_dwordx2 s[12:13], s[10:11], 0x0
	v_cndmask_b32_e64 v1, 0, 1, s[26:27]
	v_cmp_ne_u32_e64 s[4:5], 1, v1
	s_andn2_b64 vcc, exec, s[26:27]
	s_cbranch_vccnz .LBB174_4
; %bb.3:
	s_mul_i32 s3, s16, s9
	s_mul_hi_u32 s9, s16, s8
	s_add_i32 s9, s9, s3
	s_mul_i32 s8, s16, s8
	s_lshl_b64 s[8:9], s[8:9], 3
	s_add_u32 s20, s6, s8
	s_addc_u32 s21, s7, s9
.LBB174_4:
	s_load_dwordx4 s[8:11], s[0:1], 0x60
	s_waitcnt lgkmcnt(0)
	v_cmp_eq_f64_e64 s[6:7], s[12:13], 0
	s_and_b64 s[6:7], exec, s[6:7]
	s_mov_b64 s[14:15], 0
	s_mov_b64 vcc, s[6:7]
	s_cbranch_vccnz .LBB174_6
; %bb.5:
	s_mul_i32 s3, s16, s9
	s_mul_hi_u32 s9, s16, s8
	s_add_i32 s9, s9, s3
	s_mul_i32 s8, s16, s8
	s_lshl_b64 s[8:9], s[8:9], 3
	s_add_u32 s14, s24, s8
	s_addc_u32 s15, s25, s9
.LBB174_6:
	s_load_dword s3, s[0:1], 0x0
	s_load_dword s27, s[0:1], 0x20
	v_and_b32_e32 v135, 0x3ff, v0
	v_bfe_u32 v136, v0, 10, 10
	v_lshl_add_u32 v4, v136, 3, v135
	s_waitcnt lgkmcnt(0)
	s_add_i32 s3, s3, -1
	s_ashr_i32 s8, s3, 31
	s_lshr_b32 s8, s8, 26
	s_add_i32 s3, s3, s8
	s_ashr_i32 s3, s3, 6
	s_add_i32 s8, s3, 1
	v_cvt_f32_u32_e32 v1, s8
	s_not_b32 s3, s3
	v_and_b32_e32 v144, 3, v135
	v_lshrrev_b32_e32 v14, 2, v4
	v_rcp_iflag_f32_e32 v1, v1
	s_nop 0
	v_mul_f32_e32 v0, 0x4f7ffffe, v1
	v_cvt_u32_f32_e32 v0, v0
	s_nop 0
	v_readfirstlane_b32 s9, v0
	s_mul_i32 s3, s3, s9
	s_mul_hi_u32 s3, s9, s3
	s_add_i32 s9, s9, s3
	s_mul_hi_u32 s3, s2, s9
	s_mul_i32 s9, s3, s8
	s_sub_i32 s9, s2, s9
	s_add_i32 s17, s3, 1
	s_sub_i32 s24, s9, s8
	s_cmp_ge_u32 s9, s8
	s_cselect_b32 s3, s17, s3
	s_cselect_b32 s9, s24, s9
	s_add_i32 s17, s3, 1
	s_cmp_ge_u32 s9, s8
	s_cselect_b32 s3, s17, s3
	s_mul_i32 s8, s3, s8
	s_sub_i32 s2, s2, s8
	s_lshl_b32 s8, s2, 6
	s_and_b64 vcc, exec, s[4:5]
	v_add_u32_e32 v72, s8, v14
	v_lshlrev_b32_e32 v0, 3, v144
	s_cbranch_vccnz .LBB174_8
; %bb.7:
	v_mad_i64_i32 v[2:3], s[24:25], v72, s27, 0
	v_lshl_add_u64 v[2:3], v[2:3], 3, s[22:23]
	v_mov_b32_e32 v1, 0
	v_lshl_add_u64 v[2:3], v[2:3], 0, v[0:1]
	flat_load_dwordx2 v[2:3], v[2:3]
	s_waitcnt vmcnt(0) lgkmcnt(0)
	v_mul_f64 v[2:3], s[18:19], v[2:3]
	s_branch .LBB174_9
.LBB174_8:
	v_mov_b64_e32 v[2:3], 0
.LBB174_9:
	s_load_dword s17, s[0:1], 0x38
	v_and_b32_e32 v73, 63, v4
	v_lshrrev_b32_e32 v145, 6, v4
	s_lshl_b32 s9, s3, 8
	v_or_b32_e32 v60, s9, v73
	s_waitcnt lgkmcnt(0)
	v_mad_i64_i32 v[4:5], s[2:3], s17, v145, 0
	s_ashr_i32 s24, s17, 31
	v_lshl_add_u64 v[8:9], v[4:5], 3, s[20:21]
	s_and_b64 vcc, exec, s[4:5]
	v_ashrrev_i32_e32 v61, 31, v60
	s_cbranch_vccnz .LBB174_13
; %bb.10:
	v_lshl_add_u64 v[4:5], v[60:61], 3, v[8:9]
	flat_load_dwordx2 v[6:7], v[4:5]
	flat_load_dwordx2 v[10:11], v[4:5] offset:512
	s_waitcnt vmcnt(0) lgkmcnt(0)
	v_mul_f64 v[4:5], s[18:19], v[6:7]
	v_mul_f64 v[6:7], s[18:19], v[10:11]
	s_and_b64 vcc, exec, s[4:5]
	s_cbranch_vccnz .LBB174_14
.LBB174_11:
	v_lshl_add_u64 v[8:9], v[60:61], 3, v[8:9]
	flat_load_dwordx2 v[10:11], v[8:9] offset:1024
	flat_load_dwordx2 v[12:13], v[8:9] offset:1536
	s_waitcnt vmcnt(0) lgkmcnt(0)
	v_mul_f64 v[8:9], s[18:19], v[10:11]
	v_mul_f64 v[10:11], s[18:19], v[12:13]
	s_and_b64 vcc, exec, s[4:5]
	s_cbranch_vccnz .LBB174_15
.LBB174_12:
	v_mad_i64_i32 v[12:13], s[2:3], v72, s27, 0
	v_lshl_add_u64 v[12:13], v[12:13], 3, s[22:23]
	v_mov_b32_e32 v1, 0
	v_lshl_add_u64 v[12:13], v[12:13], 0, v[0:1]
	flat_load_dwordx2 v[12:13], v[12:13] offset:32
	s_waitcnt vmcnt(0) lgkmcnt(0)
	v_mul_f64 v[62:63], s[18:19], v[12:13]
	s_branch .LBB174_16
.LBB174_13:
	v_mov_b64_e32 v[4:5], 0
	v_mov_b64_e32 v[6:7], 0
	s_and_b64 vcc, exec, s[4:5]
	s_cbranch_vccz .LBB174_11
.LBB174_14:
	v_mov_b64_e32 v[8:9], 0
	v_mov_b64_e32 v[10:11], 0
	s_and_b64 vcc, exec, s[4:5]
	s_cbranch_vccz .LBB174_12
.LBB174_15:
	v_mov_b64_e32 v[62:63], 0
.LBB174_16:
	v_add_u32_e32 v146, 4, v145
	v_mad_i64_i32 v[12:13], s[2:3], s17, v146, 0
	s_and_b64 vcc, exec, s[4:5]
	v_lshl_add_u64 v[12:13], v[12:13], 3, s[20:21]
	s_cbranch_vccnz .LBB174_19
; %bb.17:
	v_lshl_add_u64 v[16:17], v[60:61], 3, v[12:13]
	flat_load_dwordx2 v[18:19], v[16:17]
	flat_load_dwordx2 v[20:21], v[16:17] offset:512
	s_waitcnt vmcnt(0) lgkmcnt(0)
	v_mul_f64 v[64:65], s[18:19], v[18:19]
	v_mul_f64 v[66:67], s[18:19], v[20:21]
	s_and_b64 vcc, exec, s[4:5]
	s_cbranch_vccnz .LBB174_20
.LBB174_18:
	v_lshl_add_u64 v[12:13], v[60:61], 3, v[12:13]
	flat_load_dwordx2 v[16:17], v[12:13] offset:1024
	flat_load_dwordx2 v[18:19], v[12:13] offset:1536
	s_waitcnt vmcnt(0) lgkmcnt(0)
	v_mul_f64 v[68:69], s[18:19], v[16:17]
	v_mul_f64 v[70:71], s[18:19], v[18:19]
	s_branch .LBB174_21
.LBB174_19:
	v_mov_b64_e32 v[64:65], 0
	v_mov_b64_e32 v[66:67], 0
	s_and_b64 vcc, exec, s[4:5]
	s_cbranch_vccz .LBB174_18
.LBB174_20:
	v_mov_b64_e32 v[68:69], 0
	v_mov_b64_e32 v[70:71], 0
.LBB174_21:
	v_lshl_or_b32 v74, v14, 5, v0
	v_lshlrev_b32_e32 v0, 3, v145
	v_add_u32_e32 v147, 0x4000, v74
	v_lshl_add_u32 v148, v73, 5, v0
	s_mov_b32 s25, 0
	s_mov_b64 s[2:3], -1
	v_mov_b32_e32 v78, 0x7f800000
	v_mov_b32_e32 v79, 0x7f800000
	;; [unrolled: 1-line block ×64, first 2 shown]
	ds_write_b64 v74, v[2:3] offset:16384
	ds_write2st64_b64 v148, v[4:5], v[6:7] offset1:4
	ds_write2st64_b64 v148, v[8:9], v[10:11] offset0:8 offset1:12
	s_waitcnt lgkmcnt(0)
	s_barrier
.LBB174_22:                             ; =>This Inner Loop Header: Depth=1
	v_cndmask_b32_e64 v0, 0, 1, s[2:3]
	s_lshl_b32 s2, s25, 3
	v_cmp_ne_u32_e32 vcc, 1, v0
	v_lshl_add_u32 v0, v135, 5, s2
	v_lshl_add_u32 v20, v136, 5, s2
	ds_read_b128 v[32:35], v0 offset:16384
	ds_read_b128 v[28:31], v0 offset:16640
	;; [unrolled: 1-line block ×8, first 2 shown]
	ds_read_b128 v[150:153], v20
	ds_read_b128 v[56:59], v20 offset:1024
	ds_read_b128 v[52:55], v20 offset:2048
	;; [unrolled: 1-line block ×7, first 2 shown]
	s_waitcnt lgkmcnt(7)
	v_add_f64 v[76:77], v[34:35], v[152:153]
	v_add_f64 v[154:155], v[32:33], v[150:151]
	v_cvt_f32_f64_e32 v75, v[154:155]
	v_cvt_f32_f64_e32 v76, v[76:77]
	v_min3_f32 v143, v75, v76, v143
	v_add_f64 v[76:77], v[30:31], v[152:153]
	v_add_f64 v[154:155], v[28:29], v[150:151]
	v_cvt_f32_f64_e32 v75, v[154:155]
	v_cvt_f32_f64_e32 v76, v[76:77]
	v_min3_f32 v142, v75, v76, v142
	;; [unrolled: 5-line block ×8, first 2 shown]
	s_waitcnt lgkmcnt(6)
	v_add_f64 v[76:77], v[34:35], v[58:59]
	v_add_f64 v[150:151], v[32:33], v[56:57]
	v_cvt_f32_f64_e32 v75, v[150:151]
	v_cvt_f32_f64_e32 v76, v[76:77]
	v_min3_f32 v133, v75, v76, v133
	v_add_f64 v[76:77], v[30:31], v[58:59]
	v_add_f64 v[150:151], v[28:29], v[56:57]
	v_cvt_f32_f64_e32 v75, v[150:151]
	v_cvt_f32_f64_e32 v76, v[76:77]
	v_min3_f32 v132, v75, v76, v132
	v_add_f64 v[76:77], v[26:27], v[58:59]
	v_add_f64 v[150:151], v[24:25], v[56:57]
	v_cvt_f32_f64_e32 v75, v[150:151]
	v_cvt_f32_f64_e32 v76, v[76:77]
	v_min3_f32 v131, v75, v76, v131
	v_add_f64 v[76:77], v[18:19], v[58:59]
	v_add_f64 v[150:151], v[16:17], v[56:57]
	v_cvt_f32_f64_e32 v75, v[150:151]
	v_cvt_f32_f64_e32 v76, v[76:77]
	v_min3_f32 v130, v75, v76, v130
	v_add_f64 v[76:77], v[14:15], v[58:59]
	v_add_f64 v[150:151], v[12:13], v[56:57]
	v_cvt_f32_f64_e32 v75, v[150:151]
	v_cvt_f32_f64_e32 v76, v[76:77]
	v_min3_f32 v129, v75, v76, v129
	v_add_f64 v[76:77], v[10:11], v[58:59]
	v_add_f64 v[150:151], v[8:9], v[56:57]
	v_cvt_f32_f64_e32 v75, v[150:151]
	v_cvt_f32_f64_e32 v76, v[76:77]
	v_min3_f32 v128, v75, v76, v128
	v_add_f64 v[76:77], v[6:7], v[58:59]
	v_add_f64 v[150:151], v[4:5], v[56:57]
	v_add_f64 v[58:59], v[2:3], v[58:59]
	v_add_f64 v[56:57], v[0:1], v[56:57]
	v_cvt_f32_f64_e32 v56, v[56:57]
	v_cvt_f32_f64_e32 v57, v[58:59]
	v_min3_f32 v126, v56, v57, v126
	s_waitcnt lgkmcnt(5)
	v_add_f64 v[56:57], v[34:35], v[54:55]
	v_add_f64 v[58:59], v[32:33], v[52:53]
	v_cvt_f32_f64_e32 v58, v[58:59]
	v_cvt_f32_f64_e32 v56, v[56:57]
	v_min3_f32 v125, v58, v56, v125
	v_add_f64 v[56:57], v[30:31], v[54:55]
	v_add_f64 v[58:59], v[28:29], v[52:53]
	v_cvt_f32_f64_e32 v58, v[58:59]
	v_cvt_f32_f64_e32 v56, v[56:57]
	v_min3_f32 v124, v58, v56, v124
	v_add_f64 v[56:57], v[26:27], v[54:55]
	v_add_f64 v[58:59], v[24:25], v[52:53]
	v_cvt_f32_f64_e32 v58, v[58:59]
	v_cvt_f32_f64_e32 v56, v[56:57]
	v_min3_f32 v123, v58, v56, v123
	v_add_f64 v[56:57], v[18:19], v[54:55]
	v_add_f64 v[58:59], v[16:17], v[52:53]
	v_cvt_f32_f64_e32 v58, v[58:59]
	v_cvt_f32_f64_e32 v56, v[56:57]
	v_min3_f32 v122, v58, v56, v122
	v_add_f64 v[56:57], v[14:15], v[54:55]
	v_add_f64 v[58:59], v[12:13], v[52:53]
	v_cvt_f32_f64_e32 v58, v[58:59]
	v_cvt_f32_f64_e32 v56, v[56:57]
	v_min3_f32 v121, v58, v56, v121
	v_add_f64 v[56:57], v[10:11], v[54:55]
	v_add_f64 v[58:59], v[8:9], v[52:53]
	v_cvt_f32_f64_e32 v58, v[58:59]
	v_cvt_f32_f64_e32 v56, v[56:57]
	v_min3_f32 v120, v58, v56, v120
	v_add_f64 v[56:57], v[6:7], v[54:55]
	v_add_f64 v[58:59], v[4:5], v[52:53]
	v_add_f64 v[54:55], v[2:3], v[54:55]
	v_add_f64 v[52:53], v[0:1], v[52:53]
	v_cvt_f32_f64_e32 v52, v[52:53]
	v_cvt_f32_f64_e32 v53, v[54:55]
	v_min3_f32 v118, v52, v53, v118
	s_waitcnt lgkmcnt(4)
	v_add_f64 v[52:53], v[34:35], v[50:51]
	v_add_f64 v[54:55], v[32:33], v[48:49]
	v_cvt_f32_f64_e32 v54, v[54:55]
	v_cvt_f32_f64_e32 v52, v[52:53]
	v_min3_f32 v117, v54, v52, v117
	v_add_f64 v[52:53], v[30:31], v[50:51]
	v_add_f64 v[54:55], v[28:29], v[48:49]
	v_cvt_f32_f64_e32 v54, v[54:55]
	v_cvt_f32_f64_e32 v52, v[52:53]
	v_min3_f32 v116, v54, v52, v116
	v_add_f64 v[52:53], v[26:27], v[50:51]
	v_add_f64 v[54:55], v[24:25], v[48:49]
	v_cvt_f32_f64_e32 v54, v[54:55]
	v_cvt_f32_f64_e32 v52, v[52:53]
	v_min3_f32 v115, v54, v52, v115
	v_add_f64 v[52:53], v[18:19], v[50:51]
	v_add_f64 v[54:55], v[16:17], v[48:49]
	v_cvt_f32_f64_e32 v54, v[54:55]
	v_cvt_f32_f64_e32 v52, v[52:53]
	v_min3_f32 v114, v54, v52, v114
	v_add_f64 v[52:53], v[14:15], v[50:51]
	v_add_f64 v[54:55], v[12:13], v[48:49]
	v_cvt_f32_f64_e32 v54, v[54:55]
	v_cvt_f32_f64_e32 v52, v[52:53]
	v_min3_f32 v113, v54, v52, v113
	v_add_f64 v[52:53], v[10:11], v[50:51]
	v_add_f64 v[54:55], v[8:9], v[48:49]
	v_cvt_f32_f64_e32 v54, v[54:55]
	v_cvt_f32_f64_e32 v52, v[52:53]
	v_min3_f32 v112, v54, v52, v112
	v_add_f64 v[52:53], v[6:7], v[50:51]
	v_add_f64 v[54:55], v[4:5], v[48:49]
	v_add_f64 v[50:51], v[2:3], v[50:51]
	v_add_f64 v[48:49], v[0:1], v[48:49]
	v_cvt_f32_f64_e32 v48, v[48:49]
	v_cvt_f32_f64_e32 v49, v[50:51]
	v_min3_f32 v110, v48, v49, v110
	s_waitcnt lgkmcnt(3)
	v_add_f64 v[48:49], v[34:35], v[46:47]
	v_add_f64 v[50:51], v[32:33], v[44:45]
	v_cvt_f32_f64_e32 v50, v[50:51]
	v_cvt_f32_f64_e32 v48, v[48:49]
	v_min3_f32 v109, v50, v48, v109
	v_add_f64 v[48:49], v[30:31], v[46:47]
	v_add_f64 v[50:51], v[28:29], v[44:45]
	v_cvt_f32_f64_e32 v50, v[50:51]
	v_cvt_f32_f64_e32 v48, v[48:49]
	v_min3_f32 v108, v50, v48, v108
	v_add_f64 v[48:49], v[26:27], v[46:47]
	v_add_f64 v[50:51], v[24:25], v[44:45]
	v_cvt_f32_f64_e32 v50, v[50:51]
	v_cvt_f32_f64_e32 v48, v[48:49]
	v_min3_f32 v107, v50, v48, v107
	v_add_f64 v[48:49], v[18:19], v[46:47]
	v_add_f64 v[50:51], v[16:17], v[44:45]
	v_cvt_f32_f64_e32 v50, v[50:51]
	v_cvt_f32_f64_e32 v48, v[48:49]
	v_min3_f32 v106, v50, v48, v106
	v_add_f64 v[48:49], v[14:15], v[46:47]
	v_add_f64 v[50:51], v[12:13], v[44:45]
	v_cvt_f32_f64_e32 v50, v[50:51]
	v_cvt_f32_f64_e32 v48, v[48:49]
	v_min3_f32 v105, v50, v48, v105
	v_add_f64 v[48:49], v[10:11], v[46:47]
	v_add_f64 v[50:51], v[8:9], v[44:45]
	v_cvt_f32_f64_e32 v50, v[50:51]
	v_cvt_f32_f64_e32 v48, v[48:49]
	v_min3_f32 v104, v50, v48, v104
	v_add_f64 v[48:49], v[6:7], v[46:47]
	v_add_f64 v[50:51], v[4:5], v[44:45]
	v_add_f64 v[46:47], v[2:3], v[46:47]
	v_add_f64 v[44:45], v[0:1], v[44:45]
	v_cvt_f32_f64_e32 v44, v[44:45]
	v_cvt_f32_f64_e32 v45, v[46:47]
	v_min3_f32 v102, v44, v45, v102
	s_waitcnt lgkmcnt(2)
	v_add_f64 v[44:45], v[34:35], v[42:43]
	v_add_f64 v[46:47], v[32:33], v[40:41]
	v_cvt_f32_f64_e32 v46, v[46:47]
	v_cvt_f32_f64_e32 v44, v[44:45]
	v_min3_f32 v101, v46, v44, v101
	v_add_f64 v[44:45], v[30:31], v[42:43]
	v_add_f64 v[46:47], v[28:29], v[40:41]
	v_cvt_f32_f64_e32 v46, v[46:47]
	v_cvt_f32_f64_e32 v44, v[44:45]
	v_min3_f32 v100, v46, v44, v100
	v_add_f64 v[44:45], v[26:27], v[42:43]
	v_add_f64 v[46:47], v[24:25], v[40:41]
	v_cvt_f32_f64_e32 v46, v[46:47]
	v_cvt_f32_f64_e32 v44, v[44:45]
	v_min3_f32 v99, v46, v44, v99
	v_add_f64 v[44:45], v[18:19], v[42:43]
	v_add_f64 v[46:47], v[16:17], v[40:41]
	v_cvt_f32_f64_e32 v46, v[46:47]
	v_cvt_f32_f64_e32 v44, v[44:45]
	v_min3_f32 v98, v46, v44, v98
	v_add_f64 v[44:45], v[14:15], v[42:43]
	v_add_f64 v[46:47], v[12:13], v[40:41]
	v_cvt_f32_f64_e32 v46, v[46:47]
	v_cvt_f32_f64_e32 v44, v[44:45]
	v_min3_f32 v97, v46, v44, v97
	v_add_f64 v[44:45], v[10:11], v[42:43]
	v_add_f64 v[46:47], v[8:9], v[40:41]
	v_cvt_f32_f64_e32 v46, v[46:47]
	v_cvt_f32_f64_e32 v44, v[44:45]
	v_min3_f32 v96, v46, v44, v96
	v_add_f64 v[44:45], v[6:7], v[42:43]
	v_add_f64 v[46:47], v[4:5], v[40:41]
	v_add_f64 v[42:43], v[2:3], v[42:43]
	v_add_f64 v[40:41], v[0:1], v[40:41]
	v_cvt_f32_f64_e32 v40, v[40:41]
	v_cvt_f32_f64_e32 v41, v[42:43]
	v_min3_f32 v94, v40, v41, v94
	s_waitcnt lgkmcnt(1)
	v_add_f64 v[40:41], v[34:35], v[38:39]
	v_add_f64 v[42:43], v[32:33], v[36:37]
	v_cvt_f32_f64_e32 v42, v[42:43]
	v_cvt_f32_f64_e32 v40, v[40:41]
	v_min3_f32 v93, v42, v40, v93
	v_add_f64 v[40:41], v[30:31], v[38:39]
	v_add_f64 v[42:43], v[28:29], v[36:37]
	v_cvt_f32_f64_e32 v42, v[42:43]
	v_cvt_f32_f64_e32 v40, v[40:41]
	v_min3_f32 v92, v42, v40, v92
	;; [unrolled: 5-line block ×6, first 2 shown]
	v_add_f64 v[40:41], v[6:7], v[38:39]
	v_add_f64 v[42:43], v[4:5], v[36:37]
	;; [unrolled: 1-line block ×4, first 2 shown]
	s_waitcnt lgkmcnt(0)
	v_add_f64 v[34:35], v[34:35], v[22:23]
	v_add_f64 v[32:33], v[32:33], v[20:21]
	;; [unrolled: 1-line block ×16, first 2 shown]
	v_cvt_f32_f64_e32 v75, v[150:151]
	v_cvt_f32_f64_e32 v76, v[76:77]
	;; [unrolled: 1-line block ×30, first 2 shown]
	v_min3_f32 v127, v75, v76, v127
	v_min3_f32 v119, v58, v56, v119
	;; [unrolled: 1-line block ×15, first 2 shown]
	s_mov_b32 s25, 2
	s_mov_b64 s[2:3], 0
	s_cbranch_vccz .LBB174_22
; %bb.23:
	s_load_dword s26, s[0:1], 0x8
	v_lshlrev_b32_e32 v0, 5, v73
	v_lshl_add_u32 v0, v145, 3, v0
	s_mov_b32 s25, 8
	ds_write_b64 v74, v[62:63] offset:18432
	s_waitcnt lgkmcnt(0)
	s_cmp_gt_i32 s26, 8
	ds_write2st64_b64 v0, v[64:65], v[66:67] offset0:16 offset1:20
	ds_write2st64_b64 v0, v[68:69], v[70:71] offset0:24 offset1:28
	s_waitcnt lgkmcnt(0)
	s_barrier
	s_cbranch_scc0 .LBB174_46
; %bb.24:
	v_or_b32_e32 v150, 0x2000, v0
	v_mad_i64_i32 v[0:1], s[2:3], v72, s27, 0
	v_lshl_add_u64 v[62:63], v[0:1], 3, s[22:23]
	v_add_u32_e32 v149, 0x4800, v74
	s_add_i32 s26, s26, -8
	v_lshl_add_u64 v[64:65], v[62:63], 0, 32
	s_mov_b32 s22, 0
	v_mov_b32_e32 v67, 0
.LBB174_25:                             ; =>This Loop Header: Depth=1
                                        ;     Child Loop BB174_34 Depth 2
                                        ;     Child Loop BB174_44 Depth 2
	s_and_b64 vcc, exec, s[4:5]
	s_cbranch_vccnz .LBB174_27
; %bb.26:                               ;   in Loop: Header=BB174_25 Depth=1
	v_or_b32_e32 v66, s25, v144
	v_lshl_add_u64 v[0:1], v[66:67], 3, v[62:63]
	flat_load_dwordx2 v[0:1], v[0:1]
	s_waitcnt vmcnt(0) lgkmcnt(0)
	v_mul_f64 v[68:69], s[18:19], v[0:1]
	s_branch .LBB174_28
.LBB174_27:                             ;   in Loop: Header=BB174_25 Depth=1
	v_mov_b64_e32 v[68:69], 0
.LBB174_28:                             ;   in Loop: Header=BB174_25 Depth=1
	v_add_u32_e32 v3, s25, v145
	v_mad_u64_u32 v[0:1], s[2:3], v3, s17, 0
	v_mov_b32_e32 v2, v1
	v_mad_u64_u32 v[2:3], s[2:3], v3, s24, v[2:3]
	v_mov_b32_e32 v1, v2
	v_lshl_add_u64 v[0:1], v[0:1], 3, s[20:21]
	s_and_b64 vcc, exec, s[4:5]
	v_lshl_add_u64 v[0:1], v[60:61], 3, v[0:1]
	s_cbranch_vccnz .LBB174_31
; %bb.29:                               ;   in Loop: Header=BB174_25 Depth=1
	flat_load_dwordx2 v[2:3], v[0:1]
	flat_load_dwordx2 v[4:5], v[0:1] offset:512
	s_waitcnt vmcnt(0) lgkmcnt(0)
	v_mul_f64 v[70:71], s[18:19], v[2:3]
	v_mul_f64 v[72:73], s[18:19], v[4:5]
	s_and_b64 vcc, exec, s[4:5]
	s_cbranch_vccnz .LBB174_32
.LBB174_30:                             ;   in Loop: Header=BB174_25 Depth=1
	flat_load_dwordx2 v[2:3], v[0:1] offset:1024
	flat_load_dwordx2 v[4:5], v[0:1] offset:1536
	s_waitcnt vmcnt(0) lgkmcnt(0)
	v_mul_f64 v[74:75], s[18:19], v[2:3]
	v_mul_f64 v[76:77], s[18:19], v[4:5]
	s_branch .LBB174_33
.LBB174_31:                             ;   in Loop: Header=BB174_25 Depth=1
	v_mov_b64_e32 v[70:71], 0
	v_mov_b64_e32 v[72:73], 0
	s_and_b64 vcc, exec, s[4:5]
	s_cbranch_vccz .LBB174_30
.LBB174_32:                             ;   in Loop: Header=BB174_25 Depth=1
	v_mov_b64_e32 v[74:75], 0
	v_mov_b64_e32 v[76:77], 0
.LBB174_33:                             ;   in Loop: Header=BB174_25 Depth=1
	s_mov_b32 s23, 0
	s_mov_b64 s[2:3], -1
.LBB174_34:                             ;   Parent Loop BB174_25 Depth=1
                                        ; =>  This Inner Loop Header: Depth=2
	v_cndmask_b32_e64 v0, 0, 1, s[2:3]
	s_lshl_b32 s2, s23, 3
	v_cmp_ne_u32_e32 vcc, 1, v0
	v_lshl_add_u32 v0, v135, 5, s2
	v_lshl_add_u32 v20, v136, 5, s2
	ds_read_b128 v[32:35], v0 offset:18432
	ds_read_b128 v[28:31], v0 offset:18688
	;; [unrolled: 1-line block ×16, first 2 shown]
	s_waitcnt lgkmcnt(7)
	v_add_f64 v[156:157], v[34:35], v[154:155]
	v_add_f64 v[158:159], v[32:33], v[152:153]
	v_cvt_f32_f64_e32 v66, v[158:159]
	v_cvt_f32_f64_e32 v151, v[156:157]
	v_add_f64 v[156:157], v[30:31], v[154:155]
	v_add_f64 v[158:159], v[28:29], v[152:153]
	v_min3_f32 v143, v66, v151, v143
	v_cvt_f32_f64_e32 v66, v[158:159]
	v_cvt_f32_f64_e32 v151, v[156:157]
	v_add_f64 v[156:157], v[26:27], v[154:155]
	v_add_f64 v[158:159], v[24:25], v[152:153]
	v_min3_f32 v142, v66, v151, v142
	;; [unrolled: 5-line block ×7, first 2 shown]
	v_cvt_f32_f64_e32 v66, v[152:153]
	v_cvt_f32_f64_e32 v151, v[154:155]
	s_waitcnt lgkmcnt(6)
	v_add_f64 v[152:153], v[34:35], v[58:59]
	v_add_f64 v[154:155], v[32:33], v[56:57]
	v_min3_f32 v134, v66, v151, v134
	v_cvt_f32_f64_e32 v66, v[154:155]
	v_cvt_f32_f64_e32 v151, v[152:153]
	v_add_f64 v[152:153], v[30:31], v[58:59]
	v_add_f64 v[154:155], v[28:29], v[56:57]
	v_min3_f32 v133, v66, v151, v133
	v_cvt_f32_f64_e32 v66, v[154:155]
	v_cvt_f32_f64_e32 v151, v[152:153]
	;; [unrolled: 5-line block ×6, first 2 shown]
	v_add_f64 v[152:153], v[6:7], v[58:59]
	v_add_f64 v[154:155], v[4:5], v[56:57]
	v_add_f64 v[58:59], v[2:3], v[58:59]
	v_add_f64 v[56:57], v[0:1], v[56:57]
	v_cvt_f32_f64_e32 v56, v[56:57]
	v_cvt_f32_f64_e32 v57, v[58:59]
	v_min3_f32 v126, v56, v57, v126
	s_waitcnt lgkmcnt(5)
	v_add_f64 v[56:57], v[34:35], v[54:55]
	v_add_f64 v[58:59], v[32:33], v[52:53]
	v_cvt_f32_f64_e32 v58, v[58:59]
	v_cvt_f32_f64_e32 v56, v[56:57]
	v_min3_f32 v125, v58, v56, v125
	v_add_f64 v[56:57], v[30:31], v[54:55]
	v_add_f64 v[58:59], v[28:29], v[52:53]
	v_cvt_f32_f64_e32 v58, v[58:59]
	v_cvt_f32_f64_e32 v56, v[56:57]
	v_min3_f32 v124, v58, v56, v124
	v_add_f64 v[56:57], v[26:27], v[54:55]
	v_add_f64 v[58:59], v[24:25], v[52:53]
	v_cvt_f32_f64_e32 v58, v[58:59]
	v_cvt_f32_f64_e32 v56, v[56:57]
	v_min3_f32 v123, v58, v56, v123
	v_add_f64 v[56:57], v[18:19], v[54:55]
	v_add_f64 v[58:59], v[16:17], v[52:53]
	v_cvt_f32_f64_e32 v58, v[58:59]
	v_cvt_f32_f64_e32 v56, v[56:57]
	v_min3_f32 v122, v58, v56, v122
	v_add_f64 v[56:57], v[14:15], v[54:55]
	v_add_f64 v[58:59], v[12:13], v[52:53]
	v_cvt_f32_f64_e32 v58, v[58:59]
	v_cvt_f32_f64_e32 v56, v[56:57]
	v_min3_f32 v121, v58, v56, v121
	v_add_f64 v[56:57], v[10:11], v[54:55]
	v_add_f64 v[58:59], v[8:9], v[52:53]
	v_cvt_f32_f64_e32 v58, v[58:59]
	v_cvt_f32_f64_e32 v56, v[56:57]
	v_min3_f32 v120, v58, v56, v120
	v_add_f64 v[56:57], v[6:7], v[54:55]
	v_add_f64 v[58:59], v[4:5], v[52:53]
	v_add_f64 v[54:55], v[2:3], v[54:55]
	v_add_f64 v[52:53], v[0:1], v[52:53]
	v_cvt_f32_f64_e32 v52, v[52:53]
	v_cvt_f32_f64_e32 v53, v[54:55]
	v_min3_f32 v118, v52, v53, v118
	s_waitcnt lgkmcnt(4)
	v_add_f64 v[52:53], v[34:35], v[50:51]
	v_add_f64 v[54:55], v[32:33], v[48:49]
	v_cvt_f32_f64_e32 v54, v[54:55]
	v_cvt_f32_f64_e32 v52, v[52:53]
	v_min3_f32 v117, v54, v52, v117
	v_add_f64 v[52:53], v[30:31], v[50:51]
	v_add_f64 v[54:55], v[28:29], v[48:49]
	v_cvt_f32_f64_e32 v54, v[54:55]
	v_cvt_f32_f64_e32 v52, v[52:53]
	v_min3_f32 v116, v54, v52, v116
	v_add_f64 v[52:53], v[26:27], v[50:51]
	v_add_f64 v[54:55], v[24:25], v[48:49]
	v_cvt_f32_f64_e32 v54, v[54:55]
	v_cvt_f32_f64_e32 v52, v[52:53]
	v_min3_f32 v115, v54, v52, v115
	v_add_f64 v[52:53], v[18:19], v[50:51]
	v_add_f64 v[54:55], v[16:17], v[48:49]
	v_cvt_f32_f64_e32 v54, v[54:55]
	v_cvt_f32_f64_e32 v52, v[52:53]
	v_min3_f32 v114, v54, v52, v114
	v_add_f64 v[52:53], v[14:15], v[50:51]
	v_add_f64 v[54:55], v[12:13], v[48:49]
	v_cvt_f32_f64_e32 v54, v[54:55]
	v_cvt_f32_f64_e32 v52, v[52:53]
	v_min3_f32 v113, v54, v52, v113
	v_add_f64 v[52:53], v[10:11], v[50:51]
	v_add_f64 v[54:55], v[8:9], v[48:49]
	v_cvt_f32_f64_e32 v54, v[54:55]
	v_cvt_f32_f64_e32 v52, v[52:53]
	v_min3_f32 v112, v54, v52, v112
	;; [unrolled: 38-line block ×5, first 2 shown]
	v_add_f64 v[40:41], v[6:7], v[38:39]
	v_add_f64 v[42:43], v[4:5], v[36:37]
	;; [unrolled: 1-line block ×4, first 2 shown]
	s_waitcnt lgkmcnt(0)
	v_add_f64 v[34:35], v[34:35], v[22:23]
	v_add_f64 v[32:33], v[32:33], v[20:21]
	;; [unrolled: 1-line block ×16, first 2 shown]
	v_min3_f32 v128, v66, v151, v128
	v_cvt_f32_f64_e32 v66, v[154:155]
	v_cvt_f32_f64_e32 v151, v[152:153]
	;; [unrolled: 1-line block ×30, first 2 shown]
	v_min3_f32 v127, v66, v151, v127
	v_min3_f32 v119, v58, v56, v119
	;; [unrolled: 1-line block ×15, first 2 shown]
	s_mov_b32 s23, 2
	s_mov_b64 s[2:3], 0
	s_cbranch_vccz .LBB174_34
; %bb.35:                               ;   in Loop: Header=BB174_25 Depth=1
	s_and_b64 vcc, exec, s[4:5]
	ds_write_b64 v147, v[68:69]
	ds_write2st64_b64 v148, v[70:71], v[72:73] offset1:4
	ds_write2st64_b64 v148, v[74:75], v[76:77] offset0:8 offset1:12
	s_waitcnt lgkmcnt(0)
	s_barrier
	s_cbranch_vccnz .LBB174_37
; %bb.36:                               ;   in Loop: Header=BB174_25 Depth=1
	v_or_b32_e32 v66, s25, v144
	v_lshl_add_u64 v[0:1], v[66:67], 3, v[64:65]
	flat_load_dwordx2 v[0:1], v[0:1]
	s_waitcnt vmcnt(0) lgkmcnt(0)
	v_mul_f64 v[68:69], s[18:19], v[0:1]
	s_branch .LBB174_38
.LBB174_37:                             ;   in Loop: Header=BB174_25 Depth=1
	v_mov_b64_e32 v[68:69], 0
.LBB174_38:                             ;   in Loop: Header=BB174_25 Depth=1
	v_add_u32_e32 v3, s25, v146
	v_mad_u64_u32 v[0:1], s[2:3], v3, s17, 0
	v_mov_b32_e32 v2, v1
	v_mad_u64_u32 v[2:3], s[2:3], v3, s24, v[2:3]
	v_mov_b32_e32 v1, v2
	v_lshl_add_u64 v[0:1], v[0:1], 3, s[20:21]
	s_and_b64 vcc, exec, s[4:5]
	v_lshl_add_u64 v[0:1], v[60:61], 3, v[0:1]
	s_cbranch_vccnz .LBB174_41
; %bb.39:                               ;   in Loop: Header=BB174_25 Depth=1
	flat_load_dwordx2 v[2:3], v[0:1]
	flat_load_dwordx2 v[4:5], v[0:1] offset:512
	s_waitcnt vmcnt(0) lgkmcnt(0)
	v_mul_f64 v[70:71], s[18:19], v[2:3]
	v_mul_f64 v[72:73], s[18:19], v[4:5]
	s_and_b64 vcc, exec, s[4:5]
	s_cbranch_vccnz .LBB174_42
.LBB174_40:                             ;   in Loop: Header=BB174_25 Depth=1
	flat_load_dwordx2 v[2:3], v[0:1] offset:1024
	flat_load_dwordx2 v[4:5], v[0:1] offset:1536
	s_waitcnt vmcnt(0) lgkmcnt(0)
	v_mul_f64 v[74:75], s[18:19], v[2:3]
	v_mul_f64 v[76:77], s[18:19], v[4:5]
	s_branch .LBB174_43
.LBB174_41:                             ;   in Loop: Header=BB174_25 Depth=1
	v_mov_b64_e32 v[70:71], 0
	v_mov_b64_e32 v[72:73], 0
	s_and_b64 vcc, exec, s[4:5]
	s_cbranch_vccz .LBB174_40
.LBB174_42:                             ;   in Loop: Header=BB174_25 Depth=1
	v_mov_b64_e32 v[74:75], 0
	v_mov_b64_e32 v[76:77], 0
.LBB174_43:                             ;   in Loop: Header=BB174_25 Depth=1
	s_mov_b32 s23, 0
	s_mov_b64 s[2:3], -1
.LBB174_44:                             ;   Parent Loop BB174_25 Depth=1
                                        ; =>  This Inner Loop Header: Depth=2
	v_cndmask_b32_e64 v0, 0, 1, s[2:3]
	s_lshl_b32 s2, s23, 3
	v_cmp_ne_u32_e32 vcc, 1, v0
	v_lshl_add_u32 v0, v135, 5, s2
	v_lshl_add_u32 v20, v136, 5, s2
	ds_read_b128 v[32:35], v0 offset:16384
	ds_read_b128 v[28:31], v0 offset:16640
	;; [unrolled: 1-line block ×8, first 2 shown]
	ds_read_b128 v[152:155], v20
	ds_read_b128 v[56:59], v20 offset:1024
	ds_read_b128 v[52:55], v20 offset:2048
	;; [unrolled: 1-line block ×7, first 2 shown]
	s_waitcnt lgkmcnt(7)
	v_add_f64 v[156:157], v[34:35], v[154:155]
	v_add_f64 v[158:159], v[32:33], v[152:153]
	v_cvt_f32_f64_e32 v66, v[158:159]
	v_cvt_f32_f64_e32 v151, v[156:157]
	v_add_f64 v[156:157], v[30:31], v[154:155]
	v_add_f64 v[158:159], v[28:29], v[152:153]
	v_min3_f32 v143, v66, v151, v143
	v_cvt_f32_f64_e32 v66, v[158:159]
	v_cvt_f32_f64_e32 v151, v[156:157]
	v_add_f64 v[156:157], v[26:27], v[154:155]
	v_add_f64 v[158:159], v[24:25], v[152:153]
	v_min3_f32 v142, v66, v151, v142
	;; [unrolled: 5-line block ×7, first 2 shown]
	v_cvt_f32_f64_e32 v66, v[152:153]
	v_cvt_f32_f64_e32 v151, v[154:155]
	s_waitcnt lgkmcnt(6)
	v_add_f64 v[152:153], v[34:35], v[58:59]
	v_add_f64 v[154:155], v[32:33], v[56:57]
	v_min3_f32 v134, v66, v151, v134
	v_cvt_f32_f64_e32 v66, v[154:155]
	v_cvt_f32_f64_e32 v151, v[152:153]
	v_add_f64 v[152:153], v[30:31], v[58:59]
	v_add_f64 v[154:155], v[28:29], v[56:57]
	v_min3_f32 v133, v66, v151, v133
	v_cvt_f32_f64_e32 v66, v[154:155]
	v_cvt_f32_f64_e32 v151, v[152:153]
	;; [unrolled: 5-line block ×6, first 2 shown]
	v_add_f64 v[152:153], v[6:7], v[58:59]
	v_add_f64 v[154:155], v[4:5], v[56:57]
	v_add_f64 v[58:59], v[2:3], v[58:59]
	v_add_f64 v[56:57], v[0:1], v[56:57]
	v_cvt_f32_f64_e32 v56, v[56:57]
	v_cvt_f32_f64_e32 v57, v[58:59]
	v_min3_f32 v126, v56, v57, v126
	s_waitcnt lgkmcnt(5)
	v_add_f64 v[56:57], v[34:35], v[54:55]
	v_add_f64 v[58:59], v[32:33], v[52:53]
	v_cvt_f32_f64_e32 v58, v[58:59]
	v_cvt_f32_f64_e32 v56, v[56:57]
	v_min3_f32 v125, v58, v56, v125
	v_add_f64 v[56:57], v[30:31], v[54:55]
	v_add_f64 v[58:59], v[28:29], v[52:53]
	v_cvt_f32_f64_e32 v58, v[58:59]
	v_cvt_f32_f64_e32 v56, v[56:57]
	v_min3_f32 v124, v58, v56, v124
	v_add_f64 v[56:57], v[26:27], v[54:55]
	v_add_f64 v[58:59], v[24:25], v[52:53]
	v_cvt_f32_f64_e32 v58, v[58:59]
	v_cvt_f32_f64_e32 v56, v[56:57]
	v_min3_f32 v123, v58, v56, v123
	v_add_f64 v[56:57], v[18:19], v[54:55]
	v_add_f64 v[58:59], v[16:17], v[52:53]
	v_cvt_f32_f64_e32 v58, v[58:59]
	v_cvt_f32_f64_e32 v56, v[56:57]
	v_min3_f32 v122, v58, v56, v122
	v_add_f64 v[56:57], v[14:15], v[54:55]
	v_add_f64 v[58:59], v[12:13], v[52:53]
	v_cvt_f32_f64_e32 v58, v[58:59]
	v_cvt_f32_f64_e32 v56, v[56:57]
	v_min3_f32 v121, v58, v56, v121
	v_add_f64 v[56:57], v[10:11], v[54:55]
	v_add_f64 v[58:59], v[8:9], v[52:53]
	v_cvt_f32_f64_e32 v58, v[58:59]
	v_cvt_f32_f64_e32 v56, v[56:57]
	v_min3_f32 v120, v58, v56, v120
	v_add_f64 v[56:57], v[6:7], v[54:55]
	v_add_f64 v[58:59], v[4:5], v[52:53]
	v_add_f64 v[54:55], v[2:3], v[54:55]
	v_add_f64 v[52:53], v[0:1], v[52:53]
	v_cvt_f32_f64_e32 v52, v[52:53]
	v_cvt_f32_f64_e32 v53, v[54:55]
	v_min3_f32 v118, v52, v53, v118
	s_waitcnt lgkmcnt(4)
	v_add_f64 v[52:53], v[34:35], v[50:51]
	v_add_f64 v[54:55], v[32:33], v[48:49]
	v_cvt_f32_f64_e32 v54, v[54:55]
	v_cvt_f32_f64_e32 v52, v[52:53]
	v_min3_f32 v117, v54, v52, v117
	v_add_f64 v[52:53], v[30:31], v[50:51]
	v_add_f64 v[54:55], v[28:29], v[48:49]
	v_cvt_f32_f64_e32 v54, v[54:55]
	v_cvt_f32_f64_e32 v52, v[52:53]
	v_min3_f32 v116, v54, v52, v116
	v_add_f64 v[52:53], v[26:27], v[50:51]
	v_add_f64 v[54:55], v[24:25], v[48:49]
	v_cvt_f32_f64_e32 v54, v[54:55]
	v_cvt_f32_f64_e32 v52, v[52:53]
	v_min3_f32 v115, v54, v52, v115
	v_add_f64 v[52:53], v[18:19], v[50:51]
	v_add_f64 v[54:55], v[16:17], v[48:49]
	v_cvt_f32_f64_e32 v54, v[54:55]
	v_cvt_f32_f64_e32 v52, v[52:53]
	v_min3_f32 v114, v54, v52, v114
	v_add_f64 v[52:53], v[14:15], v[50:51]
	v_add_f64 v[54:55], v[12:13], v[48:49]
	v_cvt_f32_f64_e32 v54, v[54:55]
	v_cvt_f32_f64_e32 v52, v[52:53]
	v_min3_f32 v113, v54, v52, v113
	v_add_f64 v[52:53], v[10:11], v[50:51]
	v_add_f64 v[54:55], v[8:9], v[48:49]
	v_cvt_f32_f64_e32 v54, v[54:55]
	v_cvt_f32_f64_e32 v52, v[52:53]
	v_min3_f32 v112, v54, v52, v112
	;; [unrolled: 38-line block ×5, first 2 shown]
	v_add_f64 v[40:41], v[6:7], v[38:39]
	v_add_f64 v[42:43], v[4:5], v[36:37]
	;; [unrolled: 1-line block ×4, first 2 shown]
	s_waitcnt lgkmcnt(0)
	v_add_f64 v[34:35], v[34:35], v[22:23]
	v_add_f64 v[32:33], v[32:33], v[20:21]
	;; [unrolled: 1-line block ×16, first 2 shown]
	v_min3_f32 v128, v66, v151, v128
	v_cvt_f32_f64_e32 v66, v[154:155]
	v_cvt_f32_f64_e32 v151, v[152:153]
	;; [unrolled: 1-line block ×30, first 2 shown]
	v_min3_f32 v127, v66, v151, v127
	v_min3_f32 v119, v58, v56, v119
	;; [unrolled: 1-line block ×15, first 2 shown]
	s_mov_b32 s23, 2
	s_mov_b64 s[2:3], 0
	s_cbranch_vccz .LBB174_44
; %bb.45:                               ;   in Loop: Header=BB174_25 Depth=1
	s_add_i32 s25, s25, 8
	s_add_i32 s22, s22, 8
	s_cmp_ge_i32 s22, s26
	ds_write_b64 v149, v[68:69]
	ds_write2st64_b64 v150, v[70:71], v[72:73] offset1:4
	ds_write2st64_b64 v150, v[74:75], v[76:77] offset0:8 offset1:12
	s_waitcnt lgkmcnt(0)
	s_barrier
	s_cbranch_scc0 .LBB174_25
.LBB174_46:
	s_mov_b32 s4, 0
	s_mov_b64 s[2:3], -1
.LBB174_47:                             ; =>This Inner Loop Header: Depth=1
	v_cndmask_b32_e64 v0, 0, 1, s[2:3]
	s_lshl_b32 s2, s4, 3
	v_cmp_ne_u32_e32 vcc, 1, v0
	v_lshl_add_u32 v0, v135, 5, s2
	v_lshl_add_u32 v20, v136, 5, s2
	ds_read_b128 v[32:35], v0 offset:18432
	ds_read_b128 v[28:31], v0 offset:18688
	;; [unrolled: 1-line block ×16, first 2 shown]
	s_waitcnt lgkmcnt(7)
	v_add_f64 v[64:65], v[34:35], v[62:63]
	v_add_f64 v[66:67], v[32:33], v[60:61]
	v_cvt_f32_f64_e32 v66, v[66:67]
	v_cvt_f32_f64_e32 v64, v[64:65]
	v_min3_f32 v143, v66, v64, v143
	v_add_f64 v[64:65], v[30:31], v[62:63]
	v_add_f64 v[66:67], v[28:29], v[60:61]
	v_cvt_f32_f64_e32 v66, v[66:67]
	v_cvt_f32_f64_e32 v64, v[64:65]
	v_min3_f32 v142, v66, v64, v142
	v_add_f64 v[64:65], v[26:27], v[62:63]
	v_add_f64 v[66:67], v[24:25], v[60:61]
	v_cvt_f32_f64_e32 v66, v[66:67]
	v_cvt_f32_f64_e32 v64, v[64:65]
	v_min3_f32 v141, v66, v64, v141
	v_add_f64 v[64:65], v[18:19], v[62:63]
	v_add_f64 v[66:67], v[16:17], v[60:61]
	v_cvt_f32_f64_e32 v66, v[66:67]
	v_cvt_f32_f64_e32 v64, v[64:65]
	v_min3_f32 v140, v66, v64, v140
	v_add_f64 v[64:65], v[14:15], v[62:63]
	v_add_f64 v[66:67], v[12:13], v[60:61]
	v_cvt_f32_f64_e32 v66, v[66:67]
	v_cvt_f32_f64_e32 v64, v[64:65]
	v_min3_f32 v139, v66, v64, v139
	v_add_f64 v[64:65], v[10:11], v[62:63]
	v_add_f64 v[66:67], v[8:9], v[60:61]
	v_cvt_f32_f64_e32 v66, v[66:67]
	v_cvt_f32_f64_e32 v64, v[64:65]
	v_min3_f32 v138, v66, v64, v138
	v_add_f64 v[64:65], v[6:7], v[62:63]
	v_add_f64 v[66:67], v[4:5], v[60:61]
	v_add_f64 v[62:63], v[2:3], v[62:63]
	v_add_f64 v[60:61], v[0:1], v[60:61]
	v_cvt_f32_f64_e32 v60, v[60:61]
	v_cvt_f32_f64_e32 v61, v[62:63]
	v_min3_f32 v134, v60, v61, v134
	s_waitcnt lgkmcnt(6)
	v_add_f64 v[60:61], v[34:35], v[58:59]
	v_add_f64 v[62:63], v[32:33], v[56:57]
	v_cvt_f32_f64_e32 v62, v[62:63]
	v_cvt_f32_f64_e32 v60, v[60:61]
	v_min3_f32 v133, v62, v60, v133
	v_add_f64 v[60:61], v[30:31], v[58:59]
	v_add_f64 v[62:63], v[28:29], v[56:57]
	v_cvt_f32_f64_e32 v62, v[62:63]
	v_cvt_f32_f64_e32 v60, v[60:61]
	v_min3_f32 v132, v62, v60, v132
	v_add_f64 v[60:61], v[26:27], v[58:59]
	v_add_f64 v[62:63], v[24:25], v[56:57]
	v_cvt_f32_f64_e32 v62, v[62:63]
	v_cvt_f32_f64_e32 v60, v[60:61]
	v_min3_f32 v131, v62, v60, v131
	v_add_f64 v[60:61], v[18:19], v[58:59]
	v_add_f64 v[62:63], v[16:17], v[56:57]
	v_cvt_f32_f64_e32 v62, v[62:63]
	v_cvt_f32_f64_e32 v60, v[60:61]
	v_min3_f32 v130, v62, v60, v130
	v_add_f64 v[60:61], v[14:15], v[58:59]
	v_add_f64 v[62:63], v[12:13], v[56:57]
	v_cvt_f32_f64_e32 v62, v[62:63]
	v_cvt_f32_f64_e32 v60, v[60:61]
	v_min3_f32 v129, v62, v60, v129
	v_add_f64 v[60:61], v[10:11], v[58:59]
	v_add_f64 v[62:63], v[8:9], v[56:57]
	v_cvt_f32_f64_e32 v62, v[62:63]
	v_cvt_f32_f64_e32 v60, v[60:61]
	v_min3_f32 v128, v62, v60, v128
	v_add_f64 v[60:61], v[6:7], v[58:59]
	v_add_f64 v[62:63], v[4:5], v[56:57]
	v_add_f64 v[58:59], v[2:3], v[58:59]
	v_add_f64 v[56:57], v[0:1], v[56:57]
	v_cvt_f32_f64_e32 v56, v[56:57]
	v_cvt_f32_f64_e32 v57, v[58:59]
	v_min3_f32 v126, v56, v57, v126
	;; [unrolled: 38-line block ×6, first 2 shown]
	s_waitcnt lgkmcnt(1)
	v_add_f64 v[40:41], v[34:35], v[38:39]
	v_add_f64 v[42:43], v[32:33], v[36:37]
	v_cvt_f32_f64_e32 v42, v[42:43]
	v_cvt_f32_f64_e32 v40, v[40:41]
	v_min3_f32 v93, v42, v40, v93
	v_add_f64 v[40:41], v[30:31], v[38:39]
	v_add_f64 v[42:43], v[28:29], v[36:37]
	v_cvt_f32_f64_e32 v42, v[42:43]
	v_cvt_f32_f64_e32 v40, v[40:41]
	v_min3_f32 v92, v42, v40, v92
	;; [unrolled: 5-line block ×6, first 2 shown]
	v_add_f64 v[40:41], v[6:7], v[38:39]
	v_add_f64 v[42:43], v[4:5], v[36:37]
	;; [unrolled: 1-line block ×4, first 2 shown]
	s_waitcnt lgkmcnt(0)
	v_add_f64 v[34:35], v[34:35], v[22:23]
	v_add_f64 v[32:33], v[32:33], v[20:21]
	;; [unrolled: 1-line block ×16, first 2 shown]
	v_cvt_f32_f64_e32 v66, v[66:67]
	v_cvt_f32_f64_e32 v64, v[64:65]
	;; [unrolled: 1-line block ×32, first 2 shown]
	v_min3_f32 v137, v66, v64, v137
	v_min3_f32 v127, v62, v60, v127
	;; [unrolled: 1-line block ×16, first 2 shown]
	s_mov_b32 s4, 2
	s_mov_b64 s[2:3], 0
	s_cbranch_vccz .LBB174_47
; %bb.48:
	s_load_dwordx2 s[2:3], s[0:1], 0x78
	s_load_dword s17, s[0:1], 0x58
	s_load_dword s18, s[0:1], 0x70
	v_add_u32_e32 v8, s8, v135
	v_add_u32_e32 v30, s9, v136
	s_waitcnt lgkmcnt(0)
	s_mul_i32 s1, s16, s3
	s_mul_hi_u32 s3, s16, s2
	s_mul_i32 s0, s16, s2
	s_add_i32 s1, s3, s1
	s_lshl_b64 s[0:1], s[0:1], 3
	s_add_u32 s0, s10, s0
	s_addc_u32 s1, s11, s1
	v_add_u32_e32 v0, 8, v8
	v_mad_i64_i32 v[2:3], s[2:3], v30, s18, 0
	v_ashrrev_i32_e32 v9, 31, v8
	v_ashrrev_i32_e32 v1, 31, v0
	v_lshl_add_u64 v[24:25], v[2:3], 3, s[0:1]
	v_mad_i64_i32 v[2:3], s[2:3], v30, s17, 0
	v_max_f32_e32 v4, v143, v143
	s_mov_b64 vcc, s[6:7]
	s_cbranch_vccz .LBB174_51
; %bb.49:
	v_min_f32_e32 v5, 0, v4
	v_cvt_f64_f32_e32 v[6:7], v5
	v_lshl_add_u64 v[10:11], v[8:9], 3, v[24:25]
	global_store_dwordx2 v[10:11], v[6:7], off
	s_mov_b64 s[2:3], 0
	v_lshl_add_u64 v[26:27], v[2:3], 3, s[14:15]
	v_lshlrev_b64 v[12:13], 3, v[8:9]
	s_cbranch_execz .LBB174_52
; %bb.50:
	v_mov_b64_e32 v[4:5], s[2:3]
	s_branch .LBB174_53
.LBB174_51:
                                        ; implicit-def: $sgpr2_sgpr3
	v_lshl_add_u64 v[26:27], v[2:3], 3, s[14:15]
	v_lshlrev_b64 v[12:13], 3, v[8:9]
.LBB174_52:
	v_lshl_add_u64 v[2:3], v[26:27], 0, v[12:13]
	flat_load_dwordx2 v[2:3], v[2:3]
	v_lshl_add_u64 v[6:7], v[24:25], 0, v[12:13]
	s_waitcnt vmcnt(0) lgkmcnt(0)
	v_mul_f64 v[2:3], s[12:13], v[2:3]
	v_cvt_f32_f64_e32 v2, v[2:3]
	v_min_f32_e32 v2, v2, v4
	v_cvt_f64_f32_e32 v[2:3], v2
	global_store_dwordx2 v[6:7], v[2:3], off
	v_lshl_add_u64 v[2:3], v[0:1], 3, v[26:27]
	flat_load_dwordx2 v[2:3], v[2:3]
	s_waitcnt vmcnt(0) lgkmcnt(0)
	v_mul_f64 v[4:5], s[12:13], v[2:3]
.LBB174_53:
	v_cvt_f32_f64_e32 v4, v[4:5]
	v_max_f32_e32 v5, v142, v142
	v_min_f32_e32 v4, v4, v5
	v_add_u32_e32 v10, 16, v8
	v_add_u32_e32 v2, 24, v8
	v_cvt_f64_f32_e32 v[4:5], v4
	v_lshl_add_u64 v[6:7], v[0:1], 3, v[24:25]
	v_ashrrev_i32_e32 v11, 31, v10
	v_ashrrev_i32_e32 v3, 31, v2
	global_store_dwordx2 v[6:7], v[4:5], off
	v_max_f32_e32 v4, v141, v141
	s_mov_b64 vcc, s[6:7]
	s_cbranch_vccz .LBB174_56
; %bb.54:
	v_min_f32_e32 v5, 0, v4
	v_cvt_f64_f32_e32 v[6:7], v5
	v_lshl_add_u64 v[14:15], v[10:11], 3, v[24:25]
	global_store_dwordx2 v[14:15], v[6:7], off
	s_mov_b64 s[2:3], 0
	v_lshlrev_b64 v[16:17], 3, v[10:11]
	s_cbranch_execz .LBB174_57
; %bb.55:
	v_mov_b64_e32 v[6:7], s[2:3]
	s_branch .LBB174_58
.LBB174_56:
                                        ; implicit-def: $sgpr2_sgpr3
	v_lshlrev_b64 v[16:17], 3, v[10:11]
.LBB174_57:
	v_lshl_add_u64 v[6:7], v[26:27], 0, v[16:17]
	flat_load_dwordx2 v[6:7], v[6:7]
	v_lshl_add_u64 v[14:15], v[24:25], 0, v[16:17]
	s_waitcnt vmcnt(0) lgkmcnt(0)
	v_mul_f64 v[6:7], s[12:13], v[6:7]
	v_cvt_f32_f64_e32 v5, v[6:7]
	v_min_f32_e32 v4, v5, v4
	v_cvt_f64_f32_e32 v[4:5], v4
	global_store_dwordx2 v[14:15], v[4:5], off
	v_lshl_add_u64 v[4:5], v[2:3], 3, v[26:27]
	flat_load_dwordx2 v[4:5], v[4:5]
	s_waitcnt vmcnt(0) lgkmcnt(0)
	v_mul_f64 v[6:7], s[12:13], v[4:5]
.LBB174_58:
	v_cvt_f32_f64_e32 v6, v[6:7]
	v_max_f32_e32 v7, v140, v140
	v_min_f32_e32 v6, v6, v7
	v_add_u32_e32 v14, 32, v8
	v_add_u32_e32 v4, 40, v8
	v_cvt_f64_f32_e32 v[6:7], v6
	v_lshl_add_u64 v[18:19], v[2:3], 3, v[24:25]
	v_ashrrev_i32_e32 v15, 31, v14
	v_ashrrev_i32_e32 v5, 31, v4
	global_store_dwordx2 v[18:19], v[6:7], off
	v_max_f32_e32 v6, v139, v139
	s_mov_b64 vcc, s[6:7]
	s_cbranch_vccz .LBB174_61
; %bb.59:
	v_min_f32_e32 v7, 0, v6
	v_cvt_f64_f32_e32 v[18:19], v7
	v_lshl_add_u64 v[20:21], v[14:15], 3, v[24:25]
	global_store_dwordx2 v[20:21], v[18:19], off
	s_mov_b64 s[2:3], 0
	v_lshlrev_b64 v[20:21], 3, v[14:15]
	s_cbranch_execz .LBB174_62
; %bb.60:
	v_mov_b64_e32 v[22:23], s[2:3]
	s_branch .LBB174_63
.LBB174_61:
                                        ; implicit-def: $sgpr2_sgpr3
	v_lshlrev_b64 v[20:21], 3, v[14:15]
.LBB174_62:
	v_lshl_add_u64 v[18:19], v[26:27], 0, v[20:21]
	flat_load_dwordx2 v[18:19], v[18:19]
	v_lshl_add_u64 v[22:23], v[24:25], 0, v[20:21]
	s_waitcnt vmcnt(0) lgkmcnt(0)
	v_mul_f64 v[18:19], s[12:13], v[18:19]
	v_cvt_f32_f64_e32 v7, v[18:19]
	v_min_f32_e32 v6, v7, v6
	v_cvt_f64_f32_e32 v[6:7], v6
	global_store_dwordx2 v[22:23], v[6:7], off
	v_lshl_add_u64 v[6:7], v[4:5], 3, v[26:27]
	flat_load_dwordx2 v[6:7], v[6:7]
	s_waitcnt vmcnt(0) lgkmcnt(0)
	v_mul_f64 v[22:23], s[12:13], v[6:7]
.LBB174_63:
	v_cvt_f32_f64_e32 v22, v[22:23]
	v_max_f32_e32 v23, v138, v138
	v_min_f32_e32 v22, v22, v23
	v_add_u32_e32 v18, 48, v8
	v_add_u32_e32 v6, 56, v8
	v_cvt_f64_f32_e32 v[22:23], v22
	v_lshl_add_u64 v[28:29], v[4:5], 3, v[24:25]
	v_ashrrev_i32_e32 v19, 31, v18
	v_ashrrev_i32_e32 v7, 31, v6
	global_store_dwordx2 v[28:29], v[22:23], off
	v_max_f32_e32 v28, v137, v137
	s_mov_b64 vcc, s[6:7]
	s_cbranch_vccz .LBB174_66
; %bb.64:
	v_min_f32_e32 v22, 0, v28
	v_cvt_f64_f32_e32 v[22:23], v22
	v_lshl_add_u64 v[32:33], v[18:19], 3, v[24:25]
	global_store_dwordx2 v[32:33], v[22:23], off
	s_mov_b64 s[2:3], 0
	v_lshlrev_b64 v[22:23], 3, v[18:19]
	s_cbranch_execz .LBB174_67
; %bb.65:
	v_mov_b64_e32 v[26:27], s[2:3]
	s_branch .LBB174_68
.LBB174_66:
                                        ; implicit-def: $sgpr2_sgpr3
	v_lshlrev_b64 v[22:23], 3, v[18:19]
.LBB174_67:
	v_lshl_add_u64 v[32:33], v[26:27], 0, v[22:23]
	flat_load_dwordx2 v[32:33], v[32:33]
	v_lshl_add_u64 v[34:35], v[24:25], 0, v[22:23]
	v_lshl_add_u64 v[26:27], v[6:7], 3, v[26:27]
	s_waitcnt vmcnt(0) lgkmcnt(0)
	v_mul_f64 v[32:33], s[12:13], v[32:33]
	v_cvt_f32_f64_e32 v29, v[32:33]
	v_min_f32_e32 v28, v29, v28
	v_cvt_f64_f32_e32 v[28:29], v28
	global_store_dwordx2 v[34:35], v[28:29], off
	flat_load_dwordx2 v[26:27], v[26:27]
	s_waitcnt vmcnt(0) lgkmcnt(0)
	v_mul_f64 v[26:27], s[12:13], v[26:27]
.LBB174_68:
	v_cvt_f32_f64_e32 v26, v[26:27]
	v_max_f32_e32 v27, v134, v134
	v_min_f32_e32 v26, v26, v27
	v_cvt_f64_f32_e32 v[26:27], v26
	v_lshl_add_u64 v[24:25], v[6:7], 3, v[24:25]
	global_store_dwordx2 v[24:25], v[26:27], off
	v_add_u32_e32 v26, 32, v30
	v_mad_i64_i32 v[24:25], s[2:3], v26, s18, 0
	v_lshl_add_u64 v[24:25], v[24:25], 3, s[0:1]
	v_mad_i64_i32 v[26:27], s[2:3], v26, s17, 0
	v_max_f32_e32 v28, v133, v133
	s_mov_b64 vcc, s[6:7]
	s_cbranch_vccz .LBB174_71
; %bb.69:
	v_min_f32_e32 v29, 0, v28
	v_cvt_f64_f32_e32 v[32:33], v29
	v_lshl_add_u64 v[34:35], v[8:9], 3, v[24:25]
	global_store_dwordx2 v[34:35], v[32:33], off
	s_mov_b64 s[2:3], 0
	v_lshl_add_u64 v[26:27], v[26:27], 3, s[14:15]
	s_cbranch_execz .LBB174_72
; %bb.70:
	v_mov_b64_e32 v[28:29], s[2:3]
	s_branch .LBB174_73
.LBB174_71:
                                        ; implicit-def: $sgpr2_sgpr3
	v_lshl_add_u64 v[26:27], v[26:27], 3, s[14:15]
.LBB174_72:
	v_lshl_add_u64 v[32:33], v[26:27], 0, v[12:13]
	flat_load_dwordx2 v[32:33], v[32:33]
	v_lshl_add_u64 v[34:35], v[24:25], 0, v[12:13]
	s_waitcnt vmcnt(0) lgkmcnt(0)
	v_mul_f64 v[32:33], s[12:13], v[32:33]
	v_cvt_f32_f64_e32 v29, v[32:33]
	v_min_f32_e32 v28, v29, v28
	v_cvt_f64_f32_e32 v[28:29], v28
	global_store_dwordx2 v[34:35], v[28:29], off
	v_lshl_add_u64 v[28:29], v[0:1], 3, v[26:27]
	flat_load_dwordx2 v[28:29], v[28:29]
	s_waitcnt vmcnt(0) lgkmcnt(0)
	v_mul_f64 v[28:29], s[12:13], v[28:29]
.LBB174_73:
	v_cvt_f32_f64_e32 v28, v[28:29]
	v_max_f32_e32 v29, v132, v132
	v_min_f32_e32 v28, v28, v29
	v_cvt_f64_f32_e32 v[28:29], v28
	v_lshl_add_u64 v[32:33], v[0:1], 3, v[24:25]
	global_store_dwordx2 v[32:33], v[28:29], off
	v_max_f32_e32 v28, v131, v131
	s_mov_b64 vcc, s[6:7]
	s_cbranch_vccz .LBB174_76
; %bb.74:
	v_min_f32_e32 v29, 0, v28
	v_cvt_f64_f32_e32 v[32:33], v29
	v_lshl_add_u64 v[34:35], v[10:11], 3, v[24:25]
	global_store_dwordx2 v[34:35], v[32:33], off
	s_mov_b64 s[2:3], 0
	s_cbranch_execz .LBB174_77
; %bb.75:
	v_mov_b64_e32 v[28:29], s[2:3]
	s_branch .LBB174_78
.LBB174_76:
                                        ; implicit-def: $sgpr2_sgpr3
.LBB174_77:
	v_lshl_add_u64 v[32:33], v[26:27], 0, v[16:17]
	flat_load_dwordx2 v[32:33], v[32:33]
	v_lshl_add_u64 v[34:35], v[24:25], 0, v[16:17]
	s_waitcnt vmcnt(0) lgkmcnt(0)
	v_mul_f64 v[32:33], s[12:13], v[32:33]
	v_cvt_f32_f64_e32 v29, v[32:33]
	v_min_f32_e32 v28, v29, v28
	v_cvt_f64_f32_e32 v[28:29], v28
	global_store_dwordx2 v[34:35], v[28:29], off
	v_lshl_add_u64 v[28:29], v[2:3], 3, v[26:27]
	flat_load_dwordx2 v[28:29], v[28:29]
	s_waitcnt vmcnt(0) lgkmcnt(0)
	v_mul_f64 v[28:29], s[12:13], v[28:29]
.LBB174_78:
	v_cvt_f32_f64_e32 v28, v[28:29]
	v_max_f32_e32 v29, v130, v130
	v_min_f32_e32 v28, v28, v29
	v_cvt_f64_f32_e32 v[28:29], v28
	v_lshl_add_u64 v[32:33], v[2:3], 3, v[24:25]
	global_store_dwordx2 v[32:33], v[28:29], off
	v_max_f32_e32 v28, v129, v129
	s_mov_b64 vcc, s[6:7]
	s_cbranch_vccz .LBB174_81
; %bb.79:
	v_min_f32_e32 v29, 0, v28
	v_cvt_f64_f32_e32 v[32:33], v29
	v_lshl_add_u64 v[34:35], v[14:15], 3, v[24:25]
	global_store_dwordx2 v[34:35], v[32:33], off
	s_mov_b64 s[2:3], 0
	s_cbranch_execz .LBB174_82
; %bb.80:
	v_mov_b64_e32 v[28:29], s[2:3]
	s_branch .LBB174_83
.LBB174_81:
                                        ; implicit-def: $sgpr2_sgpr3
.LBB174_82:
	v_lshl_add_u64 v[32:33], v[26:27], 0, v[20:21]
	flat_load_dwordx2 v[32:33], v[32:33]
	v_lshl_add_u64 v[34:35], v[24:25], 0, v[20:21]
	s_waitcnt vmcnt(0) lgkmcnt(0)
	v_mul_f64 v[32:33], s[12:13], v[32:33]
	v_cvt_f32_f64_e32 v29, v[32:33]
	v_min_f32_e32 v28, v29, v28
	v_cvt_f64_f32_e32 v[28:29], v28
	global_store_dwordx2 v[34:35], v[28:29], off
	v_lshl_add_u64 v[28:29], v[4:5], 3, v[26:27]
	flat_load_dwordx2 v[28:29], v[28:29]
	s_waitcnt vmcnt(0) lgkmcnt(0)
	v_mul_f64 v[28:29], s[12:13], v[28:29]
.LBB174_83:
	v_cvt_f32_f64_e32 v28, v[28:29]
	v_max_f32_e32 v29, v128, v128
	v_min_f32_e32 v28, v28, v29
	v_cvt_f64_f32_e32 v[28:29], v28
	v_lshl_add_u64 v[32:33], v[4:5], 3, v[24:25]
	global_store_dwordx2 v[32:33], v[28:29], off
	v_max_f32_e32 v28, v127, v127
	s_mov_b64 vcc, s[6:7]
	s_cbranch_vccz .LBB174_86
; %bb.84:
	v_min_f32_e32 v29, 0, v28
	v_cvt_f64_f32_e32 v[32:33], v29
	v_lshl_add_u64 v[34:35], v[18:19], 3, v[24:25]
	global_store_dwordx2 v[34:35], v[32:33], off
	s_mov_b64 s[2:3], 0
	s_cbranch_execz .LBB174_87
; %bb.85:
	v_mov_b64_e32 v[26:27], s[2:3]
	s_branch .LBB174_88
.LBB174_86:
                                        ; implicit-def: $sgpr2_sgpr3
.LBB174_87:
	v_lshl_add_u64 v[32:33], v[26:27], 0, v[22:23]
	flat_load_dwordx2 v[32:33], v[32:33]
	v_lshl_add_u64 v[34:35], v[24:25], 0, v[22:23]
	v_lshl_add_u64 v[26:27], v[6:7], 3, v[26:27]
	s_waitcnt vmcnt(0) lgkmcnt(0)
	v_mul_f64 v[32:33], s[12:13], v[32:33]
	v_cvt_f32_f64_e32 v29, v[32:33]
	v_min_f32_e32 v28, v29, v28
	v_cvt_f64_f32_e32 v[28:29], v28
	global_store_dwordx2 v[34:35], v[28:29], off
	flat_load_dwordx2 v[26:27], v[26:27]
	s_waitcnt vmcnt(0) lgkmcnt(0)
	v_mul_f64 v[26:27], s[12:13], v[26:27]
.LBB174_88:
	v_cvt_f32_f64_e32 v26, v[26:27]
	v_max_f32_e32 v27, v126, v126
	v_min_f32_e32 v26, v26, v27
	v_cvt_f64_f32_e32 v[26:27], v26
	v_lshl_add_u64 v[24:25], v[6:7], 3, v[24:25]
	global_store_dwordx2 v[24:25], v[26:27], off
	v_add_u32_e32 v26, 64, v30
	v_mad_i64_i32 v[24:25], s[2:3], v26, s18, 0
	v_lshl_add_u64 v[24:25], v[24:25], 3, s[0:1]
	v_mad_i64_i32 v[26:27], s[2:3], v26, s17, 0
	v_max_f32_e32 v28, v125, v125
	s_mov_b64 vcc, s[6:7]
	s_cbranch_vccz .LBB174_91
; %bb.89:
	v_min_f32_e32 v29, 0, v28
	v_cvt_f64_f32_e32 v[32:33], v29
	v_lshl_add_u64 v[34:35], v[8:9], 3, v[24:25]
	global_store_dwordx2 v[34:35], v[32:33], off
	s_mov_b64 s[2:3], 0
	v_lshl_add_u64 v[26:27], v[26:27], 3, s[14:15]
	s_cbranch_execz .LBB174_92
; %bb.90:
	v_mov_b64_e32 v[28:29], s[2:3]
	s_branch .LBB174_93
.LBB174_91:
                                        ; implicit-def: $sgpr2_sgpr3
	v_lshl_add_u64 v[26:27], v[26:27], 3, s[14:15]
.LBB174_92:
	v_lshl_add_u64 v[32:33], v[26:27], 0, v[12:13]
	flat_load_dwordx2 v[32:33], v[32:33]
	v_lshl_add_u64 v[34:35], v[24:25], 0, v[12:13]
	s_waitcnt vmcnt(0) lgkmcnt(0)
	v_mul_f64 v[32:33], s[12:13], v[32:33]
	v_cvt_f32_f64_e32 v29, v[32:33]
	v_min_f32_e32 v28, v29, v28
	v_cvt_f64_f32_e32 v[28:29], v28
	global_store_dwordx2 v[34:35], v[28:29], off
	v_lshl_add_u64 v[28:29], v[0:1], 3, v[26:27]
	flat_load_dwordx2 v[28:29], v[28:29]
	s_waitcnt vmcnt(0) lgkmcnt(0)
	v_mul_f64 v[28:29], s[12:13], v[28:29]
.LBB174_93:
	v_cvt_f32_f64_e32 v28, v[28:29]
	v_max_f32_e32 v29, v124, v124
	v_min_f32_e32 v28, v28, v29
	v_cvt_f64_f32_e32 v[28:29], v28
	v_lshl_add_u64 v[32:33], v[0:1], 3, v[24:25]
	global_store_dwordx2 v[32:33], v[28:29], off
	v_max_f32_e32 v28, v123, v123
	s_mov_b64 vcc, s[6:7]
	s_cbranch_vccz .LBB174_96
; %bb.94:
	v_min_f32_e32 v29, 0, v28
	v_cvt_f64_f32_e32 v[32:33], v29
	v_lshl_add_u64 v[34:35], v[10:11], 3, v[24:25]
	global_store_dwordx2 v[34:35], v[32:33], off
	s_mov_b64 s[2:3], 0
	s_cbranch_execz .LBB174_97
; %bb.95:
	v_mov_b64_e32 v[28:29], s[2:3]
	s_branch .LBB174_98
.LBB174_96:
                                        ; implicit-def: $sgpr2_sgpr3
.LBB174_97:
	v_lshl_add_u64 v[32:33], v[26:27], 0, v[16:17]
	flat_load_dwordx2 v[32:33], v[32:33]
	v_lshl_add_u64 v[34:35], v[24:25], 0, v[16:17]
	s_waitcnt vmcnt(0) lgkmcnt(0)
	v_mul_f64 v[32:33], s[12:13], v[32:33]
	v_cvt_f32_f64_e32 v29, v[32:33]
	v_min_f32_e32 v28, v29, v28
	v_cvt_f64_f32_e32 v[28:29], v28
	global_store_dwordx2 v[34:35], v[28:29], off
	v_lshl_add_u64 v[28:29], v[2:3], 3, v[26:27]
	flat_load_dwordx2 v[28:29], v[28:29]
	s_waitcnt vmcnt(0) lgkmcnt(0)
	v_mul_f64 v[28:29], s[12:13], v[28:29]
.LBB174_98:
	v_cvt_f32_f64_e32 v28, v[28:29]
	v_max_f32_e32 v29, v122, v122
	v_min_f32_e32 v28, v28, v29
	v_cvt_f64_f32_e32 v[28:29], v28
	v_lshl_add_u64 v[32:33], v[2:3], 3, v[24:25]
	global_store_dwordx2 v[32:33], v[28:29], off
	v_max_f32_e32 v28, v121, v121
	s_mov_b64 vcc, s[6:7]
	s_cbranch_vccz .LBB174_101
; %bb.99:
	v_min_f32_e32 v29, 0, v28
	v_cvt_f64_f32_e32 v[32:33], v29
	v_lshl_add_u64 v[34:35], v[14:15], 3, v[24:25]
	global_store_dwordx2 v[34:35], v[32:33], off
	s_mov_b64 s[2:3], 0
	s_cbranch_execz .LBB174_102
; %bb.100:
	v_mov_b64_e32 v[28:29], s[2:3]
	s_branch .LBB174_103
.LBB174_101:
                                        ; implicit-def: $sgpr2_sgpr3
.LBB174_102:
	v_lshl_add_u64 v[32:33], v[26:27], 0, v[20:21]
	flat_load_dwordx2 v[32:33], v[32:33]
	v_lshl_add_u64 v[34:35], v[24:25], 0, v[20:21]
	s_waitcnt vmcnt(0) lgkmcnt(0)
	v_mul_f64 v[32:33], s[12:13], v[32:33]
	v_cvt_f32_f64_e32 v29, v[32:33]
	v_min_f32_e32 v28, v29, v28
	v_cvt_f64_f32_e32 v[28:29], v28
	global_store_dwordx2 v[34:35], v[28:29], off
	v_lshl_add_u64 v[28:29], v[4:5], 3, v[26:27]
	flat_load_dwordx2 v[28:29], v[28:29]
	s_waitcnt vmcnt(0) lgkmcnt(0)
	v_mul_f64 v[28:29], s[12:13], v[28:29]
.LBB174_103:
	v_cvt_f32_f64_e32 v28, v[28:29]
	v_max_f32_e32 v29, v120, v120
	v_min_f32_e32 v28, v28, v29
	v_cvt_f64_f32_e32 v[28:29], v28
	v_lshl_add_u64 v[32:33], v[4:5], 3, v[24:25]
	global_store_dwordx2 v[32:33], v[28:29], off
	v_max_f32_e32 v28, v119, v119
	s_mov_b64 vcc, s[6:7]
	s_cbranch_vccz .LBB174_106
; %bb.104:
	v_min_f32_e32 v29, 0, v28
	v_cvt_f64_f32_e32 v[32:33], v29
	v_lshl_add_u64 v[34:35], v[18:19], 3, v[24:25]
	global_store_dwordx2 v[34:35], v[32:33], off
	s_mov_b64 s[2:3], 0
	s_cbranch_execz .LBB174_107
; %bb.105:
	v_mov_b64_e32 v[26:27], s[2:3]
	s_branch .LBB174_108
.LBB174_106:
                                        ; implicit-def: $sgpr2_sgpr3
.LBB174_107:
	v_lshl_add_u64 v[32:33], v[26:27], 0, v[22:23]
	flat_load_dwordx2 v[32:33], v[32:33]
	v_lshl_add_u64 v[34:35], v[24:25], 0, v[22:23]
	v_lshl_add_u64 v[26:27], v[6:7], 3, v[26:27]
	s_waitcnt vmcnt(0) lgkmcnt(0)
	v_mul_f64 v[32:33], s[12:13], v[32:33]
	v_cvt_f32_f64_e32 v29, v[32:33]
	v_min_f32_e32 v28, v29, v28
	v_cvt_f64_f32_e32 v[28:29], v28
	global_store_dwordx2 v[34:35], v[28:29], off
	flat_load_dwordx2 v[26:27], v[26:27]
	s_waitcnt vmcnt(0) lgkmcnt(0)
	v_mul_f64 v[26:27], s[12:13], v[26:27]
.LBB174_108:
	v_cvt_f32_f64_e32 v26, v[26:27]
	v_max_f32_e32 v27, v118, v118
	v_min_f32_e32 v26, v26, v27
	v_cvt_f64_f32_e32 v[26:27], v26
	v_lshl_add_u64 v[24:25], v[6:7], 3, v[24:25]
	global_store_dwordx2 v[24:25], v[26:27], off
	v_add_u32_e32 v26, 0x60, v30
	v_mad_i64_i32 v[24:25], s[2:3], v26, s18, 0
	v_lshl_add_u64 v[24:25], v[24:25], 3, s[0:1]
	v_mad_i64_i32 v[26:27], s[2:3], v26, s17, 0
	v_max_f32_e32 v28, v117, v117
	s_mov_b64 vcc, s[6:7]
	s_cbranch_vccz .LBB174_111
; %bb.109:
	v_min_f32_e32 v29, 0, v28
	v_cvt_f64_f32_e32 v[32:33], v29
	v_lshl_add_u64 v[34:35], v[8:9], 3, v[24:25]
	global_store_dwordx2 v[34:35], v[32:33], off
	s_mov_b64 s[2:3], 0
	v_lshl_add_u64 v[26:27], v[26:27], 3, s[14:15]
	s_cbranch_execz .LBB174_112
; %bb.110:
	v_mov_b64_e32 v[28:29], s[2:3]
	s_branch .LBB174_113
.LBB174_111:
                                        ; implicit-def: $sgpr2_sgpr3
	v_lshl_add_u64 v[26:27], v[26:27], 3, s[14:15]
.LBB174_112:
	v_lshl_add_u64 v[32:33], v[26:27], 0, v[12:13]
	flat_load_dwordx2 v[32:33], v[32:33]
	v_lshl_add_u64 v[34:35], v[24:25], 0, v[12:13]
	s_waitcnt vmcnt(0) lgkmcnt(0)
	v_mul_f64 v[32:33], s[12:13], v[32:33]
	v_cvt_f32_f64_e32 v29, v[32:33]
	v_min_f32_e32 v28, v29, v28
	v_cvt_f64_f32_e32 v[28:29], v28
	global_store_dwordx2 v[34:35], v[28:29], off
	v_lshl_add_u64 v[28:29], v[0:1], 3, v[26:27]
	flat_load_dwordx2 v[28:29], v[28:29]
	s_waitcnt vmcnt(0) lgkmcnt(0)
	v_mul_f64 v[28:29], s[12:13], v[28:29]
.LBB174_113:
	v_cvt_f32_f64_e32 v28, v[28:29]
	v_max_f32_e32 v29, v116, v116
	v_min_f32_e32 v28, v28, v29
	v_cvt_f64_f32_e32 v[28:29], v28
	v_lshl_add_u64 v[32:33], v[0:1], 3, v[24:25]
	global_store_dwordx2 v[32:33], v[28:29], off
	v_max_f32_e32 v28, v115, v115
	s_mov_b64 vcc, s[6:7]
	s_cbranch_vccz .LBB174_116
; %bb.114:
	v_min_f32_e32 v29, 0, v28
	v_cvt_f64_f32_e32 v[32:33], v29
	v_lshl_add_u64 v[34:35], v[10:11], 3, v[24:25]
	global_store_dwordx2 v[34:35], v[32:33], off
	s_mov_b64 s[2:3], 0
	s_cbranch_execz .LBB174_117
; %bb.115:
	v_mov_b64_e32 v[28:29], s[2:3]
	s_branch .LBB174_118
.LBB174_116:
                                        ; implicit-def: $sgpr2_sgpr3
.LBB174_117:
	v_lshl_add_u64 v[32:33], v[26:27], 0, v[16:17]
	flat_load_dwordx2 v[32:33], v[32:33]
	v_lshl_add_u64 v[34:35], v[24:25], 0, v[16:17]
	s_waitcnt vmcnt(0) lgkmcnt(0)
	v_mul_f64 v[32:33], s[12:13], v[32:33]
	v_cvt_f32_f64_e32 v29, v[32:33]
	v_min_f32_e32 v28, v29, v28
	v_cvt_f64_f32_e32 v[28:29], v28
	global_store_dwordx2 v[34:35], v[28:29], off
	v_lshl_add_u64 v[28:29], v[2:3], 3, v[26:27]
	flat_load_dwordx2 v[28:29], v[28:29]
	s_waitcnt vmcnt(0) lgkmcnt(0)
	v_mul_f64 v[28:29], s[12:13], v[28:29]
.LBB174_118:
	v_cvt_f32_f64_e32 v28, v[28:29]
	v_max_f32_e32 v29, v114, v114
	v_min_f32_e32 v28, v28, v29
	v_cvt_f64_f32_e32 v[28:29], v28
	v_lshl_add_u64 v[32:33], v[2:3], 3, v[24:25]
	global_store_dwordx2 v[32:33], v[28:29], off
	v_max_f32_e32 v28, v113, v113
	s_mov_b64 vcc, s[6:7]
	s_cbranch_vccz .LBB174_121
; %bb.119:
	v_min_f32_e32 v29, 0, v28
	v_cvt_f64_f32_e32 v[32:33], v29
	v_lshl_add_u64 v[34:35], v[14:15], 3, v[24:25]
	global_store_dwordx2 v[34:35], v[32:33], off
	s_mov_b64 s[2:3], 0
	s_cbranch_execz .LBB174_122
; %bb.120:
	v_mov_b64_e32 v[28:29], s[2:3]
	s_branch .LBB174_123
.LBB174_121:
                                        ; implicit-def: $sgpr2_sgpr3
.LBB174_122:
	v_lshl_add_u64 v[32:33], v[26:27], 0, v[20:21]
	flat_load_dwordx2 v[32:33], v[32:33]
	v_lshl_add_u64 v[34:35], v[24:25], 0, v[20:21]
	s_waitcnt vmcnt(0) lgkmcnt(0)
	v_mul_f64 v[32:33], s[12:13], v[32:33]
	v_cvt_f32_f64_e32 v29, v[32:33]
	v_min_f32_e32 v28, v29, v28
	v_cvt_f64_f32_e32 v[28:29], v28
	global_store_dwordx2 v[34:35], v[28:29], off
	v_lshl_add_u64 v[28:29], v[4:5], 3, v[26:27]
	flat_load_dwordx2 v[28:29], v[28:29]
	s_waitcnt vmcnt(0) lgkmcnt(0)
	v_mul_f64 v[28:29], s[12:13], v[28:29]
.LBB174_123:
	v_cvt_f32_f64_e32 v28, v[28:29]
	v_max_f32_e32 v29, v112, v112
	v_min_f32_e32 v28, v28, v29
	v_cvt_f64_f32_e32 v[28:29], v28
	v_lshl_add_u64 v[32:33], v[4:5], 3, v[24:25]
	global_store_dwordx2 v[32:33], v[28:29], off
	v_max_f32_e32 v28, v111, v111
	s_mov_b64 vcc, s[6:7]
	s_cbranch_vccz .LBB174_126
; %bb.124:
	v_min_f32_e32 v29, 0, v28
	v_cvt_f64_f32_e32 v[32:33], v29
	v_lshl_add_u64 v[34:35], v[18:19], 3, v[24:25]
	global_store_dwordx2 v[34:35], v[32:33], off
	s_mov_b64 s[2:3], 0
	s_cbranch_execz .LBB174_127
; %bb.125:
	v_mov_b64_e32 v[26:27], s[2:3]
	s_branch .LBB174_128
.LBB174_126:
                                        ; implicit-def: $sgpr2_sgpr3
.LBB174_127:
	v_lshl_add_u64 v[32:33], v[26:27], 0, v[22:23]
	flat_load_dwordx2 v[32:33], v[32:33]
	v_lshl_add_u64 v[34:35], v[24:25], 0, v[22:23]
	v_lshl_add_u64 v[26:27], v[6:7], 3, v[26:27]
	s_waitcnt vmcnt(0) lgkmcnt(0)
	v_mul_f64 v[32:33], s[12:13], v[32:33]
	v_cvt_f32_f64_e32 v29, v[32:33]
	v_min_f32_e32 v28, v29, v28
	v_cvt_f64_f32_e32 v[28:29], v28
	global_store_dwordx2 v[34:35], v[28:29], off
	flat_load_dwordx2 v[26:27], v[26:27]
	s_waitcnt vmcnt(0) lgkmcnt(0)
	v_mul_f64 v[26:27], s[12:13], v[26:27]
.LBB174_128:
	v_cvt_f32_f64_e32 v26, v[26:27]
	v_max_f32_e32 v27, v110, v110
	v_min_f32_e32 v26, v26, v27
	v_cvt_f64_f32_e32 v[26:27], v26
	v_lshl_add_u64 v[24:25], v[6:7], 3, v[24:25]
	global_store_dwordx2 v[24:25], v[26:27], off
	v_add_u32_e32 v26, 0x80, v30
	v_mad_i64_i32 v[24:25], s[2:3], v26, s18, 0
	v_lshl_add_u64 v[24:25], v[24:25], 3, s[0:1]
	v_mad_i64_i32 v[26:27], s[2:3], v26, s17, 0
	v_max_f32_e32 v28, v109, v109
	s_mov_b64 vcc, s[6:7]
	s_cbranch_vccz .LBB174_131
; %bb.129:
	v_min_f32_e32 v29, 0, v28
	v_cvt_f64_f32_e32 v[32:33], v29
	v_lshl_add_u64 v[34:35], v[8:9], 3, v[24:25]
	global_store_dwordx2 v[34:35], v[32:33], off
	s_mov_b64 s[2:3], 0
	v_lshl_add_u64 v[26:27], v[26:27], 3, s[14:15]
	s_cbranch_execz .LBB174_132
; %bb.130:
	v_mov_b64_e32 v[28:29], s[2:3]
	s_branch .LBB174_133
.LBB174_131:
                                        ; implicit-def: $sgpr2_sgpr3
	v_lshl_add_u64 v[26:27], v[26:27], 3, s[14:15]
.LBB174_132:
	v_lshl_add_u64 v[32:33], v[26:27], 0, v[12:13]
	flat_load_dwordx2 v[32:33], v[32:33]
	v_lshl_add_u64 v[34:35], v[24:25], 0, v[12:13]
	s_waitcnt vmcnt(0) lgkmcnt(0)
	v_mul_f64 v[32:33], s[12:13], v[32:33]
	v_cvt_f32_f64_e32 v29, v[32:33]
	v_min_f32_e32 v28, v29, v28
	v_cvt_f64_f32_e32 v[28:29], v28
	global_store_dwordx2 v[34:35], v[28:29], off
	v_lshl_add_u64 v[28:29], v[0:1], 3, v[26:27]
	flat_load_dwordx2 v[28:29], v[28:29]
	s_waitcnt vmcnt(0) lgkmcnt(0)
	v_mul_f64 v[28:29], s[12:13], v[28:29]
.LBB174_133:
	v_cvt_f32_f64_e32 v28, v[28:29]
	v_max_f32_e32 v29, v108, v108
	v_min_f32_e32 v28, v28, v29
	v_cvt_f64_f32_e32 v[28:29], v28
	v_lshl_add_u64 v[32:33], v[0:1], 3, v[24:25]
	global_store_dwordx2 v[32:33], v[28:29], off
	v_max_f32_e32 v28, v107, v107
	s_mov_b64 vcc, s[6:7]
	s_cbranch_vccz .LBB174_136
; %bb.134:
	v_min_f32_e32 v29, 0, v28
	v_cvt_f64_f32_e32 v[32:33], v29
	v_lshl_add_u64 v[34:35], v[10:11], 3, v[24:25]
	global_store_dwordx2 v[34:35], v[32:33], off
	s_mov_b64 s[2:3], 0
	s_cbranch_execz .LBB174_137
; %bb.135:
	v_mov_b64_e32 v[28:29], s[2:3]
	s_branch .LBB174_138
.LBB174_136:
                                        ; implicit-def: $sgpr2_sgpr3
.LBB174_137:
	v_lshl_add_u64 v[32:33], v[26:27], 0, v[16:17]
	flat_load_dwordx2 v[32:33], v[32:33]
	v_lshl_add_u64 v[34:35], v[24:25], 0, v[16:17]
	s_waitcnt vmcnt(0) lgkmcnt(0)
	v_mul_f64 v[32:33], s[12:13], v[32:33]
	v_cvt_f32_f64_e32 v29, v[32:33]
	v_min_f32_e32 v28, v29, v28
	v_cvt_f64_f32_e32 v[28:29], v28
	global_store_dwordx2 v[34:35], v[28:29], off
	v_lshl_add_u64 v[28:29], v[2:3], 3, v[26:27]
	flat_load_dwordx2 v[28:29], v[28:29]
	s_waitcnt vmcnt(0) lgkmcnt(0)
	v_mul_f64 v[28:29], s[12:13], v[28:29]
.LBB174_138:
	v_cvt_f32_f64_e32 v28, v[28:29]
	v_max_f32_e32 v29, v106, v106
	v_min_f32_e32 v28, v28, v29
	v_cvt_f64_f32_e32 v[28:29], v28
	v_lshl_add_u64 v[32:33], v[2:3], 3, v[24:25]
	global_store_dwordx2 v[32:33], v[28:29], off
	v_max_f32_e32 v28, v105, v105
	s_mov_b64 vcc, s[6:7]
	s_cbranch_vccz .LBB174_141
; %bb.139:
	v_min_f32_e32 v29, 0, v28
	v_cvt_f64_f32_e32 v[32:33], v29
	v_lshl_add_u64 v[34:35], v[14:15], 3, v[24:25]
	global_store_dwordx2 v[34:35], v[32:33], off
	s_mov_b64 s[2:3], 0
	s_cbranch_execz .LBB174_142
; %bb.140:
	v_mov_b64_e32 v[28:29], s[2:3]
	s_branch .LBB174_143
.LBB174_141:
                                        ; implicit-def: $sgpr2_sgpr3
.LBB174_142:
	v_lshl_add_u64 v[32:33], v[26:27], 0, v[20:21]
	flat_load_dwordx2 v[32:33], v[32:33]
	v_lshl_add_u64 v[34:35], v[24:25], 0, v[20:21]
	s_waitcnt vmcnt(0) lgkmcnt(0)
	v_mul_f64 v[32:33], s[12:13], v[32:33]
	v_cvt_f32_f64_e32 v29, v[32:33]
	v_min_f32_e32 v28, v29, v28
	v_cvt_f64_f32_e32 v[28:29], v28
	global_store_dwordx2 v[34:35], v[28:29], off
	v_lshl_add_u64 v[28:29], v[4:5], 3, v[26:27]
	flat_load_dwordx2 v[28:29], v[28:29]
	s_waitcnt vmcnt(0) lgkmcnt(0)
	v_mul_f64 v[28:29], s[12:13], v[28:29]
.LBB174_143:
	v_cvt_f32_f64_e32 v28, v[28:29]
	v_max_f32_e32 v29, v104, v104
	v_min_f32_e32 v28, v28, v29
	v_cvt_f64_f32_e32 v[28:29], v28
	v_lshl_add_u64 v[32:33], v[4:5], 3, v[24:25]
	global_store_dwordx2 v[32:33], v[28:29], off
	v_max_f32_e32 v28, v103, v103
	s_mov_b64 vcc, s[6:7]
	s_cbranch_vccz .LBB174_146
; %bb.144:
	v_min_f32_e32 v29, 0, v28
	v_cvt_f64_f32_e32 v[32:33], v29
	v_lshl_add_u64 v[34:35], v[18:19], 3, v[24:25]
	global_store_dwordx2 v[34:35], v[32:33], off
	s_mov_b64 s[2:3], 0
	s_cbranch_execz .LBB174_147
; %bb.145:
	v_mov_b64_e32 v[26:27], s[2:3]
	s_branch .LBB174_148
.LBB174_146:
                                        ; implicit-def: $sgpr2_sgpr3
.LBB174_147:
	v_lshl_add_u64 v[32:33], v[26:27], 0, v[22:23]
	flat_load_dwordx2 v[32:33], v[32:33]
	v_lshl_add_u64 v[34:35], v[24:25], 0, v[22:23]
	v_lshl_add_u64 v[26:27], v[6:7], 3, v[26:27]
	s_waitcnt vmcnt(0) lgkmcnt(0)
	v_mul_f64 v[32:33], s[12:13], v[32:33]
	v_cvt_f32_f64_e32 v29, v[32:33]
	v_min_f32_e32 v28, v29, v28
	v_cvt_f64_f32_e32 v[28:29], v28
	global_store_dwordx2 v[34:35], v[28:29], off
	flat_load_dwordx2 v[26:27], v[26:27]
	s_waitcnt vmcnt(0) lgkmcnt(0)
	v_mul_f64 v[26:27], s[12:13], v[26:27]
.LBB174_148:
	v_cvt_f32_f64_e32 v26, v[26:27]
	v_max_f32_e32 v27, v102, v102
	v_min_f32_e32 v26, v26, v27
	v_cvt_f64_f32_e32 v[26:27], v26
	v_lshl_add_u64 v[24:25], v[6:7], 3, v[24:25]
	global_store_dwordx2 v[24:25], v[26:27], off
	v_add_u32_e32 v26, 0xa0, v30
	v_mad_i64_i32 v[24:25], s[2:3], v26, s18, 0
	v_lshl_add_u64 v[24:25], v[24:25], 3, s[0:1]
	v_mad_i64_i32 v[26:27], s[2:3], v26, s17, 0
	v_max_f32_e32 v28, v101, v101
	s_mov_b64 vcc, s[6:7]
	s_cbranch_vccz .LBB174_151
; %bb.149:
	v_min_f32_e32 v29, 0, v28
	v_cvt_f64_f32_e32 v[32:33], v29
	v_lshl_add_u64 v[34:35], v[8:9], 3, v[24:25]
	global_store_dwordx2 v[34:35], v[32:33], off
	s_mov_b64 s[2:3], 0
	v_lshl_add_u64 v[26:27], v[26:27], 3, s[14:15]
	s_cbranch_execz .LBB174_152
; %bb.150:
	v_mov_b64_e32 v[28:29], s[2:3]
	s_branch .LBB174_153
.LBB174_151:
                                        ; implicit-def: $sgpr2_sgpr3
	v_lshl_add_u64 v[26:27], v[26:27], 3, s[14:15]
.LBB174_152:
	v_lshl_add_u64 v[32:33], v[26:27], 0, v[12:13]
	flat_load_dwordx2 v[32:33], v[32:33]
	v_lshl_add_u64 v[34:35], v[24:25], 0, v[12:13]
	s_waitcnt vmcnt(0) lgkmcnt(0)
	v_mul_f64 v[32:33], s[12:13], v[32:33]
	v_cvt_f32_f64_e32 v29, v[32:33]
	v_min_f32_e32 v28, v29, v28
	v_cvt_f64_f32_e32 v[28:29], v28
	global_store_dwordx2 v[34:35], v[28:29], off
	v_lshl_add_u64 v[28:29], v[0:1], 3, v[26:27]
	flat_load_dwordx2 v[28:29], v[28:29]
	s_waitcnt vmcnt(0) lgkmcnt(0)
	v_mul_f64 v[28:29], s[12:13], v[28:29]
.LBB174_153:
	v_cvt_f32_f64_e32 v28, v[28:29]
	v_max_f32_e32 v29, v100, v100
	v_min_f32_e32 v28, v28, v29
	v_cvt_f64_f32_e32 v[28:29], v28
	v_lshl_add_u64 v[32:33], v[0:1], 3, v[24:25]
	global_store_dwordx2 v[32:33], v[28:29], off
	v_max_f32_e32 v28, v99, v99
	s_mov_b64 vcc, s[6:7]
	s_cbranch_vccz .LBB174_156
; %bb.154:
	v_min_f32_e32 v29, 0, v28
	v_cvt_f64_f32_e32 v[32:33], v29
	v_lshl_add_u64 v[34:35], v[10:11], 3, v[24:25]
	s_mov_b32 s4, 0
	global_store_dwordx2 v[34:35], v[32:33], off
	s_cbranch_execz .LBB174_157
; %bb.155:
	v_mov_b32_e32 v28, s4
	s_branch .LBB174_158
.LBB174_156:
                                        ; implicit-def: $sgpr4
.LBB174_157:
	v_lshl_add_u64 v[32:33], v[26:27], 0, v[16:17]
	flat_load_dwordx2 v[32:33], v[32:33]
	v_lshl_add_u64 v[34:35], v[24:25], 0, v[16:17]
	s_waitcnt vmcnt(0) lgkmcnt(0)
	v_mul_f64 v[32:33], s[12:13], v[32:33]
	v_cvt_f32_f64_e32 v29, v[32:33]
	v_min_f32_e32 v28, v29, v28
	v_cvt_f64_f32_e32 v[28:29], v28
	global_store_dwordx2 v[34:35], v[28:29], off
	v_lshl_add_u64 v[28:29], v[2:3], 3, v[26:27]
	flat_load_dwordx2 v[28:29], v[28:29]
	s_waitcnt vmcnt(0) lgkmcnt(0)
	v_mul_f64 v[28:29], s[12:13], v[28:29]
	v_cvt_f32_f64_e32 v28, v[28:29]
.LBB174_158:
	v_max_f32_e32 v29, v98, v98
	v_max_f32_e32 v28, v28, v28
	v_min_f32_e32 v28, v28, v29
	v_cvt_f64_f32_e32 v[28:29], v28
	v_lshl_add_u64 v[32:33], v[2:3], 3, v[24:25]
	global_store_dwordx2 v[32:33], v[28:29], off
	v_max_f32_e32 v28, v97, v97
	s_mov_b64 vcc, s[6:7]
	s_cbranch_vccz .LBB174_161
; %bb.159:
	v_min_f32_e32 v29, 0, v28
	v_cvt_f64_f32_e32 v[32:33], v29
	v_lshl_add_u64 v[34:35], v[14:15], 3, v[24:25]
	s_mov_b32 s4, 0
	global_store_dwordx2 v[34:35], v[32:33], off
	s_cbranch_execz .LBB174_162
; %bb.160:
	v_mov_b32_e32 v28, s4
	s_branch .LBB174_163
.LBB174_161:
                                        ; implicit-def: $sgpr4
.LBB174_162:
	v_lshl_add_u64 v[32:33], v[26:27], 0, v[20:21]
	flat_load_dwordx2 v[32:33], v[32:33]
	v_lshl_add_u64 v[34:35], v[24:25], 0, v[20:21]
	s_waitcnt vmcnt(0) lgkmcnt(0)
	v_mul_f64 v[32:33], s[12:13], v[32:33]
	v_cvt_f32_f64_e32 v29, v[32:33]
	v_min_f32_e32 v28, v29, v28
	v_cvt_f64_f32_e32 v[28:29], v28
	global_store_dwordx2 v[34:35], v[28:29], off
	v_lshl_add_u64 v[28:29], v[4:5], 3, v[26:27]
	flat_load_dwordx2 v[28:29], v[28:29]
	s_waitcnt vmcnt(0) lgkmcnt(0)
	v_mul_f64 v[28:29], s[12:13], v[28:29]
	v_cvt_f32_f64_e32 v28, v[28:29]
.LBB174_163:
	v_max_f32_e32 v29, v96, v96
	v_max_f32_e32 v28, v28, v28
	v_min_f32_e32 v28, v28, v29
	v_cvt_f64_f32_e32 v[28:29], v28
	v_lshl_add_u64 v[32:33], v[4:5], 3, v[24:25]
	global_store_dwordx2 v[32:33], v[28:29], off
	v_max_f32_e32 v28, v95, v95
	s_mov_b64 vcc, s[6:7]
	s_cbranch_vccz .LBB174_166
; %bb.164:
	v_min_f32_e32 v29, 0, v28
	v_cvt_f64_f32_e32 v[32:33], v29
	v_lshl_add_u64 v[34:35], v[18:19], 3, v[24:25]
	s_mov_b32 s4, 0
	global_store_dwordx2 v[34:35], v[32:33], off
	s_cbranch_execz .LBB174_167
; %bb.165:
	v_mov_b32_e32 v26, s4
	s_branch .LBB174_168
.LBB174_166:
                                        ; implicit-def: $sgpr4
.LBB174_167:
	v_lshl_add_u64 v[32:33], v[26:27], 0, v[22:23]
	flat_load_dwordx2 v[32:33], v[32:33]
	v_lshl_add_u64 v[34:35], v[24:25], 0, v[22:23]
	v_lshl_add_u64 v[26:27], v[6:7], 3, v[26:27]
	s_waitcnt vmcnt(0) lgkmcnt(0)
	v_mul_f64 v[32:33], s[12:13], v[32:33]
	v_cvt_f32_f64_e32 v29, v[32:33]
	v_min_f32_e32 v28, v29, v28
	v_cvt_f64_f32_e32 v[28:29], v28
	global_store_dwordx2 v[34:35], v[28:29], off
	flat_load_dwordx2 v[26:27], v[26:27]
	s_waitcnt vmcnt(0) lgkmcnt(0)
	v_mul_f64 v[26:27], s[12:13], v[26:27]
	v_cvt_f32_f64_e32 v26, v[26:27]
.LBB174_168:
	v_max_f32_e32 v27, v94, v94
	v_max_f32_e32 v26, v26, v26
	v_min_f32_e32 v26, v26, v27
	v_cvt_f64_f32_e32 v[26:27], v26
	v_lshl_add_u64 v[24:25], v[6:7], 3, v[24:25]
	global_store_dwordx2 v[24:25], v[26:27], off
	v_add_u32_e32 v26, 0xc0, v30
	v_mad_i64_i32 v[24:25], s[2:3], v26, s18, 0
	v_lshl_add_u64 v[24:25], v[24:25], 3, s[0:1]
	v_mad_i64_i32 v[26:27], s[2:3], v26, s17, 0
	v_max_f32_e32 v28, v93, v93
	s_mov_b64 vcc, s[6:7]
	s_cbranch_vccz .LBB174_171
; %bb.169:
	v_min_f32_e32 v29, 0, v28
	v_cvt_f64_f32_e32 v[32:33], v29
	v_lshl_add_u64 v[34:35], v[8:9], 3, v[24:25]
	s_mov_b32 s4, 0
	global_store_dwordx2 v[34:35], v[32:33], off
	v_lshl_add_u64 v[26:27], v[26:27], 3, s[14:15]
	s_cbranch_execz .LBB174_172
; %bb.170:
	v_mov_b32_e32 v28, s4
	s_branch .LBB174_173
.LBB174_171:
                                        ; implicit-def: $sgpr4
	v_lshl_add_u64 v[26:27], v[26:27], 3, s[14:15]
.LBB174_172:
	v_lshl_add_u64 v[32:33], v[26:27], 0, v[12:13]
	flat_load_dwordx2 v[32:33], v[32:33]
	v_lshl_add_u64 v[34:35], v[24:25], 0, v[12:13]
	s_waitcnt vmcnt(0) lgkmcnt(0)
	v_mul_f64 v[32:33], s[12:13], v[32:33]
	v_cvt_f32_f64_e32 v29, v[32:33]
	v_min_f32_e32 v28, v29, v28
	v_cvt_f64_f32_e32 v[28:29], v28
	global_store_dwordx2 v[34:35], v[28:29], off
	v_lshl_add_u64 v[28:29], v[0:1], 3, v[26:27]
	flat_load_dwordx2 v[28:29], v[28:29]
	s_waitcnt vmcnt(0) lgkmcnt(0)
	v_mul_f64 v[28:29], s[12:13], v[28:29]
	v_cvt_f32_f64_e32 v28, v[28:29]
.LBB174_173:
	v_max_f32_e32 v29, v92, v92
	v_max_f32_e32 v28, v28, v28
	v_min_f32_e32 v28, v28, v29
	v_cvt_f64_f32_e32 v[28:29], v28
	v_lshl_add_u64 v[32:33], v[0:1], 3, v[24:25]
	global_store_dwordx2 v[32:33], v[28:29], off
	v_max_f32_e32 v28, v91, v91
	s_mov_b64 vcc, s[6:7]
	s_cbranch_vccz .LBB174_176
; %bb.174:
	v_min_f32_e32 v29, 0, v28
	v_cvt_f64_f32_e32 v[32:33], v29
	v_lshl_add_u64 v[34:35], v[10:11], 3, v[24:25]
	s_mov_b32 s4, 0
	global_store_dwordx2 v[34:35], v[32:33], off
	s_cbranch_execz .LBB174_177
; %bb.175:
	v_mov_b32_e32 v28, s4
	s_branch .LBB174_178
.LBB174_176:
                                        ; implicit-def: $sgpr4
.LBB174_177:
	v_lshl_add_u64 v[32:33], v[26:27], 0, v[16:17]
	flat_load_dwordx2 v[32:33], v[32:33]
	v_lshl_add_u64 v[34:35], v[24:25], 0, v[16:17]
	s_waitcnt vmcnt(0) lgkmcnt(0)
	v_mul_f64 v[32:33], s[12:13], v[32:33]
	v_cvt_f32_f64_e32 v29, v[32:33]
	v_min_f32_e32 v28, v29, v28
	v_cvt_f64_f32_e32 v[28:29], v28
	global_store_dwordx2 v[34:35], v[28:29], off
	v_lshl_add_u64 v[28:29], v[2:3], 3, v[26:27]
	flat_load_dwordx2 v[28:29], v[28:29]
	s_waitcnt vmcnt(0) lgkmcnt(0)
	v_mul_f64 v[28:29], s[12:13], v[28:29]
	v_cvt_f32_f64_e32 v28, v[28:29]
.LBB174_178:
	v_max_f32_e32 v29, v90, v90
	v_max_f32_e32 v28, v28, v28
	v_min_f32_e32 v28, v28, v29
	v_cvt_f64_f32_e32 v[28:29], v28
	v_lshl_add_u64 v[32:33], v[2:3], 3, v[24:25]
	global_store_dwordx2 v[32:33], v[28:29], off
	v_max_f32_e32 v28, v89, v89
	s_mov_b64 vcc, s[6:7]
	s_cbranch_vccz .LBB174_181
; %bb.179:
	v_min_f32_e32 v29, 0, v28
	v_cvt_f64_f32_e32 v[32:33], v29
	v_lshl_add_u64 v[34:35], v[14:15], 3, v[24:25]
	s_mov_b32 s4, 0
	global_store_dwordx2 v[34:35], v[32:33], off
	s_cbranch_execz .LBB174_182
; %bb.180:
	v_mov_b32_e32 v28, s4
	s_branch .LBB174_183
.LBB174_181:
                                        ; implicit-def: $sgpr4
.LBB174_182:
	v_lshl_add_u64 v[32:33], v[26:27], 0, v[20:21]
	flat_load_dwordx2 v[32:33], v[32:33]
	v_lshl_add_u64 v[34:35], v[24:25], 0, v[20:21]
	s_waitcnt vmcnt(0) lgkmcnt(0)
	v_mul_f64 v[32:33], s[12:13], v[32:33]
	v_cvt_f32_f64_e32 v29, v[32:33]
	v_min_f32_e32 v28, v29, v28
	v_cvt_f64_f32_e32 v[28:29], v28
	global_store_dwordx2 v[34:35], v[28:29], off
	v_lshl_add_u64 v[28:29], v[4:5], 3, v[26:27]
	flat_load_dwordx2 v[28:29], v[28:29]
	s_waitcnt vmcnt(0) lgkmcnt(0)
	v_mul_f64 v[28:29], s[12:13], v[28:29]
	v_cvt_f32_f64_e32 v28, v[28:29]
.LBB174_183:
	v_max_f32_e32 v29, v88, v88
	v_max_f32_e32 v28, v28, v28
	v_min_f32_e32 v28, v28, v29
	v_cvt_f64_f32_e32 v[28:29], v28
	v_lshl_add_u64 v[32:33], v[4:5], 3, v[24:25]
	global_store_dwordx2 v[32:33], v[28:29], off
	v_max_f32_e32 v28, v87, v87
	s_mov_b64 vcc, s[6:7]
	s_cbranch_vccz .LBB174_186
; %bb.184:
	v_min_f32_e32 v29, 0, v28
	v_cvt_f64_f32_e32 v[32:33], v29
	v_lshl_add_u64 v[34:35], v[18:19], 3, v[24:25]
	s_mov_b32 s4, 0
	global_store_dwordx2 v[34:35], v[32:33], off
	s_cbranch_execz .LBB174_187
; %bb.185:
	v_mov_b32_e32 v26, s4
	s_branch .LBB174_188
.LBB174_186:
                                        ; implicit-def: $sgpr4
.LBB174_187:
	v_lshl_add_u64 v[32:33], v[26:27], 0, v[22:23]
	flat_load_dwordx2 v[32:33], v[32:33]
	v_lshl_add_u64 v[34:35], v[24:25], 0, v[22:23]
	v_lshl_add_u64 v[26:27], v[6:7], 3, v[26:27]
	s_waitcnt vmcnt(0) lgkmcnt(0)
	v_mul_f64 v[32:33], s[12:13], v[32:33]
	v_cvt_f32_f64_e32 v29, v[32:33]
	v_min_f32_e32 v28, v29, v28
	v_cvt_f64_f32_e32 v[28:29], v28
	global_store_dwordx2 v[34:35], v[28:29], off
	flat_load_dwordx2 v[26:27], v[26:27]
	s_waitcnt vmcnt(0) lgkmcnt(0)
	v_mul_f64 v[26:27], s[12:13], v[26:27]
	v_cvt_f32_f64_e32 v26, v[26:27]
.LBB174_188:
	v_max_f32_e32 v27, v86, v86
	v_max_f32_e32 v26, v26, v26
	v_min_f32_e32 v26, v26, v27
	v_cvt_f64_f32_e32 v[26:27], v26
	v_lshl_add_u64 v[24:25], v[6:7], 3, v[24:25]
	global_store_dwordx2 v[24:25], v[26:27], off
	v_add_u32_e32 v26, 0xe0, v30
	v_mad_i64_i32 v[24:25], s[2:3], v26, s18, 0
	v_lshl_add_u64 v[24:25], v[24:25], 3, s[0:1]
	v_mad_i64_i32 v[26:27], s[0:1], v26, s17, 0
	v_max_f32_e32 v28, v85, v85
	s_mov_b64 vcc, s[6:7]
	s_cbranch_vccz .LBB174_191
; %bb.189:
	v_min_f32_e32 v29, 0, v28
	v_cvt_f64_f32_e32 v[30:31], v29
	v_lshl_add_u64 v[8:9], v[8:9], 3, v[24:25]
	s_mov_b32 s2, 0
	global_store_dwordx2 v[8:9], v[30:31], off
	v_lshl_add_u64 v[8:9], v[26:27], 3, s[14:15]
	s_cbranch_execz .LBB174_192
; %bb.190:
	v_mov_b32_e32 v12, s2
	s_branch .LBB174_193
.LBB174_191:
                                        ; implicit-def: $sgpr2
	v_lshl_add_u64 v[8:9], v[26:27], 3, s[14:15]
.LBB174_192:
	v_lshl_add_u64 v[26:27], v[8:9], 0, v[12:13]
	flat_load_dwordx2 v[26:27], v[26:27]
	v_lshl_add_u64 v[12:13], v[24:25], 0, v[12:13]
	s_waitcnt vmcnt(0) lgkmcnt(0)
	v_mul_f64 v[26:27], s[12:13], v[26:27]
	v_cvt_f32_f64_e32 v26, v[26:27]
	v_min_f32_e32 v26, v26, v28
	v_cvt_f64_f32_e32 v[26:27], v26
	global_store_dwordx2 v[12:13], v[26:27], off
	v_lshl_add_u64 v[12:13], v[0:1], 3, v[8:9]
	flat_load_dwordx2 v[12:13], v[12:13]
	s_waitcnt vmcnt(0) lgkmcnt(0)
	v_mul_f64 v[12:13], s[12:13], v[12:13]
	v_cvt_f32_f64_e32 v12, v[12:13]
.LBB174_193:
	v_max_f32_e32 v13, v84, v84
	v_max_f32_e32 v12, v12, v12
	v_min_f32_e32 v12, v12, v13
	v_cvt_f64_f32_e32 v[12:13], v12
	v_lshl_add_u64 v[0:1], v[0:1], 3, v[24:25]
	global_store_dwordx2 v[0:1], v[12:13], off
	v_max_f32_e32 v0, v83, v83
	s_mov_b64 vcc, s[6:7]
	s_cbranch_vccz .LBB174_196
; %bb.194:
	v_min_f32_e32 v1, 0, v0
	v_cvt_f64_f32_e32 v[12:13], v1
	v_lshl_add_u64 v[10:11], v[10:11], 3, v[24:25]
	s_mov_b32 s2, 0
	global_store_dwordx2 v[10:11], v[12:13], off
	s_cbranch_execz .LBB174_197
; %bb.195:
	v_mov_b32_e32 v0, s2
	s_branch .LBB174_198
.LBB174_196:
                                        ; implicit-def: $sgpr2
.LBB174_197:
	v_lshl_add_u64 v[10:11], v[8:9], 0, v[16:17]
	flat_load_dwordx2 v[10:11], v[10:11]
	v_lshl_add_u64 v[12:13], v[24:25], 0, v[16:17]
	s_waitcnt vmcnt(0) lgkmcnt(0)
	v_mul_f64 v[10:11], s[12:13], v[10:11]
	v_cvt_f32_f64_e32 v1, v[10:11]
	v_min_f32_e32 v0, v1, v0
	v_cvt_f64_f32_e32 v[0:1], v0
	global_store_dwordx2 v[12:13], v[0:1], off
	v_lshl_add_u64 v[0:1], v[2:3], 3, v[8:9]
	flat_load_dwordx2 v[0:1], v[0:1]
	s_waitcnt vmcnt(0) lgkmcnt(0)
	v_mul_f64 v[0:1], s[12:13], v[0:1]
	v_cvt_f32_f64_e32 v0, v[0:1]
.LBB174_198:
	v_max_f32_e32 v1, v82, v82
	v_max_f32_e32 v0, v0, v0
	v_min_f32_e32 v0, v0, v1
	v_cvt_f64_f32_e32 v[0:1], v0
	v_lshl_add_u64 v[2:3], v[2:3], 3, v[24:25]
	global_store_dwordx2 v[2:3], v[0:1], off
	v_max_f32_e32 v0, v81, v81
	s_mov_b64 vcc, s[6:7]
	s_cbranch_vccz .LBB174_201
; %bb.199:
	v_min_f32_e32 v1, 0, v0
	v_cvt_f64_f32_e32 v[2:3], v1
	v_lshl_add_u64 v[10:11], v[14:15], 3, v[24:25]
	s_mov_b32 s2, 0
	global_store_dwordx2 v[10:11], v[2:3], off
	s_cbranch_execz .LBB174_202
; %bb.200:
	v_mov_b32_e32 v0, s2
	s_branch .LBB174_203
.LBB174_201:
                                        ; implicit-def: $sgpr2
.LBB174_202:
	v_lshl_add_u64 v[2:3], v[8:9], 0, v[20:21]
	flat_load_dwordx2 v[2:3], v[2:3]
	v_lshl_add_u64 v[10:11], v[24:25], 0, v[20:21]
	s_waitcnt vmcnt(0) lgkmcnt(0)
	v_mul_f64 v[2:3], s[12:13], v[2:3]
	v_cvt_f32_f64_e32 v1, v[2:3]
	v_min_f32_e32 v0, v1, v0
	v_cvt_f64_f32_e32 v[0:1], v0
	global_store_dwordx2 v[10:11], v[0:1], off
	v_lshl_add_u64 v[0:1], v[4:5], 3, v[8:9]
	flat_load_dwordx2 v[0:1], v[0:1]
	s_waitcnt vmcnt(0) lgkmcnt(0)
	v_mul_f64 v[0:1], s[12:13], v[0:1]
	v_cvt_f32_f64_e32 v0, v[0:1]
.LBB174_203:
	;; [unrolled: 37-line block ×3, first 2 shown]
	v_max_f32_e32 v1, v78, v78
	v_max_f32_e32 v0, v0, v0
	v_min_f32_e32 v0, v0, v1
	v_cvt_f64_f32_e32 v[0:1], v0
	v_lshl_add_u64 v[2:3], v[6:7], 3, v[24:25]
	global_store_dwordx2 v[2:3], v[0:1], off
	s_endpgm
	.section	.rodata,"a",@progbits
	.p2align	6, 0x0
	.amdhsa_kernel _ZN12_GLOBAL__N_120geam_min_plus_kernelId15HIP_vector_typeIdLj2EEdLi8ELi32ELi64ELi256ELi4ELi4ELi64ELi64ELi4ELc84ELc84ELb0ELb0ELb1EPKdS3_dEEviiiT16_PT17_ilS7_ilS5_S7_ilPT18_ili26rocblas_geam_ex_operation_
		.amdhsa_group_segment_fixed_size 20480
		.amdhsa_private_segment_fixed_size 0
		.amdhsa_kernarg_size 136
		.amdhsa_user_sgpr_count 2
		.amdhsa_user_sgpr_dispatch_ptr 0
		.amdhsa_user_sgpr_queue_ptr 0
		.amdhsa_user_sgpr_kernarg_segment_ptr 1
		.amdhsa_user_sgpr_dispatch_id 0
		.amdhsa_user_sgpr_kernarg_preload_length 0
		.amdhsa_user_sgpr_kernarg_preload_offset 0
		.amdhsa_user_sgpr_private_segment_size 0
		.amdhsa_uses_dynamic_stack 0
		.amdhsa_enable_private_segment 0
		.amdhsa_system_sgpr_workgroup_id_x 1
		.amdhsa_system_sgpr_workgroup_id_y 0
		.amdhsa_system_sgpr_workgroup_id_z 1
		.amdhsa_system_sgpr_workgroup_info 0
		.amdhsa_system_vgpr_workitem_id 1
		.amdhsa_next_free_vgpr 160
		.amdhsa_next_free_sgpr 28
		.amdhsa_accum_offset 160
		.amdhsa_reserve_vcc 1
		.amdhsa_float_round_mode_32 0
		.amdhsa_float_round_mode_16_64 0
		.amdhsa_float_denorm_mode_32 3
		.amdhsa_float_denorm_mode_16_64 3
		.amdhsa_dx10_clamp 1
		.amdhsa_ieee_mode 1
		.amdhsa_fp16_overflow 0
		.amdhsa_tg_split 0
		.amdhsa_exception_fp_ieee_invalid_op 0
		.amdhsa_exception_fp_denorm_src 0
		.amdhsa_exception_fp_ieee_div_zero 0
		.amdhsa_exception_fp_ieee_overflow 0
		.amdhsa_exception_fp_ieee_underflow 0
		.amdhsa_exception_fp_ieee_inexact 0
		.amdhsa_exception_int_div_zero 0
	.end_amdhsa_kernel
	.section	.text._ZN12_GLOBAL__N_120geam_min_plus_kernelId15HIP_vector_typeIdLj2EEdLi8ELi32ELi64ELi256ELi4ELi4ELi64ELi64ELi4ELc84ELc84ELb0ELb0ELb1EPKdS3_dEEviiiT16_PT17_ilS7_ilS5_S7_ilPT18_ili26rocblas_geam_ex_operation_,"axG",@progbits,_ZN12_GLOBAL__N_120geam_min_plus_kernelId15HIP_vector_typeIdLj2EEdLi8ELi32ELi64ELi256ELi4ELi4ELi64ELi64ELi4ELc84ELc84ELb0ELb0ELb1EPKdS3_dEEviiiT16_PT17_ilS7_ilS5_S7_ilPT18_ili26rocblas_geam_ex_operation_,comdat
.Lfunc_end174:
	.size	_ZN12_GLOBAL__N_120geam_min_plus_kernelId15HIP_vector_typeIdLj2EEdLi8ELi32ELi64ELi256ELi4ELi4ELi64ELi64ELi4ELc84ELc84ELb0ELb0ELb1EPKdS3_dEEviiiT16_PT17_ilS7_ilS5_S7_ilPT18_ili26rocblas_geam_ex_operation_, .Lfunc_end174-_ZN12_GLOBAL__N_120geam_min_plus_kernelId15HIP_vector_typeIdLj2EEdLi8ELi32ELi64ELi256ELi4ELi4ELi64ELi64ELi4ELc84ELc84ELb0ELb0ELb1EPKdS3_dEEviiiT16_PT17_ilS7_ilS5_S7_ilPT18_ili26rocblas_geam_ex_operation_
                                        ; -- End function
	.section	.AMDGPU.csdata,"",@progbits
; Kernel info:
; codeLenInByte = 17124
; NumSgprs: 34
; NumVgprs: 160
; NumAgprs: 0
; TotalNumVgprs: 160
; ScratchSize: 0
; MemoryBound: 1
; FloatMode: 240
; IeeeMode: 1
; LDSByteSize: 20480 bytes/workgroup (compile time only)
; SGPRBlocks: 4
; VGPRBlocks: 19
; NumSGPRsForWavesPerEU: 34
; NumVGPRsForWavesPerEU: 160
; AccumOffset: 160
; Occupancy: 3
; WaveLimiterHint : 1
; COMPUTE_PGM_RSRC2:SCRATCH_EN: 0
; COMPUTE_PGM_RSRC2:USER_SGPR: 2
; COMPUTE_PGM_RSRC2:TRAP_HANDLER: 0
; COMPUTE_PGM_RSRC2:TGID_X_EN: 1
; COMPUTE_PGM_RSRC2:TGID_Y_EN: 0
; COMPUTE_PGM_RSRC2:TGID_Z_EN: 1
; COMPUTE_PGM_RSRC2:TIDIG_COMP_CNT: 1
; COMPUTE_PGM_RSRC3_GFX90A:ACCUM_OFFSET: 39
; COMPUTE_PGM_RSRC3_GFX90A:TG_SPLIT: 0
	.section	.text._ZN12_GLOBAL__N_120geam_min_plus_kernelId15HIP_vector_typeIdLj2EEdLi8ELi32ELi64ELi256ELi4ELi4ELi64ELi64ELi4ELc84ELc84ELb1ELb0ELb1EdKddEEviiiT16_PT17_ilS6_ilS4_S6_ilPT18_ili26rocblas_geam_ex_operation_,"axG",@progbits,_ZN12_GLOBAL__N_120geam_min_plus_kernelId15HIP_vector_typeIdLj2EEdLi8ELi32ELi64ELi256ELi4ELi4ELi64ELi64ELi4ELc84ELc84ELb1ELb0ELb1EdKddEEviiiT16_PT17_ilS6_ilS4_S6_ilPT18_ili26rocblas_geam_ex_operation_,comdat
	.globl	_ZN12_GLOBAL__N_120geam_min_plus_kernelId15HIP_vector_typeIdLj2EEdLi8ELi32ELi64ELi256ELi4ELi4ELi64ELi64ELi4ELc84ELc84ELb1ELb0ELb1EdKddEEviiiT16_PT17_ilS6_ilS4_S6_ilPT18_ili26rocblas_geam_ex_operation_ ; -- Begin function _ZN12_GLOBAL__N_120geam_min_plus_kernelId15HIP_vector_typeIdLj2EEdLi8ELi32ELi64ELi256ELi4ELi4ELi64ELi64ELi4ELc84ELc84ELb1ELb0ELb1EdKddEEviiiT16_PT17_ilS6_ilS4_S6_ilPT18_ili26rocblas_geam_ex_operation_
	.p2align	8
	.type	_ZN12_GLOBAL__N_120geam_min_plus_kernelId15HIP_vector_typeIdLj2EEdLi8ELi32ELi64ELi256ELi4ELi4ELi64ELi64ELi4ELc84ELc84ELb1ELb0ELb1EdKddEEviiiT16_PT17_ilS6_ilS4_S6_ilPT18_ili26rocblas_geam_ex_operation_,@function
_ZN12_GLOBAL__N_120geam_min_plus_kernelId15HIP_vector_typeIdLj2EEdLi8ELi32ELi64ELi256ELi4ELi4ELi64ELi64ELi4ELc84ELc84ELb1ELb0ELb1EdKddEEviiiT16_PT17_ilS6_ilS4_S6_ilPT18_ili26rocblas_geam_ex_operation_: ; @_ZN12_GLOBAL__N_120geam_min_plus_kernelId15HIP_vector_typeIdLj2EEdLi8ELi32ELi64ELi256ELi4ELi4ELi64ELi64ELi4ELc84ELc84ELb1ELb0ELb1EdKddEEviiiT16_PT17_ilS6_ilS4_S6_ilPT18_ili26rocblas_geam_ex_operation_
; %bb.0:
	s_load_dwordx4 s[4:7], s[0:1], 0x10
	s_load_dwordx4 s[8:11], s[0:1], 0x28
	s_mov_b64 s[18:19], 0
	s_waitcnt lgkmcnt(0)
	v_cmp_eq_f64_e64 s[12:13], s[4:5], 0
	s_and_b64 vcc, exec, s[12:13]
	s_cbranch_vccnz .LBB175_2
; %bb.1:
	s_mul_i32 s4, s3, s9
	s_mul_hi_u32 s5, s3, s8
	s_add_i32 s5, s5, s4
	s_mul_i32 s4, s3, s8
	s_lshl_b64 s[4:5], s[4:5], 3
	s_add_u32 s18, s6, s4
	s_addc_u32 s19, s7, s5
.LBB175_2:
	s_load_dwordx4 s[4:7], s[0:1], 0x40
	s_load_dwordx2 s[20:21], s[0:1], 0x50
	s_andn2_b64 vcc, exec, s[12:13]
	s_cbranch_vccnz .LBB175_4
; %bb.3:
	s_mov_b32 s15, 0
	s_mov_b64 s[16:17], 0
	s_cbranch_execz .LBB175_5
	s_branch .LBB175_6
.LBB175_4:
                                        ; implicit-def: $sgpr16_sgpr17
                                        ; implicit-def: $sgpr14_sgpr15
.LBB175_5:
	s_waitcnt lgkmcnt(0)
	s_mul_i32 s5, s3, s5
	s_mul_hi_u32 s8, s3, s4
	s_add_i32 s5, s8, s5
	s_mul_i32 s4, s3, s4
	s_lshl_b64 s[4:5], s[4:5], 3
	s_add_u32 s16, s10, s4
	s_mov_b32 s15, 0
	s_addc_u32 s17, s11, s5
.LBB175_6:
	s_load_dwordx4 s[8:11], s[0:1], 0x60
	s_waitcnt lgkmcnt(0)
	v_cmp_eq_f64_e64 s[4:5], s[6:7], 0
	s_and_b64 s[4:5], exec, s[4:5]
	s_mov_b64 s[12:13], 0
	s_mov_b64 vcc, s[4:5]
	s_cbranch_vccnz .LBB175_8
; %bb.7:
	s_mul_i32 s9, s3, s9
	s_mul_hi_u32 s12, s3, s8
	s_add_i32 s9, s12, s9
	s_mul_i32 s12, s15, s8
	s_add_i32 s9, s9, s12
	s_mul_i32 s8, s3, s8
	s_lshl_b64 s[8:9], s[8:9], 3
	s_add_u32 s12, s20, s8
	s_addc_u32 s13, s21, s9
.LBB175_8:
	s_load_dword s8, s[0:1], 0x0
	s_load_dword s9, s[0:1], 0x20
	;; [unrolled: 1-line block ×3, first 2 shown]
	v_and_b32_e32 v137, 0x3ff, v0
	v_bfe_u32 v138, v0, 10, 10
	s_waitcnt lgkmcnt(0)
	s_add_i32 s8, s8, -1
	s_ashr_i32 s14, s8, 31
	s_lshr_b32 s14, s14, 26
	s_add_i32 s8, s8, s14
	s_ashr_i32 s8, s8, 6
	s_add_i32 s14, s8, 1
	v_cvt_f32_u32_e32 v1, s14
	s_not_b32 s8, s8
	s_ashr_i32 s21, s20, 31
	v_lshl_add_u32 v0, v138, 3, v137
	v_rcp_iflag_f32_e32 v1, v1
	v_lshrrev_b32_e32 v18, 2, v0
	v_and_b32_e32 v74, 63, v0
	v_lshrrev_b32_e32 v145, 6, v0
	v_mul_f32_e32 v1, 0x4f7ffffe, v1
	v_cvt_u32_f32_e32 v1, v1
	v_and_b32_e32 v144, 3, v137
	v_add_u32_e32 v146, 4, v145
	v_mov_b32_e32 v78, 0x7f800000
	v_readfirstlane_b32 s22, v1
	s_mul_i32 s8, s8, s22
	s_mul_hi_u32 s8, s22, s8
	s_add_i32 s22, s22, s8
	s_mul_hi_u32 s8, s2, s22
	s_mul_i32 s22, s8, s14
	s_sub_i32 s22, s2, s22
	s_add_i32 s23, s8, 1
	s_sub_i32 s24, s22, s14
	s_cmp_ge_u32 s22, s14
	s_cselect_b32 s8, s23, s8
	s_cselect_b32 s22, s24, s22
	s_add_i32 s23, s8, 1
	s_cmp_ge_u32 s22, s14
	s_cselect_b32 s8, s23, s8
	s_mul_i32 s14, s8, s14
	s_sub_i32 s2, s2, s14
	s_lshl_b32 s2, s2, 6
	s_lshl_b32 s14, s8, 8
	v_add_u32_e32 v0, s2, v18
	v_or_b32_e32 v62, s14, v74
	v_mad_i64_i32 v[0:1], s[8:9], v0, s9, 0
	v_mad_i64_i32 v[4:5], s[8:9], s20, v145, 0
	v_ashrrev_i32_e32 v63, 31, v62
	v_lshl_add_u64 v[4:5], v[4:5], 3, s[16:17]
	v_lshlrev_b64 v[6:7], 3, v[62:63]
	v_lshl_add_u64 v[60:61], v[0:1], 3, s[18:19]
	v_lshlrev_b32_e32 v0, 3, v144
	v_mov_b32_e32 v1, 0
	v_lshl_add_u64 v[4:5], v[4:5], 0, v[6:7]
	v_lshl_add_u64 v[2:3], v[60:61], 0, v[0:1]
	flat_load_dwordx2 v[8:9], v[4:5]
	flat_load_dwordx2 v[10:11], v[4:5] offset:512
	flat_load_dwordx2 v[12:13], v[4:5] offset:1024
	flat_load_dwordx2 v[14:15], v[4:5] offset:1536
	flat_load_dwordx2 v[16:17], v[2:3]
	v_mad_i64_i32 v[4:5], s[8:9], s20, v146, 0
	v_lshl_add_u64 v[4:5], v[4:5], 3, s[16:17]
	v_lshl_add_u64 v[4:5], v[4:5], 0, v[6:7]
	flat_load_dwordx2 v[64:65], v[4:5]
	flat_load_dwordx2 v[66:67], v[4:5] offset:512
	flat_load_dwordx2 v[68:69], v[4:5] offset:1024
	;; [unrolled: 1-line block ×4, first 2 shown]
	v_lshl_or_b32 v75, v18, 5, v0
	v_lshlrev_b32_e32 v0, 3, v145
	s_mov_b32 s18, 0
	s_mov_b64 s[8:9], -1
	v_mov_b32_e32 v79, 0x7f800000
	v_mov_b32_e32 v80, 0x7f800000
	;; [unrolled: 1-line block ×42, first 2 shown]
	v_add_u32_e32 v147, 0x4000, v75
	v_lshl_add_u32 v148, v74, 5, v0
	v_mov_b32_e32 v121, 0x7f800000
	v_mov_b32_e32 v122, 0x7f800000
	;; [unrolled: 1-line block ×21, first 2 shown]
	s_waitcnt vmcnt(0) lgkmcnt(0)
	ds_write2st64_b64 v148, v[8:9], v[10:11] offset1:4
	ds_write2st64_b64 v148, v[12:13], v[14:15] offset0:8 offset1:12
	ds_write_b64 v75, v[16:17] offset:16384
	s_waitcnt lgkmcnt(0)
	s_barrier
.LBB175_9:                              ; =>This Inner Loop Header: Depth=1
	v_cndmask_b32_e64 v0, 0, 1, s[8:9]
	s_lshl_b32 s8, s18, 3
	v_cmp_ne_u32_e32 vcc, 1, v0
	v_lshl_add_u32 v0, v137, 5, s8
	v_lshl_add_u32 v20, v138, 5, s8
	ds_read_b128 v[32:35], v0 offset:16384
	ds_read_b128 v[28:31], v0 offset:16640
	;; [unrolled: 1-line block ×8, first 2 shown]
	ds_read_b128 v[150:153], v20
	ds_read_b128 v[56:59], v20 offset:1024
	ds_read_b128 v[52:55], v20 offset:2048
	;; [unrolled: 1-line block ×7, first 2 shown]
	s_waitcnt lgkmcnt(7)
	v_add_f64 v[76:77], v[34:35], v[152:153]
	v_add_f64 v[154:155], v[32:33], v[150:151]
	v_cvt_f32_f64_e32 v149, v[154:155]
	v_cvt_f32_f64_e32 v76, v[76:77]
	v_min3_f32 v143, v149, v76, v143
	v_add_f64 v[76:77], v[30:31], v[152:153]
	v_add_f64 v[154:155], v[28:29], v[150:151]
	v_cvt_f32_f64_e32 v149, v[154:155]
	v_cvt_f32_f64_e32 v76, v[76:77]
	v_min3_f32 v142, v149, v76, v142
	;; [unrolled: 5-line block ×8, first 2 shown]
	s_waitcnt lgkmcnt(6)
	v_add_f64 v[76:77], v[34:35], v[58:59]
	v_add_f64 v[150:151], v[32:33], v[56:57]
	v_cvt_f32_f64_e32 v149, v[150:151]
	v_cvt_f32_f64_e32 v76, v[76:77]
	v_min3_f32 v133, v149, v76, v133
	v_add_f64 v[76:77], v[30:31], v[58:59]
	v_add_f64 v[150:151], v[28:29], v[56:57]
	v_cvt_f32_f64_e32 v149, v[150:151]
	v_cvt_f32_f64_e32 v76, v[76:77]
	v_min3_f32 v132, v149, v76, v132
	v_add_f64 v[76:77], v[26:27], v[58:59]
	v_add_f64 v[150:151], v[24:25], v[56:57]
	v_cvt_f32_f64_e32 v149, v[150:151]
	v_cvt_f32_f64_e32 v76, v[76:77]
	v_min3_f32 v131, v149, v76, v131
	v_add_f64 v[76:77], v[18:19], v[58:59]
	v_add_f64 v[150:151], v[16:17], v[56:57]
	v_cvt_f32_f64_e32 v149, v[150:151]
	v_cvt_f32_f64_e32 v76, v[76:77]
	v_min3_f32 v130, v149, v76, v130
	v_add_f64 v[76:77], v[14:15], v[58:59]
	v_add_f64 v[150:151], v[12:13], v[56:57]
	v_cvt_f32_f64_e32 v149, v[150:151]
	v_cvt_f32_f64_e32 v76, v[76:77]
	v_min3_f32 v129, v149, v76, v129
	v_add_f64 v[76:77], v[10:11], v[58:59]
	v_add_f64 v[150:151], v[8:9], v[56:57]
	v_cvt_f32_f64_e32 v149, v[150:151]
	v_cvt_f32_f64_e32 v76, v[76:77]
	v_min3_f32 v128, v149, v76, v128
	v_add_f64 v[76:77], v[6:7], v[58:59]
	v_add_f64 v[150:151], v[4:5], v[56:57]
	v_add_f64 v[58:59], v[2:3], v[58:59]
	v_add_f64 v[56:57], v[0:1], v[56:57]
	v_cvt_f32_f64_e32 v56, v[56:57]
	v_cvt_f32_f64_e32 v57, v[58:59]
	v_min3_f32 v126, v56, v57, v126
	s_waitcnt lgkmcnt(5)
	v_add_f64 v[56:57], v[34:35], v[54:55]
	v_add_f64 v[58:59], v[32:33], v[52:53]
	v_cvt_f32_f64_e32 v58, v[58:59]
	v_cvt_f32_f64_e32 v56, v[56:57]
	v_min3_f32 v125, v58, v56, v125
	v_add_f64 v[56:57], v[30:31], v[54:55]
	v_add_f64 v[58:59], v[28:29], v[52:53]
	v_cvt_f32_f64_e32 v58, v[58:59]
	v_cvt_f32_f64_e32 v56, v[56:57]
	v_min3_f32 v124, v58, v56, v124
	v_add_f64 v[56:57], v[26:27], v[54:55]
	v_add_f64 v[58:59], v[24:25], v[52:53]
	v_cvt_f32_f64_e32 v58, v[58:59]
	v_cvt_f32_f64_e32 v56, v[56:57]
	v_min3_f32 v123, v58, v56, v123
	v_add_f64 v[56:57], v[18:19], v[54:55]
	v_add_f64 v[58:59], v[16:17], v[52:53]
	v_cvt_f32_f64_e32 v58, v[58:59]
	v_cvt_f32_f64_e32 v56, v[56:57]
	v_min3_f32 v122, v58, v56, v122
	v_add_f64 v[56:57], v[14:15], v[54:55]
	v_add_f64 v[58:59], v[12:13], v[52:53]
	v_cvt_f32_f64_e32 v58, v[58:59]
	v_cvt_f32_f64_e32 v56, v[56:57]
	v_min3_f32 v121, v58, v56, v121
	v_add_f64 v[56:57], v[10:11], v[54:55]
	v_add_f64 v[58:59], v[8:9], v[52:53]
	v_cvt_f32_f64_e32 v58, v[58:59]
	v_cvt_f32_f64_e32 v56, v[56:57]
	v_min3_f32 v120, v58, v56, v120
	v_add_f64 v[56:57], v[6:7], v[54:55]
	v_add_f64 v[58:59], v[4:5], v[52:53]
	v_add_f64 v[54:55], v[2:3], v[54:55]
	v_add_f64 v[52:53], v[0:1], v[52:53]
	v_cvt_f32_f64_e32 v52, v[52:53]
	v_cvt_f32_f64_e32 v53, v[54:55]
	v_min3_f32 v118, v52, v53, v118
	;; [unrolled: 38-line block ×5, first 2 shown]
	s_waitcnt lgkmcnt(1)
	v_add_f64 v[40:41], v[34:35], v[38:39]
	v_add_f64 v[42:43], v[32:33], v[36:37]
	v_cvt_f32_f64_e32 v42, v[42:43]
	v_cvt_f32_f64_e32 v40, v[40:41]
	v_min3_f32 v93, v42, v40, v93
	v_add_f64 v[40:41], v[30:31], v[38:39]
	v_add_f64 v[42:43], v[28:29], v[36:37]
	v_cvt_f32_f64_e32 v42, v[42:43]
	v_cvt_f32_f64_e32 v40, v[40:41]
	v_min3_f32 v92, v42, v40, v92
	;; [unrolled: 5-line block ×6, first 2 shown]
	v_add_f64 v[40:41], v[6:7], v[38:39]
	v_add_f64 v[42:43], v[4:5], v[36:37]
	;; [unrolled: 1-line block ×4, first 2 shown]
	s_waitcnt lgkmcnt(0)
	v_add_f64 v[34:35], v[34:35], v[22:23]
	v_add_f64 v[32:33], v[32:33], v[20:21]
	;; [unrolled: 1-line block ×16, first 2 shown]
	v_cvt_f32_f64_e32 v149, v[150:151]
	v_cvt_f32_f64_e32 v76, v[76:77]
	;; [unrolled: 1-line block ×30, first 2 shown]
	v_min3_f32 v127, v149, v76, v127
	v_min3_f32 v119, v58, v56, v119
	;; [unrolled: 1-line block ×15, first 2 shown]
	s_mov_b64 s[8:9], 0
	s_mov_b32 s18, 2
	s_cbranch_vccz .LBB175_9
; %bb.10:
	s_load_dword s18, s[0:1], 0x8
	v_lshlrev_b32_e32 v0, 5, v74
	v_lshl_add_u32 v0, v145, 3, v0
	ds_write_b64 v75, v[72:73] offset:18432
	ds_write2st64_b64 v0, v[64:65], v[66:67] offset0:16 offset1:20
	ds_write2st64_b64 v0, v[68:69], v[70:71] offset0:24 offset1:28
	s_waitcnt lgkmcnt(0)
	s_cmp_lt_i32 s18, 9
	s_barrier
	s_cbranch_scc1 .LBB175_17
; %bb.11:
	v_add_u32_e32 v149, 0x4800, v75
	v_or_b32_e32 v150, 0x2000, v0
	s_add_i32 s18, s18, -8
	v_lshl_add_u64 v[62:63], v[62:63], 3, s[16:17]
	s_mov_b32 s16, 8
	s_mov_b32 s17, 0
	v_mov_b32_e32 v65, 0
.LBB175_12:                             ; =>This Loop Header: Depth=1
                                        ;     Child Loop BB175_13 Depth 2
                                        ;     Child Loop BB175_15 Depth 2
	v_add_u32_e32 v3, s16, v145
	v_mad_u64_u32 v[0:1], s[8:9], v3, s20, 0
	v_mov_b32_e32 v2, v1
	v_mad_u64_u32 v[2:3], s[8:9], v3, s21, v[2:3]
	v_or_b32_e32 v64, s16, v144
	v_mov_b32_e32 v1, v2
	v_lshl_add_u64 v[66:67], v[64:65], 3, v[60:61]
	v_lshl_add_u64 v[0:1], v[0:1], 3, v[62:63]
	flat_load_dwordx2 v[68:69], v[66:67]
	flat_load_dwordx2 v[70:71], v[0:1]
	flat_load_dwordx2 v[72:73], v[0:1] offset:512
	flat_load_dwordx2 v[74:75], v[0:1] offset:1024
	;; [unrolled: 1-line block ×3, first 2 shown]
	s_mov_b64 s[8:9], -1
	s_mov_b32 s19, 0
.LBB175_13:                             ;   Parent Loop BB175_12 Depth=1
                                        ; =>  This Inner Loop Header: Depth=2
	v_cndmask_b32_e64 v0, 0, 1, s[8:9]
	s_lshl_b32 s8, s19, 3
	v_cmp_ne_u32_e32 vcc, 1, v0
	v_lshl_add_u32 v0, v137, 5, s8
	v_lshl_add_u32 v20, v138, 5, s8
	ds_read_b128 v[32:35], v0 offset:18432
	ds_read_b128 v[28:31], v0 offset:18688
	;; [unrolled: 1-line block ×16, first 2 shown]
	s_waitcnt lgkmcnt(0)
	v_add_f64 v[156:157], v[34:35], v[154:155]
	v_add_f64 v[158:159], v[32:33], v[152:153]
	v_cvt_f32_f64_e32 v64, v[158:159]
	v_cvt_f32_f64_e32 v151, v[156:157]
	v_add_f64 v[156:157], v[30:31], v[154:155]
	v_add_f64 v[158:159], v[28:29], v[152:153]
	v_min3_f32 v143, v64, v151, v143
	v_cvt_f32_f64_e32 v64, v[158:159]
	v_cvt_f32_f64_e32 v151, v[156:157]
	v_add_f64 v[156:157], v[26:27], v[154:155]
	v_add_f64 v[158:159], v[24:25], v[152:153]
	v_min3_f32 v142, v64, v151, v142
	;; [unrolled: 5-line block ×13, first 2 shown]
	v_cvt_f32_f64_e32 v64, v[154:155]
	v_cvt_f32_f64_e32 v151, v[152:153]
	v_add_f64 v[152:153], v[6:7], v[58:59]
	v_add_f64 v[154:155], v[4:5], v[56:57]
	v_add_f64 v[58:59], v[2:3], v[58:59]
	v_add_f64 v[56:57], v[0:1], v[56:57]
	v_cvt_f32_f64_e32 v56, v[56:57]
	v_cvt_f32_f64_e32 v57, v[58:59]
	v_min3_f32 v126, v56, v57, v126
	v_add_f64 v[56:57], v[34:35], v[54:55]
	v_add_f64 v[58:59], v[32:33], v[52:53]
	v_cvt_f32_f64_e32 v58, v[58:59]
	v_cvt_f32_f64_e32 v56, v[56:57]
	v_min3_f32 v125, v58, v56, v125
	v_add_f64 v[56:57], v[30:31], v[54:55]
	v_add_f64 v[58:59], v[28:29], v[52:53]
	v_cvt_f32_f64_e32 v58, v[58:59]
	v_cvt_f32_f64_e32 v56, v[56:57]
	v_min3_f32 v124, v58, v56, v124
	v_add_f64 v[56:57], v[26:27], v[54:55]
	v_add_f64 v[58:59], v[24:25], v[52:53]
	v_cvt_f32_f64_e32 v58, v[58:59]
	v_cvt_f32_f64_e32 v56, v[56:57]
	v_min3_f32 v123, v58, v56, v123
	v_add_f64 v[56:57], v[18:19], v[54:55]
	v_add_f64 v[58:59], v[16:17], v[52:53]
	v_cvt_f32_f64_e32 v58, v[58:59]
	v_cvt_f32_f64_e32 v56, v[56:57]
	v_min3_f32 v122, v58, v56, v122
	v_add_f64 v[56:57], v[14:15], v[54:55]
	v_add_f64 v[58:59], v[12:13], v[52:53]
	v_cvt_f32_f64_e32 v58, v[58:59]
	v_cvt_f32_f64_e32 v56, v[56:57]
	v_min3_f32 v121, v58, v56, v121
	v_add_f64 v[56:57], v[10:11], v[54:55]
	v_add_f64 v[58:59], v[8:9], v[52:53]
	v_cvt_f32_f64_e32 v58, v[58:59]
	v_cvt_f32_f64_e32 v56, v[56:57]
	v_min3_f32 v120, v58, v56, v120
	v_add_f64 v[56:57], v[6:7], v[54:55]
	v_add_f64 v[58:59], v[4:5], v[52:53]
	v_add_f64 v[54:55], v[2:3], v[54:55]
	v_add_f64 v[52:53], v[0:1], v[52:53]
	v_cvt_f32_f64_e32 v52, v[52:53]
	v_cvt_f32_f64_e32 v53, v[54:55]
	v_min3_f32 v118, v52, v53, v118
	v_add_f64 v[52:53], v[34:35], v[50:51]
	v_add_f64 v[54:55], v[32:33], v[48:49]
	v_cvt_f32_f64_e32 v54, v[54:55]
	v_cvt_f32_f64_e32 v52, v[52:53]
	v_min3_f32 v117, v54, v52, v117
	v_add_f64 v[52:53], v[30:31], v[50:51]
	v_add_f64 v[54:55], v[28:29], v[48:49]
	v_cvt_f32_f64_e32 v54, v[54:55]
	v_cvt_f32_f64_e32 v52, v[52:53]
	v_min3_f32 v116, v54, v52, v116
	v_add_f64 v[52:53], v[26:27], v[50:51]
	v_add_f64 v[54:55], v[24:25], v[48:49]
	v_cvt_f32_f64_e32 v54, v[54:55]
	v_cvt_f32_f64_e32 v52, v[52:53]
	v_min3_f32 v115, v54, v52, v115
	v_add_f64 v[52:53], v[18:19], v[50:51]
	v_add_f64 v[54:55], v[16:17], v[48:49]
	v_cvt_f32_f64_e32 v54, v[54:55]
	v_cvt_f32_f64_e32 v52, v[52:53]
	v_min3_f32 v114, v54, v52, v114
	v_add_f64 v[52:53], v[14:15], v[50:51]
	v_add_f64 v[54:55], v[12:13], v[48:49]
	v_cvt_f32_f64_e32 v54, v[54:55]
	v_cvt_f32_f64_e32 v52, v[52:53]
	v_min3_f32 v113, v54, v52, v113
	v_add_f64 v[52:53], v[10:11], v[50:51]
	v_add_f64 v[54:55], v[8:9], v[48:49]
	v_cvt_f32_f64_e32 v54, v[54:55]
	v_cvt_f32_f64_e32 v52, v[52:53]
	v_min3_f32 v112, v54, v52, v112
	;; [unrolled: 37-line block ×5, first 2 shown]
	v_add_f64 v[40:41], v[6:7], v[38:39]
	v_add_f64 v[42:43], v[4:5], v[36:37]
	;; [unrolled: 1-line block ×20, first 2 shown]
	v_min3_f32 v128, v64, v151, v128
	v_cvt_f32_f64_e32 v64, v[154:155]
	v_cvt_f32_f64_e32 v151, v[152:153]
	;; [unrolled: 1-line block ×30, first 2 shown]
	v_min3_f32 v127, v64, v151, v127
	v_min3_f32 v119, v58, v56, v119
	;; [unrolled: 1-line block ×15, first 2 shown]
	s_mov_b32 s19, 2
	s_mov_b64 s[8:9], 0
	s_cbranch_vccz .LBB175_13
; %bb.14:                               ;   in Loop: Header=BB175_12 Depth=1
	v_add_u32_e32 v3, s16, v146
	v_mad_u64_u32 v[0:1], s[8:9], v3, s20, 0
	v_mov_b32_e32 v2, v1
	v_mad_u64_u32 v[2:3], s[8:9], v3, s21, v[2:3]
	v_mov_b32_e32 v1, v2
	v_lshl_add_u64 v[0:1], v[0:1], 3, v[62:63]
	s_waitcnt vmcnt(0)
	ds_write_b64 v147, v[68:69]
	ds_write2st64_b64 v148, v[70:71], v[72:73] offset1:4
	ds_write2st64_b64 v148, v[74:75], v[76:77] offset0:8 offset1:12
	s_waitcnt lgkmcnt(0)
	s_barrier
	flat_load_dwordx2 v[66:67], v[66:67] offset:32
	s_nop 0
	flat_load_dwordx2 v[68:69], v[0:1]
	flat_load_dwordx2 v[70:71], v[0:1] offset:512
	flat_load_dwordx2 v[72:73], v[0:1] offset:1024
	;; [unrolled: 1-line block ×3, first 2 shown]
	s_mov_b32 s19, 0
	s_mov_b64 s[8:9], -1
.LBB175_15:                             ;   Parent Loop BB175_12 Depth=1
                                        ; =>  This Inner Loop Header: Depth=2
	v_cndmask_b32_e64 v0, 0, 1, s[8:9]
	s_lshl_b32 s8, s19, 3
	v_cmp_ne_u32_e32 vcc, 1, v0
	v_lshl_add_u32 v0, v137, 5, s8
	v_lshl_add_u32 v20, v138, 5, s8
	ds_read_b128 v[32:35], v0 offset:16384
	ds_read_b128 v[28:31], v0 offset:16640
	;; [unrolled: 1-line block ×8, first 2 shown]
	ds_read_b128 v[152:155], v20
	ds_read_b128 v[56:59], v20 offset:1024
	ds_read_b128 v[52:55], v20 offset:2048
	;; [unrolled: 1-line block ×7, first 2 shown]
	s_waitcnt lgkmcnt(0)
	v_add_f64 v[76:77], v[34:35], v[154:155]
	v_add_f64 v[156:157], v[32:33], v[152:153]
	v_cvt_f32_f64_e32 v64, v[156:157]
	v_cvt_f32_f64_e32 v76, v[76:77]
	v_min3_f32 v143, v64, v76, v143
	v_add_f64 v[76:77], v[30:31], v[154:155]
	v_add_f64 v[156:157], v[28:29], v[152:153]
	v_cvt_f32_f64_e32 v64, v[156:157]
	v_cvt_f32_f64_e32 v76, v[76:77]
	v_min3_f32 v142, v64, v76, v142
	;; [unrolled: 5-line block ×14, first 2 shown]
	v_add_f64 v[76:77], v[6:7], v[58:59]
	v_add_f64 v[152:153], v[4:5], v[56:57]
	v_add_f64 v[58:59], v[2:3], v[58:59]
	v_add_f64 v[56:57], v[0:1], v[56:57]
	v_cvt_f32_f64_e32 v56, v[56:57]
	v_cvt_f32_f64_e32 v57, v[58:59]
	v_min3_f32 v126, v56, v57, v126
	v_add_f64 v[56:57], v[34:35], v[54:55]
	v_add_f64 v[58:59], v[32:33], v[52:53]
	v_cvt_f32_f64_e32 v58, v[58:59]
	v_cvt_f32_f64_e32 v56, v[56:57]
	v_min3_f32 v125, v58, v56, v125
	v_add_f64 v[56:57], v[30:31], v[54:55]
	v_add_f64 v[58:59], v[28:29], v[52:53]
	v_cvt_f32_f64_e32 v58, v[58:59]
	v_cvt_f32_f64_e32 v56, v[56:57]
	v_min3_f32 v124, v58, v56, v124
	v_add_f64 v[56:57], v[26:27], v[54:55]
	v_add_f64 v[58:59], v[24:25], v[52:53]
	v_cvt_f32_f64_e32 v58, v[58:59]
	v_cvt_f32_f64_e32 v56, v[56:57]
	v_min3_f32 v123, v58, v56, v123
	v_add_f64 v[56:57], v[18:19], v[54:55]
	v_add_f64 v[58:59], v[16:17], v[52:53]
	v_cvt_f32_f64_e32 v58, v[58:59]
	v_cvt_f32_f64_e32 v56, v[56:57]
	v_min3_f32 v122, v58, v56, v122
	v_add_f64 v[56:57], v[14:15], v[54:55]
	v_add_f64 v[58:59], v[12:13], v[52:53]
	v_cvt_f32_f64_e32 v58, v[58:59]
	v_cvt_f32_f64_e32 v56, v[56:57]
	v_min3_f32 v121, v58, v56, v121
	v_add_f64 v[56:57], v[10:11], v[54:55]
	v_add_f64 v[58:59], v[8:9], v[52:53]
	v_cvt_f32_f64_e32 v58, v[58:59]
	v_cvt_f32_f64_e32 v56, v[56:57]
	v_min3_f32 v120, v58, v56, v120
	v_add_f64 v[56:57], v[6:7], v[54:55]
	v_add_f64 v[58:59], v[4:5], v[52:53]
	v_add_f64 v[54:55], v[2:3], v[54:55]
	v_add_f64 v[52:53], v[0:1], v[52:53]
	v_cvt_f32_f64_e32 v52, v[52:53]
	v_cvt_f32_f64_e32 v53, v[54:55]
	v_min3_f32 v118, v52, v53, v118
	v_add_f64 v[52:53], v[34:35], v[50:51]
	v_add_f64 v[54:55], v[32:33], v[48:49]
	v_cvt_f32_f64_e32 v54, v[54:55]
	v_cvt_f32_f64_e32 v52, v[52:53]
	v_min3_f32 v117, v54, v52, v117
	v_add_f64 v[52:53], v[30:31], v[50:51]
	v_add_f64 v[54:55], v[28:29], v[48:49]
	v_cvt_f32_f64_e32 v54, v[54:55]
	v_cvt_f32_f64_e32 v52, v[52:53]
	v_min3_f32 v116, v54, v52, v116
	v_add_f64 v[52:53], v[26:27], v[50:51]
	v_add_f64 v[54:55], v[24:25], v[48:49]
	v_cvt_f32_f64_e32 v54, v[54:55]
	v_cvt_f32_f64_e32 v52, v[52:53]
	v_min3_f32 v115, v54, v52, v115
	v_add_f64 v[52:53], v[18:19], v[50:51]
	v_add_f64 v[54:55], v[16:17], v[48:49]
	v_cvt_f32_f64_e32 v54, v[54:55]
	v_cvt_f32_f64_e32 v52, v[52:53]
	v_min3_f32 v114, v54, v52, v114
	v_add_f64 v[52:53], v[14:15], v[50:51]
	v_add_f64 v[54:55], v[12:13], v[48:49]
	v_cvt_f32_f64_e32 v54, v[54:55]
	v_cvt_f32_f64_e32 v52, v[52:53]
	v_min3_f32 v113, v54, v52, v113
	v_add_f64 v[52:53], v[10:11], v[50:51]
	v_add_f64 v[54:55], v[8:9], v[48:49]
	v_cvt_f32_f64_e32 v54, v[54:55]
	v_cvt_f32_f64_e32 v52, v[52:53]
	v_min3_f32 v112, v54, v52, v112
	;; [unrolled: 37-line block ×5, first 2 shown]
	v_add_f64 v[40:41], v[6:7], v[38:39]
	v_add_f64 v[42:43], v[4:5], v[36:37]
	v_add_f64 v[38:39], v[2:3], v[38:39]
	v_add_f64 v[36:37], v[0:1], v[36:37]
	v_add_f64 v[34:35], v[34:35], v[22:23]
	v_add_f64 v[32:33], v[32:33], v[20:21]
	v_add_f64 v[30:31], v[30:31], v[22:23]
	v_add_f64 v[28:29], v[28:29], v[20:21]
	v_add_f64 v[26:27], v[26:27], v[22:23]
	v_add_f64 v[24:25], v[24:25], v[20:21]
	v_add_f64 v[18:19], v[18:19], v[22:23]
	v_add_f64 v[16:17], v[16:17], v[20:21]
	v_add_f64 v[14:15], v[14:15], v[22:23]
	v_add_f64 v[12:13], v[12:13], v[20:21]
	v_add_f64 v[10:11], v[10:11], v[22:23]
	v_add_f64 v[8:9], v[8:9], v[20:21]
	v_add_f64 v[6:7], v[6:7], v[22:23]
	v_add_f64 v[4:5], v[4:5], v[20:21]
	v_add_f64 v[2:3], v[2:3], v[22:23]
	v_add_f64 v[0:1], v[0:1], v[20:21]
	v_cvt_f32_f64_e32 v64, v[152:153]
	v_cvt_f32_f64_e32 v76, v[76:77]
	;; [unrolled: 1-line block ×30, first 2 shown]
	v_min3_f32 v127, v64, v76, v127
	v_min3_f32 v119, v58, v56, v119
	;; [unrolled: 1-line block ×15, first 2 shown]
	s_mov_b32 s19, 2
	s_mov_b64 s[8:9], 0
	s_cbranch_vccz .LBB175_15
; %bb.16:                               ;   in Loop: Header=BB175_12 Depth=1
	s_add_i32 s16, s16, 8
	s_add_i32 s17, s17, 8
	s_cmp_ge_i32 s17, s18
	s_waitcnt vmcnt(0)
	ds_write_b64 v149, v[66:67]
	ds_write2st64_b64 v150, v[68:69], v[70:71] offset1:4
	ds_write2st64_b64 v150, v[72:73], v[74:75] offset0:8 offset1:12
	s_waitcnt lgkmcnt(0)
	s_barrier
	s_cbranch_scc0 .LBB175_12
.LBB175_17:
	s_mov_b32 s16, 0
	s_mov_b64 s[8:9], -1
.LBB175_18:                             ; =>This Inner Loop Header: Depth=1
	v_cndmask_b32_e64 v0, 0, 1, s[8:9]
	s_lshl_b32 s8, s16, 3
	v_cmp_ne_u32_e32 vcc, 1, v0
	v_lshl_add_u32 v0, v137, 5, s8
	v_lshl_add_u32 v20, v138, 5, s8
	ds_read_b128 v[32:35], v0 offset:18432
	ds_read_b128 v[28:31], v0 offset:18688
	;; [unrolled: 1-line block ×16, first 2 shown]
	s_waitcnt lgkmcnt(7)
	v_add_f64 v[64:65], v[34:35], v[62:63]
	v_add_f64 v[66:67], v[32:33], v[60:61]
	v_cvt_f32_f64_e32 v66, v[66:67]
	v_cvt_f32_f64_e32 v64, v[64:65]
	v_min3_f32 v143, v66, v64, v143
	v_add_f64 v[64:65], v[30:31], v[62:63]
	v_add_f64 v[66:67], v[28:29], v[60:61]
	v_cvt_f32_f64_e32 v66, v[66:67]
	v_cvt_f32_f64_e32 v64, v[64:65]
	v_min3_f32 v142, v66, v64, v142
	v_add_f64 v[64:65], v[26:27], v[62:63]
	v_add_f64 v[66:67], v[24:25], v[60:61]
	v_cvt_f32_f64_e32 v66, v[66:67]
	v_cvt_f32_f64_e32 v64, v[64:65]
	v_min3_f32 v141, v66, v64, v141
	v_add_f64 v[64:65], v[18:19], v[62:63]
	v_add_f64 v[66:67], v[16:17], v[60:61]
	v_cvt_f32_f64_e32 v66, v[66:67]
	v_cvt_f32_f64_e32 v64, v[64:65]
	v_min3_f32 v140, v66, v64, v140
	v_add_f64 v[64:65], v[14:15], v[62:63]
	v_add_f64 v[66:67], v[12:13], v[60:61]
	v_cvt_f32_f64_e32 v66, v[66:67]
	v_cvt_f32_f64_e32 v64, v[64:65]
	v_min3_f32 v139, v66, v64, v139
	v_add_f64 v[64:65], v[10:11], v[62:63]
	v_add_f64 v[66:67], v[8:9], v[60:61]
	v_cvt_f32_f64_e32 v66, v[66:67]
	v_cvt_f32_f64_e32 v64, v[64:65]
	v_min3_f32 v136, v66, v64, v136
	v_add_f64 v[64:65], v[6:7], v[62:63]
	v_add_f64 v[66:67], v[4:5], v[60:61]
	v_add_f64 v[62:63], v[2:3], v[62:63]
	v_add_f64 v[60:61], v[0:1], v[60:61]
	v_cvt_f32_f64_e32 v60, v[60:61]
	v_cvt_f32_f64_e32 v61, v[62:63]
	v_min3_f32 v134, v60, v61, v134
	s_waitcnt lgkmcnt(6)
	v_add_f64 v[60:61], v[34:35], v[58:59]
	v_add_f64 v[62:63], v[32:33], v[56:57]
	v_cvt_f32_f64_e32 v62, v[62:63]
	v_cvt_f32_f64_e32 v60, v[60:61]
	v_min3_f32 v133, v62, v60, v133
	v_add_f64 v[60:61], v[30:31], v[58:59]
	v_add_f64 v[62:63], v[28:29], v[56:57]
	v_cvt_f32_f64_e32 v62, v[62:63]
	v_cvt_f32_f64_e32 v60, v[60:61]
	v_min3_f32 v132, v62, v60, v132
	v_add_f64 v[60:61], v[26:27], v[58:59]
	v_add_f64 v[62:63], v[24:25], v[56:57]
	v_cvt_f32_f64_e32 v62, v[62:63]
	v_cvt_f32_f64_e32 v60, v[60:61]
	v_min3_f32 v131, v62, v60, v131
	v_add_f64 v[60:61], v[18:19], v[58:59]
	v_add_f64 v[62:63], v[16:17], v[56:57]
	v_cvt_f32_f64_e32 v62, v[62:63]
	v_cvt_f32_f64_e32 v60, v[60:61]
	v_min3_f32 v130, v62, v60, v130
	v_add_f64 v[60:61], v[14:15], v[58:59]
	v_add_f64 v[62:63], v[12:13], v[56:57]
	v_cvt_f32_f64_e32 v62, v[62:63]
	v_cvt_f32_f64_e32 v60, v[60:61]
	v_min3_f32 v129, v62, v60, v129
	v_add_f64 v[60:61], v[10:11], v[58:59]
	v_add_f64 v[62:63], v[8:9], v[56:57]
	v_cvt_f32_f64_e32 v62, v[62:63]
	v_cvt_f32_f64_e32 v60, v[60:61]
	v_min3_f32 v128, v62, v60, v128
	v_add_f64 v[60:61], v[6:7], v[58:59]
	v_add_f64 v[62:63], v[4:5], v[56:57]
	v_add_f64 v[58:59], v[2:3], v[58:59]
	v_add_f64 v[56:57], v[0:1], v[56:57]
	v_cvt_f32_f64_e32 v56, v[56:57]
	v_cvt_f32_f64_e32 v57, v[58:59]
	v_min3_f32 v126, v56, v57, v126
	;; [unrolled: 38-line block ×6, first 2 shown]
	s_waitcnt lgkmcnt(1)
	v_add_f64 v[40:41], v[34:35], v[38:39]
	v_add_f64 v[42:43], v[32:33], v[36:37]
	v_cvt_f32_f64_e32 v42, v[42:43]
	v_cvt_f32_f64_e32 v40, v[40:41]
	v_min3_f32 v93, v42, v40, v93
	v_add_f64 v[40:41], v[30:31], v[38:39]
	v_add_f64 v[42:43], v[28:29], v[36:37]
	v_cvt_f32_f64_e32 v42, v[42:43]
	v_cvt_f32_f64_e32 v40, v[40:41]
	v_min3_f32 v92, v42, v40, v92
	;; [unrolled: 5-line block ×6, first 2 shown]
	v_add_f64 v[40:41], v[6:7], v[38:39]
	v_add_f64 v[42:43], v[4:5], v[36:37]
	;; [unrolled: 1-line block ×4, first 2 shown]
	s_waitcnt lgkmcnt(0)
	v_add_f64 v[34:35], v[34:35], v[22:23]
	v_add_f64 v[32:33], v[32:33], v[20:21]
	;; [unrolled: 1-line block ×16, first 2 shown]
	v_cvt_f32_f64_e32 v66, v[66:67]
	v_cvt_f32_f64_e32 v64, v[64:65]
	;; [unrolled: 1-line block ×32, first 2 shown]
	v_min3_f32 v135, v66, v64, v135
	v_min3_f32 v127, v62, v60, v127
	;; [unrolled: 1-line block ×16, first 2 shown]
	s_mov_b32 s16, 2
	s_mov_b64 s[8:9], 0
	s_cbranch_vccz .LBB175_18
; %bb.19:
	s_load_dwordx2 s[8:9], s[0:1], 0x78
	s_load_dword s16, s[0:1], 0x58
	s_load_dword s17, s[0:1], 0x70
	v_add_u32_e32 v8, s2, v137
	v_add_u32_e32 v30, s14, v138
	s_waitcnt lgkmcnt(0)
	s_mul_i32 s0, s3, s9
	s_mul_hi_u32 s1, s3, s8
	s_mul_i32 s9, s15, s8
	s_add_i32 s0, s1, s0
	s_add_i32 s1, s0, s9
	s_mul_i32 s0, s3, s8
	s_lshl_b64 s[0:1], s[0:1], 3
	s_add_u32 s0, s10, s0
	s_addc_u32 s1, s11, s1
	v_add_u32_e32 v0, 8, v8
	v_mad_i64_i32 v[2:3], s[2:3], v30, s17, 0
	v_ashrrev_i32_e32 v9, 31, v8
	v_ashrrev_i32_e32 v1, 31, v0
	v_lshl_add_u64 v[24:25], v[2:3], 3, s[0:1]
	v_mad_i64_i32 v[2:3], s[2:3], v30, s16, 0
	v_max_f32_e32 v4, v143, v143
	s_mov_b64 vcc, s[4:5]
	s_cbranch_vccz .LBB175_22
; %bb.20:
	v_min_f32_e32 v5, 0, v4
	v_cvt_f64_f32_e32 v[6:7], v5
	v_lshl_add_u64 v[10:11], v[8:9], 3, v[24:25]
	global_store_dwordx2 v[10:11], v[6:7], off
	s_mov_b64 s[2:3], 0
	v_lshl_add_u64 v[26:27], v[2:3], 3, s[12:13]
	v_lshlrev_b64 v[12:13], 3, v[8:9]
	s_cbranch_execz .LBB175_23
; %bb.21:
	v_mov_b64_e32 v[4:5], s[2:3]
	s_branch .LBB175_24
.LBB175_22:
                                        ; implicit-def: $sgpr2_sgpr3
	v_lshl_add_u64 v[26:27], v[2:3], 3, s[12:13]
	v_lshlrev_b64 v[12:13], 3, v[8:9]
.LBB175_23:
	v_lshl_add_u64 v[2:3], v[26:27], 0, v[12:13]
	flat_load_dwordx2 v[2:3], v[2:3]
	v_lshl_add_u64 v[6:7], v[24:25], 0, v[12:13]
	s_waitcnt vmcnt(0) lgkmcnt(0)
	v_mul_f64 v[2:3], v[2:3], s[6:7]
	v_cvt_f32_f64_e32 v2, v[2:3]
	v_min_f32_e32 v2, v2, v4
	v_cvt_f64_f32_e32 v[2:3], v2
	global_store_dwordx2 v[6:7], v[2:3], off
	v_lshl_add_u64 v[2:3], v[0:1], 3, v[26:27]
	flat_load_dwordx2 v[2:3], v[2:3]
	s_waitcnt vmcnt(0) lgkmcnt(0)
	v_mul_f64 v[4:5], v[2:3], s[6:7]
.LBB175_24:
	v_cvt_f32_f64_e32 v4, v[4:5]
	v_max_f32_e32 v5, v142, v142
	v_min_f32_e32 v4, v4, v5
	v_add_u32_e32 v10, 16, v8
	v_add_u32_e32 v2, 24, v8
	v_cvt_f64_f32_e32 v[4:5], v4
	v_lshl_add_u64 v[6:7], v[0:1], 3, v[24:25]
	v_ashrrev_i32_e32 v11, 31, v10
	v_ashrrev_i32_e32 v3, 31, v2
	global_store_dwordx2 v[6:7], v[4:5], off
	v_max_f32_e32 v4, v141, v141
	s_mov_b64 vcc, s[4:5]
	s_cbranch_vccz .LBB175_27
; %bb.25:
	v_min_f32_e32 v5, 0, v4
	v_cvt_f64_f32_e32 v[6:7], v5
	v_lshl_add_u64 v[14:15], v[10:11], 3, v[24:25]
	global_store_dwordx2 v[14:15], v[6:7], off
	s_mov_b64 s[2:3], 0
	v_lshlrev_b64 v[16:17], 3, v[10:11]
	s_cbranch_execz .LBB175_28
; %bb.26:
	v_mov_b64_e32 v[6:7], s[2:3]
	s_branch .LBB175_29
.LBB175_27:
                                        ; implicit-def: $sgpr2_sgpr3
	v_lshlrev_b64 v[16:17], 3, v[10:11]
.LBB175_28:
	v_lshl_add_u64 v[6:7], v[26:27], 0, v[16:17]
	flat_load_dwordx2 v[6:7], v[6:7]
	v_lshl_add_u64 v[14:15], v[24:25], 0, v[16:17]
	s_waitcnt vmcnt(0) lgkmcnt(0)
	v_mul_f64 v[6:7], v[6:7], s[6:7]
	v_cvt_f32_f64_e32 v5, v[6:7]
	v_min_f32_e32 v4, v5, v4
	v_cvt_f64_f32_e32 v[4:5], v4
	global_store_dwordx2 v[14:15], v[4:5], off
	v_lshl_add_u64 v[4:5], v[2:3], 3, v[26:27]
	flat_load_dwordx2 v[4:5], v[4:5]
	s_waitcnt vmcnt(0) lgkmcnt(0)
	v_mul_f64 v[6:7], v[4:5], s[6:7]
.LBB175_29:
	v_cvt_f32_f64_e32 v6, v[6:7]
	v_max_f32_e32 v7, v140, v140
	v_min_f32_e32 v6, v6, v7
	v_add_u32_e32 v14, 32, v8
	v_add_u32_e32 v4, 40, v8
	v_cvt_f64_f32_e32 v[6:7], v6
	v_lshl_add_u64 v[18:19], v[2:3], 3, v[24:25]
	v_ashrrev_i32_e32 v15, 31, v14
	v_ashrrev_i32_e32 v5, 31, v4
	global_store_dwordx2 v[18:19], v[6:7], off
	v_max_f32_e32 v6, v139, v139
	s_mov_b64 vcc, s[4:5]
	s_cbranch_vccz .LBB175_32
; %bb.30:
	v_min_f32_e32 v7, 0, v6
	v_cvt_f64_f32_e32 v[18:19], v7
	v_lshl_add_u64 v[20:21], v[14:15], 3, v[24:25]
	global_store_dwordx2 v[20:21], v[18:19], off
	s_mov_b64 s[2:3], 0
	v_lshlrev_b64 v[20:21], 3, v[14:15]
	s_cbranch_execz .LBB175_33
; %bb.31:
	v_mov_b64_e32 v[22:23], s[2:3]
	s_branch .LBB175_34
.LBB175_32:
                                        ; implicit-def: $sgpr2_sgpr3
	v_lshlrev_b64 v[20:21], 3, v[14:15]
.LBB175_33:
	v_lshl_add_u64 v[18:19], v[26:27], 0, v[20:21]
	flat_load_dwordx2 v[18:19], v[18:19]
	v_lshl_add_u64 v[22:23], v[24:25], 0, v[20:21]
	s_waitcnt vmcnt(0) lgkmcnt(0)
	v_mul_f64 v[18:19], v[18:19], s[6:7]
	v_cvt_f32_f64_e32 v7, v[18:19]
	v_min_f32_e32 v6, v7, v6
	v_cvt_f64_f32_e32 v[6:7], v6
	global_store_dwordx2 v[22:23], v[6:7], off
	v_lshl_add_u64 v[6:7], v[4:5], 3, v[26:27]
	flat_load_dwordx2 v[6:7], v[6:7]
	s_waitcnt vmcnt(0) lgkmcnt(0)
	v_mul_f64 v[22:23], v[6:7], s[6:7]
.LBB175_34:
	v_cvt_f32_f64_e32 v22, v[22:23]
	v_max_f32_e32 v23, v136, v136
	v_min_f32_e32 v22, v22, v23
	v_add_u32_e32 v18, 48, v8
	v_add_u32_e32 v6, 56, v8
	v_cvt_f64_f32_e32 v[22:23], v22
	v_lshl_add_u64 v[28:29], v[4:5], 3, v[24:25]
	v_ashrrev_i32_e32 v19, 31, v18
	v_ashrrev_i32_e32 v7, 31, v6
	global_store_dwordx2 v[28:29], v[22:23], off
	v_max_f32_e32 v28, v135, v135
	s_mov_b64 vcc, s[4:5]
	s_cbranch_vccz .LBB175_37
; %bb.35:
	v_min_f32_e32 v22, 0, v28
	v_cvt_f64_f32_e32 v[22:23], v22
	v_lshl_add_u64 v[32:33], v[18:19], 3, v[24:25]
	global_store_dwordx2 v[32:33], v[22:23], off
	s_mov_b64 s[2:3], 0
	v_lshlrev_b64 v[22:23], 3, v[18:19]
	s_cbranch_execz .LBB175_38
; %bb.36:
	v_mov_b64_e32 v[26:27], s[2:3]
	s_branch .LBB175_39
.LBB175_37:
                                        ; implicit-def: $sgpr2_sgpr3
	v_lshlrev_b64 v[22:23], 3, v[18:19]
.LBB175_38:
	v_lshl_add_u64 v[32:33], v[26:27], 0, v[22:23]
	flat_load_dwordx2 v[32:33], v[32:33]
	v_lshl_add_u64 v[34:35], v[24:25], 0, v[22:23]
	v_lshl_add_u64 v[26:27], v[6:7], 3, v[26:27]
	s_waitcnt vmcnt(0) lgkmcnt(0)
	v_mul_f64 v[32:33], v[32:33], s[6:7]
	v_cvt_f32_f64_e32 v29, v[32:33]
	v_min_f32_e32 v28, v29, v28
	v_cvt_f64_f32_e32 v[28:29], v28
	global_store_dwordx2 v[34:35], v[28:29], off
	flat_load_dwordx2 v[26:27], v[26:27]
	s_waitcnt vmcnt(0) lgkmcnt(0)
	v_mul_f64 v[26:27], v[26:27], s[6:7]
.LBB175_39:
	v_cvt_f32_f64_e32 v26, v[26:27]
	v_max_f32_e32 v27, v134, v134
	v_min_f32_e32 v26, v26, v27
	v_cvt_f64_f32_e32 v[26:27], v26
	v_lshl_add_u64 v[24:25], v[6:7], 3, v[24:25]
	global_store_dwordx2 v[24:25], v[26:27], off
	v_add_u32_e32 v26, 32, v30
	v_mad_i64_i32 v[24:25], s[2:3], v26, s17, 0
	v_lshl_add_u64 v[24:25], v[24:25], 3, s[0:1]
	v_mad_i64_i32 v[26:27], s[2:3], v26, s16, 0
	v_max_f32_e32 v28, v133, v133
	s_mov_b64 vcc, s[4:5]
	s_cbranch_vccz .LBB175_42
; %bb.40:
	v_min_f32_e32 v29, 0, v28
	v_cvt_f64_f32_e32 v[32:33], v29
	v_lshl_add_u64 v[34:35], v[8:9], 3, v[24:25]
	global_store_dwordx2 v[34:35], v[32:33], off
	s_mov_b64 s[2:3], 0
	v_lshl_add_u64 v[26:27], v[26:27], 3, s[12:13]
	s_cbranch_execz .LBB175_43
; %bb.41:
	v_mov_b64_e32 v[28:29], s[2:3]
	s_branch .LBB175_44
.LBB175_42:
                                        ; implicit-def: $sgpr2_sgpr3
	v_lshl_add_u64 v[26:27], v[26:27], 3, s[12:13]
.LBB175_43:
	v_lshl_add_u64 v[32:33], v[26:27], 0, v[12:13]
	flat_load_dwordx2 v[32:33], v[32:33]
	v_lshl_add_u64 v[34:35], v[24:25], 0, v[12:13]
	s_waitcnt vmcnt(0) lgkmcnt(0)
	v_mul_f64 v[32:33], v[32:33], s[6:7]
	v_cvt_f32_f64_e32 v29, v[32:33]
	v_min_f32_e32 v28, v29, v28
	v_cvt_f64_f32_e32 v[28:29], v28
	global_store_dwordx2 v[34:35], v[28:29], off
	v_lshl_add_u64 v[28:29], v[0:1], 3, v[26:27]
	flat_load_dwordx2 v[28:29], v[28:29]
	s_waitcnt vmcnt(0) lgkmcnt(0)
	v_mul_f64 v[28:29], v[28:29], s[6:7]
.LBB175_44:
	v_cvt_f32_f64_e32 v28, v[28:29]
	v_max_f32_e32 v29, v132, v132
	v_min_f32_e32 v28, v28, v29
	v_cvt_f64_f32_e32 v[28:29], v28
	v_lshl_add_u64 v[32:33], v[0:1], 3, v[24:25]
	global_store_dwordx2 v[32:33], v[28:29], off
	v_max_f32_e32 v28, v131, v131
	s_mov_b64 vcc, s[4:5]
	s_cbranch_vccz .LBB175_47
; %bb.45:
	v_min_f32_e32 v29, 0, v28
	v_cvt_f64_f32_e32 v[32:33], v29
	v_lshl_add_u64 v[34:35], v[10:11], 3, v[24:25]
	global_store_dwordx2 v[34:35], v[32:33], off
	s_mov_b64 s[2:3], 0
	s_cbranch_execz .LBB175_48
; %bb.46:
	v_mov_b64_e32 v[28:29], s[2:3]
	s_branch .LBB175_49
.LBB175_47:
                                        ; implicit-def: $sgpr2_sgpr3
.LBB175_48:
	v_lshl_add_u64 v[32:33], v[26:27], 0, v[16:17]
	flat_load_dwordx2 v[32:33], v[32:33]
	v_lshl_add_u64 v[34:35], v[24:25], 0, v[16:17]
	s_waitcnt vmcnt(0) lgkmcnt(0)
	v_mul_f64 v[32:33], v[32:33], s[6:7]
	v_cvt_f32_f64_e32 v29, v[32:33]
	v_min_f32_e32 v28, v29, v28
	v_cvt_f64_f32_e32 v[28:29], v28
	global_store_dwordx2 v[34:35], v[28:29], off
	v_lshl_add_u64 v[28:29], v[2:3], 3, v[26:27]
	flat_load_dwordx2 v[28:29], v[28:29]
	s_waitcnt vmcnt(0) lgkmcnt(0)
	v_mul_f64 v[28:29], v[28:29], s[6:7]
.LBB175_49:
	v_cvt_f32_f64_e32 v28, v[28:29]
	v_max_f32_e32 v29, v130, v130
	v_min_f32_e32 v28, v28, v29
	v_cvt_f64_f32_e32 v[28:29], v28
	v_lshl_add_u64 v[32:33], v[2:3], 3, v[24:25]
	global_store_dwordx2 v[32:33], v[28:29], off
	v_max_f32_e32 v28, v129, v129
	s_mov_b64 vcc, s[4:5]
	s_cbranch_vccz .LBB175_52
; %bb.50:
	v_min_f32_e32 v29, 0, v28
	v_cvt_f64_f32_e32 v[32:33], v29
	v_lshl_add_u64 v[34:35], v[14:15], 3, v[24:25]
	global_store_dwordx2 v[34:35], v[32:33], off
	s_mov_b64 s[2:3], 0
	s_cbranch_execz .LBB175_53
; %bb.51:
	v_mov_b64_e32 v[28:29], s[2:3]
	s_branch .LBB175_54
.LBB175_52:
                                        ; implicit-def: $sgpr2_sgpr3
.LBB175_53:
	v_lshl_add_u64 v[32:33], v[26:27], 0, v[20:21]
	flat_load_dwordx2 v[32:33], v[32:33]
	v_lshl_add_u64 v[34:35], v[24:25], 0, v[20:21]
	s_waitcnt vmcnt(0) lgkmcnt(0)
	v_mul_f64 v[32:33], v[32:33], s[6:7]
	v_cvt_f32_f64_e32 v29, v[32:33]
	v_min_f32_e32 v28, v29, v28
	v_cvt_f64_f32_e32 v[28:29], v28
	global_store_dwordx2 v[34:35], v[28:29], off
	v_lshl_add_u64 v[28:29], v[4:5], 3, v[26:27]
	flat_load_dwordx2 v[28:29], v[28:29]
	s_waitcnt vmcnt(0) lgkmcnt(0)
	v_mul_f64 v[28:29], v[28:29], s[6:7]
.LBB175_54:
	v_cvt_f32_f64_e32 v28, v[28:29]
	v_max_f32_e32 v29, v128, v128
	v_min_f32_e32 v28, v28, v29
	v_cvt_f64_f32_e32 v[28:29], v28
	v_lshl_add_u64 v[32:33], v[4:5], 3, v[24:25]
	global_store_dwordx2 v[32:33], v[28:29], off
	v_max_f32_e32 v28, v127, v127
	s_mov_b64 vcc, s[4:5]
	s_cbranch_vccz .LBB175_57
; %bb.55:
	v_min_f32_e32 v29, 0, v28
	v_cvt_f64_f32_e32 v[32:33], v29
	v_lshl_add_u64 v[34:35], v[18:19], 3, v[24:25]
	global_store_dwordx2 v[34:35], v[32:33], off
	s_mov_b64 s[2:3], 0
	s_cbranch_execz .LBB175_58
; %bb.56:
	v_mov_b64_e32 v[26:27], s[2:3]
	s_branch .LBB175_59
.LBB175_57:
                                        ; implicit-def: $sgpr2_sgpr3
.LBB175_58:
	v_lshl_add_u64 v[32:33], v[26:27], 0, v[22:23]
	flat_load_dwordx2 v[32:33], v[32:33]
	v_lshl_add_u64 v[34:35], v[24:25], 0, v[22:23]
	v_lshl_add_u64 v[26:27], v[6:7], 3, v[26:27]
	s_waitcnt vmcnt(0) lgkmcnt(0)
	v_mul_f64 v[32:33], v[32:33], s[6:7]
	v_cvt_f32_f64_e32 v29, v[32:33]
	v_min_f32_e32 v28, v29, v28
	v_cvt_f64_f32_e32 v[28:29], v28
	global_store_dwordx2 v[34:35], v[28:29], off
	flat_load_dwordx2 v[26:27], v[26:27]
	s_waitcnt vmcnt(0) lgkmcnt(0)
	v_mul_f64 v[26:27], v[26:27], s[6:7]
.LBB175_59:
	v_cvt_f32_f64_e32 v26, v[26:27]
	v_max_f32_e32 v27, v126, v126
	v_min_f32_e32 v26, v26, v27
	v_cvt_f64_f32_e32 v[26:27], v26
	v_lshl_add_u64 v[24:25], v[6:7], 3, v[24:25]
	global_store_dwordx2 v[24:25], v[26:27], off
	v_add_u32_e32 v26, 64, v30
	v_mad_i64_i32 v[24:25], s[2:3], v26, s17, 0
	v_lshl_add_u64 v[24:25], v[24:25], 3, s[0:1]
	v_mad_i64_i32 v[26:27], s[2:3], v26, s16, 0
	v_max_f32_e32 v28, v125, v125
	s_mov_b64 vcc, s[4:5]
	s_cbranch_vccz .LBB175_62
; %bb.60:
	v_min_f32_e32 v29, 0, v28
	v_cvt_f64_f32_e32 v[32:33], v29
	v_lshl_add_u64 v[34:35], v[8:9], 3, v[24:25]
	global_store_dwordx2 v[34:35], v[32:33], off
	s_mov_b64 s[2:3], 0
	v_lshl_add_u64 v[26:27], v[26:27], 3, s[12:13]
	s_cbranch_execz .LBB175_63
; %bb.61:
	v_mov_b64_e32 v[28:29], s[2:3]
	s_branch .LBB175_64
.LBB175_62:
                                        ; implicit-def: $sgpr2_sgpr3
	v_lshl_add_u64 v[26:27], v[26:27], 3, s[12:13]
.LBB175_63:
	v_lshl_add_u64 v[32:33], v[26:27], 0, v[12:13]
	flat_load_dwordx2 v[32:33], v[32:33]
	v_lshl_add_u64 v[34:35], v[24:25], 0, v[12:13]
	s_waitcnt vmcnt(0) lgkmcnt(0)
	v_mul_f64 v[32:33], v[32:33], s[6:7]
	v_cvt_f32_f64_e32 v29, v[32:33]
	v_min_f32_e32 v28, v29, v28
	v_cvt_f64_f32_e32 v[28:29], v28
	global_store_dwordx2 v[34:35], v[28:29], off
	v_lshl_add_u64 v[28:29], v[0:1], 3, v[26:27]
	flat_load_dwordx2 v[28:29], v[28:29]
	s_waitcnt vmcnt(0) lgkmcnt(0)
	v_mul_f64 v[28:29], v[28:29], s[6:7]
.LBB175_64:
	v_cvt_f32_f64_e32 v28, v[28:29]
	v_max_f32_e32 v29, v124, v124
	v_min_f32_e32 v28, v28, v29
	v_cvt_f64_f32_e32 v[28:29], v28
	v_lshl_add_u64 v[32:33], v[0:1], 3, v[24:25]
	global_store_dwordx2 v[32:33], v[28:29], off
	v_max_f32_e32 v28, v123, v123
	s_mov_b64 vcc, s[4:5]
	s_cbranch_vccz .LBB175_67
; %bb.65:
	v_min_f32_e32 v29, 0, v28
	v_cvt_f64_f32_e32 v[32:33], v29
	v_lshl_add_u64 v[34:35], v[10:11], 3, v[24:25]
	global_store_dwordx2 v[34:35], v[32:33], off
	s_mov_b64 s[2:3], 0
	s_cbranch_execz .LBB175_68
; %bb.66:
	v_mov_b64_e32 v[28:29], s[2:3]
	s_branch .LBB175_69
.LBB175_67:
                                        ; implicit-def: $sgpr2_sgpr3
.LBB175_68:
	v_lshl_add_u64 v[32:33], v[26:27], 0, v[16:17]
	flat_load_dwordx2 v[32:33], v[32:33]
	v_lshl_add_u64 v[34:35], v[24:25], 0, v[16:17]
	s_waitcnt vmcnt(0) lgkmcnt(0)
	v_mul_f64 v[32:33], v[32:33], s[6:7]
	v_cvt_f32_f64_e32 v29, v[32:33]
	v_min_f32_e32 v28, v29, v28
	v_cvt_f64_f32_e32 v[28:29], v28
	global_store_dwordx2 v[34:35], v[28:29], off
	v_lshl_add_u64 v[28:29], v[2:3], 3, v[26:27]
	flat_load_dwordx2 v[28:29], v[28:29]
	s_waitcnt vmcnt(0) lgkmcnt(0)
	v_mul_f64 v[28:29], v[28:29], s[6:7]
.LBB175_69:
	v_cvt_f32_f64_e32 v28, v[28:29]
	v_max_f32_e32 v29, v122, v122
	v_min_f32_e32 v28, v28, v29
	v_cvt_f64_f32_e32 v[28:29], v28
	v_lshl_add_u64 v[32:33], v[2:3], 3, v[24:25]
	global_store_dwordx2 v[32:33], v[28:29], off
	v_max_f32_e32 v28, v121, v121
	s_mov_b64 vcc, s[4:5]
	s_cbranch_vccz .LBB175_72
; %bb.70:
	v_min_f32_e32 v29, 0, v28
	v_cvt_f64_f32_e32 v[32:33], v29
	v_lshl_add_u64 v[34:35], v[14:15], 3, v[24:25]
	global_store_dwordx2 v[34:35], v[32:33], off
	s_mov_b64 s[2:3], 0
	s_cbranch_execz .LBB175_73
; %bb.71:
	v_mov_b64_e32 v[28:29], s[2:3]
	s_branch .LBB175_74
.LBB175_72:
                                        ; implicit-def: $sgpr2_sgpr3
.LBB175_73:
	v_lshl_add_u64 v[32:33], v[26:27], 0, v[20:21]
	flat_load_dwordx2 v[32:33], v[32:33]
	v_lshl_add_u64 v[34:35], v[24:25], 0, v[20:21]
	s_waitcnt vmcnt(0) lgkmcnt(0)
	v_mul_f64 v[32:33], v[32:33], s[6:7]
	v_cvt_f32_f64_e32 v29, v[32:33]
	v_min_f32_e32 v28, v29, v28
	v_cvt_f64_f32_e32 v[28:29], v28
	global_store_dwordx2 v[34:35], v[28:29], off
	v_lshl_add_u64 v[28:29], v[4:5], 3, v[26:27]
	flat_load_dwordx2 v[28:29], v[28:29]
	s_waitcnt vmcnt(0) lgkmcnt(0)
	v_mul_f64 v[28:29], v[28:29], s[6:7]
.LBB175_74:
	v_cvt_f32_f64_e32 v28, v[28:29]
	v_max_f32_e32 v29, v120, v120
	v_min_f32_e32 v28, v28, v29
	v_cvt_f64_f32_e32 v[28:29], v28
	v_lshl_add_u64 v[32:33], v[4:5], 3, v[24:25]
	global_store_dwordx2 v[32:33], v[28:29], off
	v_max_f32_e32 v28, v119, v119
	s_mov_b64 vcc, s[4:5]
	s_cbranch_vccz .LBB175_77
; %bb.75:
	v_min_f32_e32 v29, 0, v28
	v_cvt_f64_f32_e32 v[32:33], v29
	v_lshl_add_u64 v[34:35], v[18:19], 3, v[24:25]
	global_store_dwordx2 v[34:35], v[32:33], off
	s_mov_b64 s[2:3], 0
	s_cbranch_execz .LBB175_78
; %bb.76:
	v_mov_b64_e32 v[26:27], s[2:3]
	s_branch .LBB175_79
.LBB175_77:
                                        ; implicit-def: $sgpr2_sgpr3
.LBB175_78:
	v_lshl_add_u64 v[32:33], v[26:27], 0, v[22:23]
	flat_load_dwordx2 v[32:33], v[32:33]
	v_lshl_add_u64 v[34:35], v[24:25], 0, v[22:23]
	v_lshl_add_u64 v[26:27], v[6:7], 3, v[26:27]
	s_waitcnt vmcnt(0) lgkmcnt(0)
	v_mul_f64 v[32:33], v[32:33], s[6:7]
	v_cvt_f32_f64_e32 v29, v[32:33]
	v_min_f32_e32 v28, v29, v28
	v_cvt_f64_f32_e32 v[28:29], v28
	global_store_dwordx2 v[34:35], v[28:29], off
	flat_load_dwordx2 v[26:27], v[26:27]
	s_waitcnt vmcnt(0) lgkmcnt(0)
	v_mul_f64 v[26:27], v[26:27], s[6:7]
.LBB175_79:
	v_cvt_f32_f64_e32 v26, v[26:27]
	v_max_f32_e32 v27, v118, v118
	v_min_f32_e32 v26, v26, v27
	v_cvt_f64_f32_e32 v[26:27], v26
	v_lshl_add_u64 v[24:25], v[6:7], 3, v[24:25]
	global_store_dwordx2 v[24:25], v[26:27], off
	v_add_u32_e32 v26, 0x60, v30
	v_mad_i64_i32 v[24:25], s[2:3], v26, s17, 0
	v_lshl_add_u64 v[24:25], v[24:25], 3, s[0:1]
	v_mad_i64_i32 v[26:27], s[2:3], v26, s16, 0
	v_max_f32_e32 v28, v117, v117
	s_mov_b64 vcc, s[4:5]
	s_cbranch_vccz .LBB175_82
; %bb.80:
	v_min_f32_e32 v29, 0, v28
	v_cvt_f64_f32_e32 v[32:33], v29
	v_lshl_add_u64 v[34:35], v[8:9], 3, v[24:25]
	global_store_dwordx2 v[34:35], v[32:33], off
	s_mov_b64 s[2:3], 0
	v_lshl_add_u64 v[26:27], v[26:27], 3, s[12:13]
	s_cbranch_execz .LBB175_83
; %bb.81:
	v_mov_b64_e32 v[28:29], s[2:3]
	s_branch .LBB175_84
.LBB175_82:
                                        ; implicit-def: $sgpr2_sgpr3
	v_lshl_add_u64 v[26:27], v[26:27], 3, s[12:13]
.LBB175_83:
	v_lshl_add_u64 v[32:33], v[26:27], 0, v[12:13]
	flat_load_dwordx2 v[32:33], v[32:33]
	v_lshl_add_u64 v[34:35], v[24:25], 0, v[12:13]
	s_waitcnt vmcnt(0) lgkmcnt(0)
	v_mul_f64 v[32:33], v[32:33], s[6:7]
	v_cvt_f32_f64_e32 v29, v[32:33]
	v_min_f32_e32 v28, v29, v28
	v_cvt_f64_f32_e32 v[28:29], v28
	global_store_dwordx2 v[34:35], v[28:29], off
	v_lshl_add_u64 v[28:29], v[0:1], 3, v[26:27]
	flat_load_dwordx2 v[28:29], v[28:29]
	s_waitcnt vmcnt(0) lgkmcnt(0)
	v_mul_f64 v[28:29], v[28:29], s[6:7]
.LBB175_84:
	v_cvt_f32_f64_e32 v28, v[28:29]
	v_max_f32_e32 v29, v116, v116
	v_min_f32_e32 v28, v28, v29
	v_cvt_f64_f32_e32 v[28:29], v28
	v_lshl_add_u64 v[32:33], v[0:1], 3, v[24:25]
	global_store_dwordx2 v[32:33], v[28:29], off
	v_max_f32_e32 v28, v115, v115
	s_mov_b64 vcc, s[4:5]
	s_cbranch_vccz .LBB175_87
; %bb.85:
	v_min_f32_e32 v29, 0, v28
	v_cvt_f64_f32_e32 v[32:33], v29
	v_lshl_add_u64 v[34:35], v[10:11], 3, v[24:25]
	global_store_dwordx2 v[34:35], v[32:33], off
	s_mov_b64 s[2:3], 0
	s_cbranch_execz .LBB175_88
; %bb.86:
	v_mov_b64_e32 v[28:29], s[2:3]
	s_branch .LBB175_89
.LBB175_87:
                                        ; implicit-def: $sgpr2_sgpr3
.LBB175_88:
	v_lshl_add_u64 v[32:33], v[26:27], 0, v[16:17]
	flat_load_dwordx2 v[32:33], v[32:33]
	v_lshl_add_u64 v[34:35], v[24:25], 0, v[16:17]
	s_waitcnt vmcnt(0) lgkmcnt(0)
	v_mul_f64 v[32:33], v[32:33], s[6:7]
	v_cvt_f32_f64_e32 v29, v[32:33]
	v_min_f32_e32 v28, v29, v28
	v_cvt_f64_f32_e32 v[28:29], v28
	global_store_dwordx2 v[34:35], v[28:29], off
	v_lshl_add_u64 v[28:29], v[2:3], 3, v[26:27]
	flat_load_dwordx2 v[28:29], v[28:29]
	s_waitcnt vmcnt(0) lgkmcnt(0)
	v_mul_f64 v[28:29], v[28:29], s[6:7]
.LBB175_89:
	v_cvt_f32_f64_e32 v28, v[28:29]
	v_max_f32_e32 v29, v114, v114
	v_min_f32_e32 v28, v28, v29
	v_cvt_f64_f32_e32 v[28:29], v28
	v_lshl_add_u64 v[32:33], v[2:3], 3, v[24:25]
	global_store_dwordx2 v[32:33], v[28:29], off
	v_max_f32_e32 v28, v113, v113
	s_mov_b64 vcc, s[4:5]
	s_cbranch_vccz .LBB175_92
; %bb.90:
	v_min_f32_e32 v29, 0, v28
	v_cvt_f64_f32_e32 v[32:33], v29
	v_lshl_add_u64 v[34:35], v[14:15], 3, v[24:25]
	global_store_dwordx2 v[34:35], v[32:33], off
	s_mov_b64 s[2:3], 0
	s_cbranch_execz .LBB175_93
; %bb.91:
	v_mov_b64_e32 v[28:29], s[2:3]
	s_branch .LBB175_94
.LBB175_92:
                                        ; implicit-def: $sgpr2_sgpr3
.LBB175_93:
	v_lshl_add_u64 v[32:33], v[26:27], 0, v[20:21]
	flat_load_dwordx2 v[32:33], v[32:33]
	v_lshl_add_u64 v[34:35], v[24:25], 0, v[20:21]
	s_waitcnt vmcnt(0) lgkmcnt(0)
	v_mul_f64 v[32:33], v[32:33], s[6:7]
	v_cvt_f32_f64_e32 v29, v[32:33]
	v_min_f32_e32 v28, v29, v28
	v_cvt_f64_f32_e32 v[28:29], v28
	global_store_dwordx2 v[34:35], v[28:29], off
	v_lshl_add_u64 v[28:29], v[4:5], 3, v[26:27]
	flat_load_dwordx2 v[28:29], v[28:29]
	s_waitcnt vmcnt(0) lgkmcnt(0)
	v_mul_f64 v[28:29], v[28:29], s[6:7]
.LBB175_94:
	v_cvt_f32_f64_e32 v28, v[28:29]
	v_max_f32_e32 v29, v112, v112
	v_min_f32_e32 v28, v28, v29
	v_cvt_f64_f32_e32 v[28:29], v28
	v_lshl_add_u64 v[32:33], v[4:5], 3, v[24:25]
	global_store_dwordx2 v[32:33], v[28:29], off
	v_max_f32_e32 v28, v111, v111
	s_mov_b64 vcc, s[4:5]
	s_cbranch_vccz .LBB175_97
; %bb.95:
	v_min_f32_e32 v29, 0, v28
	v_cvt_f64_f32_e32 v[32:33], v29
	v_lshl_add_u64 v[34:35], v[18:19], 3, v[24:25]
	global_store_dwordx2 v[34:35], v[32:33], off
	s_mov_b64 s[2:3], 0
	s_cbranch_execz .LBB175_98
; %bb.96:
	v_mov_b64_e32 v[26:27], s[2:3]
	s_branch .LBB175_99
.LBB175_97:
                                        ; implicit-def: $sgpr2_sgpr3
.LBB175_98:
	v_lshl_add_u64 v[32:33], v[26:27], 0, v[22:23]
	flat_load_dwordx2 v[32:33], v[32:33]
	v_lshl_add_u64 v[34:35], v[24:25], 0, v[22:23]
	v_lshl_add_u64 v[26:27], v[6:7], 3, v[26:27]
	s_waitcnt vmcnt(0) lgkmcnt(0)
	v_mul_f64 v[32:33], v[32:33], s[6:7]
	v_cvt_f32_f64_e32 v29, v[32:33]
	v_min_f32_e32 v28, v29, v28
	v_cvt_f64_f32_e32 v[28:29], v28
	global_store_dwordx2 v[34:35], v[28:29], off
	flat_load_dwordx2 v[26:27], v[26:27]
	s_waitcnt vmcnt(0) lgkmcnt(0)
	v_mul_f64 v[26:27], v[26:27], s[6:7]
.LBB175_99:
	v_cvt_f32_f64_e32 v26, v[26:27]
	v_max_f32_e32 v27, v110, v110
	v_min_f32_e32 v26, v26, v27
	v_cvt_f64_f32_e32 v[26:27], v26
	v_lshl_add_u64 v[24:25], v[6:7], 3, v[24:25]
	global_store_dwordx2 v[24:25], v[26:27], off
	v_add_u32_e32 v26, 0x80, v30
	v_mad_i64_i32 v[24:25], s[2:3], v26, s17, 0
	v_lshl_add_u64 v[24:25], v[24:25], 3, s[0:1]
	v_mad_i64_i32 v[26:27], s[2:3], v26, s16, 0
	v_max_f32_e32 v28, v109, v109
	s_mov_b64 vcc, s[4:5]
	s_cbranch_vccz .LBB175_102
; %bb.100:
	v_min_f32_e32 v29, 0, v28
	v_cvt_f64_f32_e32 v[32:33], v29
	v_lshl_add_u64 v[34:35], v[8:9], 3, v[24:25]
	global_store_dwordx2 v[34:35], v[32:33], off
	s_mov_b64 s[2:3], 0
	v_lshl_add_u64 v[26:27], v[26:27], 3, s[12:13]
	s_cbranch_execz .LBB175_103
; %bb.101:
	v_mov_b64_e32 v[28:29], s[2:3]
	s_branch .LBB175_104
.LBB175_102:
                                        ; implicit-def: $sgpr2_sgpr3
	v_lshl_add_u64 v[26:27], v[26:27], 3, s[12:13]
.LBB175_103:
	v_lshl_add_u64 v[32:33], v[26:27], 0, v[12:13]
	flat_load_dwordx2 v[32:33], v[32:33]
	v_lshl_add_u64 v[34:35], v[24:25], 0, v[12:13]
	s_waitcnt vmcnt(0) lgkmcnt(0)
	v_mul_f64 v[32:33], v[32:33], s[6:7]
	v_cvt_f32_f64_e32 v29, v[32:33]
	v_min_f32_e32 v28, v29, v28
	v_cvt_f64_f32_e32 v[28:29], v28
	global_store_dwordx2 v[34:35], v[28:29], off
	v_lshl_add_u64 v[28:29], v[0:1], 3, v[26:27]
	flat_load_dwordx2 v[28:29], v[28:29]
	s_waitcnt vmcnt(0) lgkmcnt(0)
	v_mul_f64 v[28:29], v[28:29], s[6:7]
.LBB175_104:
	v_cvt_f32_f64_e32 v28, v[28:29]
	v_max_f32_e32 v29, v108, v108
	v_min_f32_e32 v28, v28, v29
	v_cvt_f64_f32_e32 v[28:29], v28
	v_lshl_add_u64 v[32:33], v[0:1], 3, v[24:25]
	global_store_dwordx2 v[32:33], v[28:29], off
	v_max_f32_e32 v28, v107, v107
	s_mov_b64 vcc, s[4:5]
	s_cbranch_vccz .LBB175_107
; %bb.105:
	v_min_f32_e32 v29, 0, v28
	v_cvt_f64_f32_e32 v[32:33], v29
	v_lshl_add_u64 v[34:35], v[10:11], 3, v[24:25]
	global_store_dwordx2 v[34:35], v[32:33], off
	s_mov_b64 s[2:3], 0
	s_cbranch_execz .LBB175_108
; %bb.106:
	v_mov_b64_e32 v[28:29], s[2:3]
	s_branch .LBB175_109
.LBB175_107:
                                        ; implicit-def: $sgpr2_sgpr3
.LBB175_108:
	v_lshl_add_u64 v[32:33], v[26:27], 0, v[16:17]
	flat_load_dwordx2 v[32:33], v[32:33]
	v_lshl_add_u64 v[34:35], v[24:25], 0, v[16:17]
	s_waitcnt vmcnt(0) lgkmcnt(0)
	v_mul_f64 v[32:33], v[32:33], s[6:7]
	v_cvt_f32_f64_e32 v29, v[32:33]
	v_min_f32_e32 v28, v29, v28
	v_cvt_f64_f32_e32 v[28:29], v28
	global_store_dwordx2 v[34:35], v[28:29], off
	v_lshl_add_u64 v[28:29], v[2:3], 3, v[26:27]
	flat_load_dwordx2 v[28:29], v[28:29]
	s_waitcnt vmcnt(0) lgkmcnt(0)
	v_mul_f64 v[28:29], v[28:29], s[6:7]
.LBB175_109:
	v_cvt_f32_f64_e32 v28, v[28:29]
	v_max_f32_e32 v29, v106, v106
	v_min_f32_e32 v28, v28, v29
	v_cvt_f64_f32_e32 v[28:29], v28
	v_lshl_add_u64 v[32:33], v[2:3], 3, v[24:25]
	global_store_dwordx2 v[32:33], v[28:29], off
	v_max_f32_e32 v28, v105, v105
	s_mov_b64 vcc, s[4:5]
	s_cbranch_vccz .LBB175_112
; %bb.110:
	v_min_f32_e32 v29, 0, v28
	v_cvt_f64_f32_e32 v[32:33], v29
	v_lshl_add_u64 v[34:35], v[14:15], 3, v[24:25]
	global_store_dwordx2 v[34:35], v[32:33], off
	s_mov_b64 s[2:3], 0
	s_cbranch_execz .LBB175_113
; %bb.111:
	v_mov_b64_e32 v[28:29], s[2:3]
	s_branch .LBB175_114
.LBB175_112:
                                        ; implicit-def: $sgpr2_sgpr3
.LBB175_113:
	v_lshl_add_u64 v[32:33], v[26:27], 0, v[20:21]
	flat_load_dwordx2 v[32:33], v[32:33]
	v_lshl_add_u64 v[34:35], v[24:25], 0, v[20:21]
	s_waitcnt vmcnt(0) lgkmcnt(0)
	v_mul_f64 v[32:33], v[32:33], s[6:7]
	v_cvt_f32_f64_e32 v29, v[32:33]
	v_min_f32_e32 v28, v29, v28
	v_cvt_f64_f32_e32 v[28:29], v28
	global_store_dwordx2 v[34:35], v[28:29], off
	v_lshl_add_u64 v[28:29], v[4:5], 3, v[26:27]
	flat_load_dwordx2 v[28:29], v[28:29]
	s_waitcnt vmcnt(0) lgkmcnt(0)
	v_mul_f64 v[28:29], v[28:29], s[6:7]
.LBB175_114:
	v_cvt_f32_f64_e32 v28, v[28:29]
	v_max_f32_e32 v29, v104, v104
	v_min_f32_e32 v28, v28, v29
	v_cvt_f64_f32_e32 v[28:29], v28
	v_lshl_add_u64 v[32:33], v[4:5], 3, v[24:25]
	global_store_dwordx2 v[32:33], v[28:29], off
	v_max_f32_e32 v28, v103, v103
	s_mov_b64 vcc, s[4:5]
	s_cbranch_vccz .LBB175_117
; %bb.115:
	v_min_f32_e32 v29, 0, v28
	v_cvt_f64_f32_e32 v[32:33], v29
	v_lshl_add_u64 v[34:35], v[18:19], 3, v[24:25]
	global_store_dwordx2 v[34:35], v[32:33], off
	s_mov_b64 s[2:3], 0
	s_cbranch_execz .LBB175_118
; %bb.116:
	v_mov_b64_e32 v[26:27], s[2:3]
	s_branch .LBB175_119
.LBB175_117:
                                        ; implicit-def: $sgpr2_sgpr3
.LBB175_118:
	v_lshl_add_u64 v[32:33], v[26:27], 0, v[22:23]
	flat_load_dwordx2 v[32:33], v[32:33]
	v_lshl_add_u64 v[34:35], v[24:25], 0, v[22:23]
	v_lshl_add_u64 v[26:27], v[6:7], 3, v[26:27]
	s_waitcnt vmcnt(0) lgkmcnt(0)
	v_mul_f64 v[32:33], v[32:33], s[6:7]
	v_cvt_f32_f64_e32 v29, v[32:33]
	v_min_f32_e32 v28, v29, v28
	v_cvt_f64_f32_e32 v[28:29], v28
	global_store_dwordx2 v[34:35], v[28:29], off
	flat_load_dwordx2 v[26:27], v[26:27]
	s_waitcnt vmcnt(0) lgkmcnt(0)
	v_mul_f64 v[26:27], v[26:27], s[6:7]
.LBB175_119:
	v_cvt_f32_f64_e32 v26, v[26:27]
	v_max_f32_e32 v27, v102, v102
	v_min_f32_e32 v26, v26, v27
	v_cvt_f64_f32_e32 v[26:27], v26
	v_lshl_add_u64 v[24:25], v[6:7], 3, v[24:25]
	global_store_dwordx2 v[24:25], v[26:27], off
	v_add_u32_e32 v26, 0xa0, v30
	v_mad_i64_i32 v[24:25], s[2:3], v26, s17, 0
	v_lshl_add_u64 v[24:25], v[24:25], 3, s[0:1]
	v_mad_i64_i32 v[26:27], s[2:3], v26, s16, 0
	v_max_f32_e32 v28, v101, v101
	s_mov_b64 vcc, s[4:5]
	s_cbranch_vccz .LBB175_122
; %bb.120:
	v_min_f32_e32 v29, 0, v28
	v_cvt_f64_f32_e32 v[32:33], v29
	v_lshl_add_u64 v[34:35], v[8:9], 3, v[24:25]
	global_store_dwordx2 v[34:35], v[32:33], off
	s_mov_b64 s[2:3], 0
	v_lshl_add_u64 v[26:27], v[26:27], 3, s[12:13]
	s_cbranch_execz .LBB175_123
; %bb.121:
	v_mov_b64_e32 v[28:29], s[2:3]
	s_branch .LBB175_124
.LBB175_122:
                                        ; implicit-def: $sgpr2_sgpr3
	v_lshl_add_u64 v[26:27], v[26:27], 3, s[12:13]
.LBB175_123:
	v_lshl_add_u64 v[32:33], v[26:27], 0, v[12:13]
	flat_load_dwordx2 v[32:33], v[32:33]
	v_lshl_add_u64 v[34:35], v[24:25], 0, v[12:13]
	s_waitcnt vmcnt(0) lgkmcnt(0)
	v_mul_f64 v[32:33], v[32:33], s[6:7]
	v_cvt_f32_f64_e32 v29, v[32:33]
	v_min_f32_e32 v28, v29, v28
	v_cvt_f64_f32_e32 v[28:29], v28
	global_store_dwordx2 v[34:35], v[28:29], off
	v_lshl_add_u64 v[28:29], v[0:1], 3, v[26:27]
	flat_load_dwordx2 v[28:29], v[28:29]
	s_waitcnt vmcnt(0) lgkmcnt(0)
	v_mul_f64 v[28:29], v[28:29], s[6:7]
.LBB175_124:
	v_cvt_f32_f64_e32 v28, v[28:29]
	v_max_f32_e32 v29, v100, v100
	v_min_f32_e32 v28, v28, v29
	v_cvt_f64_f32_e32 v[28:29], v28
	v_lshl_add_u64 v[32:33], v[0:1], 3, v[24:25]
	global_store_dwordx2 v[32:33], v[28:29], off
	v_max_f32_e32 v28, v99, v99
	s_mov_b64 vcc, s[4:5]
	s_cbranch_vccz .LBB175_127
; %bb.125:
	v_min_f32_e32 v29, 0, v28
	v_cvt_f64_f32_e32 v[32:33], v29
	v_lshl_add_u64 v[34:35], v[10:11], 3, v[24:25]
	s_mov_b32 s8, 0
	global_store_dwordx2 v[34:35], v[32:33], off
	s_cbranch_execz .LBB175_128
; %bb.126:
	v_mov_b32_e32 v28, s8
	s_branch .LBB175_129
.LBB175_127:
                                        ; implicit-def: $sgpr8
.LBB175_128:
	v_lshl_add_u64 v[32:33], v[26:27], 0, v[16:17]
	flat_load_dwordx2 v[32:33], v[32:33]
	v_lshl_add_u64 v[34:35], v[24:25], 0, v[16:17]
	s_waitcnt vmcnt(0) lgkmcnt(0)
	v_mul_f64 v[32:33], v[32:33], s[6:7]
	v_cvt_f32_f64_e32 v29, v[32:33]
	v_min_f32_e32 v28, v29, v28
	v_cvt_f64_f32_e32 v[28:29], v28
	global_store_dwordx2 v[34:35], v[28:29], off
	v_lshl_add_u64 v[28:29], v[2:3], 3, v[26:27]
	flat_load_dwordx2 v[28:29], v[28:29]
	s_waitcnt vmcnt(0) lgkmcnt(0)
	v_mul_f64 v[28:29], v[28:29], s[6:7]
	v_cvt_f32_f64_e32 v28, v[28:29]
.LBB175_129:
	v_max_f32_e32 v29, v98, v98
	v_max_f32_e32 v28, v28, v28
	v_min_f32_e32 v28, v28, v29
	v_cvt_f64_f32_e32 v[28:29], v28
	v_lshl_add_u64 v[32:33], v[2:3], 3, v[24:25]
	global_store_dwordx2 v[32:33], v[28:29], off
	v_max_f32_e32 v28, v97, v97
	s_mov_b64 vcc, s[4:5]
	s_cbranch_vccz .LBB175_132
; %bb.130:
	v_min_f32_e32 v29, 0, v28
	v_cvt_f64_f32_e32 v[32:33], v29
	v_lshl_add_u64 v[34:35], v[14:15], 3, v[24:25]
	s_mov_b32 s8, 0
	global_store_dwordx2 v[34:35], v[32:33], off
	s_cbranch_execz .LBB175_133
; %bb.131:
	v_mov_b32_e32 v28, s8
	s_branch .LBB175_134
.LBB175_132:
                                        ; implicit-def: $sgpr8
.LBB175_133:
	v_lshl_add_u64 v[32:33], v[26:27], 0, v[20:21]
	flat_load_dwordx2 v[32:33], v[32:33]
	v_lshl_add_u64 v[34:35], v[24:25], 0, v[20:21]
	s_waitcnt vmcnt(0) lgkmcnt(0)
	v_mul_f64 v[32:33], v[32:33], s[6:7]
	v_cvt_f32_f64_e32 v29, v[32:33]
	v_min_f32_e32 v28, v29, v28
	v_cvt_f64_f32_e32 v[28:29], v28
	global_store_dwordx2 v[34:35], v[28:29], off
	v_lshl_add_u64 v[28:29], v[4:5], 3, v[26:27]
	flat_load_dwordx2 v[28:29], v[28:29]
	s_waitcnt vmcnt(0) lgkmcnt(0)
	v_mul_f64 v[28:29], v[28:29], s[6:7]
	v_cvt_f32_f64_e32 v28, v[28:29]
.LBB175_134:
	v_max_f32_e32 v29, v96, v96
	v_max_f32_e32 v28, v28, v28
	v_min_f32_e32 v28, v28, v29
	v_cvt_f64_f32_e32 v[28:29], v28
	v_lshl_add_u64 v[32:33], v[4:5], 3, v[24:25]
	global_store_dwordx2 v[32:33], v[28:29], off
	v_max_f32_e32 v28, v95, v95
	s_mov_b64 vcc, s[4:5]
	s_cbranch_vccz .LBB175_137
; %bb.135:
	v_min_f32_e32 v29, 0, v28
	v_cvt_f64_f32_e32 v[32:33], v29
	v_lshl_add_u64 v[34:35], v[18:19], 3, v[24:25]
	s_mov_b32 s8, 0
	global_store_dwordx2 v[34:35], v[32:33], off
	s_cbranch_execz .LBB175_138
; %bb.136:
	v_mov_b32_e32 v26, s8
	s_branch .LBB175_139
.LBB175_137:
                                        ; implicit-def: $sgpr8
.LBB175_138:
	v_lshl_add_u64 v[32:33], v[26:27], 0, v[22:23]
	flat_load_dwordx2 v[32:33], v[32:33]
	v_lshl_add_u64 v[34:35], v[24:25], 0, v[22:23]
	v_lshl_add_u64 v[26:27], v[6:7], 3, v[26:27]
	s_waitcnt vmcnt(0) lgkmcnt(0)
	v_mul_f64 v[32:33], v[32:33], s[6:7]
	v_cvt_f32_f64_e32 v29, v[32:33]
	v_min_f32_e32 v28, v29, v28
	v_cvt_f64_f32_e32 v[28:29], v28
	global_store_dwordx2 v[34:35], v[28:29], off
	flat_load_dwordx2 v[26:27], v[26:27]
	s_waitcnt vmcnt(0) lgkmcnt(0)
	v_mul_f64 v[26:27], v[26:27], s[6:7]
	v_cvt_f32_f64_e32 v26, v[26:27]
.LBB175_139:
	v_max_f32_e32 v27, v94, v94
	v_max_f32_e32 v26, v26, v26
	v_min_f32_e32 v26, v26, v27
	v_cvt_f64_f32_e32 v[26:27], v26
	v_lshl_add_u64 v[24:25], v[6:7], 3, v[24:25]
	global_store_dwordx2 v[24:25], v[26:27], off
	v_add_u32_e32 v26, 0xc0, v30
	v_mad_i64_i32 v[24:25], s[2:3], v26, s17, 0
	v_lshl_add_u64 v[24:25], v[24:25], 3, s[0:1]
	v_mad_i64_i32 v[26:27], s[2:3], v26, s16, 0
	v_max_f32_e32 v28, v93, v93
	s_mov_b64 vcc, s[4:5]
	s_cbranch_vccz .LBB175_142
; %bb.140:
	v_min_f32_e32 v29, 0, v28
	v_cvt_f64_f32_e32 v[32:33], v29
	v_lshl_add_u64 v[34:35], v[8:9], 3, v[24:25]
	s_mov_b32 s8, 0
	global_store_dwordx2 v[34:35], v[32:33], off
	v_lshl_add_u64 v[26:27], v[26:27], 3, s[12:13]
	s_cbranch_execz .LBB175_143
; %bb.141:
	v_mov_b32_e32 v28, s8
	s_branch .LBB175_144
.LBB175_142:
                                        ; implicit-def: $sgpr8
	v_lshl_add_u64 v[26:27], v[26:27], 3, s[12:13]
.LBB175_143:
	v_lshl_add_u64 v[32:33], v[26:27], 0, v[12:13]
	flat_load_dwordx2 v[32:33], v[32:33]
	v_lshl_add_u64 v[34:35], v[24:25], 0, v[12:13]
	s_waitcnt vmcnt(0) lgkmcnt(0)
	v_mul_f64 v[32:33], v[32:33], s[6:7]
	v_cvt_f32_f64_e32 v29, v[32:33]
	v_min_f32_e32 v28, v29, v28
	v_cvt_f64_f32_e32 v[28:29], v28
	global_store_dwordx2 v[34:35], v[28:29], off
	v_lshl_add_u64 v[28:29], v[0:1], 3, v[26:27]
	flat_load_dwordx2 v[28:29], v[28:29]
	s_waitcnt vmcnt(0) lgkmcnt(0)
	v_mul_f64 v[28:29], v[28:29], s[6:7]
	v_cvt_f32_f64_e32 v28, v[28:29]
.LBB175_144:
	v_max_f32_e32 v29, v92, v92
	v_max_f32_e32 v28, v28, v28
	v_min_f32_e32 v28, v28, v29
	v_cvt_f64_f32_e32 v[28:29], v28
	v_lshl_add_u64 v[32:33], v[0:1], 3, v[24:25]
	global_store_dwordx2 v[32:33], v[28:29], off
	v_max_f32_e32 v28, v91, v91
	s_mov_b64 vcc, s[4:5]
	s_cbranch_vccz .LBB175_147
; %bb.145:
	v_min_f32_e32 v29, 0, v28
	v_cvt_f64_f32_e32 v[32:33], v29
	v_lshl_add_u64 v[34:35], v[10:11], 3, v[24:25]
	s_mov_b32 s8, 0
	global_store_dwordx2 v[34:35], v[32:33], off
	s_cbranch_execz .LBB175_148
; %bb.146:
	v_mov_b32_e32 v28, s8
	s_branch .LBB175_149
.LBB175_147:
                                        ; implicit-def: $sgpr8
.LBB175_148:
	v_lshl_add_u64 v[32:33], v[26:27], 0, v[16:17]
	flat_load_dwordx2 v[32:33], v[32:33]
	v_lshl_add_u64 v[34:35], v[24:25], 0, v[16:17]
	s_waitcnt vmcnt(0) lgkmcnt(0)
	v_mul_f64 v[32:33], v[32:33], s[6:7]
	v_cvt_f32_f64_e32 v29, v[32:33]
	v_min_f32_e32 v28, v29, v28
	v_cvt_f64_f32_e32 v[28:29], v28
	global_store_dwordx2 v[34:35], v[28:29], off
	v_lshl_add_u64 v[28:29], v[2:3], 3, v[26:27]
	flat_load_dwordx2 v[28:29], v[28:29]
	s_waitcnt vmcnt(0) lgkmcnt(0)
	v_mul_f64 v[28:29], v[28:29], s[6:7]
	v_cvt_f32_f64_e32 v28, v[28:29]
.LBB175_149:
	v_max_f32_e32 v29, v90, v90
	v_max_f32_e32 v28, v28, v28
	v_min_f32_e32 v28, v28, v29
	v_cvt_f64_f32_e32 v[28:29], v28
	v_lshl_add_u64 v[32:33], v[2:3], 3, v[24:25]
	global_store_dwordx2 v[32:33], v[28:29], off
	v_max_f32_e32 v28, v89, v89
	s_mov_b64 vcc, s[4:5]
	s_cbranch_vccz .LBB175_152
; %bb.150:
	v_min_f32_e32 v29, 0, v28
	v_cvt_f64_f32_e32 v[32:33], v29
	v_lshl_add_u64 v[34:35], v[14:15], 3, v[24:25]
	s_mov_b32 s8, 0
	global_store_dwordx2 v[34:35], v[32:33], off
	s_cbranch_execz .LBB175_153
; %bb.151:
	v_mov_b32_e32 v28, s8
	s_branch .LBB175_154
.LBB175_152:
                                        ; implicit-def: $sgpr8
.LBB175_153:
	v_lshl_add_u64 v[32:33], v[26:27], 0, v[20:21]
	flat_load_dwordx2 v[32:33], v[32:33]
	v_lshl_add_u64 v[34:35], v[24:25], 0, v[20:21]
	s_waitcnt vmcnt(0) lgkmcnt(0)
	v_mul_f64 v[32:33], v[32:33], s[6:7]
	v_cvt_f32_f64_e32 v29, v[32:33]
	v_min_f32_e32 v28, v29, v28
	v_cvt_f64_f32_e32 v[28:29], v28
	global_store_dwordx2 v[34:35], v[28:29], off
	v_lshl_add_u64 v[28:29], v[4:5], 3, v[26:27]
	flat_load_dwordx2 v[28:29], v[28:29]
	s_waitcnt vmcnt(0) lgkmcnt(0)
	v_mul_f64 v[28:29], v[28:29], s[6:7]
	v_cvt_f32_f64_e32 v28, v[28:29]
.LBB175_154:
	v_max_f32_e32 v29, v88, v88
	v_max_f32_e32 v28, v28, v28
	v_min_f32_e32 v28, v28, v29
	v_cvt_f64_f32_e32 v[28:29], v28
	v_lshl_add_u64 v[32:33], v[4:5], 3, v[24:25]
	global_store_dwordx2 v[32:33], v[28:29], off
	v_max_f32_e32 v28, v87, v87
	s_mov_b64 vcc, s[4:5]
	s_cbranch_vccz .LBB175_157
; %bb.155:
	v_min_f32_e32 v29, 0, v28
	v_cvt_f64_f32_e32 v[32:33], v29
	v_lshl_add_u64 v[34:35], v[18:19], 3, v[24:25]
	s_mov_b32 s8, 0
	global_store_dwordx2 v[34:35], v[32:33], off
	s_cbranch_execz .LBB175_158
; %bb.156:
	v_mov_b32_e32 v26, s8
	s_branch .LBB175_159
.LBB175_157:
                                        ; implicit-def: $sgpr8
.LBB175_158:
	v_lshl_add_u64 v[32:33], v[26:27], 0, v[22:23]
	flat_load_dwordx2 v[32:33], v[32:33]
	v_lshl_add_u64 v[34:35], v[24:25], 0, v[22:23]
	v_lshl_add_u64 v[26:27], v[6:7], 3, v[26:27]
	s_waitcnt vmcnt(0) lgkmcnt(0)
	v_mul_f64 v[32:33], v[32:33], s[6:7]
	v_cvt_f32_f64_e32 v29, v[32:33]
	v_min_f32_e32 v28, v29, v28
	v_cvt_f64_f32_e32 v[28:29], v28
	global_store_dwordx2 v[34:35], v[28:29], off
	flat_load_dwordx2 v[26:27], v[26:27]
	s_waitcnt vmcnt(0) lgkmcnt(0)
	v_mul_f64 v[26:27], v[26:27], s[6:7]
	v_cvt_f32_f64_e32 v26, v[26:27]
.LBB175_159:
	v_max_f32_e32 v27, v86, v86
	v_max_f32_e32 v26, v26, v26
	v_min_f32_e32 v26, v26, v27
	v_cvt_f64_f32_e32 v[26:27], v26
	v_lshl_add_u64 v[24:25], v[6:7], 3, v[24:25]
	global_store_dwordx2 v[24:25], v[26:27], off
	v_add_u32_e32 v26, 0xe0, v30
	v_mad_i64_i32 v[24:25], s[2:3], v26, s17, 0
	v_lshl_add_u64 v[24:25], v[24:25], 3, s[0:1]
	v_mad_i64_i32 v[26:27], s[0:1], v26, s16, 0
	v_max_f32_e32 v28, v85, v85
	s_mov_b64 vcc, s[4:5]
	s_cbranch_vccz .LBB175_162
; %bb.160:
	v_min_f32_e32 v29, 0, v28
	v_cvt_f64_f32_e32 v[30:31], v29
	v_lshl_add_u64 v[8:9], v[8:9], 3, v[24:25]
	s_mov_b32 s2, 0
	global_store_dwordx2 v[8:9], v[30:31], off
	v_lshl_add_u64 v[8:9], v[26:27], 3, s[12:13]
	s_cbranch_execz .LBB175_163
; %bb.161:
	v_mov_b32_e32 v12, s2
	s_branch .LBB175_164
.LBB175_162:
                                        ; implicit-def: $sgpr2
	v_lshl_add_u64 v[8:9], v[26:27], 3, s[12:13]
.LBB175_163:
	v_lshl_add_u64 v[26:27], v[8:9], 0, v[12:13]
	flat_load_dwordx2 v[26:27], v[26:27]
	v_lshl_add_u64 v[12:13], v[24:25], 0, v[12:13]
	s_waitcnt vmcnt(0) lgkmcnt(0)
	v_mul_f64 v[26:27], v[26:27], s[6:7]
	v_cvt_f32_f64_e32 v26, v[26:27]
	v_min_f32_e32 v26, v26, v28
	v_cvt_f64_f32_e32 v[26:27], v26
	global_store_dwordx2 v[12:13], v[26:27], off
	v_lshl_add_u64 v[12:13], v[0:1], 3, v[8:9]
	flat_load_dwordx2 v[12:13], v[12:13]
	s_waitcnt vmcnt(0) lgkmcnt(0)
	v_mul_f64 v[12:13], v[12:13], s[6:7]
	v_cvt_f32_f64_e32 v12, v[12:13]
.LBB175_164:
	v_max_f32_e32 v13, v84, v84
	v_max_f32_e32 v12, v12, v12
	v_min_f32_e32 v12, v12, v13
	v_cvt_f64_f32_e32 v[12:13], v12
	v_lshl_add_u64 v[0:1], v[0:1], 3, v[24:25]
	global_store_dwordx2 v[0:1], v[12:13], off
	v_max_f32_e32 v0, v83, v83
	s_mov_b64 vcc, s[4:5]
	s_cbranch_vccz .LBB175_167
; %bb.165:
	v_min_f32_e32 v1, 0, v0
	v_cvt_f64_f32_e32 v[12:13], v1
	v_lshl_add_u64 v[10:11], v[10:11], 3, v[24:25]
	s_mov_b32 s2, 0
	global_store_dwordx2 v[10:11], v[12:13], off
	s_cbranch_execz .LBB175_168
; %bb.166:
	v_mov_b32_e32 v0, s2
	s_branch .LBB175_169
.LBB175_167:
                                        ; implicit-def: $sgpr2
.LBB175_168:
	v_lshl_add_u64 v[10:11], v[8:9], 0, v[16:17]
	flat_load_dwordx2 v[10:11], v[10:11]
	v_lshl_add_u64 v[12:13], v[24:25], 0, v[16:17]
	s_waitcnt vmcnt(0) lgkmcnt(0)
	v_mul_f64 v[10:11], v[10:11], s[6:7]
	v_cvt_f32_f64_e32 v1, v[10:11]
	v_min_f32_e32 v0, v1, v0
	v_cvt_f64_f32_e32 v[0:1], v0
	global_store_dwordx2 v[12:13], v[0:1], off
	v_lshl_add_u64 v[0:1], v[2:3], 3, v[8:9]
	flat_load_dwordx2 v[0:1], v[0:1]
	s_waitcnt vmcnt(0) lgkmcnt(0)
	v_mul_f64 v[0:1], v[0:1], s[6:7]
	v_cvt_f32_f64_e32 v0, v[0:1]
.LBB175_169:
	v_max_f32_e32 v1, v82, v82
	v_max_f32_e32 v0, v0, v0
	v_min_f32_e32 v0, v0, v1
	v_cvt_f64_f32_e32 v[0:1], v0
	v_lshl_add_u64 v[2:3], v[2:3], 3, v[24:25]
	global_store_dwordx2 v[2:3], v[0:1], off
	v_max_f32_e32 v0, v81, v81
	s_mov_b64 vcc, s[4:5]
	s_cbranch_vccz .LBB175_172
; %bb.170:
	v_min_f32_e32 v1, 0, v0
	v_cvt_f64_f32_e32 v[2:3], v1
	v_lshl_add_u64 v[10:11], v[14:15], 3, v[24:25]
	s_mov_b32 s2, 0
	global_store_dwordx2 v[10:11], v[2:3], off
	s_cbranch_execz .LBB175_173
; %bb.171:
	v_mov_b32_e32 v0, s2
	s_branch .LBB175_174
.LBB175_172:
                                        ; implicit-def: $sgpr2
.LBB175_173:
	v_lshl_add_u64 v[2:3], v[8:9], 0, v[20:21]
	flat_load_dwordx2 v[2:3], v[2:3]
	v_lshl_add_u64 v[10:11], v[24:25], 0, v[20:21]
	s_waitcnt vmcnt(0) lgkmcnt(0)
	v_mul_f64 v[2:3], v[2:3], s[6:7]
	v_cvt_f32_f64_e32 v1, v[2:3]
	v_min_f32_e32 v0, v1, v0
	v_cvt_f64_f32_e32 v[0:1], v0
	global_store_dwordx2 v[10:11], v[0:1], off
	v_lshl_add_u64 v[0:1], v[4:5], 3, v[8:9]
	flat_load_dwordx2 v[0:1], v[0:1]
	s_waitcnt vmcnt(0) lgkmcnt(0)
	v_mul_f64 v[0:1], v[0:1], s[6:7]
	v_cvt_f32_f64_e32 v0, v[0:1]
.LBB175_174:
	;; [unrolled: 37-line block ×3, first 2 shown]
	v_max_f32_e32 v1, v78, v78
	v_max_f32_e32 v0, v0, v0
	v_min_f32_e32 v0, v0, v1
	v_cvt_f64_f32_e32 v[0:1], v0
	v_lshl_add_u64 v[2:3], v[6:7], 3, v[24:25]
	global_store_dwordx2 v[2:3], v[0:1], off
	s_endpgm
	.section	.rodata,"a",@progbits
	.p2align	6, 0x0
	.amdhsa_kernel _ZN12_GLOBAL__N_120geam_min_plus_kernelId15HIP_vector_typeIdLj2EEdLi8ELi32ELi64ELi256ELi4ELi4ELi64ELi64ELi4ELc84ELc84ELb1ELb0ELb1EdKddEEviiiT16_PT17_ilS6_ilS4_S6_ilPT18_ili26rocblas_geam_ex_operation_
		.amdhsa_group_segment_fixed_size 20480
		.amdhsa_private_segment_fixed_size 0
		.amdhsa_kernarg_size 136
		.amdhsa_user_sgpr_count 2
		.amdhsa_user_sgpr_dispatch_ptr 0
		.amdhsa_user_sgpr_queue_ptr 0
		.amdhsa_user_sgpr_kernarg_segment_ptr 1
		.amdhsa_user_sgpr_dispatch_id 0
		.amdhsa_user_sgpr_kernarg_preload_length 0
		.amdhsa_user_sgpr_kernarg_preload_offset 0
		.amdhsa_user_sgpr_private_segment_size 0
		.amdhsa_uses_dynamic_stack 0
		.amdhsa_enable_private_segment 0
		.amdhsa_system_sgpr_workgroup_id_x 1
		.amdhsa_system_sgpr_workgroup_id_y 0
		.amdhsa_system_sgpr_workgroup_id_z 1
		.amdhsa_system_sgpr_workgroup_info 0
		.amdhsa_system_vgpr_workitem_id 1
		.amdhsa_next_free_vgpr 160
		.amdhsa_next_free_sgpr 25
		.amdhsa_accum_offset 160
		.amdhsa_reserve_vcc 1
		.amdhsa_float_round_mode_32 0
		.amdhsa_float_round_mode_16_64 0
		.amdhsa_float_denorm_mode_32 3
		.amdhsa_float_denorm_mode_16_64 3
		.amdhsa_dx10_clamp 1
		.amdhsa_ieee_mode 1
		.amdhsa_fp16_overflow 0
		.amdhsa_tg_split 0
		.amdhsa_exception_fp_ieee_invalid_op 0
		.amdhsa_exception_fp_denorm_src 0
		.amdhsa_exception_fp_ieee_div_zero 0
		.amdhsa_exception_fp_ieee_overflow 0
		.amdhsa_exception_fp_ieee_underflow 0
		.amdhsa_exception_fp_ieee_inexact 0
		.amdhsa_exception_int_div_zero 0
	.end_amdhsa_kernel
	.section	.text._ZN12_GLOBAL__N_120geam_min_plus_kernelId15HIP_vector_typeIdLj2EEdLi8ELi32ELi64ELi256ELi4ELi4ELi64ELi64ELi4ELc84ELc84ELb1ELb0ELb1EdKddEEviiiT16_PT17_ilS6_ilS4_S6_ilPT18_ili26rocblas_geam_ex_operation_,"axG",@progbits,_ZN12_GLOBAL__N_120geam_min_plus_kernelId15HIP_vector_typeIdLj2EEdLi8ELi32ELi64ELi256ELi4ELi4ELi64ELi64ELi4ELc84ELc84ELb1ELb0ELb1EdKddEEviiiT16_PT17_ilS6_ilS4_S6_ilPT18_ili26rocblas_geam_ex_operation_,comdat
.Lfunc_end175:
	.size	_ZN12_GLOBAL__N_120geam_min_plus_kernelId15HIP_vector_typeIdLj2EEdLi8ELi32ELi64ELi256ELi4ELi4ELi64ELi64ELi4ELc84ELc84ELb1ELb0ELb1EdKddEEviiiT16_PT17_ilS6_ilS4_S6_ilPT18_ili26rocblas_geam_ex_operation_, .Lfunc_end175-_ZN12_GLOBAL__N_120geam_min_plus_kernelId15HIP_vector_typeIdLj2EEdLi8ELi32ELi64ELi256ELi4ELi4ELi64ELi64ELi4ELc84ELc84ELb1ELb0ELb1EdKddEEviiiT16_PT17_ilS6_ilS4_S6_ilPT18_ili26rocblas_geam_ex_operation_
                                        ; -- End function
	.section	.AMDGPU.csdata,"",@progbits
; Kernel info:
; codeLenInByte = 16500
; NumSgprs: 31
; NumVgprs: 160
; NumAgprs: 0
; TotalNumVgprs: 160
; ScratchSize: 0
; MemoryBound: 0
; FloatMode: 240
; IeeeMode: 1
; LDSByteSize: 20480 bytes/workgroup (compile time only)
; SGPRBlocks: 3
; VGPRBlocks: 19
; NumSGPRsForWavesPerEU: 31
; NumVGPRsForWavesPerEU: 160
; AccumOffset: 160
; Occupancy: 3
; WaveLimiterHint : 1
; COMPUTE_PGM_RSRC2:SCRATCH_EN: 0
; COMPUTE_PGM_RSRC2:USER_SGPR: 2
; COMPUTE_PGM_RSRC2:TRAP_HANDLER: 0
; COMPUTE_PGM_RSRC2:TGID_X_EN: 1
; COMPUTE_PGM_RSRC2:TGID_Y_EN: 0
; COMPUTE_PGM_RSRC2:TGID_Z_EN: 1
; COMPUTE_PGM_RSRC2:TIDIG_COMP_CNT: 1
; COMPUTE_PGM_RSRC3_GFX90A:ACCUM_OFFSET: 39
; COMPUTE_PGM_RSRC3_GFX90A:TG_SPLIT: 0
	.section	.text._ZN12_GLOBAL__N_120geam_min_plus_kernelId15HIP_vector_typeIdLj2EEdLi8ELi32ELi64ELi256ELi4ELi4ELi64ELi64ELi4ELc84ELc84ELb0ELb0ELb1EdKddEEviiiT16_PT17_ilS6_ilS4_S6_ilPT18_ili26rocblas_geam_ex_operation_,"axG",@progbits,_ZN12_GLOBAL__N_120geam_min_plus_kernelId15HIP_vector_typeIdLj2EEdLi8ELi32ELi64ELi256ELi4ELi4ELi64ELi64ELi4ELc84ELc84ELb0ELb0ELb1EdKddEEviiiT16_PT17_ilS6_ilS4_S6_ilPT18_ili26rocblas_geam_ex_operation_,comdat
	.globl	_ZN12_GLOBAL__N_120geam_min_plus_kernelId15HIP_vector_typeIdLj2EEdLi8ELi32ELi64ELi256ELi4ELi4ELi64ELi64ELi4ELc84ELc84ELb0ELb0ELb1EdKddEEviiiT16_PT17_ilS6_ilS4_S6_ilPT18_ili26rocblas_geam_ex_operation_ ; -- Begin function _ZN12_GLOBAL__N_120geam_min_plus_kernelId15HIP_vector_typeIdLj2EEdLi8ELi32ELi64ELi256ELi4ELi4ELi64ELi64ELi4ELc84ELc84ELb0ELb0ELb1EdKddEEviiiT16_PT17_ilS6_ilS4_S6_ilPT18_ili26rocblas_geam_ex_operation_
	.p2align	8
	.type	_ZN12_GLOBAL__N_120geam_min_plus_kernelId15HIP_vector_typeIdLj2EEdLi8ELi32ELi64ELi256ELi4ELi4ELi64ELi64ELi4ELc84ELc84ELb0ELb0ELb1EdKddEEviiiT16_PT17_ilS6_ilS4_S6_ilPT18_ili26rocblas_geam_ex_operation_,@function
_ZN12_GLOBAL__N_120geam_min_plus_kernelId15HIP_vector_typeIdLj2EEdLi8ELi32ELi64ELi256ELi4ELi4ELi64ELi64ELi4ELc84ELc84ELb0ELb0ELb1EdKddEEviiiT16_PT17_ilS6_ilS4_S6_ilPT18_ili26rocblas_geam_ex_operation_: ; @_ZN12_GLOBAL__N_120geam_min_plus_kernelId15HIP_vector_typeIdLj2EEdLi8ELi32ELi64ELi256ELi4ELi4ELi64ELi64ELi4ELc84ELc84ELb0ELb0ELb1EdKddEEviiiT16_PT17_ilS6_ilS4_S6_ilPT18_ili26rocblas_geam_ex_operation_
; %bb.0:
	s_load_dwordx4 s[16:19], s[0:1], 0x10
	s_load_dwordx4 s[4:7], s[0:1], 0x28
	s_mov_b64 s[22:23], 0
	s_waitcnt lgkmcnt(0)
	v_cmp_eq_f64_e64 s[12:13], s[16:17], 0
	s_and_b64 vcc, exec, s[12:13]
	s_cbranch_vccnz .LBB176_2
; %bb.1:
	s_mul_i32 s5, s3, s5
	s_mul_hi_u32 s8, s3, s4
	s_add_i32 s5, s8, s5
	s_mul_i32 s4, s3, s4
	s_lshl_b64 s[4:5], s[4:5], 3
	s_add_u32 s22, s18, s4
	s_addc_u32 s23, s19, s5
.LBB176_2:
	s_load_dwordx4 s[8:11], s[0:1], 0x40
	s_load_dwordx2 s[4:5], s[0:1], 0x50
	s_andn2_b64 vcc, exec, s[12:13]
	s_cbranch_vccnz .LBB176_4
; %bb.3:
	s_mov_b32 s19, 0
	s_mov_b64 s[20:21], 0
	s_cbranch_execz .LBB176_5
	s_branch .LBB176_6
.LBB176_4:
                                        ; implicit-def: $sgpr20_sgpr21
                                        ; implicit-def: $sgpr18_sgpr19
.LBB176_5:
	s_waitcnt lgkmcnt(0)
	s_mul_i32 s9, s3, s9
	s_mul_hi_u32 s12, s3, s8
	s_add_i32 s9, s12, s9
	s_mul_i32 s8, s3, s8
	s_lshl_b64 s[8:9], s[8:9], 3
	s_add_u32 s20, s6, s8
	s_mov_b32 s19, 0
	s_addc_u32 s21, s7, s9
.LBB176_6:
	s_load_dwordx4 s[12:15], s[0:1], 0x60
	s_waitcnt lgkmcnt(0)
	v_cmp_eq_f64_e64 s[6:7], s[10:11], 0
	s_and_b64 s[6:7], exec, s[6:7]
	v_cmp_neq_f64_e64 s[24:25], s[16:17], 0
	s_mov_b64 s[8:9], 0
	s_mov_b64 vcc, s[6:7]
	s_cbranch_vccnz .LBB176_8
; %bb.7:
	s_mul_i32 s8, s3, s13
	s_mul_hi_u32 s9, s3, s12
	s_add_i32 s8, s9, s8
	s_mul_i32 s9, s19, s12
	s_add_i32 s9, s8, s9
	s_mul_i32 s8, s3, s12
	s_lshl_b64 s[8:9], s[8:9], 3
	s_add_u32 s8, s4, s8
	s_addc_u32 s9, s5, s9
.LBB176_8:
	s_load_dword s4, s[0:1], 0x0
	s_load_dword s28, s[0:1], 0x20
	v_and_b32_e32 v135, 0x3ff, v0
	v_bfe_u32 v136, v0, 10, 10
	v_lshl_add_u32 v4, v136, 3, v135
	s_waitcnt lgkmcnt(0)
	s_add_i32 s4, s4, -1
	s_ashr_i32 s5, s4, 31
	s_lshr_b32 s5, s5, 26
	s_add_i32 s4, s4, s5
	s_ashr_i32 s12, s4, 6
	s_add_i32 s13, s12, 1
	v_cvt_f32_u32_e32 v1, s13
	s_not_b32 s12, s12
	v_and_b32_e32 v144, 3, v135
	v_lshrrev_b32_e32 v14, 2, v4
	v_rcp_iflag_f32_e32 v0, v1
	v_cndmask_b32_e64 v1, 0, 1, s[24:25]
	v_cmp_ne_u32_e64 s[4:5], 1, v1
	v_mul_f32_e32 v0, 0x4f7ffffe, v0
	v_cvt_u32_f32_e32 v0, v0
	s_nop 0
	v_readfirstlane_b32 s18, v0
	s_mul_i32 s12, s12, s18
	s_mul_hi_u32 s12, s18, s12
	s_add_i32 s18, s18, s12
	s_mul_hi_u32 s12, s2, s18
	s_mul_i32 s18, s12, s13
	s_sub_i32 s18, s2, s18
	s_add_i32 s26, s12, 1
	s_sub_i32 s27, s18, s13
	s_cmp_ge_u32 s18, s13
	s_cselect_b32 s12, s26, s12
	s_cselect_b32 s18, s27, s18
	s_add_i32 s26, s12, 1
	s_cmp_ge_u32 s18, s13
	s_cselect_b32 s12, s26, s12
	s_mul_i32 s13, s12, s13
	s_sub_i32 s2, s2, s13
	s_lshl_b32 s2, s2, 6
	s_andn2_b64 vcc, exec, s[24:25]
	v_add_u32_e32 v72, s2, v14
	v_lshlrev_b32_e32 v0, 3, v144
	s_cbranch_vccnz .LBB176_10
; %bb.9:
	v_mad_i64_i32 v[2:3], s[24:25], v72, s28, 0
	v_lshl_add_u64 v[2:3], v[2:3], 3, s[22:23]
	v_mov_b32_e32 v1, 0
	v_lshl_add_u64 v[2:3], v[2:3], 0, v[0:1]
	flat_load_dwordx2 v[2:3], v[2:3]
	s_waitcnt vmcnt(0) lgkmcnt(0)
	v_mul_f64 v[2:3], v[2:3], s[16:17]
	s_branch .LBB176_11
.LBB176_10:
	v_mov_b64_e32 v[2:3], 0
.LBB176_11:
	s_load_dword s24, s[0:1], 0x38
	v_and_b32_e32 v73, 63, v4
	v_lshrrev_b32_e32 v145, 6, v4
	s_lshl_b32 s18, s12, 8
	v_or_b32_e32 v60, s18, v73
	s_waitcnt lgkmcnt(0)
	v_mad_i64_i32 v[4:5], s[12:13], s24, v145, 0
	s_ashr_i32 s25, s24, 31
	v_lshl_add_u64 v[8:9], v[4:5], 3, s[20:21]
	s_and_b64 vcc, exec, s[4:5]
	v_ashrrev_i32_e32 v61, 31, v60
	s_cbranch_vccnz .LBB176_15
; %bb.12:
	v_lshl_add_u64 v[4:5], v[60:61], 3, v[8:9]
	flat_load_dwordx2 v[6:7], v[4:5]
	flat_load_dwordx2 v[10:11], v[4:5] offset:512
	s_waitcnt vmcnt(0) lgkmcnt(0)
	v_mul_f64 v[4:5], v[6:7], s[16:17]
	v_mul_f64 v[6:7], v[10:11], s[16:17]
	s_and_b64 vcc, exec, s[4:5]
	s_cbranch_vccnz .LBB176_16
.LBB176_13:
	v_lshl_add_u64 v[8:9], v[60:61], 3, v[8:9]
	flat_load_dwordx2 v[10:11], v[8:9] offset:1024
	flat_load_dwordx2 v[12:13], v[8:9] offset:1536
	s_waitcnt vmcnt(0) lgkmcnt(0)
	v_mul_f64 v[8:9], v[10:11], s[16:17]
	v_mul_f64 v[10:11], v[12:13], s[16:17]
	s_and_b64 vcc, exec, s[4:5]
	s_cbranch_vccnz .LBB176_17
.LBB176_14:
	v_mad_i64_i32 v[12:13], s[12:13], v72, s28, 0
	v_lshl_add_u64 v[12:13], v[12:13], 3, s[22:23]
	v_mov_b32_e32 v1, 0
	v_lshl_add_u64 v[12:13], v[12:13], 0, v[0:1]
	flat_load_dwordx2 v[12:13], v[12:13] offset:32
	s_waitcnt vmcnt(0) lgkmcnt(0)
	v_mul_f64 v[62:63], v[12:13], s[16:17]
	s_branch .LBB176_18
.LBB176_15:
	v_mov_b64_e32 v[4:5], 0
	v_mov_b64_e32 v[6:7], 0
	s_and_b64 vcc, exec, s[4:5]
	s_cbranch_vccz .LBB176_13
.LBB176_16:
	v_mov_b64_e32 v[8:9], 0
	v_mov_b64_e32 v[10:11], 0
	s_and_b64 vcc, exec, s[4:5]
	s_cbranch_vccz .LBB176_14
.LBB176_17:
	v_mov_b64_e32 v[62:63], 0
.LBB176_18:
	v_add_u32_e32 v146, 4, v145
	v_mad_i64_i32 v[12:13], s[12:13], s24, v146, 0
	s_and_b64 vcc, exec, s[4:5]
	v_lshl_add_u64 v[12:13], v[12:13], 3, s[20:21]
	s_cbranch_vccnz .LBB176_21
; %bb.19:
	v_lshl_add_u64 v[16:17], v[60:61], 3, v[12:13]
	flat_load_dwordx2 v[18:19], v[16:17]
	flat_load_dwordx2 v[20:21], v[16:17] offset:512
	s_waitcnt vmcnt(0) lgkmcnt(0)
	v_mul_f64 v[64:65], v[18:19], s[16:17]
	v_mul_f64 v[66:67], v[20:21], s[16:17]
	s_and_b64 vcc, exec, s[4:5]
	s_cbranch_vccnz .LBB176_22
.LBB176_20:
	v_lshl_add_u64 v[12:13], v[60:61], 3, v[12:13]
	flat_load_dwordx2 v[16:17], v[12:13] offset:1024
	flat_load_dwordx2 v[18:19], v[12:13] offset:1536
	s_waitcnt vmcnt(0) lgkmcnt(0)
	v_mul_f64 v[68:69], v[16:17], s[16:17]
	v_mul_f64 v[70:71], v[18:19], s[16:17]
	s_branch .LBB176_23
.LBB176_21:
	v_mov_b64_e32 v[64:65], 0
	v_mov_b64_e32 v[66:67], 0
	s_and_b64 vcc, exec, s[4:5]
	s_cbranch_vccz .LBB176_20
.LBB176_22:
	v_mov_b64_e32 v[68:69], 0
	v_mov_b64_e32 v[70:71], 0
.LBB176_23:
	v_lshl_or_b32 v74, v14, 5, v0
	v_lshlrev_b32_e32 v0, 3, v145
	v_add_u32_e32 v147, 0x4000, v74
	v_lshl_add_u32 v148, v73, 5, v0
	s_mov_b32 s26, 0
	s_mov_b64 s[12:13], -1
	v_mov_b32_e32 v78, 0x7f800000
	v_mov_b32_e32 v79, 0x7f800000
	v_mov_b32_e32 v80, 0x7f800000
	v_mov_b32_e32 v81, 0x7f800000
	v_mov_b32_e32 v82, 0x7f800000
	v_mov_b32_e32 v83, 0x7f800000
	v_mov_b32_e32 v84, 0x7f800000
	v_mov_b32_e32 v85, 0x7f800000
	v_mov_b32_e32 v86, 0x7f800000
	v_mov_b32_e32 v87, 0x7f800000
	v_mov_b32_e32 v88, 0x7f800000
	v_mov_b32_e32 v89, 0x7f800000
	v_mov_b32_e32 v90, 0x7f800000
	v_mov_b32_e32 v91, 0x7f800000
	v_mov_b32_e32 v92, 0x7f800000
	v_mov_b32_e32 v93, 0x7f800000
	v_mov_b32_e32 v94, 0x7f800000
	v_mov_b32_e32 v95, 0x7f800000
	v_mov_b32_e32 v96, 0x7f800000
	v_mov_b32_e32 v97, 0x7f800000
	v_mov_b32_e32 v98, 0x7f800000
	v_mov_b32_e32 v99, 0x7f800000
	v_mov_b32_e32 v100, 0x7f800000
	v_mov_b32_e32 v101, 0x7f800000
	v_mov_b32_e32 v102, 0x7f800000
	v_mov_b32_e32 v103, 0x7f800000
	v_mov_b32_e32 v104, 0x7f800000
	v_mov_b32_e32 v105, 0x7f800000
	v_mov_b32_e32 v106, 0x7f800000
	v_mov_b32_e32 v107, 0x7f800000
	v_mov_b32_e32 v108, 0x7f800000
	v_mov_b32_e32 v109, 0x7f800000
	v_mov_b32_e32 v110, 0x7f800000
	v_mov_b32_e32 v111, 0x7f800000
	v_mov_b32_e32 v112, 0x7f800000
	v_mov_b32_e32 v113, 0x7f800000
	v_mov_b32_e32 v114, 0x7f800000
	v_mov_b32_e32 v115, 0x7f800000
	v_mov_b32_e32 v116, 0x7f800000
	v_mov_b32_e32 v117, 0x7f800000
	v_mov_b32_e32 v118, 0x7f800000
	v_mov_b32_e32 v119, 0x7f800000
	v_mov_b32_e32 v120, 0x7f800000
	v_mov_b32_e32 v121, 0x7f800000
	v_mov_b32_e32 v122, 0x7f800000
	v_mov_b32_e32 v123, 0x7f800000
	v_mov_b32_e32 v124, 0x7f800000
	v_mov_b32_e32 v125, 0x7f800000
	v_mov_b32_e32 v126, 0x7f800000
	v_mov_b32_e32 v127, 0x7f800000
	v_mov_b32_e32 v128, 0x7f800000
	v_mov_b32_e32 v129, 0x7f800000
	v_mov_b32_e32 v130, 0x7f800000
	v_mov_b32_e32 v131, 0x7f800000
	v_mov_b32_e32 v132, 0x7f800000
	v_mov_b32_e32 v133, 0x7f800000
	v_mov_b32_e32 v134, 0x7f800000
	v_mov_b32_e32 v137, 0x7f800000
	v_mov_b32_e32 v138, 0x7f800000
	v_mov_b32_e32 v139, 0x7f800000
	v_mov_b32_e32 v140, 0x7f800000
	v_mov_b32_e32 v141, 0x7f800000
	v_mov_b32_e32 v142, 0x7f800000
	v_mov_b32_e32 v143, 0x7f800000
	ds_write_b64 v74, v[2:3] offset:16384
	ds_write2st64_b64 v148, v[4:5], v[6:7] offset1:4
	ds_write2st64_b64 v148, v[8:9], v[10:11] offset0:8 offset1:12
	s_waitcnt lgkmcnt(0)
	s_barrier
.LBB176_24:                             ; =>This Inner Loop Header: Depth=1
	v_cndmask_b32_e64 v0, 0, 1, s[12:13]
	s_lshl_b32 s12, s26, 3
	v_cmp_ne_u32_e32 vcc, 1, v0
	v_lshl_add_u32 v0, v135, 5, s12
	v_lshl_add_u32 v20, v136, 5, s12
	ds_read_b128 v[32:35], v0 offset:16384
	ds_read_b128 v[28:31], v0 offset:16640
	;; [unrolled: 1-line block ×8, first 2 shown]
	ds_read_b128 v[150:153], v20
	ds_read_b128 v[56:59], v20 offset:1024
	ds_read_b128 v[52:55], v20 offset:2048
	;; [unrolled: 1-line block ×7, first 2 shown]
	s_waitcnt lgkmcnt(7)
	v_add_f64 v[76:77], v[34:35], v[152:153]
	v_add_f64 v[154:155], v[32:33], v[150:151]
	v_cvt_f32_f64_e32 v75, v[154:155]
	v_cvt_f32_f64_e32 v76, v[76:77]
	v_min3_f32 v143, v75, v76, v143
	v_add_f64 v[76:77], v[30:31], v[152:153]
	v_add_f64 v[154:155], v[28:29], v[150:151]
	v_cvt_f32_f64_e32 v75, v[154:155]
	v_cvt_f32_f64_e32 v76, v[76:77]
	v_min3_f32 v142, v75, v76, v142
	;; [unrolled: 5-line block ×8, first 2 shown]
	s_waitcnt lgkmcnt(6)
	v_add_f64 v[76:77], v[34:35], v[58:59]
	v_add_f64 v[150:151], v[32:33], v[56:57]
	v_cvt_f32_f64_e32 v75, v[150:151]
	v_cvt_f32_f64_e32 v76, v[76:77]
	v_min3_f32 v133, v75, v76, v133
	v_add_f64 v[76:77], v[30:31], v[58:59]
	v_add_f64 v[150:151], v[28:29], v[56:57]
	v_cvt_f32_f64_e32 v75, v[150:151]
	v_cvt_f32_f64_e32 v76, v[76:77]
	v_min3_f32 v132, v75, v76, v132
	v_add_f64 v[76:77], v[26:27], v[58:59]
	v_add_f64 v[150:151], v[24:25], v[56:57]
	v_cvt_f32_f64_e32 v75, v[150:151]
	v_cvt_f32_f64_e32 v76, v[76:77]
	v_min3_f32 v131, v75, v76, v131
	v_add_f64 v[76:77], v[18:19], v[58:59]
	v_add_f64 v[150:151], v[16:17], v[56:57]
	v_cvt_f32_f64_e32 v75, v[150:151]
	v_cvt_f32_f64_e32 v76, v[76:77]
	v_min3_f32 v130, v75, v76, v130
	v_add_f64 v[76:77], v[14:15], v[58:59]
	v_add_f64 v[150:151], v[12:13], v[56:57]
	v_cvt_f32_f64_e32 v75, v[150:151]
	v_cvt_f32_f64_e32 v76, v[76:77]
	v_min3_f32 v129, v75, v76, v129
	v_add_f64 v[76:77], v[10:11], v[58:59]
	v_add_f64 v[150:151], v[8:9], v[56:57]
	v_cvt_f32_f64_e32 v75, v[150:151]
	v_cvt_f32_f64_e32 v76, v[76:77]
	v_min3_f32 v128, v75, v76, v128
	v_add_f64 v[76:77], v[6:7], v[58:59]
	v_add_f64 v[150:151], v[4:5], v[56:57]
	v_add_f64 v[58:59], v[2:3], v[58:59]
	v_add_f64 v[56:57], v[0:1], v[56:57]
	v_cvt_f32_f64_e32 v56, v[56:57]
	v_cvt_f32_f64_e32 v57, v[58:59]
	v_min3_f32 v126, v56, v57, v126
	s_waitcnt lgkmcnt(5)
	v_add_f64 v[56:57], v[34:35], v[54:55]
	v_add_f64 v[58:59], v[32:33], v[52:53]
	v_cvt_f32_f64_e32 v58, v[58:59]
	v_cvt_f32_f64_e32 v56, v[56:57]
	v_min3_f32 v125, v58, v56, v125
	v_add_f64 v[56:57], v[30:31], v[54:55]
	v_add_f64 v[58:59], v[28:29], v[52:53]
	v_cvt_f32_f64_e32 v58, v[58:59]
	v_cvt_f32_f64_e32 v56, v[56:57]
	v_min3_f32 v124, v58, v56, v124
	v_add_f64 v[56:57], v[26:27], v[54:55]
	v_add_f64 v[58:59], v[24:25], v[52:53]
	v_cvt_f32_f64_e32 v58, v[58:59]
	v_cvt_f32_f64_e32 v56, v[56:57]
	v_min3_f32 v123, v58, v56, v123
	v_add_f64 v[56:57], v[18:19], v[54:55]
	v_add_f64 v[58:59], v[16:17], v[52:53]
	v_cvt_f32_f64_e32 v58, v[58:59]
	v_cvt_f32_f64_e32 v56, v[56:57]
	v_min3_f32 v122, v58, v56, v122
	v_add_f64 v[56:57], v[14:15], v[54:55]
	v_add_f64 v[58:59], v[12:13], v[52:53]
	v_cvt_f32_f64_e32 v58, v[58:59]
	v_cvt_f32_f64_e32 v56, v[56:57]
	v_min3_f32 v121, v58, v56, v121
	v_add_f64 v[56:57], v[10:11], v[54:55]
	v_add_f64 v[58:59], v[8:9], v[52:53]
	v_cvt_f32_f64_e32 v58, v[58:59]
	v_cvt_f32_f64_e32 v56, v[56:57]
	v_min3_f32 v120, v58, v56, v120
	v_add_f64 v[56:57], v[6:7], v[54:55]
	v_add_f64 v[58:59], v[4:5], v[52:53]
	v_add_f64 v[54:55], v[2:3], v[54:55]
	v_add_f64 v[52:53], v[0:1], v[52:53]
	v_cvt_f32_f64_e32 v52, v[52:53]
	v_cvt_f32_f64_e32 v53, v[54:55]
	v_min3_f32 v118, v52, v53, v118
	;; [unrolled: 38-line block ×5, first 2 shown]
	s_waitcnt lgkmcnt(1)
	v_add_f64 v[40:41], v[34:35], v[38:39]
	v_add_f64 v[42:43], v[32:33], v[36:37]
	v_cvt_f32_f64_e32 v42, v[42:43]
	v_cvt_f32_f64_e32 v40, v[40:41]
	v_min3_f32 v93, v42, v40, v93
	v_add_f64 v[40:41], v[30:31], v[38:39]
	v_add_f64 v[42:43], v[28:29], v[36:37]
	v_cvt_f32_f64_e32 v42, v[42:43]
	v_cvt_f32_f64_e32 v40, v[40:41]
	v_min3_f32 v92, v42, v40, v92
	;; [unrolled: 5-line block ×6, first 2 shown]
	v_add_f64 v[40:41], v[6:7], v[38:39]
	v_add_f64 v[42:43], v[4:5], v[36:37]
	v_add_f64 v[38:39], v[2:3], v[38:39]
	v_add_f64 v[36:37], v[0:1], v[36:37]
	s_waitcnt lgkmcnt(0)
	v_add_f64 v[34:35], v[34:35], v[22:23]
	v_add_f64 v[32:33], v[32:33], v[20:21]
	;; [unrolled: 1-line block ×16, first 2 shown]
	v_cvt_f32_f64_e32 v75, v[150:151]
	v_cvt_f32_f64_e32 v76, v[76:77]
	;; [unrolled: 1-line block ×30, first 2 shown]
	v_min3_f32 v127, v75, v76, v127
	v_min3_f32 v119, v58, v56, v119
	;; [unrolled: 1-line block ×15, first 2 shown]
	s_mov_b32 s26, 2
	s_mov_b64 s[12:13], 0
	s_cbranch_vccz .LBB176_24
; %bb.25:
	s_load_dword s27, s[0:1], 0x8
	v_lshlrev_b32_e32 v0, 5, v73
	v_lshl_add_u32 v0, v145, 3, v0
	s_mov_b32 s26, 8
	ds_write_b64 v74, v[62:63] offset:18432
	s_waitcnt lgkmcnt(0)
	s_cmp_gt_i32 s27, 8
	ds_write2st64_b64 v0, v[64:65], v[66:67] offset0:16 offset1:20
	ds_write2st64_b64 v0, v[68:69], v[70:71] offset0:24 offset1:28
	s_waitcnt lgkmcnt(0)
	s_barrier
	s_cbranch_scc0 .LBB176_48
; %bb.26:
	v_or_b32_e32 v150, 0x2000, v0
	v_mad_i64_i32 v[0:1], s[12:13], v72, s28, 0
	v_lshl_add_u64 v[62:63], v[0:1], 3, s[22:23]
	v_add_u32_e32 v149, 0x4800, v74
	s_add_i32 s27, s27, -8
	v_lshl_add_u64 v[64:65], v[62:63], 0, 32
	s_mov_b32 s22, 0
	v_mov_b32_e32 v67, 0
.LBB176_27:                             ; =>This Loop Header: Depth=1
                                        ;     Child Loop BB176_36 Depth 2
                                        ;     Child Loop BB176_46 Depth 2
	s_and_b64 vcc, exec, s[4:5]
	s_cbranch_vccnz .LBB176_29
; %bb.28:                               ;   in Loop: Header=BB176_27 Depth=1
	v_or_b32_e32 v66, s26, v144
	v_lshl_add_u64 v[0:1], v[66:67], 3, v[62:63]
	flat_load_dwordx2 v[0:1], v[0:1]
	s_waitcnt vmcnt(0) lgkmcnt(0)
	v_mul_f64 v[68:69], v[0:1], s[16:17]
	s_branch .LBB176_30
.LBB176_29:                             ;   in Loop: Header=BB176_27 Depth=1
	v_mov_b64_e32 v[68:69], 0
.LBB176_30:                             ;   in Loop: Header=BB176_27 Depth=1
	v_add_u32_e32 v3, s26, v145
	v_mad_u64_u32 v[0:1], s[12:13], v3, s24, 0
	v_mov_b32_e32 v2, v1
	v_mad_u64_u32 v[2:3], s[12:13], v3, s25, v[2:3]
	v_mov_b32_e32 v1, v2
	v_lshl_add_u64 v[0:1], v[0:1], 3, s[20:21]
	s_and_b64 vcc, exec, s[4:5]
	v_lshl_add_u64 v[0:1], v[60:61], 3, v[0:1]
	s_cbranch_vccnz .LBB176_33
; %bb.31:                               ;   in Loop: Header=BB176_27 Depth=1
	flat_load_dwordx2 v[2:3], v[0:1]
	flat_load_dwordx2 v[4:5], v[0:1] offset:512
	s_waitcnt vmcnt(0) lgkmcnt(0)
	v_mul_f64 v[70:71], v[2:3], s[16:17]
	v_mul_f64 v[72:73], v[4:5], s[16:17]
	s_and_b64 vcc, exec, s[4:5]
	s_cbranch_vccnz .LBB176_34
.LBB176_32:                             ;   in Loop: Header=BB176_27 Depth=1
	flat_load_dwordx2 v[2:3], v[0:1] offset:1024
	flat_load_dwordx2 v[4:5], v[0:1] offset:1536
	s_waitcnt vmcnt(0) lgkmcnt(0)
	v_mul_f64 v[74:75], v[2:3], s[16:17]
	v_mul_f64 v[76:77], v[4:5], s[16:17]
	s_branch .LBB176_35
.LBB176_33:                             ;   in Loop: Header=BB176_27 Depth=1
	v_mov_b64_e32 v[70:71], 0
	v_mov_b64_e32 v[72:73], 0
	s_and_b64 vcc, exec, s[4:5]
	s_cbranch_vccz .LBB176_32
.LBB176_34:                             ;   in Loop: Header=BB176_27 Depth=1
	v_mov_b64_e32 v[74:75], 0
	v_mov_b64_e32 v[76:77], 0
.LBB176_35:                             ;   in Loop: Header=BB176_27 Depth=1
	s_mov_b32 s23, 0
	s_mov_b64 s[12:13], -1
.LBB176_36:                             ;   Parent Loop BB176_27 Depth=1
                                        ; =>  This Inner Loop Header: Depth=2
	v_cndmask_b32_e64 v0, 0, 1, s[12:13]
	s_lshl_b32 s12, s23, 3
	v_cmp_ne_u32_e32 vcc, 1, v0
	v_lshl_add_u32 v0, v135, 5, s12
	v_lshl_add_u32 v20, v136, 5, s12
	ds_read_b128 v[32:35], v0 offset:18432
	ds_read_b128 v[28:31], v0 offset:18688
	;; [unrolled: 1-line block ×16, first 2 shown]
	s_waitcnt lgkmcnt(7)
	v_add_f64 v[156:157], v[34:35], v[154:155]
	v_add_f64 v[158:159], v[32:33], v[152:153]
	v_cvt_f32_f64_e32 v66, v[158:159]
	v_cvt_f32_f64_e32 v151, v[156:157]
	v_add_f64 v[156:157], v[30:31], v[154:155]
	v_add_f64 v[158:159], v[28:29], v[152:153]
	v_min3_f32 v143, v66, v151, v143
	v_cvt_f32_f64_e32 v66, v[158:159]
	v_cvt_f32_f64_e32 v151, v[156:157]
	v_add_f64 v[156:157], v[26:27], v[154:155]
	v_add_f64 v[158:159], v[24:25], v[152:153]
	v_min3_f32 v142, v66, v151, v142
	;; [unrolled: 5-line block ×7, first 2 shown]
	v_cvt_f32_f64_e32 v66, v[152:153]
	v_cvt_f32_f64_e32 v151, v[154:155]
	s_waitcnt lgkmcnt(6)
	v_add_f64 v[152:153], v[34:35], v[58:59]
	v_add_f64 v[154:155], v[32:33], v[56:57]
	v_min3_f32 v134, v66, v151, v134
	v_cvt_f32_f64_e32 v66, v[154:155]
	v_cvt_f32_f64_e32 v151, v[152:153]
	v_add_f64 v[152:153], v[30:31], v[58:59]
	v_add_f64 v[154:155], v[28:29], v[56:57]
	v_min3_f32 v133, v66, v151, v133
	v_cvt_f32_f64_e32 v66, v[154:155]
	v_cvt_f32_f64_e32 v151, v[152:153]
	v_add_f64 v[152:153], v[26:27], v[58:59]
	v_add_f64 v[154:155], v[24:25], v[56:57]
	v_min3_f32 v132, v66, v151, v132
	v_cvt_f32_f64_e32 v66, v[154:155]
	v_cvt_f32_f64_e32 v151, v[152:153]
	v_add_f64 v[152:153], v[18:19], v[58:59]
	v_add_f64 v[154:155], v[16:17], v[56:57]
	v_min3_f32 v131, v66, v151, v131
	v_cvt_f32_f64_e32 v66, v[154:155]
	v_cvt_f32_f64_e32 v151, v[152:153]
	v_add_f64 v[152:153], v[14:15], v[58:59]
	v_add_f64 v[154:155], v[12:13], v[56:57]
	v_min3_f32 v130, v66, v151, v130
	v_cvt_f32_f64_e32 v66, v[154:155]
	v_cvt_f32_f64_e32 v151, v[152:153]
	v_add_f64 v[152:153], v[10:11], v[58:59]
	v_add_f64 v[154:155], v[8:9], v[56:57]
	v_min3_f32 v129, v66, v151, v129
	v_cvt_f32_f64_e32 v66, v[154:155]
	v_cvt_f32_f64_e32 v151, v[152:153]
	v_add_f64 v[152:153], v[6:7], v[58:59]
	v_add_f64 v[154:155], v[4:5], v[56:57]
	v_add_f64 v[58:59], v[2:3], v[58:59]
	v_add_f64 v[56:57], v[0:1], v[56:57]
	v_cvt_f32_f64_e32 v56, v[56:57]
	v_cvt_f32_f64_e32 v57, v[58:59]
	v_min3_f32 v126, v56, v57, v126
	s_waitcnt lgkmcnt(5)
	v_add_f64 v[56:57], v[34:35], v[54:55]
	v_add_f64 v[58:59], v[32:33], v[52:53]
	v_cvt_f32_f64_e32 v58, v[58:59]
	v_cvt_f32_f64_e32 v56, v[56:57]
	v_min3_f32 v125, v58, v56, v125
	v_add_f64 v[56:57], v[30:31], v[54:55]
	v_add_f64 v[58:59], v[28:29], v[52:53]
	v_cvt_f32_f64_e32 v58, v[58:59]
	v_cvt_f32_f64_e32 v56, v[56:57]
	v_min3_f32 v124, v58, v56, v124
	v_add_f64 v[56:57], v[26:27], v[54:55]
	v_add_f64 v[58:59], v[24:25], v[52:53]
	v_cvt_f32_f64_e32 v58, v[58:59]
	v_cvt_f32_f64_e32 v56, v[56:57]
	v_min3_f32 v123, v58, v56, v123
	v_add_f64 v[56:57], v[18:19], v[54:55]
	v_add_f64 v[58:59], v[16:17], v[52:53]
	v_cvt_f32_f64_e32 v58, v[58:59]
	v_cvt_f32_f64_e32 v56, v[56:57]
	v_min3_f32 v122, v58, v56, v122
	v_add_f64 v[56:57], v[14:15], v[54:55]
	v_add_f64 v[58:59], v[12:13], v[52:53]
	v_cvt_f32_f64_e32 v58, v[58:59]
	v_cvt_f32_f64_e32 v56, v[56:57]
	v_min3_f32 v121, v58, v56, v121
	v_add_f64 v[56:57], v[10:11], v[54:55]
	v_add_f64 v[58:59], v[8:9], v[52:53]
	v_cvt_f32_f64_e32 v58, v[58:59]
	v_cvt_f32_f64_e32 v56, v[56:57]
	v_min3_f32 v120, v58, v56, v120
	v_add_f64 v[56:57], v[6:7], v[54:55]
	v_add_f64 v[58:59], v[4:5], v[52:53]
	v_add_f64 v[54:55], v[2:3], v[54:55]
	v_add_f64 v[52:53], v[0:1], v[52:53]
	v_cvt_f32_f64_e32 v52, v[52:53]
	v_cvt_f32_f64_e32 v53, v[54:55]
	v_min3_f32 v118, v52, v53, v118
	s_waitcnt lgkmcnt(4)
	v_add_f64 v[52:53], v[34:35], v[50:51]
	v_add_f64 v[54:55], v[32:33], v[48:49]
	v_cvt_f32_f64_e32 v54, v[54:55]
	v_cvt_f32_f64_e32 v52, v[52:53]
	v_min3_f32 v117, v54, v52, v117
	v_add_f64 v[52:53], v[30:31], v[50:51]
	v_add_f64 v[54:55], v[28:29], v[48:49]
	v_cvt_f32_f64_e32 v54, v[54:55]
	v_cvt_f32_f64_e32 v52, v[52:53]
	v_min3_f32 v116, v54, v52, v116
	v_add_f64 v[52:53], v[26:27], v[50:51]
	v_add_f64 v[54:55], v[24:25], v[48:49]
	v_cvt_f32_f64_e32 v54, v[54:55]
	v_cvt_f32_f64_e32 v52, v[52:53]
	v_min3_f32 v115, v54, v52, v115
	v_add_f64 v[52:53], v[18:19], v[50:51]
	v_add_f64 v[54:55], v[16:17], v[48:49]
	v_cvt_f32_f64_e32 v54, v[54:55]
	v_cvt_f32_f64_e32 v52, v[52:53]
	v_min3_f32 v114, v54, v52, v114
	v_add_f64 v[52:53], v[14:15], v[50:51]
	v_add_f64 v[54:55], v[12:13], v[48:49]
	v_cvt_f32_f64_e32 v54, v[54:55]
	v_cvt_f32_f64_e32 v52, v[52:53]
	v_min3_f32 v113, v54, v52, v113
	v_add_f64 v[52:53], v[10:11], v[50:51]
	v_add_f64 v[54:55], v[8:9], v[48:49]
	v_cvt_f32_f64_e32 v54, v[54:55]
	v_cvt_f32_f64_e32 v52, v[52:53]
	v_min3_f32 v112, v54, v52, v112
	;; [unrolled: 38-line block ×5, first 2 shown]
	v_add_f64 v[40:41], v[6:7], v[38:39]
	v_add_f64 v[42:43], v[4:5], v[36:37]
	;; [unrolled: 1-line block ×4, first 2 shown]
	s_waitcnt lgkmcnt(0)
	v_add_f64 v[34:35], v[34:35], v[22:23]
	v_add_f64 v[32:33], v[32:33], v[20:21]
	;; [unrolled: 1-line block ×16, first 2 shown]
	v_min3_f32 v128, v66, v151, v128
	v_cvt_f32_f64_e32 v66, v[154:155]
	v_cvt_f32_f64_e32 v151, v[152:153]
	;; [unrolled: 1-line block ×30, first 2 shown]
	v_min3_f32 v127, v66, v151, v127
	v_min3_f32 v119, v58, v56, v119
	;; [unrolled: 1-line block ×15, first 2 shown]
	s_mov_b32 s23, 2
	s_mov_b64 s[12:13], 0
	s_cbranch_vccz .LBB176_36
; %bb.37:                               ;   in Loop: Header=BB176_27 Depth=1
	s_and_b64 vcc, exec, s[4:5]
	ds_write_b64 v147, v[68:69]
	ds_write2st64_b64 v148, v[70:71], v[72:73] offset1:4
	ds_write2st64_b64 v148, v[74:75], v[76:77] offset0:8 offset1:12
	s_waitcnt lgkmcnt(0)
	s_barrier
	s_cbranch_vccnz .LBB176_39
; %bb.38:                               ;   in Loop: Header=BB176_27 Depth=1
	v_or_b32_e32 v66, s26, v144
	v_lshl_add_u64 v[0:1], v[66:67], 3, v[64:65]
	flat_load_dwordx2 v[0:1], v[0:1]
	s_waitcnt vmcnt(0) lgkmcnt(0)
	v_mul_f64 v[68:69], v[0:1], s[16:17]
	s_branch .LBB176_40
.LBB176_39:                             ;   in Loop: Header=BB176_27 Depth=1
	v_mov_b64_e32 v[68:69], 0
.LBB176_40:                             ;   in Loop: Header=BB176_27 Depth=1
	v_add_u32_e32 v3, s26, v146
	v_mad_u64_u32 v[0:1], s[12:13], v3, s24, 0
	v_mov_b32_e32 v2, v1
	v_mad_u64_u32 v[2:3], s[12:13], v3, s25, v[2:3]
	v_mov_b32_e32 v1, v2
	v_lshl_add_u64 v[0:1], v[0:1], 3, s[20:21]
	s_and_b64 vcc, exec, s[4:5]
	v_lshl_add_u64 v[0:1], v[60:61], 3, v[0:1]
	s_cbranch_vccnz .LBB176_43
; %bb.41:                               ;   in Loop: Header=BB176_27 Depth=1
	flat_load_dwordx2 v[2:3], v[0:1]
	flat_load_dwordx2 v[4:5], v[0:1] offset:512
	s_waitcnt vmcnt(0) lgkmcnt(0)
	v_mul_f64 v[70:71], v[2:3], s[16:17]
	v_mul_f64 v[72:73], v[4:5], s[16:17]
	s_and_b64 vcc, exec, s[4:5]
	s_cbranch_vccnz .LBB176_44
.LBB176_42:                             ;   in Loop: Header=BB176_27 Depth=1
	flat_load_dwordx2 v[2:3], v[0:1] offset:1024
	flat_load_dwordx2 v[4:5], v[0:1] offset:1536
	s_waitcnt vmcnt(0) lgkmcnt(0)
	v_mul_f64 v[74:75], v[2:3], s[16:17]
	v_mul_f64 v[76:77], v[4:5], s[16:17]
	s_branch .LBB176_45
.LBB176_43:                             ;   in Loop: Header=BB176_27 Depth=1
	v_mov_b64_e32 v[70:71], 0
	v_mov_b64_e32 v[72:73], 0
	s_and_b64 vcc, exec, s[4:5]
	s_cbranch_vccz .LBB176_42
.LBB176_44:                             ;   in Loop: Header=BB176_27 Depth=1
	v_mov_b64_e32 v[74:75], 0
	v_mov_b64_e32 v[76:77], 0
.LBB176_45:                             ;   in Loop: Header=BB176_27 Depth=1
	s_mov_b32 s23, 0
	s_mov_b64 s[12:13], -1
.LBB176_46:                             ;   Parent Loop BB176_27 Depth=1
                                        ; =>  This Inner Loop Header: Depth=2
	v_cndmask_b32_e64 v0, 0, 1, s[12:13]
	s_lshl_b32 s12, s23, 3
	v_cmp_ne_u32_e32 vcc, 1, v0
	v_lshl_add_u32 v0, v135, 5, s12
	v_lshl_add_u32 v20, v136, 5, s12
	ds_read_b128 v[32:35], v0 offset:16384
	ds_read_b128 v[28:31], v0 offset:16640
	ds_read_b128 v[24:27], v0 offset:16896
	ds_read_b128 v[16:19], v0 offset:17152
	ds_read_b128 v[12:15], v0 offset:17408
	ds_read_b128 v[8:11], v0 offset:17664
	ds_read_b128 v[4:7], v0 offset:17920
	ds_read_b128 v[0:3], v0 offset:18176
	ds_read_b128 v[152:155], v20
	ds_read_b128 v[56:59], v20 offset:1024
	ds_read_b128 v[52:55], v20 offset:2048
	;; [unrolled: 1-line block ×7, first 2 shown]
	s_waitcnt lgkmcnt(7)
	v_add_f64 v[156:157], v[34:35], v[154:155]
	v_add_f64 v[158:159], v[32:33], v[152:153]
	v_cvt_f32_f64_e32 v66, v[158:159]
	v_cvt_f32_f64_e32 v151, v[156:157]
	v_add_f64 v[156:157], v[30:31], v[154:155]
	v_add_f64 v[158:159], v[28:29], v[152:153]
	v_min3_f32 v143, v66, v151, v143
	v_cvt_f32_f64_e32 v66, v[158:159]
	v_cvt_f32_f64_e32 v151, v[156:157]
	v_add_f64 v[156:157], v[26:27], v[154:155]
	v_add_f64 v[158:159], v[24:25], v[152:153]
	v_min3_f32 v142, v66, v151, v142
	;; [unrolled: 5-line block ×7, first 2 shown]
	v_cvt_f32_f64_e32 v66, v[152:153]
	v_cvt_f32_f64_e32 v151, v[154:155]
	s_waitcnt lgkmcnt(6)
	v_add_f64 v[152:153], v[34:35], v[58:59]
	v_add_f64 v[154:155], v[32:33], v[56:57]
	v_min3_f32 v134, v66, v151, v134
	v_cvt_f32_f64_e32 v66, v[154:155]
	v_cvt_f32_f64_e32 v151, v[152:153]
	v_add_f64 v[152:153], v[30:31], v[58:59]
	v_add_f64 v[154:155], v[28:29], v[56:57]
	v_min3_f32 v133, v66, v151, v133
	v_cvt_f32_f64_e32 v66, v[154:155]
	v_cvt_f32_f64_e32 v151, v[152:153]
	;; [unrolled: 5-line block ×6, first 2 shown]
	v_add_f64 v[152:153], v[6:7], v[58:59]
	v_add_f64 v[154:155], v[4:5], v[56:57]
	v_add_f64 v[58:59], v[2:3], v[58:59]
	v_add_f64 v[56:57], v[0:1], v[56:57]
	v_cvt_f32_f64_e32 v56, v[56:57]
	v_cvt_f32_f64_e32 v57, v[58:59]
	v_min3_f32 v126, v56, v57, v126
	s_waitcnt lgkmcnt(5)
	v_add_f64 v[56:57], v[34:35], v[54:55]
	v_add_f64 v[58:59], v[32:33], v[52:53]
	v_cvt_f32_f64_e32 v58, v[58:59]
	v_cvt_f32_f64_e32 v56, v[56:57]
	v_min3_f32 v125, v58, v56, v125
	v_add_f64 v[56:57], v[30:31], v[54:55]
	v_add_f64 v[58:59], v[28:29], v[52:53]
	v_cvt_f32_f64_e32 v58, v[58:59]
	v_cvt_f32_f64_e32 v56, v[56:57]
	v_min3_f32 v124, v58, v56, v124
	v_add_f64 v[56:57], v[26:27], v[54:55]
	v_add_f64 v[58:59], v[24:25], v[52:53]
	v_cvt_f32_f64_e32 v58, v[58:59]
	v_cvt_f32_f64_e32 v56, v[56:57]
	v_min3_f32 v123, v58, v56, v123
	v_add_f64 v[56:57], v[18:19], v[54:55]
	v_add_f64 v[58:59], v[16:17], v[52:53]
	v_cvt_f32_f64_e32 v58, v[58:59]
	v_cvt_f32_f64_e32 v56, v[56:57]
	v_min3_f32 v122, v58, v56, v122
	v_add_f64 v[56:57], v[14:15], v[54:55]
	v_add_f64 v[58:59], v[12:13], v[52:53]
	v_cvt_f32_f64_e32 v58, v[58:59]
	v_cvt_f32_f64_e32 v56, v[56:57]
	v_min3_f32 v121, v58, v56, v121
	v_add_f64 v[56:57], v[10:11], v[54:55]
	v_add_f64 v[58:59], v[8:9], v[52:53]
	v_cvt_f32_f64_e32 v58, v[58:59]
	v_cvt_f32_f64_e32 v56, v[56:57]
	v_min3_f32 v120, v58, v56, v120
	v_add_f64 v[56:57], v[6:7], v[54:55]
	v_add_f64 v[58:59], v[4:5], v[52:53]
	v_add_f64 v[54:55], v[2:3], v[54:55]
	v_add_f64 v[52:53], v[0:1], v[52:53]
	v_cvt_f32_f64_e32 v52, v[52:53]
	v_cvt_f32_f64_e32 v53, v[54:55]
	v_min3_f32 v118, v52, v53, v118
	s_waitcnt lgkmcnt(4)
	v_add_f64 v[52:53], v[34:35], v[50:51]
	v_add_f64 v[54:55], v[32:33], v[48:49]
	v_cvt_f32_f64_e32 v54, v[54:55]
	v_cvt_f32_f64_e32 v52, v[52:53]
	v_min3_f32 v117, v54, v52, v117
	v_add_f64 v[52:53], v[30:31], v[50:51]
	v_add_f64 v[54:55], v[28:29], v[48:49]
	v_cvt_f32_f64_e32 v54, v[54:55]
	v_cvt_f32_f64_e32 v52, v[52:53]
	v_min3_f32 v116, v54, v52, v116
	v_add_f64 v[52:53], v[26:27], v[50:51]
	v_add_f64 v[54:55], v[24:25], v[48:49]
	v_cvt_f32_f64_e32 v54, v[54:55]
	v_cvt_f32_f64_e32 v52, v[52:53]
	v_min3_f32 v115, v54, v52, v115
	v_add_f64 v[52:53], v[18:19], v[50:51]
	v_add_f64 v[54:55], v[16:17], v[48:49]
	v_cvt_f32_f64_e32 v54, v[54:55]
	v_cvt_f32_f64_e32 v52, v[52:53]
	v_min3_f32 v114, v54, v52, v114
	v_add_f64 v[52:53], v[14:15], v[50:51]
	v_add_f64 v[54:55], v[12:13], v[48:49]
	v_cvt_f32_f64_e32 v54, v[54:55]
	v_cvt_f32_f64_e32 v52, v[52:53]
	v_min3_f32 v113, v54, v52, v113
	v_add_f64 v[52:53], v[10:11], v[50:51]
	v_add_f64 v[54:55], v[8:9], v[48:49]
	v_cvt_f32_f64_e32 v54, v[54:55]
	v_cvt_f32_f64_e32 v52, v[52:53]
	v_min3_f32 v112, v54, v52, v112
	;; [unrolled: 38-line block ×5, first 2 shown]
	v_add_f64 v[40:41], v[6:7], v[38:39]
	v_add_f64 v[42:43], v[4:5], v[36:37]
	;; [unrolled: 1-line block ×4, first 2 shown]
	s_waitcnt lgkmcnt(0)
	v_add_f64 v[34:35], v[34:35], v[22:23]
	v_add_f64 v[32:33], v[32:33], v[20:21]
	;; [unrolled: 1-line block ×16, first 2 shown]
	v_min3_f32 v128, v66, v151, v128
	v_cvt_f32_f64_e32 v66, v[154:155]
	v_cvt_f32_f64_e32 v151, v[152:153]
	;; [unrolled: 1-line block ×30, first 2 shown]
	v_min3_f32 v127, v66, v151, v127
	v_min3_f32 v119, v58, v56, v119
	;; [unrolled: 1-line block ×15, first 2 shown]
	s_mov_b32 s23, 2
	s_mov_b64 s[12:13], 0
	s_cbranch_vccz .LBB176_46
; %bb.47:                               ;   in Loop: Header=BB176_27 Depth=1
	s_add_i32 s26, s26, 8
	s_add_i32 s22, s22, 8
	s_cmp_ge_i32 s22, s27
	ds_write_b64 v149, v[68:69]
	ds_write2st64_b64 v150, v[70:71], v[72:73] offset1:4
	ds_write2st64_b64 v150, v[74:75], v[76:77] offset0:8 offset1:12
	s_waitcnt lgkmcnt(0)
	s_barrier
	s_cbranch_scc0 .LBB176_27
.LBB176_48:
	s_mov_b32 s12, 0
	s_mov_b64 s[4:5], -1
.LBB176_49:                             ; =>This Inner Loop Header: Depth=1
	v_cndmask_b32_e64 v0, 0, 1, s[4:5]
	s_lshl_b32 s4, s12, 3
	v_cmp_ne_u32_e32 vcc, 1, v0
	v_lshl_add_u32 v0, v135, 5, s4
	v_lshl_add_u32 v20, v136, 5, s4
	ds_read_b128 v[32:35], v0 offset:18432
	ds_read_b128 v[28:31], v0 offset:18688
	;; [unrolled: 1-line block ×16, first 2 shown]
	s_waitcnt lgkmcnt(7)
	v_add_f64 v[64:65], v[34:35], v[62:63]
	v_add_f64 v[66:67], v[32:33], v[60:61]
	v_cvt_f32_f64_e32 v66, v[66:67]
	v_cvt_f32_f64_e32 v64, v[64:65]
	v_min3_f32 v143, v66, v64, v143
	v_add_f64 v[64:65], v[30:31], v[62:63]
	v_add_f64 v[66:67], v[28:29], v[60:61]
	v_cvt_f32_f64_e32 v66, v[66:67]
	v_cvt_f32_f64_e32 v64, v[64:65]
	v_min3_f32 v142, v66, v64, v142
	v_add_f64 v[64:65], v[26:27], v[62:63]
	v_add_f64 v[66:67], v[24:25], v[60:61]
	v_cvt_f32_f64_e32 v66, v[66:67]
	v_cvt_f32_f64_e32 v64, v[64:65]
	v_min3_f32 v141, v66, v64, v141
	v_add_f64 v[64:65], v[18:19], v[62:63]
	v_add_f64 v[66:67], v[16:17], v[60:61]
	v_cvt_f32_f64_e32 v66, v[66:67]
	v_cvt_f32_f64_e32 v64, v[64:65]
	v_min3_f32 v140, v66, v64, v140
	v_add_f64 v[64:65], v[14:15], v[62:63]
	v_add_f64 v[66:67], v[12:13], v[60:61]
	v_cvt_f32_f64_e32 v66, v[66:67]
	v_cvt_f32_f64_e32 v64, v[64:65]
	v_min3_f32 v139, v66, v64, v139
	v_add_f64 v[64:65], v[10:11], v[62:63]
	v_add_f64 v[66:67], v[8:9], v[60:61]
	v_cvt_f32_f64_e32 v66, v[66:67]
	v_cvt_f32_f64_e32 v64, v[64:65]
	v_min3_f32 v138, v66, v64, v138
	v_add_f64 v[64:65], v[6:7], v[62:63]
	v_add_f64 v[66:67], v[4:5], v[60:61]
	v_add_f64 v[62:63], v[2:3], v[62:63]
	v_add_f64 v[60:61], v[0:1], v[60:61]
	v_cvt_f32_f64_e32 v60, v[60:61]
	v_cvt_f32_f64_e32 v61, v[62:63]
	v_min3_f32 v134, v60, v61, v134
	s_waitcnt lgkmcnt(6)
	v_add_f64 v[60:61], v[34:35], v[58:59]
	v_add_f64 v[62:63], v[32:33], v[56:57]
	v_cvt_f32_f64_e32 v62, v[62:63]
	v_cvt_f32_f64_e32 v60, v[60:61]
	v_min3_f32 v133, v62, v60, v133
	v_add_f64 v[60:61], v[30:31], v[58:59]
	v_add_f64 v[62:63], v[28:29], v[56:57]
	v_cvt_f32_f64_e32 v62, v[62:63]
	v_cvt_f32_f64_e32 v60, v[60:61]
	v_min3_f32 v132, v62, v60, v132
	v_add_f64 v[60:61], v[26:27], v[58:59]
	v_add_f64 v[62:63], v[24:25], v[56:57]
	v_cvt_f32_f64_e32 v62, v[62:63]
	v_cvt_f32_f64_e32 v60, v[60:61]
	v_min3_f32 v131, v62, v60, v131
	v_add_f64 v[60:61], v[18:19], v[58:59]
	v_add_f64 v[62:63], v[16:17], v[56:57]
	v_cvt_f32_f64_e32 v62, v[62:63]
	v_cvt_f32_f64_e32 v60, v[60:61]
	v_min3_f32 v130, v62, v60, v130
	v_add_f64 v[60:61], v[14:15], v[58:59]
	v_add_f64 v[62:63], v[12:13], v[56:57]
	v_cvt_f32_f64_e32 v62, v[62:63]
	v_cvt_f32_f64_e32 v60, v[60:61]
	v_min3_f32 v129, v62, v60, v129
	v_add_f64 v[60:61], v[10:11], v[58:59]
	v_add_f64 v[62:63], v[8:9], v[56:57]
	v_cvt_f32_f64_e32 v62, v[62:63]
	v_cvt_f32_f64_e32 v60, v[60:61]
	v_min3_f32 v128, v62, v60, v128
	v_add_f64 v[60:61], v[6:7], v[58:59]
	v_add_f64 v[62:63], v[4:5], v[56:57]
	v_add_f64 v[58:59], v[2:3], v[58:59]
	v_add_f64 v[56:57], v[0:1], v[56:57]
	v_cvt_f32_f64_e32 v56, v[56:57]
	v_cvt_f32_f64_e32 v57, v[58:59]
	v_min3_f32 v126, v56, v57, v126
	;; [unrolled: 38-line block ×6, first 2 shown]
	s_waitcnt lgkmcnt(1)
	v_add_f64 v[40:41], v[34:35], v[38:39]
	v_add_f64 v[42:43], v[32:33], v[36:37]
	v_cvt_f32_f64_e32 v42, v[42:43]
	v_cvt_f32_f64_e32 v40, v[40:41]
	v_min3_f32 v93, v42, v40, v93
	v_add_f64 v[40:41], v[30:31], v[38:39]
	v_add_f64 v[42:43], v[28:29], v[36:37]
	v_cvt_f32_f64_e32 v42, v[42:43]
	v_cvt_f32_f64_e32 v40, v[40:41]
	v_min3_f32 v92, v42, v40, v92
	;; [unrolled: 5-line block ×6, first 2 shown]
	v_add_f64 v[40:41], v[6:7], v[38:39]
	v_add_f64 v[42:43], v[4:5], v[36:37]
	v_add_f64 v[38:39], v[2:3], v[38:39]
	v_add_f64 v[36:37], v[0:1], v[36:37]
	s_waitcnt lgkmcnt(0)
	v_add_f64 v[34:35], v[34:35], v[22:23]
	v_add_f64 v[32:33], v[32:33], v[20:21]
	;; [unrolled: 1-line block ×16, first 2 shown]
	v_cvt_f32_f64_e32 v66, v[66:67]
	v_cvt_f32_f64_e32 v64, v[64:65]
	;; [unrolled: 1-line block ×32, first 2 shown]
	v_min3_f32 v137, v66, v64, v137
	v_min3_f32 v127, v62, v60, v127
	;; [unrolled: 1-line block ×16, first 2 shown]
	s_mov_b32 s12, 2
	s_mov_b64 s[4:5], 0
	s_cbranch_vccz .LBB176_49
; %bb.50:
	s_load_dwordx2 s[4:5], s[0:1], 0x78
	s_load_dword s12, s[0:1], 0x58
	s_load_dword s13, s[0:1], 0x70
	v_add_u32_e32 v8, s2, v135
	v_add_u32_e32 v30, s18, v136
	s_waitcnt lgkmcnt(0)
	s_mul_i32 s0, s3, s5
	s_mul_hi_u32 s1, s3, s4
	s_mul_i32 s5, s19, s4
	s_add_i32 s0, s1, s0
	s_add_i32 s1, s0, s5
	s_mul_i32 s0, s3, s4
	s_lshl_b64 s[0:1], s[0:1], 3
	s_add_u32 s0, s14, s0
	s_addc_u32 s1, s15, s1
	v_add_u32_e32 v0, 8, v8
	v_mad_i64_i32 v[2:3], s[2:3], v30, s13, 0
	v_ashrrev_i32_e32 v9, 31, v8
	v_ashrrev_i32_e32 v1, 31, v0
	v_lshl_add_u64 v[24:25], v[2:3], 3, s[0:1]
	v_mad_i64_i32 v[2:3], s[2:3], v30, s12, 0
	v_max_f32_e32 v4, v143, v143
	s_mov_b64 vcc, s[6:7]
	s_cbranch_vccz .LBB176_53
; %bb.51:
	v_min_f32_e32 v5, 0, v4
	v_cvt_f64_f32_e32 v[6:7], v5
	v_lshl_add_u64 v[10:11], v[8:9], 3, v[24:25]
	global_store_dwordx2 v[10:11], v[6:7], off
	s_mov_b64 s[2:3], 0
	v_lshl_add_u64 v[26:27], v[2:3], 3, s[8:9]
	v_lshlrev_b64 v[12:13], 3, v[8:9]
	s_cbranch_execz .LBB176_54
; %bb.52:
	v_mov_b64_e32 v[4:5], s[2:3]
	s_branch .LBB176_55
.LBB176_53:
                                        ; implicit-def: $sgpr2_sgpr3
	v_lshl_add_u64 v[26:27], v[2:3], 3, s[8:9]
	v_lshlrev_b64 v[12:13], 3, v[8:9]
.LBB176_54:
	v_lshl_add_u64 v[2:3], v[26:27], 0, v[12:13]
	flat_load_dwordx2 v[2:3], v[2:3]
	v_lshl_add_u64 v[6:7], v[24:25], 0, v[12:13]
	s_waitcnt vmcnt(0) lgkmcnt(0)
	v_mul_f64 v[2:3], v[2:3], s[10:11]
	v_cvt_f32_f64_e32 v2, v[2:3]
	v_min_f32_e32 v2, v2, v4
	v_cvt_f64_f32_e32 v[2:3], v2
	global_store_dwordx2 v[6:7], v[2:3], off
	v_lshl_add_u64 v[2:3], v[0:1], 3, v[26:27]
	flat_load_dwordx2 v[2:3], v[2:3]
	s_waitcnt vmcnt(0) lgkmcnt(0)
	v_mul_f64 v[4:5], v[2:3], s[10:11]
.LBB176_55:
	v_cvt_f32_f64_e32 v4, v[4:5]
	v_max_f32_e32 v5, v142, v142
	v_min_f32_e32 v4, v4, v5
	v_add_u32_e32 v10, 16, v8
	v_add_u32_e32 v2, 24, v8
	v_cvt_f64_f32_e32 v[4:5], v4
	v_lshl_add_u64 v[6:7], v[0:1], 3, v[24:25]
	v_ashrrev_i32_e32 v11, 31, v10
	v_ashrrev_i32_e32 v3, 31, v2
	global_store_dwordx2 v[6:7], v[4:5], off
	v_max_f32_e32 v4, v141, v141
	s_mov_b64 vcc, s[6:7]
	s_cbranch_vccz .LBB176_58
; %bb.56:
	v_min_f32_e32 v5, 0, v4
	v_cvt_f64_f32_e32 v[6:7], v5
	v_lshl_add_u64 v[14:15], v[10:11], 3, v[24:25]
	global_store_dwordx2 v[14:15], v[6:7], off
	s_mov_b64 s[2:3], 0
	v_lshlrev_b64 v[16:17], 3, v[10:11]
	s_cbranch_execz .LBB176_59
; %bb.57:
	v_mov_b64_e32 v[6:7], s[2:3]
	s_branch .LBB176_60
.LBB176_58:
                                        ; implicit-def: $sgpr2_sgpr3
	v_lshlrev_b64 v[16:17], 3, v[10:11]
.LBB176_59:
	v_lshl_add_u64 v[6:7], v[26:27], 0, v[16:17]
	flat_load_dwordx2 v[6:7], v[6:7]
	v_lshl_add_u64 v[14:15], v[24:25], 0, v[16:17]
	s_waitcnt vmcnt(0) lgkmcnt(0)
	v_mul_f64 v[6:7], v[6:7], s[10:11]
	v_cvt_f32_f64_e32 v5, v[6:7]
	v_min_f32_e32 v4, v5, v4
	v_cvt_f64_f32_e32 v[4:5], v4
	global_store_dwordx2 v[14:15], v[4:5], off
	v_lshl_add_u64 v[4:5], v[2:3], 3, v[26:27]
	flat_load_dwordx2 v[4:5], v[4:5]
	s_waitcnt vmcnt(0) lgkmcnt(0)
	v_mul_f64 v[6:7], v[4:5], s[10:11]
.LBB176_60:
	v_cvt_f32_f64_e32 v6, v[6:7]
	v_max_f32_e32 v7, v140, v140
	v_min_f32_e32 v6, v6, v7
	v_add_u32_e32 v14, 32, v8
	v_add_u32_e32 v4, 40, v8
	v_cvt_f64_f32_e32 v[6:7], v6
	v_lshl_add_u64 v[18:19], v[2:3], 3, v[24:25]
	v_ashrrev_i32_e32 v15, 31, v14
	v_ashrrev_i32_e32 v5, 31, v4
	global_store_dwordx2 v[18:19], v[6:7], off
	v_max_f32_e32 v6, v139, v139
	s_mov_b64 vcc, s[6:7]
	s_cbranch_vccz .LBB176_63
; %bb.61:
	v_min_f32_e32 v7, 0, v6
	v_cvt_f64_f32_e32 v[18:19], v7
	v_lshl_add_u64 v[20:21], v[14:15], 3, v[24:25]
	global_store_dwordx2 v[20:21], v[18:19], off
	s_mov_b64 s[2:3], 0
	v_lshlrev_b64 v[20:21], 3, v[14:15]
	s_cbranch_execz .LBB176_64
; %bb.62:
	v_mov_b64_e32 v[22:23], s[2:3]
	s_branch .LBB176_65
.LBB176_63:
                                        ; implicit-def: $sgpr2_sgpr3
	v_lshlrev_b64 v[20:21], 3, v[14:15]
.LBB176_64:
	v_lshl_add_u64 v[18:19], v[26:27], 0, v[20:21]
	flat_load_dwordx2 v[18:19], v[18:19]
	v_lshl_add_u64 v[22:23], v[24:25], 0, v[20:21]
	s_waitcnt vmcnt(0) lgkmcnt(0)
	v_mul_f64 v[18:19], v[18:19], s[10:11]
	v_cvt_f32_f64_e32 v7, v[18:19]
	v_min_f32_e32 v6, v7, v6
	v_cvt_f64_f32_e32 v[6:7], v6
	global_store_dwordx2 v[22:23], v[6:7], off
	v_lshl_add_u64 v[6:7], v[4:5], 3, v[26:27]
	flat_load_dwordx2 v[6:7], v[6:7]
	s_waitcnt vmcnt(0) lgkmcnt(0)
	v_mul_f64 v[22:23], v[6:7], s[10:11]
.LBB176_65:
	v_cvt_f32_f64_e32 v22, v[22:23]
	v_max_f32_e32 v23, v138, v138
	v_min_f32_e32 v22, v22, v23
	v_add_u32_e32 v18, 48, v8
	v_add_u32_e32 v6, 56, v8
	v_cvt_f64_f32_e32 v[22:23], v22
	v_lshl_add_u64 v[28:29], v[4:5], 3, v[24:25]
	v_ashrrev_i32_e32 v19, 31, v18
	v_ashrrev_i32_e32 v7, 31, v6
	global_store_dwordx2 v[28:29], v[22:23], off
	v_max_f32_e32 v28, v137, v137
	s_mov_b64 vcc, s[6:7]
	s_cbranch_vccz .LBB176_68
; %bb.66:
	v_min_f32_e32 v22, 0, v28
	v_cvt_f64_f32_e32 v[22:23], v22
	v_lshl_add_u64 v[32:33], v[18:19], 3, v[24:25]
	global_store_dwordx2 v[32:33], v[22:23], off
	s_mov_b64 s[2:3], 0
	v_lshlrev_b64 v[22:23], 3, v[18:19]
	s_cbranch_execz .LBB176_69
; %bb.67:
	v_mov_b64_e32 v[26:27], s[2:3]
	s_branch .LBB176_70
.LBB176_68:
                                        ; implicit-def: $sgpr2_sgpr3
	v_lshlrev_b64 v[22:23], 3, v[18:19]
.LBB176_69:
	v_lshl_add_u64 v[32:33], v[26:27], 0, v[22:23]
	flat_load_dwordx2 v[32:33], v[32:33]
	v_lshl_add_u64 v[34:35], v[24:25], 0, v[22:23]
	v_lshl_add_u64 v[26:27], v[6:7], 3, v[26:27]
	s_waitcnt vmcnt(0) lgkmcnt(0)
	v_mul_f64 v[32:33], v[32:33], s[10:11]
	v_cvt_f32_f64_e32 v29, v[32:33]
	v_min_f32_e32 v28, v29, v28
	v_cvt_f64_f32_e32 v[28:29], v28
	global_store_dwordx2 v[34:35], v[28:29], off
	flat_load_dwordx2 v[26:27], v[26:27]
	s_waitcnt vmcnt(0) lgkmcnt(0)
	v_mul_f64 v[26:27], v[26:27], s[10:11]
.LBB176_70:
	v_cvt_f32_f64_e32 v26, v[26:27]
	v_max_f32_e32 v27, v134, v134
	v_min_f32_e32 v26, v26, v27
	v_cvt_f64_f32_e32 v[26:27], v26
	v_lshl_add_u64 v[24:25], v[6:7], 3, v[24:25]
	global_store_dwordx2 v[24:25], v[26:27], off
	v_add_u32_e32 v26, 32, v30
	v_mad_i64_i32 v[24:25], s[2:3], v26, s13, 0
	v_lshl_add_u64 v[24:25], v[24:25], 3, s[0:1]
	v_mad_i64_i32 v[26:27], s[2:3], v26, s12, 0
	v_max_f32_e32 v28, v133, v133
	s_mov_b64 vcc, s[6:7]
	s_cbranch_vccz .LBB176_73
; %bb.71:
	v_min_f32_e32 v29, 0, v28
	v_cvt_f64_f32_e32 v[32:33], v29
	v_lshl_add_u64 v[34:35], v[8:9], 3, v[24:25]
	global_store_dwordx2 v[34:35], v[32:33], off
	s_mov_b64 s[2:3], 0
	v_lshl_add_u64 v[26:27], v[26:27], 3, s[8:9]
	s_cbranch_execz .LBB176_74
; %bb.72:
	v_mov_b64_e32 v[28:29], s[2:3]
	s_branch .LBB176_75
.LBB176_73:
                                        ; implicit-def: $sgpr2_sgpr3
	v_lshl_add_u64 v[26:27], v[26:27], 3, s[8:9]
.LBB176_74:
	v_lshl_add_u64 v[32:33], v[26:27], 0, v[12:13]
	flat_load_dwordx2 v[32:33], v[32:33]
	v_lshl_add_u64 v[34:35], v[24:25], 0, v[12:13]
	s_waitcnt vmcnt(0) lgkmcnt(0)
	v_mul_f64 v[32:33], v[32:33], s[10:11]
	v_cvt_f32_f64_e32 v29, v[32:33]
	v_min_f32_e32 v28, v29, v28
	v_cvt_f64_f32_e32 v[28:29], v28
	global_store_dwordx2 v[34:35], v[28:29], off
	v_lshl_add_u64 v[28:29], v[0:1], 3, v[26:27]
	flat_load_dwordx2 v[28:29], v[28:29]
	s_waitcnt vmcnt(0) lgkmcnt(0)
	v_mul_f64 v[28:29], v[28:29], s[10:11]
.LBB176_75:
	v_cvt_f32_f64_e32 v28, v[28:29]
	v_max_f32_e32 v29, v132, v132
	v_min_f32_e32 v28, v28, v29
	v_cvt_f64_f32_e32 v[28:29], v28
	v_lshl_add_u64 v[32:33], v[0:1], 3, v[24:25]
	global_store_dwordx2 v[32:33], v[28:29], off
	v_max_f32_e32 v28, v131, v131
	s_mov_b64 vcc, s[6:7]
	s_cbranch_vccz .LBB176_78
; %bb.76:
	v_min_f32_e32 v29, 0, v28
	v_cvt_f64_f32_e32 v[32:33], v29
	v_lshl_add_u64 v[34:35], v[10:11], 3, v[24:25]
	global_store_dwordx2 v[34:35], v[32:33], off
	s_mov_b64 s[2:3], 0
	s_cbranch_execz .LBB176_79
; %bb.77:
	v_mov_b64_e32 v[28:29], s[2:3]
	s_branch .LBB176_80
.LBB176_78:
                                        ; implicit-def: $sgpr2_sgpr3
.LBB176_79:
	v_lshl_add_u64 v[32:33], v[26:27], 0, v[16:17]
	flat_load_dwordx2 v[32:33], v[32:33]
	v_lshl_add_u64 v[34:35], v[24:25], 0, v[16:17]
	s_waitcnt vmcnt(0) lgkmcnt(0)
	v_mul_f64 v[32:33], v[32:33], s[10:11]
	v_cvt_f32_f64_e32 v29, v[32:33]
	v_min_f32_e32 v28, v29, v28
	v_cvt_f64_f32_e32 v[28:29], v28
	global_store_dwordx2 v[34:35], v[28:29], off
	v_lshl_add_u64 v[28:29], v[2:3], 3, v[26:27]
	flat_load_dwordx2 v[28:29], v[28:29]
	s_waitcnt vmcnt(0) lgkmcnt(0)
	v_mul_f64 v[28:29], v[28:29], s[10:11]
.LBB176_80:
	v_cvt_f32_f64_e32 v28, v[28:29]
	v_max_f32_e32 v29, v130, v130
	v_min_f32_e32 v28, v28, v29
	v_cvt_f64_f32_e32 v[28:29], v28
	v_lshl_add_u64 v[32:33], v[2:3], 3, v[24:25]
	global_store_dwordx2 v[32:33], v[28:29], off
	v_max_f32_e32 v28, v129, v129
	s_mov_b64 vcc, s[6:7]
	s_cbranch_vccz .LBB176_83
; %bb.81:
	v_min_f32_e32 v29, 0, v28
	v_cvt_f64_f32_e32 v[32:33], v29
	v_lshl_add_u64 v[34:35], v[14:15], 3, v[24:25]
	global_store_dwordx2 v[34:35], v[32:33], off
	s_mov_b64 s[2:3], 0
	s_cbranch_execz .LBB176_84
; %bb.82:
	v_mov_b64_e32 v[28:29], s[2:3]
	s_branch .LBB176_85
.LBB176_83:
                                        ; implicit-def: $sgpr2_sgpr3
.LBB176_84:
	v_lshl_add_u64 v[32:33], v[26:27], 0, v[20:21]
	flat_load_dwordx2 v[32:33], v[32:33]
	v_lshl_add_u64 v[34:35], v[24:25], 0, v[20:21]
	s_waitcnt vmcnt(0) lgkmcnt(0)
	v_mul_f64 v[32:33], v[32:33], s[10:11]
	v_cvt_f32_f64_e32 v29, v[32:33]
	v_min_f32_e32 v28, v29, v28
	v_cvt_f64_f32_e32 v[28:29], v28
	global_store_dwordx2 v[34:35], v[28:29], off
	v_lshl_add_u64 v[28:29], v[4:5], 3, v[26:27]
	flat_load_dwordx2 v[28:29], v[28:29]
	s_waitcnt vmcnt(0) lgkmcnt(0)
	v_mul_f64 v[28:29], v[28:29], s[10:11]
.LBB176_85:
	v_cvt_f32_f64_e32 v28, v[28:29]
	v_max_f32_e32 v29, v128, v128
	v_min_f32_e32 v28, v28, v29
	v_cvt_f64_f32_e32 v[28:29], v28
	v_lshl_add_u64 v[32:33], v[4:5], 3, v[24:25]
	global_store_dwordx2 v[32:33], v[28:29], off
	v_max_f32_e32 v28, v127, v127
	s_mov_b64 vcc, s[6:7]
	s_cbranch_vccz .LBB176_88
; %bb.86:
	v_min_f32_e32 v29, 0, v28
	v_cvt_f64_f32_e32 v[32:33], v29
	v_lshl_add_u64 v[34:35], v[18:19], 3, v[24:25]
	global_store_dwordx2 v[34:35], v[32:33], off
	s_mov_b64 s[2:3], 0
	s_cbranch_execz .LBB176_89
; %bb.87:
	v_mov_b64_e32 v[26:27], s[2:3]
	s_branch .LBB176_90
.LBB176_88:
                                        ; implicit-def: $sgpr2_sgpr3
.LBB176_89:
	v_lshl_add_u64 v[32:33], v[26:27], 0, v[22:23]
	flat_load_dwordx2 v[32:33], v[32:33]
	v_lshl_add_u64 v[34:35], v[24:25], 0, v[22:23]
	v_lshl_add_u64 v[26:27], v[6:7], 3, v[26:27]
	s_waitcnt vmcnt(0) lgkmcnt(0)
	v_mul_f64 v[32:33], v[32:33], s[10:11]
	v_cvt_f32_f64_e32 v29, v[32:33]
	v_min_f32_e32 v28, v29, v28
	v_cvt_f64_f32_e32 v[28:29], v28
	global_store_dwordx2 v[34:35], v[28:29], off
	flat_load_dwordx2 v[26:27], v[26:27]
	s_waitcnt vmcnt(0) lgkmcnt(0)
	v_mul_f64 v[26:27], v[26:27], s[10:11]
.LBB176_90:
	v_cvt_f32_f64_e32 v26, v[26:27]
	v_max_f32_e32 v27, v126, v126
	v_min_f32_e32 v26, v26, v27
	v_cvt_f64_f32_e32 v[26:27], v26
	v_lshl_add_u64 v[24:25], v[6:7], 3, v[24:25]
	global_store_dwordx2 v[24:25], v[26:27], off
	v_add_u32_e32 v26, 64, v30
	v_mad_i64_i32 v[24:25], s[2:3], v26, s13, 0
	v_lshl_add_u64 v[24:25], v[24:25], 3, s[0:1]
	v_mad_i64_i32 v[26:27], s[2:3], v26, s12, 0
	v_max_f32_e32 v28, v125, v125
	s_mov_b64 vcc, s[6:7]
	s_cbranch_vccz .LBB176_93
; %bb.91:
	v_min_f32_e32 v29, 0, v28
	v_cvt_f64_f32_e32 v[32:33], v29
	v_lshl_add_u64 v[34:35], v[8:9], 3, v[24:25]
	global_store_dwordx2 v[34:35], v[32:33], off
	s_mov_b64 s[2:3], 0
	v_lshl_add_u64 v[26:27], v[26:27], 3, s[8:9]
	s_cbranch_execz .LBB176_94
; %bb.92:
	v_mov_b64_e32 v[28:29], s[2:3]
	s_branch .LBB176_95
.LBB176_93:
                                        ; implicit-def: $sgpr2_sgpr3
	v_lshl_add_u64 v[26:27], v[26:27], 3, s[8:9]
.LBB176_94:
	v_lshl_add_u64 v[32:33], v[26:27], 0, v[12:13]
	flat_load_dwordx2 v[32:33], v[32:33]
	v_lshl_add_u64 v[34:35], v[24:25], 0, v[12:13]
	s_waitcnt vmcnt(0) lgkmcnt(0)
	v_mul_f64 v[32:33], v[32:33], s[10:11]
	v_cvt_f32_f64_e32 v29, v[32:33]
	v_min_f32_e32 v28, v29, v28
	v_cvt_f64_f32_e32 v[28:29], v28
	global_store_dwordx2 v[34:35], v[28:29], off
	v_lshl_add_u64 v[28:29], v[0:1], 3, v[26:27]
	flat_load_dwordx2 v[28:29], v[28:29]
	s_waitcnt vmcnt(0) lgkmcnt(0)
	v_mul_f64 v[28:29], v[28:29], s[10:11]
.LBB176_95:
	v_cvt_f32_f64_e32 v28, v[28:29]
	v_max_f32_e32 v29, v124, v124
	v_min_f32_e32 v28, v28, v29
	v_cvt_f64_f32_e32 v[28:29], v28
	v_lshl_add_u64 v[32:33], v[0:1], 3, v[24:25]
	global_store_dwordx2 v[32:33], v[28:29], off
	v_max_f32_e32 v28, v123, v123
	s_mov_b64 vcc, s[6:7]
	s_cbranch_vccz .LBB176_98
; %bb.96:
	v_min_f32_e32 v29, 0, v28
	v_cvt_f64_f32_e32 v[32:33], v29
	v_lshl_add_u64 v[34:35], v[10:11], 3, v[24:25]
	global_store_dwordx2 v[34:35], v[32:33], off
	s_mov_b64 s[2:3], 0
	s_cbranch_execz .LBB176_99
; %bb.97:
	v_mov_b64_e32 v[28:29], s[2:3]
	s_branch .LBB176_100
.LBB176_98:
                                        ; implicit-def: $sgpr2_sgpr3
.LBB176_99:
	v_lshl_add_u64 v[32:33], v[26:27], 0, v[16:17]
	flat_load_dwordx2 v[32:33], v[32:33]
	v_lshl_add_u64 v[34:35], v[24:25], 0, v[16:17]
	s_waitcnt vmcnt(0) lgkmcnt(0)
	v_mul_f64 v[32:33], v[32:33], s[10:11]
	v_cvt_f32_f64_e32 v29, v[32:33]
	v_min_f32_e32 v28, v29, v28
	v_cvt_f64_f32_e32 v[28:29], v28
	global_store_dwordx2 v[34:35], v[28:29], off
	v_lshl_add_u64 v[28:29], v[2:3], 3, v[26:27]
	flat_load_dwordx2 v[28:29], v[28:29]
	s_waitcnt vmcnt(0) lgkmcnt(0)
	v_mul_f64 v[28:29], v[28:29], s[10:11]
.LBB176_100:
	v_cvt_f32_f64_e32 v28, v[28:29]
	v_max_f32_e32 v29, v122, v122
	v_min_f32_e32 v28, v28, v29
	v_cvt_f64_f32_e32 v[28:29], v28
	v_lshl_add_u64 v[32:33], v[2:3], 3, v[24:25]
	global_store_dwordx2 v[32:33], v[28:29], off
	v_max_f32_e32 v28, v121, v121
	s_mov_b64 vcc, s[6:7]
	s_cbranch_vccz .LBB176_103
; %bb.101:
	v_min_f32_e32 v29, 0, v28
	v_cvt_f64_f32_e32 v[32:33], v29
	v_lshl_add_u64 v[34:35], v[14:15], 3, v[24:25]
	global_store_dwordx2 v[34:35], v[32:33], off
	s_mov_b64 s[2:3], 0
	s_cbranch_execz .LBB176_104
; %bb.102:
	v_mov_b64_e32 v[28:29], s[2:3]
	s_branch .LBB176_105
.LBB176_103:
                                        ; implicit-def: $sgpr2_sgpr3
.LBB176_104:
	v_lshl_add_u64 v[32:33], v[26:27], 0, v[20:21]
	flat_load_dwordx2 v[32:33], v[32:33]
	v_lshl_add_u64 v[34:35], v[24:25], 0, v[20:21]
	s_waitcnt vmcnt(0) lgkmcnt(0)
	v_mul_f64 v[32:33], v[32:33], s[10:11]
	v_cvt_f32_f64_e32 v29, v[32:33]
	v_min_f32_e32 v28, v29, v28
	v_cvt_f64_f32_e32 v[28:29], v28
	global_store_dwordx2 v[34:35], v[28:29], off
	v_lshl_add_u64 v[28:29], v[4:5], 3, v[26:27]
	flat_load_dwordx2 v[28:29], v[28:29]
	s_waitcnt vmcnt(0) lgkmcnt(0)
	v_mul_f64 v[28:29], v[28:29], s[10:11]
.LBB176_105:
	v_cvt_f32_f64_e32 v28, v[28:29]
	v_max_f32_e32 v29, v120, v120
	v_min_f32_e32 v28, v28, v29
	v_cvt_f64_f32_e32 v[28:29], v28
	v_lshl_add_u64 v[32:33], v[4:5], 3, v[24:25]
	global_store_dwordx2 v[32:33], v[28:29], off
	v_max_f32_e32 v28, v119, v119
	s_mov_b64 vcc, s[6:7]
	s_cbranch_vccz .LBB176_108
; %bb.106:
	v_min_f32_e32 v29, 0, v28
	v_cvt_f64_f32_e32 v[32:33], v29
	v_lshl_add_u64 v[34:35], v[18:19], 3, v[24:25]
	global_store_dwordx2 v[34:35], v[32:33], off
	s_mov_b64 s[2:3], 0
	s_cbranch_execz .LBB176_109
; %bb.107:
	v_mov_b64_e32 v[26:27], s[2:3]
	s_branch .LBB176_110
.LBB176_108:
                                        ; implicit-def: $sgpr2_sgpr3
.LBB176_109:
	v_lshl_add_u64 v[32:33], v[26:27], 0, v[22:23]
	flat_load_dwordx2 v[32:33], v[32:33]
	v_lshl_add_u64 v[34:35], v[24:25], 0, v[22:23]
	v_lshl_add_u64 v[26:27], v[6:7], 3, v[26:27]
	s_waitcnt vmcnt(0) lgkmcnt(0)
	v_mul_f64 v[32:33], v[32:33], s[10:11]
	v_cvt_f32_f64_e32 v29, v[32:33]
	v_min_f32_e32 v28, v29, v28
	v_cvt_f64_f32_e32 v[28:29], v28
	global_store_dwordx2 v[34:35], v[28:29], off
	flat_load_dwordx2 v[26:27], v[26:27]
	s_waitcnt vmcnt(0) lgkmcnt(0)
	v_mul_f64 v[26:27], v[26:27], s[10:11]
.LBB176_110:
	v_cvt_f32_f64_e32 v26, v[26:27]
	v_max_f32_e32 v27, v118, v118
	v_min_f32_e32 v26, v26, v27
	v_cvt_f64_f32_e32 v[26:27], v26
	v_lshl_add_u64 v[24:25], v[6:7], 3, v[24:25]
	global_store_dwordx2 v[24:25], v[26:27], off
	v_add_u32_e32 v26, 0x60, v30
	v_mad_i64_i32 v[24:25], s[2:3], v26, s13, 0
	v_lshl_add_u64 v[24:25], v[24:25], 3, s[0:1]
	v_mad_i64_i32 v[26:27], s[2:3], v26, s12, 0
	v_max_f32_e32 v28, v117, v117
	s_mov_b64 vcc, s[6:7]
	s_cbranch_vccz .LBB176_113
; %bb.111:
	v_min_f32_e32 v29, 0, v28
	v_cvt_f64_f32_e32 v[32:33], v29
	v_lshl_add_u64 v[34:35], v[8:9], 3, v[24:25]
	global_store_dwordx2 v[34:35], v[32:33], off
	s_mov_b64 s[2:3], 0
	v_lshl_add_u64 v[26:27], v[26:27], 3, s[8:9]
	s_cbranch_execz .LBB176_114
; %bb.112:
	v_mov_b64_e32 v[28:29], s[2:3]
	s_branch .LBB176_115
.LBB176_113:
                                        ; implicit-def: $sgpr2_sgpr3
	v_lshl_add_u64 v[26:27], v[26:27], 3, s[8:9]
.LBB176_114:
	v_lshl_add_u64 v[32:33], v[26:27], 0, v[12:13]
	flat_load_dwordx2 v[32:33], v[32:33]
	v_lshl_add_u64 v[34:35], v[24:25], 0, v[12:13]
	s_waitcnt vmcnt(0) lgkmcnt(0)
	v_mul_f64 v[32:33], v[32:33], s[10:11]
	v_cvt_f32_f64_e32 v29, v[32:33]
	v_min_f32_e32 v28, v29, v28
	v_cvt_f64_f32_e32 v[28:29], v28
	global_store_dwordx2 v[34:35], v[28:29], off
	v_lshl_add_u64 v[28:29], v[0:1], 3, v[26:27]
	flat_load_dwordx2 v[28:29], v[28:29]
	s_waitcnt vmcnt(0) lgkmcnt(0)
	v_mul_f64 v[28:29], v[28:29], s[10:11]
.LBB176_115:
	v_cvt_f32_f64_e32 v28, v[28:29]
	v_max_f32_e32 v29, v116, v116
	v_min_f32_e32 v28, v28, v29
	v_cvt_f64_f32_e32 v[28:29], v28
	v_lshl_add_u64 v[32:33], v[0:1], 3, v[24:25]
	global_store_dwordx2 v[32:33], v[28:29], off
	v_max_f32_e32 v28, v115, v115
	s_mov_b64 vcc, s[6:7]
	s_cbranch_vccz .LBB176_118
; %bb.116:
	v_min_f32_e32 v29, 0, v28
	v_cvt_f64_f32_e32 v[32:33], v29
	v_lshl_add_u64 v[34:35], v[10:11], 3, v[24:25]
	global_store_dwordx2 v[34:35], v[32:33], off
	s_mov_b64 s[2:3], 0
	s_cbranch_execz .LBB176_119
; %bb.117:
	v_mov_b64_e32 v[28:29], s[2:3]
	s_branch .LBB176_120
.LBB176_118:
                                        ; implicit-def: $sgpr2_sgpr3
.LBB176_119:
	v_lshl_add_u64 v[32:33], v[26:27], 0, v[16:17]
	flat_load_dwordx2 v[32:33], v[32:33]
	v_lshl_add_u64 v[34:35], v[24:25], 0, v[16:17]
	s_waitcnt vmcnt(0) lgkmcnt(0)
	v_mul_f64 v[32:33], v[32:33], s[10:11]
	v_cvt_f32_f64_e32 v29, v[32:33]
	v_min_f32_e32 v28, v29, v28
	v_cvt_f64_f32_e32 v[28:29], v28
	global_store_dwordx2 v[34:35], v[28:29], off
	v_lshl_add_u64 v[28:29], v[2:3], 3, v[26:27]
	flat_load_dwordx2 v[28:29], v[28:29]
	s_waitcnt vmcnt(0) lgkmcnt(0)
	v_mul_f64 v[28:29], v[28:29], s[10:11]
.LBB176_120:
	v_cvt_f32_f64_e32 v28, v[28:29]
	v_max_f32_e32 v29, v114, v114
	v_min_f32_e32 v28, v28, v29
	v_cvt_f64_f32_e32 v[28:29], v28
	v_lshl_add_u64 v[32:33], v[2:3], 3, v[24:25]
	global_store_dwordx2 v[32:33], v[28:29], off
	v_max_f32_e32 v28, v113, v113
	s_mov_b64 vcc, s[6:7]
	s_cbranch_vccz .LBB176_123
; %bb.121:
	v_min_f32_e32 v29, 0, v28
	v_cvt_f64_f32_e32 v[32:33], v29
	v_lshl_add_u64 v[34:35], v[14:15], 3, v[24:25]
	global_store_dwordx2 v[34:35], v[32:33], off
	s_mov_b64 s[2:3], 0
	s_cbranch_execz .LBB176_124
; %bb.122:
	v_mov_b64_e32 v[28:29], s[2:3]
	s_branch .LBB176_125
.LBB176_123:
                                        ; implicit-def: $sgpr2_sgpr3
.LBB176_124:
	v_lshl_add_u64 v[32:33], v[26:27], 0, v[20:21]
	flat_load_dwordx2 v[32:33], v[32:33]
	v_lshl_add_u64 v[34:35], v[24:25], 0, v[20:21]
	s_waitcnt vmcnt(0) lgkmcnt(0)
	v_mul_f64 v[32:33], v[32:33], s[10:11]
	v_cvt_f32_f64_e32 v29, v[32:33]
	v_min_f32_e32 v28, v29, v28
	v_cvt_f64_f32_e32 v[28:29], v28
	global_store_dwordx2 v[34:35], v[28:29], off
	v_lshl_add_u64 v[28:29], v[4:5], 3, v[26:27]
	flat_load_dwordx2 v[28:29], v[28:29]
	s_waitcnt vmcnt(0) lgkmcnt(0)
	v_mul_f64 v[28:29], v[28:29], s[10:11]
.LBB176_125:
	v_cvt_f32_f64_e32 v28, v[28:29]
	v_max_f32_e32 v29, v112, v112
	v_min_f32_e32 v28, v28, v29
	v_cvt_f64_f32_e32 v[28:29], v28
	v_lshl_add_u64 v[32:33], v[4:5], 3, v[24:25]
	global_store_dwordx2 v[32:33], v[28:29], off
	v_max_f32_e32 v28, v111, v111
	s_mov_b64 vcc, s[6:7]
	s_cbranch_vccz .LBB176_128
; %bb.126:
	v_min_f32_e32 v29, 0, v28
	v_cvt_f64_f32_e32 v[32:33], v29
	v_lshl_add_u64 v[34:35], v[18:19], 3, v[24:25]
	global_store_dwordx2 v[34:35], v[32:33], off
	s_mov_b64 s[2:3], 0
	s_cbranch_execz .LBB176_129
; %bb.127:
	v_mov_b64_e32 v[26:27], s[2:3]
	s_branch .LBB176_130
.LBB176_128:
                                        ; implicit-def: $sgpr2_sgpr3
.LBB176_129:
	v_lshl_add_u64 v[32:33], v[26:27], 0, v[22:23]
	flat_load_dwordx2 v[32:33], v[32:33]
	v_lshl_add_u64 v[34:35], v[24:25], 0, v[22:23]
	v_lshl_add_u64 v[26:27], v[6:7], 3, v[26:27]
	s_waitcnt vmcnt(0) lgkmcnt(0)
	v_mul_f64 v[32:33], v[32:33], s[10:11]
	v_cvt_f32_f64_e32 v29, v[32:33]
	v_min_f32_e32 v28, v29, v28
	v_cvt_f64_f32_e32 v[28:29], v28
	global_store_dwordx2 v[34:35], v[28:29], off
	flat_load_dwordx2 v[26:27], v[26:27]
	s_waitcnt vmcnt(0) lgkmcnt(0)
	v_mul_f64 v[26:27], v[26:27], s[10:11]
.LBB176_130:
	v_cvt_f32_f64_e32 v26, v[26:27]
	v_max_f32_e32 v27, v110, v110
	v_min_f32_e32 v26, v26, v27
	v_cvt_f64_f32_e32 v[26:27], v26
	v_lshl_add_u64 v[24:25], v[6:7], 3, v[24:25]
	global_store_dwordx2 v[24:25], v[26:27], off
	v_add_u32_e32 v26, 0x80, v30
	v_mad_i64_i32 v[24:25], s[2:3], v26, s13, 0
	v_lshl_add_u64 v[24:25], v[24:25], 3, s[0:1]
	v_mad_i64_i32 v[26:27], s[2:3], v26, s12, 0
	v_max_f32_e32 v28, v109, v109
	s_mov_b64 vcc, s[6:7]
	s_cbranch_vccz .LBB176_133
; %bb.131:
	v_min_f32_e32 v29, 0, v28
	v_cvt_f64_f32_e32 v[32:33], v29
	v_lshl_add_u64 v[34:35], v[8:9], 3, v[24:25]
	global_store_dwordx2 v[34:35], v[32:33], off
	s_mov_b64 s[2:3], 0
	v_lshl_add_u64 v[26:27], v[26:27], 3, s[8:9]
	s_cbranch_execz .LBB176_134
; %bb.132:
	v_mov_b64_e32 v[28:29], s[2:3]
	s_branch .LBB176_135
.LBB176_133:
                                        ; implicit-def: $sgpr2_sgpr3
	v_lshl_add_u64 v[26:27], v[26:27], 3, s[8:9]
.LBB176_134:
	v_lshl_add_u64 v[32:33], v[26:27], 0, v[12:13]
	flat_load_dwordx2 v[32:33], v[32:33]
	v_lshl_add_u64 v[34:35], v[24:25], 0, v[12:13]
	s_waitcnt vmcnt(0) lgkmcnt(0)
	v_mul_f64 v[32:33], v[32:33], s[10:11]
	v_cvt_f32_f64_e32 v29, v[32:33]
	v_min_f32_e32 v28, v29, v28
	v_cvt_f64_f32_e32 v[28:29], v28
	global_store_dwordx2 v[34:35], v[28:29], off
	v_lshl_add_u64 v[28:29], v[0:1], 3, v[26:27]
	flat_load_dwordx2 v[28:29], v[28:29]
	s_waitcnt vmcnt(0) lgkmcnt(0)
	v_mul_f64 v[28:29], v[28:29], s[10:11]
.LBB176_135:
	v_cvt_f32_f64_e32 v28, v[28:29]
	v_max_f32_e32 v29, v108, v108
	v_min_f32_e32 v28, v28, v29
	v_cvt_f64_f32_e32 v[28:29], v28
	v_lshl_add_u64 v[32:33], v[0:1], 3, v[24:25]
	global_store_dwordx2 v[32:33], v[28:29], off
	v_max_f32_e32 v28, v107, v107
	s_mov_b64 vcc, s[6:7]
	s_cbranch_vccz .LBB176_138
; %bb.136:
	v_min_f32_e32 v29, 0, v28
	v_cvt_f64_f32_e32 v[32:33], v29
	v_lshl_add_u64 v[34:35], v[10:11], 3, v[24:25]
	global_store_dwordx2 v[34:35], v[32:33], off
	s_mov_b64 s[2:3], 0
	s_cbranch_execz .LBB176_139
; %bb.137:
	v_mov_b64_e32 v[28:29], s[2:3]
	s_branch .LBB176_140
.LBB176_138:
                                        ; implicit-def: $sgpr2_sgpr3
.LBB176_139:
	v_lshl_add_u64 v[32:33], v[26:27], 0, v[16:17]
	flat_load_dwordx2 v[32:33], v[32:33]
	v_lshl_add_u64 v[34:35], v[24:25], 0, v[16:17]
	s_waitcnt vmcnt(0) lgkmcnt(0)
	v_mul_f64 v[32:33], v[32:33], s[10:11]
	v_cvt_f32_f64_e32 v29, v[32:33]
	v_min_f32_e32 v28, v29, v28
	v_cvt_f64_f32_e32 v[28:29], v28
	global_store_dwordx2 v[34:35], v[28:29], off
	v_lshl_add_u64 v[28:29], v[2:3], 3, v[26:27]
	flat_load_dwordx2 v[28:29], v[28:29]
	s_waitcnt vmcnt(0) lgkmcnt(0)
	v_mul_f64 v[28:29], v[28:29], s[10:11]
.LBB176_140:
	v_cvt_f32_f64_e32 v28, v[28:29]
	v_max_f32_e32 v29, v106, v106
	v_min_f32_e32 v28, v28, v29
	v_cvt_f64_f32_e32 v[28:29], v28
	v_lshl_add_u64 v[32:33], v[2:3], 3, v[24:25]
	global_store_dwordx2 v[32:33], v[28:29], off
	v_max_f32_e32 v28, v105, v105
	s_mov_b64 vcc, s[6:7]
	s_cbranch_vccz .LBB176_143
; %bb.141:
	v_min_f32_e32 v29, 0, v28
	v_cvt_f64_f32_e32 v[32:33], v29
	v_lshl_add_u64 v[34:35], v[14:15], 3, v[24:25]
	global_store_dwordx2 v[34:35], v[32:33], off
	s_mov_b64 s[2:3], 0
	s_cbranch_execz .LBB176_144
; %bb.142:
	v_mov_b64_e32 v[28:29], s[2:3]
	s_branch .LBB176_145
.LBB176_143:
                                        ; implicit-def: $sgpr2_sgpr3
.LBB176_144:
	v_lshl_add_u64 v[32:33], v[26:27], 0, v[20:21]
	flat_load_dwordx2 v[32:33], v[32:33]
	v_lshl_add_u64 v[34:35], v[24:25], 0, v[20:21]
	s_waitcnt vmcnt(0) lgkmcnt(0)
	v_mul_f64 v[32:33], v[32:33], s[10:11]
	v_cvt_f32_f64_e32 v29, v[32:33]
	v_min_f32_e32 v28, v29, v28
	v_cvt_f64_f32_e32 v[28:29], v28
	global_store_dwordx2 v[34:35], v[28:29], off
	v_lshl_add_u64 v[28:29], v[4:5], 3, v[26:27]
	flat_load_dwordx2 v[28:29], v[28:29]
	s_waitcnt vmcnt(0) lgkmcnt(0)
	v_mul_f64 v[28:29], v[28:29], s[10:11]
.LBB176_145:
	v_cvt_f32_f64_e32 v28, v[28:29]
	v_max_f32_e32 v29, v104, v104
	v_min_f32_e32 v28, v28, v29
	v_cvt_f64_f32_e32 v[28:29], v28
	v_lshl_add_u64 v[32:33], v[4:5], 3, v[24:25]
	global_store_dwordx2 v[32:33], v[28:29], off
	v_max_f32_e32 v28, v103, v103
	s_mov_b64 vcc, s[6:7]
	s_cbranch_vccz .LBB176_148
; %bb.146:
	v_min_f32_e32 v29, 0, v28
	v_cvt_f64_f32_e32 v[32:33], v29
	v_lshl_add_u64 v[34:35], v[18:19], 3, v[24:25]
	global_store_dwordx2 v[34:35], v[32:33], off
	s_mov_b64 s[2:3], 0
	s_cbranch_execz .LBB176_149
; %bb.147:
	v_mov_b64_e32 v[26:27], s[2:3]
	s_branch .LBB176_150
.LBB176_148:
                                        ; implicit-def: $sgpr2_sgpr3
.LBB176_149:
	v_lshl_add_u64 v[32:33], v[26:27], 0, v[22:23]
	flat_load_dwordx2 v[32:33], v[32:33]
	v_lshl_add_u64 v[34:35], v[24:25], 0, v[22:23]
	v_lshl_add_u64 v[26:27], v[6:7], 3, v[26:27]
	s_waitcnt vmcnt(0) lgkmcnt(0)
	v_mul_f64 v[32:33], v[32:33], s[10:11]
	v_cvt_f32_f64_e32 v29, v[32:33]
	v_min_f32_e32 v28, v29, v28
	v_cvt_f64_f32_e32 v[28:29], v28
	global_store_dwordx2 v[34:35], v[28:29], off
	flat_load_dwordx2 v[26:27], v[26:27]
	s_waitcnt vmcnt(0) lgkmcnt(0)
	v_mul_f64 v[26:27], v[26:27], s[10:11]
.LBB176_150:
	v_cvt_f32_f64_e32 v26, v[26:27]
	v_max_f32_e32 v27, v102, v102
	v_min_f32_e32 v26, v26, v27
	v_cvt_f64_f32_e32 v[26:27], v26
	v_lshl_add_u64 v[24:25], v[6:7], 3, v[24:25]
	global_store_dwordx2 v[24:25], v[26:27], off
	v_add_u32_e32 v26, 0xa0, v30
	v_mad_i64_i32 v[24:25], s[2:3], v26, s13, 0
	v_lshl_add_u64 v[24:25], v[24:25], 3, s[0:1]
	v_mad_i64_i32 v[26:27], s[2:3], v26, s12, 0
	v_max_f32_e32 v28, v101, v101
	s_mov_b64 vcc, s[6:7]
	s_cbranch_vccz .LBB176_153
; %bb.151:
	v_min_f32_e32 v29, 0, v28
	v_cvt_f64_f32_e32 v[32:33], v29
	v_lshl_add_u64 v[34:35], v[8:9], 3, v[24:25]
	global_store_dwordx2 v[34:35], v[32:33], off
	s_mov_b64 s[2:3], 0
	v_lshl_add_u64 v[26:27], v[26:27], 3, s[8:9]
	s_cbranch_execz .LBB176_154
; %bb.152:
	v_mov_b64_e32 v[28:29], s[2:3]
	s_branch .LBB176_155
.LBB176_153:
                                        ; implicit-def: $sgpr2_sgpr3
	v_lshl_add_u64 v[26:27], v[26:27], 3, s[8:9]
.LBB176_154:
	v_lshl_add_u64 v[32:33], v[26:27], 0, v[12:13]
	flat_load_dwordx2 v[32:33], v[32:33]
	v_lshl_add_u64 v[34:35], v[24:25], 0, v[12:13]
	s_waitcnt vmcnt(0) lgkmcnt(0)
	v_mul_f64 v[32:33], v[32:33], s[10:11]
	v_cvt_f32_f64_e32 v29, v[32:33]
	v_min_f32_e32 v28, v29, v28
	v_cvt_f64_f32_e32 v[28:29], v28
	global_store_dwordx2 v[34:35], v[28:29], off
	v_lshl_add_u64 v[28:29], v[0:1], 3, v[26:27]
	flat_load_dwordx2 v[28:29], v[28:29]
	s_waitcnt vmcnt(0) lgkmcnt(0)
	v_mul_f64 v[28:29], v[28:29], s[10:11]
.LBB176_155:
	v_cvt_f32_f64_e32 v28, v[28:29]
	v_max_f32_e32 v29, v100, v100
	v_min_f32_e32 v28, v28, v29
	v_cvt_f64_f32_e32 v[28:29], v28
	v_lshl_add_u64 v[32:33], v[0:1], 3, v[24:25]
	global_store_dwordx2 v[32:33], v[28:29], off
	v_max_f32_e32 v28, v99, v99
	s_mov_b64 vcc, s[6:7]
	s_cbranch_vccz .LBB176_158
; %bb.156:
	v_min_f32_e32 v29, 0, v28
	v_cvt_f64_f32_e32 v[32:33], v29
	v_lshl_add_u64 v[34:35], v[10:11], 3, v[24:25]
	s_mov_b32 s4, 0
	global_store_dwordx2 v[34:35], v[32:33], off
	s_cbranch_execz .LBB176_159
; %bb.157:
	v_mov_b32_e32 v28, s4
	s_branch .LBB176_160
.LBB176_158:
                                        ; implicit-def: $sgpr4
.LBB176_159:
	v_lshl_add_u64 v[32:33], v[26:27], 0, v[16:17]
	flat_load_dwordx2 v[32:33], v[32:33]
	v_lshl_add_u64 v[34:35], v[24:25], 0, v[16:17]
	s_waitcnt vmcnt(0) lgkmcnt(0)
	v_mul_f64 v[32:33], v[32:33], s[10:11]
	v_cvt_f32_f64_e32 v29, v[32:33]
	v_min_f32_e32 v28, v29, v28
	v_cvt_f64_f32_e32 v[28:29], v28
	global_store_dwordx2 v[34:35], v[28:29], off
	v_lshl_add_u64 v[28:29], v[2:3], 3, v[26:27]
	flat_load_dwordx2 v[28:29], v[28:29]
	s_waitcnt vmcnt(0) lgkmcnt(0)
	v_mul_f64 v[28:29], v[28:29], s[10:11]
	v_cvt_f32_f64_e32 v28, v[28:29]
.LBB176_160:
	v_max_f32_e32 v29, v98, v98
	v_max_f32_e32 v28, v28, v28
	v_min_f32_e32 v28, v28, v29
	v_cvt_f64_f32_e32 v[28:29], v28
	v_lshl_add_u64 v[32:33], v[2:3], 3, v[24:25]
	global_store_dwordx2 v[32:33], v[28:29], off
	v_max_f32_e32 v28, v97, v97
	s_mov_b64 vcc, s[6:7]
	s_cbranch_vccz .LBB176_163
; %bb.161:
	v_min_f32_e32 v29, 0, v28
	v_cvt_f64_f32_e32 v[32:33], v29
	v_lshl_add_u64 v[34:35], v[14:15], 3, v[24:25]
	s_mov_b32 s4, 0
	global_store_dwordx2 v[34:35], v[32:33], off
	s_cbranch_execz .LBB176_164
; %bb.162:
	v_mov_b32_e32 v28, s4
	s_branch .LBB176_165
.LBB176_163:
                                        ; implicit-def: $sgpr4
.LBB176_164:
	v_lshl_add_u64 v[32:33], v[26:27], 0, v[20:21]
	flat_load_dwordx2 v[32:33], v[32:33]
	v_lshl_add_u64 v[34:35], v[24:25], 0, v[20:21]
	s_waitcnt vmcnt(0) lgkmcnt(0)
	v_mul_f64 v[32:33], v[32:33], s[10:11]
	v_cvt_f32_f64_e32 v29, v[32:33]
	v_min_f32_e32 v28, v29, v28
	v_cvt_f64_f32_e32 v[28:29], v28
	global_store_dwordx2 v[34:35], v[28:29], off
	v_lshl_add_u64 v[28:29], v[4:5], 3, v[26:27]
	flat_load_dwordx2 v[28:29], v[28:29]
	s_waitcnt vmcnt(0) lgkmcnt(0)
	v_mul_f64 v[28:29], v[28:29], s[10:11]
	v_cvt_f32_f64_e32 v28, v[28:29]
.LBB176_165:
	v_max_f32_e32 v29, v96, v96
	v_max_f32_e32 v28, v28, v28
	v_min_f32_e32 v28, v28, v29
	v_cvt_f64_f32_e32 v[28:29], v28
	v_lshl_add_u64 v[32:33], v[4:5], 3, v[24:25]
	global_store_dwordx2 v[32:33], v[28:29], off
	v_max_f32_e32 v28, v95, v95
	s_mov_b64 vcc, s[6:7]
	s_cbranch_vccz .LBB176_168
; %bb.166:
	v_min_f32_e32 v29, 0, v28
	v_cvt_f64_f32_e32 v[32:33], v29
	v_lshl_add_u64 v[34:35], v[18:19], 3, v[24:25]
	s_mov_b32 s4, 0
	global_store_dwordx2 v[34:35], v[32:33], off
	s_cbranch_execz .LBB176_169
; %bb.167:
	v_mov_b32_e32 v26, s4
	s_branch .LBB176_170
.LBB176_168:
                                        ; implicit-def: $sgpr4
.LBB176_169:
	v_lshl_add_u64 v[32:33], v[26:27], 0, v[22:23]
	flat_load_dwordx2 v[32:33], v[32:33]
	v_lshl_add_u64 v[34:35], v[24:25], 0, v[22:23]
	v_lshl_add_u64 v[26:27], v[6:7], 3, v[26:27]
	s_waitcnt vmcnt(0) lgkmcnt(0)
	v_mul_f64 v[32:33], v[32:33], s[10:11]
	v_cvt_f32_f64_e32 v29, v[32:33]
	v_min_f32_e32 v28, v29, v28
	v_cvt_f64_f32_e32 v[28:29], v28
	global_store_dwordx2 v[34:35], v[28:29], off
	flat_load_dwordx2 v[26:27], v[26:27]
	s_waitcnt vmcnt(0) lgkmcnt(0)
	v_mul_f64 v[26:27], v[26:27], s[10:11]
	v_cvt_f32_f64_e32 v26, v[26:27]
.LBB176_170:
	v_max_f32_e32 v27, v94, v94
	v_max_f32_e32 v26, v26, v26
	v_min_f32_e32 v26, v26, v27
	v_cvt_f64_f32_e32 v[26:27], v26
	v_lshl_add_u64 v[24:25], v[6:7], 3, v[24:25]
	global_store_dwordx2 v[24:25], v[26:27], off
	v_add_u32_e32 v26, 0xc0, v30
	v_mad_i64_i32 v[24:25], s[2:3], v26, s13, 0
	v_lshl_add_u64 v[24:25], v[24:25], 3, s[0:1]
	v_mad_i64_i32 v[26:27], s[2:3], v26, s12, 0
	v_max_f32_e32 v28, v93, v93
	s_mov_b64 vcc, s[6:7]
	s_cbranch_vccz .LBB176_173
; %bb.171:
	v_min_f32_e32 v29, 0, v28
	v_cvt_f64_f32_e32 v[32:33], v29
	v_lshl_add_u64 v[34:35], v[8:9], 3, v[24:25]
	s_mov_b32 s4, 0
	global_store_dwordx2 v[34:35], v[32:33], off
	v_lshl_add_u64 v[26:27], v[26:27], 3, s[8:9]
	s_cbranch_execz .LBB176_174
; %bb.172:
	v_mov_b32_e32 v28, s4
	s_branch .LBB176_175
.LBB176_173:
                                        ; implicit-def: $sgpr4
	v_lshl_add_u64 v[26:27], v[26:27], 3, s[8:9]
.LBB176_174:
	v_lshl_add_u64 v[32:33], v[26:27], 0, v[12:13]
	flat_load_dwordx2 v[32:33], v[32:33]
	v_lshl_add_u64 v[34:35], v[24:25], 0, v[12:13]
	s_waitcnt vmcnt(0) lgkmcnt(0)
	v_mul_f64 v[32:33], v[32:33], s[10:11]
	v_cvt_f32_f64_e32 v29, v[32:33]
	v_min_f32_e32 v28, v29, v28
	v_cvt_f64_f32_e32 v[28:29], v28
	global_store_dwordx2 v[34:35], v[28:29], off
	v_lshl_add_u64 v[28:29], v[0:1], 3, v[26:27]
	flat_load_dwordx2 v[28:29], v[28:29]
	s_waitcnt vmcnt(0) lgkmcnt(0)
	v_mul_f64 v[28:29], v[28:29], s[10:11]
	v_cvt_f32_f64_e32 v28, v[28:29]
.LBB176_175:
	v_max_f32_e32 v29, v92, v92
	v_max_f32_e32 v28, v28, v28
	v_min_f32_e32 v28, v28, v29
	v_cvt_f64_f32_e32 v[28:29], v28
	v_lshl_add_u64 v[32:33], v[0:1], 3, v[24:25]
	global_store_dwordx2 v[32:33], v[28:29], off
	v_max_f32_e32 v28, v91, v91
	s_mov_b64 vcc, s[6:7]
	s_cbranch_vccz .LBB176_178
; %bb.176:
	v_min_f32_e32 v29, 0, v28
	v_cvt_f64_f32_e32 v[32:33], v29
	v_lshl_add_u64 v[34:35], v[10:11], 3, v[24:25]
	s_mov_b32 s4, 0
	global_store_dwordx2 v[34:35], v[32:33], off
	s_cbranch_execz .LBB176_179
; %bb.177:
	v_mov_b32_e32 v28, s4
	s_branch .LBB176_180
.LBB176_178:
                                        ; implicit-def: $sgpr4
.LBB176_179:
	v_lshl_add_u64 v[32:33], v[26:27], 0, v[16:17]
	flat_load_dwordx2 v[32:33], v[32:33]
	v_lshl_add_u64 v[34:35], v[24:25], 0, v[16:17]
	s_waitcnt vmcnt(0) lgkmcnt(0)
	v_mul_f64 v[32:33], v[32:33], s[10:11]
	v_cvt_f32_f64_e32 v29, v[32:33]
	v_min_f32_e32 v28, v29, v28
	v_cvt_f64_f32_e32 v[28:29], v28
	global_store_dwordx2 v[34:35], v[28:29], off
	v_lshl_add_u64 v[28:29], v[2:3], 3, v[26:27]
	flat_load_dwordx2 v[28:29], v[28:29]
	s_waitcnt vmcnt(0) lgkmcnt(0)
	v_mul_f64 v[28:29], v[28:29], s[10:11]
	v_cvt_f32_f64_e32 v28, v[28:29]
.LBB176_180:
	v_max_f32_e32 v29, v90, v90
	v_max_f32_e32 v28, v28, v28
	v_min_f32_e32 v28, v28, v29
	v_cvt_f64_f32_e32 v[28:29], v28
	v_lshl_add_u64 v[32:33], v[2:3], 3, v[24:25]
	global_store_dwordx2 v[32:33], v[28:29], off
	v_max_f32_e32 v28, v89, v89
	s_mov_b64 vcc, s[6:7]
	s_cbranch_vccz .LBB176_183
; %bb.181:
	v_min_f32_e32 v29, 0, v28
	v_cvt_f64_f32_e32 v[32:33], v29
	v_lshl_add_u64 v[34:35], v[14:15], 3, v[24:25]
	s_mov_b32 s4, 0
	global_store_dwordx2 v[34:35], v[32:33], off
	s_cbranch_execz .LBB176_184
; %bb.182:
	v_mov_b32_e32 v28, s4
	s_branch .LBB176_185
.LBB176_183:
                                        ; implicit-def: $sgpr4
.LBB176_184:
	v_lshl_add_u64 v[32:33], v[26:27], 0, v[20:21]
	flat_load_dwordx2 v[32:33], v[32:33]
	v_lshl_add_u64 v[34:35], v[24:25], 0, v[20:21]
	s_waitcnt vmcnt(0) lgkmcnt(0)
	v_mul_f64 v[32:33], v[32:33], s[10:11]
	v_cvt_f32_f64_e32 v29, v[32:33]
	v_min_f32_e32 v28, v29, v28
	v_cvt_f64_f32_e32 v[28:29], v28
	global_store_dwordx2 v[34:35], v[28:29], off
	v_lshl_add_u64 v[28:29], v[4:5], 3, v[26:27]
	flat_load_dwordx2 v[28:29], v[28:29]
	s_waitcnt vmcnt(0) lgkmcnt(0)
	v_mul_f64 v[28:29], v[28:29], s[10:11]
	v_cvt_f32_f64_e32 v28, v[28:29]
.LBB176_185:
	v_max_f32_e32 v29, v88, v88
	v_max_f32_e32 v28, v28, v28
	v_min_f32_e32 v28, v28, v29
	v_cvt_f64_f32_e32 v[28:29], v28
	v_lshl_add_u64 v[32:33], v[4:5], 3, v[24:25]
	global_store_dwordx2 v[32:33], v[28:29], off
	v_max_f32_e32 v28, v87, v87
	s_mov_b64 vcc, s[6:7]
	s_cbranch_vccz .LBB176_188
; %bb.186:
	v_min_f32_e32 v29, 0, v28
	v_cvt_f64_f32_e32 v[32:33], v29
	v_lshl_add_u64 v[34:35], v[18:19], 3, v[24:25]
	s_mov_b32 s4, 0
	global_store_dwordx2 v[34:35], v[32:33], off
	s_cbranch_execz .LBB176_189
; %bb.187:
	v_mov_b32_e32 v26, s4
	s_branch .LBB176_190
.LBB176_188:
                                        ; implicit-def: $sgpr4
.LBB176_189:
	v_lshl_add_u64 v[32:33], v[26:27], 0, v[22:23]
	flat_load_dwordx2 v[32:33], v[32:33]
	v_lshl_add_u64 v[34:35], v[24:25], 0, v[22:23]
	v_lshl_add_u64 v[26:27], v[6:7], 3, v[26:27]
	s_waitcnt vmcnt(0) lgkmcnt(0)
	v_mul_f64 v[32:33], v[32:33], s[10:11]
	v_cvt_f32_f64_e32 v29, v[32:33]
	v_min_f32_e32 v28, v29, v28
	v_cvt_f64_f32_e32 v[28:29], v28
	global_store_dwordx2 v[34:35], v[28:29], off
	flat_load_dwordx2 v[26:27], v[26:27]
	s_waitcnt vmcnt(0) lgkmcnt(0)
	v_mul_f64 v[26:27], v[26:27], s[10:11]
	v_cvt_f32_f64_e32 v26, v[26:27]
.LBB176_190:
	v_max_f32_e32 v27, v86, v86
	v_max_f32_e32 v26, v26, v26
	v_min_f32_e32 v26, v26, v27
	v_cvt_f64_f32_e32 v[26:27], v26
	v_lshl_add_u64 v[24:25], v[6:7], 3, v[24:25]
	global_store_dwordx2 v[24:25], v[26:27], off
	v_add_u32_e32 v26, 0xe0, v30
	v_mad_i64_i32 v[24:25], s[2:3], v26, s13, 0
	v_lshl_add_u64 v[24:25], v[24:25], 3, s[0:1]
	v_mad_i64_i32 v[26:27], s[0:1], v26, s12, 0
	v_max_f32_e32 v28, v85, v85
	s_mov_b64 vcc, s[6:7]
	s_cbranch_vccz .LBB176_193
; %bb.191:
	v_min_f32_e32 v29, 0, v28
	v_cvt_f64_f32_e32 v[30:31], v29
	v_lshl_add_u64 v[8:9], v[8:9], 3, v[24:25]
	s_mov_b32 s2, 0
	global_store_dwordx2 v[8:9], v[30:31], off
	v_lshl_add_u64 v[8:9], v[26:27], 3, s[8:9]
	s_cbranch_execz .LBB176_194
; %bb.192:
	v_mov_b32_e32 v12, s2
	s_branch .LBB176_195
.LBB176_193:
                                        ; implicit-def: $sgpr2
	v_lshl_add_u64 v[8:9], v[26:27], 3, s[8:9]
.LBB176_194:
	v_lshl_add_u64 v[26:27], v[8:9], 0, v[12:13]
	flat_load_dwordx2 v[26:27], v[26:27]
	v_lshl_add_u64 v[12:13], v[24:25], 0, v[12:13]
	s_waitcnt vmcnt(0) lgkmcnt(0)
	v_mul_f64 v[26:27], v[26:27], s[10:11]
	v_cvt_f32_f64_e32 v26, v[26:27]
	v_min_f32_e32 v26, v26, v28
	v_cvt_f64_f32_e32 v[26:27], v26
	global_store_dwordx2 v[12:13], v[26:27], off
	v_lshl_add_u64 v[12:13], v[0:1], 3, v[8:9]
	flat_load_dwordx2 v[12:13], v[12:13]
	s_waitcnt vmcnt(0) lgkmcnt(0)
	v_mul_f64 v[12:13], v[12:13], s[10:11]
	v_cvt_f32_f64_e32 v12, v[12:13]
.LBB176_195:
	v_max_f32_e32 v13, v84, v84
	v_max_f32_e32 v12, v12, v12
	v_min_f32_e32 v12, v12, v13
	v_cvt_f64_f32_e32 v[12:13], v12
	v_lshl_add_u64 v[0:1], v[0:1], 3, v[24:25]
	global_store_dwordx2 v[0:1], v[12:13], off
	v_max_f32_e32 v0, v83, v83
	s_mov_b64 vcc, s[6:7]
	s_cbranch_vccz .LBB176_198
; %bb.196:
	v_min_f32_e32 v1, 0, v0
	v_cvt_f64_f32_e32 v[12:13], v1
	v_lshl_add_u64 v[10:11], v[10:11], 3, v[24:25]
	s_mov_b32 s2, 0
	global_store_dwordx2 v[10:11], v[12:13], off
	s_cbranch_execz .LBB176_199
; %bb.197:
	v_mov_b32_e32 v0, s2
	s_branch .LBB176_200
.LBB176_198:
                                        ; implicit-def: $sgpr2
.LBB176_199:
	v_lshl_add_u64 v[10:11], v[8:9], 0, v[16:17]
	flat_load_dwordx2 v[10:11], v[10:11]
	v_lshl_add_u64 v[12:13], v[24:25], 0, v[16:17]
	s_waitcnt vmcnt(0) lgkmcnt(0)
	v_mul_f64 v[10:11], v[10:11], s[10:11]
	v_cvt_f32_f64_e32 v1, v[10:11]
	v_min_f32_e32 v0, v1, v0
	v_cvt_f64_f32_e32 v[0:1], v0
	global_store_dwordx2 v[12:13], v[0:1], off
	v_lshl_add_u64 v[0:1], v[2:3], 3, v[8:9]
	flat_load_dwordx2 v[0:1], v[0:1]
	s_waitcnt vmcnt(0) lgkmcnt(0)
	v_mul_f64 v[0:1], v[0:1], s[10:11]
	v_cvt_f32_f64_e32 v0, v[0:1]
.LBB176_200:
	v_max_f32_e32 v1, v82, v82
	v_max_f32_e32 v0, v0, v0
	v_min_f32_e32 v0, v0, v1
	v_cvt_f64_f32_e32 v[0:1], v0
	v_lshl_add_u64 v[2:3], v[2:3], 3, v[24:25]
	global_store_dwordx2 v[2:3], v[0:1], off
	v_max_f32_e32 v0, v81, v81
	s_mov_b64 vcc, s[6:7]
	s_cbranch_vccz .LBB176_203
; %bb.201:
	v_min_f32_e32 v1, 0, v0
	v_cvt_f64_f32_e32 v[2:3], v1
	v_lshl_add_u64 v[10:11], v[14:15], 3, v[24:25]
	s_mov_b32 s2, 0
	global_store_dwordx2 v[10:11], v[2:3], off
	s_cbranch_execz .LBB176_204
; %bb.202:
	v_mov_b32_e32 v0, s2
	s_branch .LBB176_205
.LBB176_203:
                                        ; implicit-def: $sgpr2
.LBB176_204:
	v_lshl_add_u64 v[2:3], v[8:9], 0, v[20:21]
	flat_load_dwordx2 v[2:3], v[2:3]
	v_lshl_add_u64 v[10:11], v[24:25], 0, v[20:21]
	s_waitcnt vmcnt(0) lgkmcnt(0)
	v_mul_f64 v[2:3], v[2:3], s[10:11]
	v_cvt_f32_f64_e32 v1, v[2:3]
	v_min_f32_e32 v0, v1, v0
	v_cvt_f64_f32_e32 v[0:1], v0
	global_store_dwordx2 v[10:11], v[0:1], off
	v_lshl_add_u64 v[0:1], v[4:5], 3, v[8:9]
	flat_load_dwordx2 v[0:1], v[0:1]
	s_waitcnt vmcnt(0) lgkmcnt(0)
	v_mul_f64 v[0:1], v[0:1], s[10:11]
	v_cvt_f32_f64_e32 v0, v[0:1]
.LBB176_205:
	;; [unrolled: 37-line block ×3, first 2 shown]
	v_max_f32_e32 v1, v78, v78
	v_max_f32_e32 v0, v0, v0
	v_min_f32_e32 v0, v0, v1
	v_cvt_f64_f32_e32 v[0:1], v0
	v_lshl_add_u64 v[2:3], v[6:7], 3, v[24:25]
	global_store_dwordx2 v[2:3], v[0:1], off
	s_endpgm
	.section	.rodata,"a",@progbits
	.p2align	6, 0x0
	.amdhsa_kernel _ZN12_GLOBAL__N_120geam_min_plus_kernelId15HIP_vector_typeIdLj2EEdLi8ELi32ELi64ELi256ELi4ELi4ELi64ELi64ELi4ELc84ELc84ELb0ELb0ELb1EdKddEEviiiT16_PT17_ilS6_ilS4_S6_ilPT18_ili26rocblas_geam_ex_operation_
		.amdhsa_group_segment_fixed_size 20480
		.amdhsa_private_segment_fixed_size 0
		.amdhsa_kernarg_size 136
		.amdhsa_user_sgpr_count 2
		.amdhsa_user_sgpr_dispatch_ptr 0
		.amdhsa_user_sgpr_queue_ptr 0
		.amdhsa_user_sgpr_kernarg_segment_ptr 1
		.amdhsa_user_sgpr_dispatch_id 0
		.amdhsa_user_sgpr_kernarg_preload_length 0
		.amdhsa_user_sgpr_kernarg_preload_offset 0
		.amdhsa_user_sgpr_private_segment_size 0
		.amdhsa_uses_dynamic_stack 0
		.amdhsa_enable_private_segment 0
		.amdhsa_system_sgpr_workgroup_id_x 1
		.amdhsa_system_sgpr_workgroup_id_y 0
		.amdhsa_system_sgpr_workgroup_id_z 1
		.amdhsa_system_sgpr_workgroup_info 0
		.amdhsa_system_vgpr_workitem_id 1
		.amdhsa_next_free_vgpr 160
		.amdhsa_next_free_sgpr 29
		.amdhsa_accum_offset 160
		.amdhsa_reserve_vcc 1
		.amdhsa_float_round_mode_32 0
		.amdhsa_float_round_mode_16_64 0
		.amdhsa_float_denorm_mode_32 3
		.amdhsa_float_denorm_mode_16_64 3
		.amdhsa_dx10_clamp 1
		.amdhsa_ieee_mode 1
		.amdhsa_fp16_overflow 0
		.amdhsa_tg_split 0
		.amdhsa_exception_fp_ieee_invalid_op 0
		.amdhsa_exception_fp_denorm_src 0
		.amdhsa_exception_fp_ieee_div_zero 0
		.amdhsa_exception_fp_ieee_overflow 0
		.amdhsa_exception_fp_ieee_underflow 0
		.amdhsa_exception_fp_ieee_inexact 0
		.amdhsa_exception_int_div_zero 0
	.end_amdhsa_kernel
	.section	.text._ZN12_GLOBAL__N_120geam_min_plus_kernelId15HIP_vector_typeIdLj2EEdLi8ELi32ELi64ELi256ELi4ELi4ELi64ELi64ELi4ELc84ELc84ELb0ELb0ELb1EdKddEEviiiT16_PT17_ilS6_ilS4_S6_ilPT18_ili26rocblas_geam_ex_operation_,"axG",@progbits,_ZN12_GLOBAL__N_120geam_min_plus_kernelId15HIP_vector_typeIdLj2EEdLi8ELi32ELi64ELi256ELi4ELi4ELi64ELi64ELi4ELc84ELc84ELb0ELb0ELb1EdKddEEviiiT16_PT17_ilS6_ilS4_S6_ilPT18_ili26rocblas_geam_ex_operation_,comdat
.Lfunc_end176:
	.size	_ZN12_GLOBAL__N_120geam_min_plus_kernelId15HIP_vector_typeIdLj2EEdLi8ELi32ELi64ELi256ELi4ELi4ELi64ELi64ELi4ELc84ELc84ELb0ELb0ELb1EdKddEEviiiT16_PT17_ilS6_ilS4_S6_ilPT18_ili26rocblas_geam_ex_operation_, .Lfunc_end176-_ZN12_GLOBAL__N_120geam_min_plus_kernelId15HIP_vector_typeIdLj2EEdLi8ELi32ELi64ELi256ELi4ELi4ELi64ELi64ELi4ELc84ELc84ELb0ELb0ELb1EdKddEEviiiT16_PT17_ilS6_ilS4_S6_ilPT18_ili26rocblas_geam_ex_operation_
                                        ; -- End function
	.section	.AMDGPU.csdata,"",@progbits
; Kernel info:
; codeLenInByte = 17108
; NumSgprs: 35
; NumVgprs: 160
; NumAgprs: 0
; TotalNumVgprs: 160
; ScratchSize: 0
; MemoryBound: 1
; FloatMode: 240
; IeeeMode: 1
; LDSByteSize: 20480 bytes/workgroup (compile time only)
; SGPRBlocks: 4
; VGPRBlocks: 19
; NumSGPRsForWavesPerEU: 35
; NumVGPRsForWavesPerEU: 160
; AccumOffset: 160
; Occupancy: 3
; WaveLimiterHint : 1
; COMPUTE_PGM_RSRC2:SCRATCH_EN: 0
; COMPUTE_PGM_RSRC2:USER_SGPR: 2
; COMPUTE_PGM_RSRC2:TRAP_HANDLER: 0
; COMPUTE_PGM_RSRC2:TGID_X_EN: 1
; COMPUTE_PGM_RSRC2:TGID_Y_EN: 0
; COMPUTE_PGM_RSRC2:TGID_Z_EN: 1
; COMPUTE_PGM_RSRC2:TIDIG_COMP_CNT: 1
; COMPUTE_PGM_RSRC3_GFX90A:ACCUM_OFFSET: 39
; COMPUTE_PGM_RSRC3_GFX90A:TG_SPLIT: 0
	.section	.text._ZN12_GLOBAL__N_120geam_min_plus_kernelId15HIP_vector_typeIdLj2EEdLi8ELi32ELi64ELi256ELi4ELi4ELi64ELi64ELi4ELc84ELc84ELb0ELb1ELb1EPKdS3_dEEviiiT16_PT17_ilS7_ilS5_S7_ilPT18_ili26rocblas_geam_ex_operation_,"axG",@progbits,_ZN12_GLOBAL__N_120geam_min_plus_kernelId15HIP_vector_typeIdLj2EEdLi8ELi32ELi64ELi256ELi4ELi4ELi64ELi64ELi4ELc84ELc84ELb0ELb1ELb1EPKdS3_dEEviiiT16_PT17_ilS7_ilS5_S7_ilPT18_ili26rocblas_geam_ex_operation_,comdat
	.globl	_ZN12_GLOBAL__N_120geam_min_plus_kernelId15HIP_vector_typeIdLj2EEdLi8ELi32ELi64ELi256ELi4ELi4ELi64ELi64ELi4ELc84ELc84ELb0ELb1ELb1EPKdS3_dEEviiiT16_PT17_ilS7_ilS5_S7_ilPT18_ili26rocblas_geam_ex_operation_ ; -- Begin function _ZN12_GLOBAL__N_120geam_min_plus_kernelId15HIP_vector_typeIdLj2EEdLi8ELi32ELi64ELi256ELi4ELi4ELi64ELi64ELi4ELc84ELc84ELb0ELb1ELb1EPKdS3_dEEviiiT16_PT17_ilS7_ilS5_S7_ilPT18_ili26rocblas_geam_ex_operation_
	.p2align	8
	.type	_ZN12_GLOBAL__N_120geam_min_plus_kernelId15HIP_vector_typeIdLj2EEdLi8ELi32ELi64ELi256ELi4ELi4ELi64ELi64ELi4ELc84ELc84ELb0ELb1ELb1EPKdS3_dEEviiiT16_PT17_ilS7_ilS5_S7_ilPT18_ili26rocblas_geam_ex_operation_,@function
_ZN12_GLOBAL__N_120geam_min_plus_kernelId15HIP_vector_typeIdLj2EEdLi8ELi32ELi64ELi256ELi4ELi4ELi64ELi64ELi4ELc84ELc84ELb0ELb1ELb1EPKdS3_dEEviiiT16_PT17_ilS7_ilS5_S7_ilPT18_ili26rocblas_geam_ex_operation_: ; @_ZN12_GLOBAL__N_120geam_min_plus_kernelId15HIP_vector_typeIdLj2EEdLi8ELi32ELi64ELi256ELi4ELi4ELi64ELi64ELi4ELc84ELc84ELb0ELb1ELb1EPKdS3_dEEviiiT16_PT17_ilS7_ilS5_S7_ilPT18_ili26rocblas_geam_ex_operation_
; %bb.0:
	s_load_dwordx4 s[12:15], s[0:1], 0x10
	s_load_dwordx4 s[4:7], s[0:1], 0x28
	s_mov_b32 s16, s3
	s_mov_b32 s17, 0
	s_lshl_b64 s[22:23], s[16:17], 3
	s_waitcnt lgkmcnt(0)
	s_add_u32 s12, s12, s22
	s_load_dwordx4 s[8:11], s[0:1], 0x40
	s_addc_u32 s13, s13, s23
	s_load_dwordx2 s[18:19], s[12:13], 0x0
	s_load_dwordx2 s[20:21], s[0:1], 0x50
	s_mov_b64 s[34:35], 0
	s_mov_b64 s[36:37], 0
	s_waitcnt lgkmcnt(0)
	s_add_u32 s10, s10, s22
	v_cmp_eq_f64_e64 s[30:31], s[18:19], 0
	s_addc_u32 s11, s11, s23
	v_cmp_neq_f64_e64 s[12:13], s[18:19], 0
	s_and_b64 vcc, exec, s[30:31]
	s_cbranch_vccnz .LBB177_2
; %bb.1:
	s_mul_i32 s3, s16, s5
	s_mul_hi_u32 s5, s16, s4
	s_add_i32 s5, s5, s3
	s_mul_i32 s4, s16, s4
	s_lshl_b64 s[4:5], s[4:5], 3
	s_add_u32 s36, s14, s4
	s_addc_u32 s37, s15, s5
.LBB177_2:
	s_load_dwordx2 s[24:25], s[10:11], 0x0
	s_andn2_b64 vcc, exec, s[12:13]
	s_cbranch_vccnz .LBB177_4
; %bb.3:
	s_mul_i32 s3, s16, s9
	s_mul_hi_u32 s4, s16, s8
	s_add_i32 s5, s4, s3
	s_mul_i32 s4, s16, s8
	s_lshl_b64 s[4:5], s[4:5], 3
	s_add_u32 s34, s6, s4
	s_addc_u32 s35, s7, s5
.LBB177_4:
	s_load_dwordx4 s[12:15], s[0:1], 0x60
	s_waitcnt lgkmcnt(0)
	v_cmp_eq_f64_e64 s[4:5], s[24:25], 0
	s_mov_b64 s[26:27], 0
	v_cmp_neq_f64_e64 s[28:29], s[24:25], 0
	s_and_b64 vcc, exec, s[4:5]
	s_cbranch_vccnz .LBB177_6
; %bb.5:
	s_mul_i32 s3, s16, s13
	s_mul_hi_u32 s4, s16, s12
	s_add_i32 s5, s4, s3
	s_mul_i32 s4, s16, s12
	s_lshl_b64 s[4:5], s[4:5], 3
	s_add_u32 s26, s20, s4
	s_addc_u32 s27, s21, s5
.LBB177_6:
	s_load_dwordx4 s[20:23], s[0:1], 0x0
	s_load_dword s41, s[0:1], 0x20
	v_and_b32_e32 v132, 0x3ff, v0
	v_bfe_u32 v133, v0, 10, 10
	v_lshl_add_u32 v5, v133, 3, v132
	s_waitcnt lgkmcnt(0)
	s_add_i32 s4, s20, -1
	s_ashr_i32 s3, s4, 31
	s_lshr_b32 s3, s3, 26
	s_add_i32 s3, s4, s3
	s_ashr_i32 s3, s3, 6
	s_add_i32 s5, s3, 1
	v_cvt_f32_u32_e32 v1, s5
	s_not_b32 s3, s3
	v_lshrrev_b32_e32 v14, 2, v5
	v_and_b32_e32 v144, 3, v132
	v_rcp_iflag_f32_e32 v0, v1
	v_cmp_le_i32_e32 vcc, s22, v144
	v_mov_b32_e32 v4, 0x7fefffff
	v_mul_f32_e32 v0, 0x4f7ffffe, v0
	v_cvt_u32_f32_e32 v0, v0
	s_nop 0
	v_readfirstlane_b32 s6, v0
	s_mul_i32 s3, s3, s6
	s_mul_hi_u32 s3, s6, s3
	s_add_i32 s6, s6, s3
	s_mul_hi_u32 s3, s2, s6
	s_mul_i32 s6, s3, s5
	s_sub_i32 s6, s2, s6
	s_add_i32 s7, s3, 1
	s_sub_i32 s8, s6, s5
	s_cmp_ge_u32 s6, s5
	s_cselect_b32 s3, s7, s3
	s_cselect_b32 s6, s8, s6
	s_add_i32 s7, s3, 1
	s_cmp_ge_u32 s6, s5
	s_cselect_b32 s6, s7, s3
	s_mul_i32 s3, s6, s5
	s_sub_i32 s2, s2, s3
	s_lshl_b32 s17, s2, 6
	v_add_u32_e32 v0, s17, v14
	v_cmp_le_i32_e64 s[2:3], s20, v0
	s_or_b64 vcc, vcc, s[2:3]
	v_min_i32_e32 v72, s4, v0
	s_or_b64 s[4:5], s[30:31], vcc
	v_cndmask_b32_e32 v3, 0, v4, vcc
	s_xor_b64 s[8:9], s[4:5], -1
	v_cndmask_b32_e64 v2, 0, -1, vcc
	v_lshlrev_b32_e32 v0, 3, v144
	s_and_saveexec_b64 s[4:5], s[8:9]
	s_cbranch_execz .LBB177_8
; %bb.7:
	v_mad_i64_i32 v[2:3], s[8:9], v72, s41, 0
	v_lshl_add_u64 v[2:3], v[2:3], 3, s[36:37]
	v_mov_b32_e32 v1, 0
	v_lshl_add_u64 v[2:3], v[2:3], 0, v[0:1]
	flat_load_dwordx2 v[2:3], v[2:3]
	s_waitcnt vmcnt(0) lgkmcnt(0)
	v_mul_f64 v[2:3], s[18:19], v[2:3]
.LBB177_8:
	s_or_b64 exec, exec, s[4:5]
	s_load_dword s23, s[0:1], 0x38
	v_lshrrev_b32_e32 v145, 6, v5
	s_add_i32 s38, s22, -1
	v_and_b32_e32 v73, 63, v5
	s_lshl_b32 s33, s6, 8
	v_min_i32_e32 v1, s38, v145
	v_or_b32_e32 v60, s33, v73
	s_waitcnt lgkmcnt(0)
	v_mad_i64_i32 v[6:7], s[4:5], s23, v1, 0
	v_cmp_le_i32_e32 vcc, s22, v145
	v_cmp_le_i32_e64 s[4:5], s21, v60
	s_or_b64 s[6:7], s[4:5], vcc
	s_or_b64 s[8:9], s[30:31], s[6:7]
	v_lshl_add_u64 v[12:13], v[6:7], 3, s[34:35]
	v_cndmask_b32_e64 v5, 0, v4, s[6:7]
	s_xor_b64 s[8:9], s[8:9], -1
	v_cndmask_b32_e64 v4, 0, -1, s[6:7]
	v_ashrrev_i32_e32 v61, 31, v60
	s_and_saveexec_b64 s[6:7], s[8:9]
	s_cbranch_execz .LBB177_10
; %bb.9:
	v_lshl_add_u64 v[4:5], v[60:61], 3, v[12:13]
	flat_load_dwordx2 v[4:5], v[4:5]
	s_waitcnt vmcnt(0) lgkmcnt(0)
	v_mul_f64 v[4:5], s[18:19], v[4:5]
.LBB177_10:
	s_or_b64 exec, exec, s[6:7]
	v_or_b32_e32 v1, 64, v60
	v_cmp_le_i32_e64 s[6:7], s21, v1
	s_or_b64 s[8:9], s[6:7], vcc
	v_mov_b32_e32 v1, 0x7fefffff
	s_or_b64 s[10:11], s[30:31], s[8:9]
	v_cndmask_b32_e64 v7, 0, v1, s[8:9]
	s_xor_b64 s[10:11], s[10:11], -1
	v_cndmask_b32_e64 v6, 0, -1, s[8:9]
	s_and_saveexec_b64 s[8:9], s[10:11]
	s_cbranch_execz .LBB177_12
; %bb.11:
	v_lshl_add_u64 v[6:7], v[60:61], 3, v[12:13]
	flat_load_dwordx2 v[6:7], v[6:7] offset:512
	s_waitcnt vmcnt(0) lgkmcnt(0)
	v_mul_f64 v[6:7], s[18:19], v[6:7]
.LBB177_12:
	s_or_b64 exec, exec, s[8:9]
	v_or_b32_e32 v8, 0x80, v60
	v_cmp_le_i32_e64 s[8:9], s21, v8
	s_or_b64 s[10:11], s[8:9], vcc
	s_or_b64 s[12:13], s[30:31], s[10:11]
	v_cndmask_b32_e64 v9, 0, v1, s[10:11]
	s_xor_b64 s[12:13], s[12:13], -1
	v_cndmask_b32_e64 v8, 0, -1, s[10:11]
	s_and_saveexec_b64 s[10:11], s[12:13]
	s_cbranch_execz .LBB177_14
; %bb.13:
	v_lshl_add_u64 v[8:9], v[60:61], 3, v[12:13]
	flat_load_dwordx2 v[8:9], v[8:9] offset:1024
	s_waitcnt vmcnt(0) lgkmcnt(0)
	v_mul_f64 v[8:9], s[18:19], v[8:9]
.LBB177_14:
	s_or_b64 exec, exec, s[10:11]
	v_or_b32_e32 v1, 0xc0, v60
	v_cmp_le_i32_e64 s[10:11], s21, v1
	s_or_b64 vcc, s[10:11], vcc
	v_mov_b32_e32 v1, 0x7fefffff
	s_or_b64 s[12:13], s[30:31], vcc
	v_cndmask_b32_e32 v11, 0, v1, vcc
	s_xor_b64 s[42:43], s[12:13], -1
	v_cndmask_b32_e64 v10, 0, -1, vcc
	s_and_saveexec_b64 s[12:13], s[42:43]
	s_cbranch_execz .LBB177_16
; %bb.15:
	v_lshl_add_u64 v[10:11], v[60:61], 3, v[12:13]
	flat_load_dwordx2 v[10:11], v[10:11] offset:1536
	s_waitcnt vmcnt(0) lgkmcnt(0)
	v_mul_f64 v[10:11], s[18:19], v[10:11]
.LBB177_16:
	s_or_b64 exec, exec, s[12:13]
	v_or_b32_e32 v12, 4, v144
	v_cmp_le_i32_e32 vcc, s22, v12
	s_or_b64 vcc, vcc, s[2:3]
	s_or_b64 s[12:13], s[30:31], vcc
	v_cndmask_b32_e32 v63, 0, v1, vcc
	s_xor_b64 s[42:43], s[12:13], -1
	v_cndmask_b32_e64 v62, 0, -1, vcc
	s_and_saveexec_b64 s[12:13], s[42:43]
	s_cbranch_execz .LBB177_18
; %bb.17:
	v_mad_i64_i32 v[12:13], s[42:43], v72, s41, 0
	v_lshl_add_u64 v[12:13], v[12:13], 3, s[36:37]
	v_mov_b32_e32 v1, 0
	v_lshl_add_u64 v[12:13], v[12:13], 0, v[0:1]
	flat_load_dwordx2 v[12:13], v[12:13] offset:32
	s_waitcnt vmcnt(0) lgkmcnt(0)
	v_mul_f64 v[62:63], s[18:19], v[12:13]
.LBB177_18:
	s_or_b64 exec, exec, s[12:13]
	v_add_u32_e32 v1, 4, v145
	v_cmp_le_i32_e32 vcc, s22, v1
	v_min_i32_e32 v1, s38, v1
	v_mad_i64_i32 v[12:13], s[12:13], s23, v1, 0
	s_or_b64 s[12:13], s[4:5], vcc
	v_mov_b32_e32 v1, 0x7fefffff
	s_or_b64 s[42:43], s[30:31], s[12:13]
	v_lshl_add_u64 v[12:13], v[12:13], 3, s[34:35]
	v_cndmask_b32_e64 v65, 0, v1, s[12:13]
	s_xor_b64 s[42:43], s[42:43], -1
	v_cndmask_b32_e64 v64, 0, -1, s[12:13]
	s_and_saveexec_b64 s[12:13], s[42:43]
	s_cbranch_execz .LBB177_20
; %bb.19:
	v_lshl_add_u64 v[16:17], v[60:61], 3, v[12:13]
	flat_load_dwordx2 v[16:17], v[16:17]
	s_waitcnt vmcnt(0) lgkmcnt(0)
	v_mul_f64 v[64:65], s[18:19], v[16:17]
.LBB177_20:
	s_or_b64 exec, exec, s[12:13]
	s_or_b64 s[12:13], s[6:7], vcc
	s_or_b64 s[42:43], s[30:31], s[12:13]
	v_cndmask_b32_e64 v67, 0, v1, s[12:13]
	s_xor_b64 s[42:43], s[42:43], -1
	v_cndmask_b32_e64 v66, 0, -1, s[12:13]
	s_and_saveexec_b64 s[12:13], s[42:43]
	s_cbranch_execz .LBB177_22
; %bb.21:
	v_lshl_add_u64 v[16:17], v[60:61], 3, v[12:13]
	flat_load_dwordx2 v[16:17], v[16:17] offset:512
	s_waitcnt vmcnt(0) lgkmcnt(0)
	v_mul_f64 v[66:67], s[18:19], v[16:17]
.LBB177_22:
	s_or_b64 exec, exec, s[12:13]
	s_or_b64 s[12:13], s[8:9], vcc
	v_mov_b32_e32 v1, 0x7fefffff
	s_or_b64 s[42:43], s[30:31], s[12:13]
	v_cndmask_b32_e64 v69, 0, v1, s[12:13]
	s_xor_b64 s[42:43], s[42:43], -1
	v_cndmask_b32_e64 v68, 0, -1, s[12:13]
	s_and_saveexec_b64 s[12:13], s[42:43]
	s_cbranch_execz .LBB177_24
; %bb.23:
	v_lshl_add_u64 v[16:17], v[60:61], 3, v[12:13]
	flat_load_dwordx2 v[16:17], v[16:17] offset:1024
	s_waitcnt vmcnt(0) lgkmcnt(0)
	v_mul_f64 v[68:69], s[18:19], v[16:17]
.LBB177_24:
	s_or_b64 exec, exec, s[12:13]
	s_or_b64 vcc, s[10:11], vcc
	s_or_b64 s[12:13], s[30:31], vcc
	v_cndmask_b32_e32 v71, 0, v1, vcc
	s_xor_b64 s[42:43], s[12:13], -1
	s_mov_b32 s39, 0
	v_cndmask_b32_e64 v70, 0, -1, vcc
	s_and_saveexec_b64 s[12:13], s[42:43]
	s_cbranch_execz .LBB177_26
; %bb.25:
	v_lshl_add_u64 v[12:13], v[60:61], 3, v[12:13]
	flat_load_dwordx2 v[12:13], v[12:13] offset:1536
	s_waitcnt vmcnt(0) lgkmcnt(0)
	v_mul_f64 v[70:71], s[18:19], v[12:13]
.LBB177_26:
	s_or_b64 exec, exec, s[12:13]
	v_lshl_or_b32 v74, v14, 5, v0
	v_lshlrev_b32_e32 v0, 3, v145
	v_add_u32_e32 v146, 0x4000, v74
	v_lshl_add_u32 v147, v73, 5, v0
	s_mov_b64 s[12:13], -1
	v_mov_b32_e32 v78, 0x7f800000
	v_mov_b32_e32 v79, 0x7f800000
	;; [unrolled: 1-line block ×64, first 2 shown]
	ds_write_b64 v74, v[2:3] offset:16384
	ds_write2st64_b64 v147, v[4:5], v[6:7] offset1:4
	ds_write2st64_b64 v147, v[8:9], v[10:11] offset0:8 offset1:12
	s_waitcnt lgkmcnt(0)
	s_barrier
.LBB177_27:                             ; =>This Inner Loop Header: Depth=1
	v_cndmask_b32_e64 v0, 0, 1, s[12:13]
	s_lshl_b32 s12, s39, 3
	v_cmp_ne_u32_e32 vcc, 1, v0
	v_lshl_add_u32 v0, v132, 5, s12
	v_lshl_add_u32 v20, v133, 5, s12
	ds_read_b128 v[32:35], v0 offset:16384
	ds_read_b128 v[28:31], v0 offset:16640
	;; [unrolled: 1-line block ×8, first 2 shown]
	ds_read_b128 v[148:151], v20
	ds_read_b128 v[56:59], v20 offset:1024
	ds_read_b128 v[52:55], v20 offset:2048
	;; [unrolled: 1-line block ×7, first 2 shown]
	s_waitcnt lgkmcnt(7)
	v_add_f64 v[76:77], v[34:35], v[150:151]
	v_add_f64 v[152:153], v[32:33], v[148:149]
	v_cvt_f32_f64_e32 v75, v[152:153]
	v_cvt_f32_f64_e32 v76, v[76:77]
	v_min3_f32 v143, v75, v76, v143
	v_add_f64 v[76:77], v[30:31], v[150:151]
	v_add_f64 v[152:153], v[28:29], v[148:149]
	v_cvt_f32_f64_e32 v75, v[152:153]
	v_cvt_f32_f64_e32 v76, v[76:77]
	v_min3_f32 v142, v75, v76, v142
	v_add_f64 v[76:77], v[26:27], v[150:151]
	v_add_f64 v[152:153], v[24:25], v[148:149]
	v_cvt_f32_f64_e32 v75, v[152:153]
	v_cvt_f32_f64_e32 v76, v[76:77]
	v_min3_f32 v141, v75, v76, v141
	v_add_f64 v[76:77], v[18:19], v[150:151]
	v_add_f64 v[152:153], v[16:17], v[148:149]
	v_cvt_f32_f64_e32 v75, v[152:153]
	v_cvt_f32_f64_e32 v76, v[76:77]
	v_min3_f32 v140, v75, v76, v140
	v_add_f64 v[76:77], v[14:15], v[150:151]
	v_add_f64 v[152:153], v[12:13], v[148:149]
	v_cvt_f32_f64_e32 v75, v[152:153]
	v_cvt_f32_f64_e32 v76, v[76:77]
	v_min3_f32 v139, v75, v76, v139
	v_add_f64 v[76:77], v[10:11], v[150:151]
	v_add_f64 v[152:153], v[8:9], v[148:149]
	v_cvt_f32_f64_e32 v75, v[152:153]
	v_cvt_f32_f64_e32 v76, v[76:77]
	v_min3_f32 v138, v75, v76, v138
	v_add_f64 v[76:77], v[6:7], v[150:151]
	v_add_f64 v[152:153], v[4:5], v[148:149]
	v_cvt_f32_f64_e32 v75, v[152:153]
	v_cvt_f32_f64_e32 v76, v[76:77]
	v_min3_f32 v137, v75, v76, v137
	v_add_f64 v[76:77], v[2:3], v[150:151]
	v_add_f64 v[148:149], v[0:1], v[148:149]
	v_cvt_f32_f64_e32 v75, v[148:149]
	v_cvt_f32_f64_e32 v76, v[76:77]
	v_min3_f32 v136, v75, v76, v136
	s_waitcnt lgkmcnt(6)
	v_add_f64 v[76:77], v[34:35], v[58:59]
	v_add_f64 v[148:149], v[32:33], v[56:57]
	v_cvt_f32_f64_e32 v75, v[148:149]
	v_cvt_f32_f64_e32 v76, v[76:77]
	v_min3_f32 v135, v75, v76, v135
	v_add_f64 v[76:77], v[30:31], v[58:59]
	v_add_f64 v[148:149], v[28:29], v[56:57]
	v_cvt_f32_f64_e32 v75, v[148:149]
	v_cvt_f32_f64_e32 v76, v[76:77]
	v_min3_f32 v134, v75, v76, v134
	v_add_f64 v[76:77], v[26:27], v[58:59]
	v_add_f64 v[148:149], v[24:25], v[56:57]
	v_cvt_f32_f64_e32 v75, v[148:149]
	v_cvt_f32_f64_e32 v76, v[76:77]
	v_min3_f32 v131, v75, v76, v131
	v_add_f64 v[76:77], v[18:19], v[58:59]
	v_add_f64 v[148:149], v[16:17], v[56:57]
	v_cvt_f32_f64_e32 v75, v[148:149]
	v_cvt_f32_f64_e32 v76, v[76:77]
	v_min3_f32 v130, v75, v76, v130
	v_add_f64 v[76:77], v[14:15], v[58:59]
	v_add_f64 v[148:149], v[12:13], v[56:57]
	v_cvt_f32_f64_e32 v75, v[148:149]
	v_cvt_f32_f64_e32 v76, v[76:77]
	v_min3_f32 v129, v75, v76, v129
	v_add_f64 v[76:77], v[10:11], v[58:59]
	v_add_f64 v[148:149], v[8:9], v[56:57]
	v_cvt_f32_f64_e32 v75, v[148:149]
	v_cvt_f32_f64_e32 v76, v[76:77]
	v_min3_f32 v128, v75, v76, v128
	v_add_f64 v[76:77], v[6:7], v[58:59]
	v_add_f64 v[148:149], v[4:5], v[56:57]
	v_add_f64 v[58:59], v[2:3], v[58:59]
	v_add_f64 v[56:57], v[0:1], v[56:57]
	v_cvt_f32_f64_e32 v56, v[56:57]
	v_cvt_f32_f64_e32 v57, v[58:59]
	v_min3_f32 v126, v56, v57, v126
	s_waitcnt lgkmcnt(5)
	v_add_f64 v[56:57], v[34:35], v[54:55]
	v_add_f64 v[58:59], v[32:33], v[52:53]
	v_cvt_f32_f64_e32 v58, v[58:59]
	v_cvt_f32_f64_e32 v56, v[56:57]
	v_min3_f32 v125, v58, v56, v125
	v_add_f64 v[56:57], v[30:31], v[54:55]
	v_add_f64 v[58:59], v[28:29], v[52:53]
	v_cvt_f32_f64_e32 v58, v[58:59]
	v_cvt_f32_f64_e32 v56, v[56:57]
	v_min3_f32 v124, v58, v56, v124
	v_add_f64 v[56:57], v[26:27], v[54:55]
	v_add_f64 v[58:59], v[24:25], v[52:53]
	v_cvt_f32_f64_e32 v58, v[58:59]
	v_cvt_f32_f64_e32 v56, v[56:57]
	v_min3_f32 v123, v58, v56, v123
	v_add_f64 v[56:57], v[18:19], v[54:55]
	v_add_f64 v[58:59], v[16:17], v[52:53]
	v_cvt_f32_f64_e32 v58, v[58:59]
	v_cvt_f32_f64_e32 v56, v[56:57]
	v_min3_f32 v122, v58, v56, v122
	v_add_f64 v[56:57], v[14:15], v[54:55]
	v_add_f64 v[58:59], v[12:13], v[52:53]
	v_cvt_f32_f64_e32 v58, v[58:59]
	v_cvt_f32_f64_e32 v56, v[56:57]
	v_min3_f32 v121, v58, v56, v121
	v_add_f64 v[56:57], v[10:11], v[54:55]
	v_add_f64 v[58:59], v[8:9], v[52:53]
	v_cvt_f32_f64_e32 v58, v[58:59]
	v_cvt_f32_f64_e32 v56, v[56:57]
	v_min3_f32 v120, v58, v56, v120
	v_add_f64 v[56:57], v[6:7], v[54:55]
	v_add_f64 v[58:59], v[4:5], v[52:53]
	v_add_f64 v[54:55], v[2:3], v[54:55]
	v_add_f64 v[52:53], v[0:1], v[52:53]
	v_cvt_f32_f64_e32 v52, v[52:53]
	v_cvt_f32_f64_e32 v53, v[54:55]
	v_min3_f32 v118, v52, v53, v118
	;; [unrolled: 38-line block ×5, first 2 shown]
	s_waitcnt lgkmcnt(1)
	v_add_f64 v[40:41], v[34:35], v[38:39]
	v_add_f64 v[42:43], v[32:33], v[36:37]
	v_cvt_f32_f64_e32 v42, v[42:43]
	v_cvt_f32_f64_e32 v40, v[40:41]
	v_min3_f32 v93, v42, v40, v93
	v_add_f64 v[40:41], v[30:31], v[38:39]
	v_add_f64 v[42:43], v[28:29], v[36:37]
	v_cvt_f32_f64_e32 v42, v[42:43]
	v_cvt_f32_f64_e32 v40, v[40:41]
	v_min3_f32 v92, v42, v40, v92
	;; [unrolled: 5-line block ×6, first 2 shown]
	v_add_f64 v[40:41], v[6:7], v[38:39]
	v_add_f64 v[42:43], v[4:5], v[36:37]
	;; [unrolled: 1-line block ×4, first 2 shown]
	s_waitcnt lgkmcnt(0)
	v_add_f64 v[34:35], v[34:35], v[22:23]
	v_add_f64 v[32:33], v[32:33], v[20:21]
	;; [unrolled: 1-line block ×16, first 2 shown]
	v_cvt_f32_f64_e32 v75, v[148:149]
	v_cvt_f32_f64_e32 v76, v[76:77]
	;; [unrolled: 1-line block ×30, first 2 shown]
	v_min3_f32 v127, v75, v76, v127
	v_min3_f32 v119, v58, v56, v119
	;; [unrolled: 1-line block ×15, first 2 shown]
	s_mov_b32 s39, 2
	s_mov_b64 s[12:13], 0
	s_cbranch_vccz .LBB177_27
; %bb.28:
	v_lshlrev_b32_e32 v0, 5, v73
	v_lshl_add_u32 v0, v145, 3, v0
	s_cmp_gt_i32 s22, 8
	s_mov_b32 s39, 8
	ds_write_b64 v74, v[62:63] offset:18432
	ds_write2st64_b64 v0, v[64:65], v[66:67] offset0:16 offset1:20
	ds_write2st64_b64 v0, v[68:69], v[70:71] offset0:24 offset1:28
	s_waitcnt lgkmcnt(0)
	s_barrier
	s_cbranch_scc0 .LBB177_55
; %bb.29:
	v_or_b32_e32 v149, 0x2000, v0
	v_mad_i64_i32 v[0:1], s[12:13], v72, s41, 0
	v_lshl_add_u64 v[62:63], v[0:1], 3, s[36:37]
	v_add_u32_e32 v148, 0x4800, v74
	s_add_i32 s40, s22, -8
	v_lshl_add_u64 v[64:65], v[62:63], 0, 32
	s_mov_b32 s36, 0
	v_mov_b32_e32 v150, 0x7fefffff
	v_mov_b32_e32 v67, 0
.LBB177_30:                             ; =>This Loop Header: Depth=1
                                        ;     Child Loop BB177_41 Depth 2
                                        ;     Child Loop BB177_53 Depth 2
	v_or_b32_e32 v66, s39, v144
	v_cmp_le_i32_e32 vcc, s22, v66
	s_or_b64 vcc, vcc, s[2:3]
	s_or_b64 s[12:13], s[30:31], vcc
	v_cndmask_b32_e32 v69, 0, v150, vcc
	s_xor_b64 s[42:43], s[12:13], -1
	v_cndmask_b32_e64 v68, 0, -1, vcc
	s_and_saveexec_b64 s[12:13], s[42:43]
	s_cbranch_execz .LBB177_32
; %bb.31:                               ;   in Loop: Header=BB177_30 Depth=1
	v_lshl_add_u64 v[0:1], v[66:67], 3, v[62:63]
	flat_load_dwordx2 v[0:1], v[0:1]
	s_waitcnt vmcnt(0) lgkmcnt(0)
	v_mul_f64 v[68:69], s[18:19], v[0:1]
.LBB177_32:                             ;   in Loop: Header=BB177_30 Depth=1
	s_or_b64 exec, exec, s[12:13]
	v_add_u32_e32 v0, s39, v145
	v_cmp_le_i32_e32 vcc, s22, v0
	v_min_i32_e32 v0, s38, v0
	v_mad_i64_i32 v[0:1], s[12:13], v0, s23, 0
	s_or_b64 s[12:13], s[4:5], vcc
	v_lshl_add_u64 v[0:1], v[0:1], 3, s[34:35]
	s_or_b64 s[42:43], s[30:31], s[12:13]
	v_cndmask_b32_e64 v71, 0, v150, s[12:13]
	s_xor_b64 s[42:43], s[42:43], -1
	v_cndmask_b32_e64 v70, 0, -1, s[12:13]
	v_lshl_add_u64 v[0:1], v[60:61], 3, v[0:1]
	s_and_saveexec_b64 s[12:13], s[42:43]
	s_cbranch_execz .LBB177_34
; %bb.33:                               ;   in Loop: Header=BB177_30 Depth=1
	flat_load_dwordx2 v[2:3], v[0:1]
	s_waitcnt vmcnt(0) lgkmcnt(0)
	v_mul_f64 v[70:71], s[18:19], v[2:3]
.LBB177_34:                             ;   in Loop: Header=BB177_30 Depth=1
	s_or_b64 exec, exec, s[12:13]
	s_or_b64 s[12:13], s[6:7], vcc
	s_or_b64 s[42:43], s[30:31], s[12:13]
	v_cndmask_b32_e64 v73, 0, v150, s[12:13]
	s_xor_b64 s[42:43], s[42:43], -1
	v_cndmask_b32_e64 v72, 0, -1, s[12:13]
	s_and_saveexec_b64 s[12:13], s[42:43]
	s_cbranch_execz .LBB177_36
; %bb.35:                               ;   in Loop: Header=BB177_30 Depth=1
	flat_load_dwordx2 v[2:3], v[0:1] offset:512
	s_waitcnt vmcnt(0) lgkmcnt(0)
	v_mul_f64 v[72:73], s[18:19], v[2:3]
.LBB177_36:                             ;   in Loop: Header=BB177_30 Depth=1
	s_or_b64 exec, exec, s[12:13]
	s_or_b64 s[12:13], s[8:9], vcc
	s_or_b64 s[42:43], s[30:31], s[12:13]
	v_cndmask_b32_e64 v75, 0, v150, s[12:13]
	s_xor_b64 s[42:43], s[42:43], -1
	v_cndmask_b32_e64 v74, 0, -1, s[12:13]
	s_and_saveexec_b64 s[12:13], s[42:43]
	s_cbranch_execz .LBB177_38
; %bb.37:                               ;   in Loop: Header=BB177_30 Depth=1
	flat_load_dwordx2 v[2:3], v[0:1] offset:1024
	s_waitcnt vmcnt(0) lgkmcnt(0)
	v_mul_f64 v[74:75], s[18:19], v[2:3]
.LBB177_38:                             ;   in Loop: Header=BB177_30 Depth=1
	s_or_b64 exec, exec, s[12:13]
	s_or_b64 vcc, s[10:11], vcc
	s_or_b64 s[12:13], s[30:31], vcc
	v_cndmask_b32_e32 v77, 0, v150, vcc
	s_xor_b64 s[42:43], s[12:13], -1
	v_cndmask_b32_e64 v76, 0, -1, vcc
	s_and_saveexec_b64 s[12:13], s[42:43]
	s_cbranch_execz .LBB177_40
; %bb.39:                               ;   in Loop: Header=BB177_30 Depth=1
	flat_load_dwordx2 v[0:1], v[0:1] offset:1536
	s_waitcnt vmcnt(0) lgkmcnt(0)
	v_mul_f64 v[76:77], s[18:19], v[0:1]
.LBB177_40:                             ;   in Loop: Header=BB177_30 Depth=1
	s_or_b64 exec, exec, s[12:13]
	s_mov_b32 s37, 0
	s_mov_b64 s[12:13], -1
.LBB177_41:                             ;   Parent Loop BB177_30 Depth=1
                                        ; =>  This Inner Loop Header: Depth=2
	v_cndmask_b32_e64 v0, 0, 1, s[12:13]
	s_lshl_b32 s12, s37, 3
	v_cmp_ne_u32_e32 vcc, 1, v0
	v_lshl_add_u32 v0, v132, 5, s12
	v_lshl_add_u32 v20, v133, 5, s12
	ds_read_b128 v[32:35], v0 offset:18432
	ds_read_b128 v[28:31], v0 offset:18688
	;; [unrolled: 1-line block ×16, first 2 shown]
	s_waitcnt lgkmcnt(7)
	v_add_f64 v[156:157], v[34:35], v[154:155]
	v_add_f64 v[158:159], v[32:33], v[152:153]
	v_cvt_f32_f64_e32 v151, v[158:159]
	v_cvt_f32_f64_e32 v156, v[156:157]
	v_min3_f32 v143, v151, v156, v143
	v_add_f64 v[156:157], v[30:31], v[154:155]
	v_add_f64 v[158:159], v[28:29], v[152:153]
	v_cvt_f32_f64_e32 v151, v[158:159]
	v_cvt_f32_f64_e32 v156, v[156:157]
	v_min3_f32 v142, v151, v156, v142
	;; [unrolled: 5-line block ×6, first 2 shown]
	v_add_f64 v[156:157], v[6:7], v[154:155]
	v_add_f64 v[158:159], v[4:5], v[152:153]
	v_cvt_f32_f64_e32 v151, v[158:159]
	v_cvt_f32_f64_e32 v156, v[156:157]
	v_add_f64 v[154:155], v[2:3], v[154:155]
	v_add_f64 v[152:153], v[0:1], v[152:153]
	v_min3_f32 v137, v151, v156, v137
	v_cvt_f32_f64_e32 v151, v[152:153]
	v_cvt_f32_f64_e32 v152, v[154:155]
	v_min3_f32 v136, v151, v152, v136
	s_waitcnt lgkmcnt(6)
	v_add_f64 v[152:153], v[34:35], v[58:59]
	v_add_f64 v[154:155], v[32:33], v[56:57]
	v_cvt_f32_f64_e32 v151, v[154:155]
	v_cvt_f32_f64_e32 v152, v[152:153]
	v_min3_f32 v135, v151, v152, v135
	v_add_f64 v[152:153], v[30:31], v[58:59]
	v_add_f64 v[154:155], v[28:29], v[56:57]
	v_cvt_f32_f64_e32 v151, v[154:155]
	v_cvt_f32_f64_e32 v152, v[152:153]
	v_min3_f32 v134, v151, v152, v134
	v_add_f64 v[152:153], v[26:27], v[58:59]
	v_add_f64 v[154:155], v[24:25], v[56:57]
	v_cvt_f32_f64_e32 v151, v[154:155]
	v_cvt_f32_f64_e32 v152, v[152:153]
	v_min3_f32 v131, v151, v152, v131
	v_add_f64 v[152:153], v[18:19], v[58:59]
	v_add_f64 v[154:155], v[16:17], v[56:57]
	v_cvt_f32_f64_e32 v151, v[154:155]
	v_cvt_f32_f64_e32 v152, v[152:153]
	v_min3_f32 v130, v151, v152, v130
	v_add_f64 v[152:153], v[14:15], v[58:59]
	v_add_f64 v[154:155], v[12:13], v[56:57]
	v_cvt_f32_f64_e32 v151, v[154:155]
	v_cvt_f32_f64_e32 v152, v[152:153]
	v_min3_f32 v129, v151, v152, v129
	v_add_f64 v[152:153], v[10:11], v[58:59]
	v_add_f64 v[154:155], v[8:9], v[56:57]
	v_cvt_f32_f64_e32 v151, v[154:155]
	v_cvt_f32_f64_e32 v152, v[152:153]
	v_min3_f32 v128, v151, v152, v128
	v_add_f64 v[152:153], v[6:7], v[58:59]
	v_add_f64 v[154:155], v[4:5], v[56:57]
	v_add_f64 v[58:59], v[2:3], v[58:59]
	v_add_f64 v[56:57], v[0:1], v[56:57]
	v_cvt_f32_f64_e32 v56, v[56:57]
	v_cvt_f32_f64_e32 v57, v[58:59]
	v_min3_f32 v126, v56, v57, v126
	s_waitcnt lgkmcnt(5)
	v_add_f64 v[56:57], v[34:35], v[54:55]
	v_add_f64 v[58:59], v[32:33], v[52:53]
	v_cvt_f32_f64_e32 v58, v[58:59]
	v_cvt_f32_f64_e32 v56, v[56:57]
	v_min3_f32 v125, v58, v56, v125
	v_add_f64 v[56:57], v[30:31], v[54:55]
	v_add_f64 v[58:59], v[28:29], v[52:53]
	v_cvt_f32_f64_e32 v58, v[58:59]
	v_cvt_f32_f64_e32 v56, v[56:57]
	v_min3_f32 v124, v58, v56, v124
	v_add_f64 v[56:57], v[26:27], v[54:55]
	v_add_f64 v[58:59], v[24:25], v[52:53]
	v_cvt_f32_f64_e32 v58, v[58:59]
	v_cvt_f32_f64_e32 v56, v[56:57]
	v_min3_f32 v123, v58, v56, v123
	v_add_f64 v[56:57], v[18:19], v[54:55]
	v_add_f64 v[58:59], v[16:17], v[52:53]
	v_cvt_f32_f64_e32 v58, v[58:59]
	v_cvt_f32_f64_e32 v56, v[56:57]
	v_min3_f32 v122, v58, v56, v122
	v_add_f64 v[56:57], v[14:15], v[54:55]
	v_add_f64 v[58:59], v[12:13], v[52:53]
	v_cvt_f32_f64_e32 v58, v[58:59]
	v_cvt_f32_f64_e32 v56, v[56:57]
	v_min3_f32 v121, v58, v56, v121
	v_add_f64 v[56:57], v[10:11], v[54:55]
	v_add_f64 v[58:59], v[8:9], v[52:53]
	v_cvt_f32_f64_e32 v58, v[58:59]
	v_cvt_f32_f64_e32 v56, v[56:57]
	v_min3_f32 v120, v58, v56, v120
	v_add_f64 v[56:57], v[6:7], v[54:55]
	v_add_f64 v[58:59], v[4:5], v[52:53]
	v_add_f64 v[54:55], v[2:3], v[54:55]
	v_add_f64 v[52:53], v[0:1], v[52:53]
	;; [unrolled: 38-line block ×6, first 2 shown]
	s_waitcnt lgkmcnt(0)
	v_add_f64 v[34:35], v[34:35], v[22:23]
	v_add_f64 v[32:33], v[32:33], v[20:21]
	;; [unrolled: 1-line block ×16, first 2 shown]
	v_cvt_f32_f64_e32 v151, v[154:155]
	v_cvt_f32_f64_e32 v152, v[152:153]
	;; [unrolled: 1-line block ×30, first 2 shown]
	v_min3_f32 v127, v151, v152, v127
	v_min3_f32 v119, v58, v56, v119
	;; [unrolled: 1-line block ×15, first 2 shown]
	s_mov_b32 s37, 2
	s_mov_b64 s[12:13], 0
	s_cbranch_vccz .LBB177_41
; %bb.42:                               ;   in Loop: Header=BB177_30 Depth=1
	v_or_b32_e32 v0, 4, v66
	v_cmp_le_i32_e32 vcc, s22, v0
	s_or_b64 vcc, vcc, s[2:3]
	s_or_b64 s[12:13], s[30:31], vcc
	ds_write_b64 v146, v[68:69]
	ds_write2st64_b64 v147, v[70:71], v[72:73] offset1:4
	ds_write2st64_b64 v147, v[74:75], v[76:77] offset0:8 offset1:12
	v_cndmask_b32_e32 v69, 0, v150, vcc
	s_xor_b64 s[42:43], s[12:13], -1
	v_cndmask_b32_e64 v68, 0, -1, vcc
	s_waitcnt lgkmcnt(0)
	s_barrier
	s_and_saveexec_b64 s[12:13], s[42:43]
	s_cbranch_execz .LBB177_44
; %bb.43:                               ;   in Loop: Header=BB177_30 Depth=1
	v_lshl_add_u64 v[0:1], v[66:67], 3, v[64:65]
	flat_load_dwordx2 v[0:1], v[0:1]
	s_waitcnt vmcnt(0) lgkmcnt(0)
	v_mul_f64 v[68:69], s[18:19], v[0:1]
.LBB177_44:                             ;   in Loop: Header=BB177_30 Depth=1
	s_or_b64 exec, exec, s[12:13]
	v_add3_u32 v0, v145, s39, 4
	v_cmp_le_i32_e32 vcc, s22, v0
	v_min_i32_e32 v0, s38, v0
	v_mad_i64_i32 v[0:1], s[12:13], v0, s23, 0
	s_or_b64 s[12:13], s[4:5], vcc
	v_lshl_add_u64 v[0:1], v[0:1], 3, s[34:35]
	s_or_b64 s[42:43], s[30:31], s[12:13]
	v_cndmask_b32_e64 v71, 0, v150, s[12:13]
	s_xor_b64 s[42:43], s[42:43], -1
	v_cndmask_b32_e64 v70, 0, -1, s[12:13]
	v_lshl_add_u64 v[0:1], v[60:61], 3, v[0:1]
	s_and_saveexec_b64 s[12:13], s[42:43]
	s_cbranch_execz .LBB177_46
; %bb.45:                               ;   in Loop: Header=BB177_30 Depth=1
	flat_load_dwordx2 v[2:3], v[0:1]
	s_waitcnt vmcnt(0) lgkmcnt(0)
	v_mul_f64 v[70:71], s[18:19], v[2:3]
.LBB177_46:                             ;   in Loop: Header=BB177_30 Depth=1
	s_or_b64 exec, exec, s[12:13]
	s_or_b64 s[12:13], s[6:7], vcc
	s_or_b64 s[42:43], s[30:31], s[12:13]
	v_cndmask_b32_e64 v73, 0, v150, s[12:13]
	s_xor_b64 s[42:43], s[42:43], -1
	v_cndmask_b32_e64 v72, 0, -1, s[12:13]
	s_and_saveexec_b64 s[12:13], s[42:43]
	s_cbranch_execz .LBB177_48
; %bb.47:                               ;   in Loop: Header=BB177_30 Depth=1
	flat_load_dwordx2 v[2:3], v[0:1] offset:512
	s_waitcnt vmcnt(0) lgkmcnt(0)
	v_mul_f64 v[72:73], s[18:19], v[2:3]
.LBB177_48:                             ;   in Loop: Header=BB177_30 Depth=1
	s_or_b64 exec, exec, s[12:13]
	s_or_b64 s[12:13], s[8:9], vcc
	s_or_b64 s[42:43], s[30:31], s[12:13]
	v_cndmask_b32_e64 v75, 0, v150, s[12:13]
	s_xor_b64 s[42:43], s[42:43], -1
	v_cndmask_b32_e64 v74, 0, -1, s[12:13]
	s_and_saveexec_b64 s[12:13], s[42:43]
	s_cbranch_execz .LBB177_50
; %bb.49:                               ;   in Loop: Header=BB177_30 Depth=1
	flat_load_dwordx2 v[2:3], v[0:1] offset:1024
	s_waitcnt vmcnt(0) lgkmcnt(0)
	v_mul_f64 v[74:75], s[18:19], v[2:3]
.LBB177_50:                             ;   in Loop: Header=BB177_30 Depth=1
	s_or_b64 exec, exec, s[12:13]
	s_or_b64 vcc, s[10:11], vcc
	s_or_b64 s[12:13], s[30:31], vcc
	v_cndmask_b32_e32 v77, 0, v150, vcc
	s_xor_b64 s[42:43], s[12:13], -1
	v_cndmask_b32_e64 v76, 0, -1, vcc
	s_and_saveexec_b64 s[12:13], s[42:43]
	s_cbranch_execz .LBB177_52
; %bb.51:                               ;   in Loop: Header=BB177_30 Depth=1
	flat_load_dwordx2 v[0:1], v[0:1] offset:1536
	s_waitcnt vmcnt(0) lgkmcnt(0)
	v_mul_f64 v[76:77], s[18:19], v[0:1]
.LBB177_52:                             ;   in Loop: Header=BB177_30 Depth=1
	s_or_b64 exec, exec, s[12:13]
	s_mov_b32 s37, 0
	s_mov_b64 s[12:13], -1
.LBB177_53:                             ;   Parent Loop BB177_30 Depth=1
                                        ; =>  This Inner Loop Header: Depth=2
	v_cndmask_b32_e64 v0, 0, 1, s[12:13]
	s_lshl_b32 s12, s37, 3
	v_cmp_ne_u32_e32 vcc, 1, v0
	v_lshl_add_u32 v0, v132, 5, s12
	v_lshl_add_u32 v20, v133, 5, s12
	ds_read_b128 v[32:35], v0 offset:16384
	ds_read_b128 v[28:31], v0 offset:16640
	;; [unrolled: 1-line block ×8, first 2 shown]
	ds_read_b128 v[152:155], v20
	ds_read_b128 v[56:59], v20 offset:1024
	ds_read_b128 v[52:55], v20 offset:2048
	;; [unrolled: 1-line block ×7, first 2 shown]
	s_waitcnt lgkmcnt(7)
	v_add_f64 v[156:157], v[34:35], v[154:155]
	v_add_f64 v[158:159], v[32:33], v[152:153]
	v_cvt_f32_f64_e32 v66, v[158:159]
	v_cvt_f32_f64_e32 v151, v[156:157]
	v_add_f64 v[156:157], v[30:31], v[154:155]
	v_add_f64 v[158:159], v[28:29], v[152:153]
	v_min3_f32 v143, v66, v151, v143
	v_cvt_f32_f64_e32 v66, v[158:159]
	v_cvt_f32_f64_e32 v151, v[156:157]
	v_add_f64 v[156:157], v[26:27], v[154:155]
	v_add_f64 v[158:159], v[24:25], v[152:153]
	v_min3_f32 v142, v66, v151, v142
	;; [unrolled: 5-line block ×7, first 2 shown]
	v_cvt_f32_f64_e32 v66, v[152:153]
	v_cvt_f32_f64_e32 v151, v[154:155]
	s_waitcnt lgkmcnt(6)
	v_add_f64 v[152:153], v[34:35], v[58:59]
	v_add_f64 v[154:155], v[32:33], v[56:57]
	v_min3_f32 v136, v66, v151, v136
	v_cvt_f32_f64_e32 v66, v[154:155]
	v_cvt_f32_f64_e32 v151, v[152:153]
	v_add_f64 v[152:153], v[30:31], v[58:59]
	v_add_f64 v[154:155], v[28:29], v[56:57]
	v_min3_f32 v135, v66, v151, v135
	v_cvt_f32_f64_e32 v66, v[154:155]
	v_cvt_f32_f64_e32 v151, v[152:153]
	;; [unrolled: 5-line block ×6, first 2 shown]
	v_add_f64 v[152:153], v[6:7], v[58:59]
	v_add_f64 v[154:155], v[4:5], v[56:57]
	v_add_f64 v[58:59], v[2:3], v[58:59]
	v_add_f64 v[56:57], v[0:1], v[56:57]
	v_cvt_f32_f64_e32 v56, v[56:57]
	v_cvt_f32_f64_e32 v57, v[58:59]
	v_min3_f32 v126, v56, v57, v126
	s_waitcnt lgkmcnt(5)
	v_add_f64 v[56:57], v[34:35], v[54:55]
	v_add_f64 v[58:59], v[32:33], v[52:53]
	v_cvt_f32_f64_e32 v58, v[58:59]
	v_cvt_f32_f64_e32 v56, v[56:57]
	v_min3_f32 v125, v58, v56, v125
	v_add_f64 v[56:57], v[30:31], v[54:55]
	v_add_f64 v[58:59], v[28:29], v[52:53]
	v_cvt_f32_f64_e32 v58, v[58:59]
	v_cvt_f32_f64_e32 v56, v[56:57]
	v_min3_f32 v124, v58, v56, v124
	v_add_f64 v[56:57], v[26:27], v[54:55]
	v_add_f64 v[58:59], v[24:25], v[52:53]
	v_cvt_f32_f64_e32 v58, v[58:59]
	v_cvt_f32_f64_e32 v56, v[56:57]
	v_min3_f32 v123, v58, v56, v123
	v_add_f64 v[56:57], v[18:19], v[54:55]
	v_add_f64 v[58:59], v[16:17], v[52:53]
	v_cvt_f32_f64_e32 v58, v[58:59]
	v_cvt_f32_f64_e32 v56, v[56:57]
	v_min3_f32 v122, v58, v56, v122
	v_add_f64 v[56:57], v[14:15], v[54:55]
	v_add_f64 v[58:59], v[12:13], v[52:53]
	v_cvt_f32_f64_e32 v58, v[58:59]
	v_cvt_f32_f64_e32 v56, v[56:57]
	v_min3_f32 v121, v58, v56, v121
	v_add_f64 v[56:57], v[10:11], v[54:55]
	v_add_f64 v[58:59], v[8:9], v[52:53]
	v_cvt_f32_f64_e32 v58, v[58:59]
	v_cvt_f32_f64_e32 v56, v[56:57]
	v_min3_f32 v120, v58, v56, v120
	v_add_f64 v[56:57], v[6:7], v[54:55]
	v_add_f64 v[58:59], v[4:5], v[52:53]
	v_add_f64 v[54:55], v[2:3], v[54:55]
	v_add_f64 v[52:53], v[0:1], v[52:53]
	v_cvt_f32_f64_e32 v52, v[52:53]
	v_cvt_f32_f64_e32 v53, v[54:55]
	v_min3_f32 v118, v52, v53, v118
	s_waitcnt lgkmcnt(4)
	v_add_f64 v[52:53], v[34:35], v[50:51]
	v_add_f64 v[54:55], v[32:33], v[48:49]
	v_cvt_f32_f64_e32 v54, v[54:55]
	v_cvt_f32_f64_e32 v52, v[52:53]
	v_min3_f32 v117, v54, v52, v117
	v_add_f64 v[52:53], v[30:31], v[50:51]
	v_add_f64 v[54:55], v[28:29], v[48:49]
	v_cvt_f32_f64_e32 v54, v[54:55]
	v_cvt_f32_f64_e32 v52, v[52:53]
	v_min3_f32 v116, v54, v52, v116
	v_add_f64 v[52:53], v[26:27], v[50:51]
	v_add_f64 v[54:55], v[24:25], v[48:49]
	v_cvt_f32_f64_e32 v54, v[54:55]
	v_cvt_f32_f64_e32 v52, v[52:53]
	v_min3_f32 v115, v54, v52, v115
	v_add_f64 v[52:53], v[18:19], v[50:51]
	v_add_f64 v[54:55], v[16:17], v[48:49]
	v_cvt_f32_f64_e32 v54, v[54:55]
	v_cvt_f32_f64_e32 v52, v[52:53]
	v_min3_f32 v114, v54, v52, v114
	v_add_f64 v[52:53], v[14:15], v[50:51]
	v_add_f64 v[54:55], v[12:13], v[48:49]
	v_cvt_f32_f64_e32 v54, v[54:55]
	v_cvt_f32_f64_e32 v52, v[52:53]
	v_min3_f32 v113, v54, v52, v113
	v_add_f64 v[52:53], v[10:11], v[50:51]
	v_add_f64 v[54:55], v[8:9], v[48:49]
	v_cvt_f32_f64_e32 v54, v[54:55]
	v_cvt_f32_f64_e32 v52, v[52:53]
	v_min3_f32 v112, v54, v52, v112
	;; [unrolled: 38-line block ×5, first 2 shown]
	v_add_f64 v[40:41], v[6:7], v[38:39]
	v_add_f64 v[42:43], v[4:5], v[36:37]
	;; [unrolled: 1-line block ×4, first 2 shown]
	s_waitcnt lgkmcnt(0)
	v_add_f64 v[34:35], v[34:35], v[22:23]
	v_add_f64 v[32:33], v[32:33], v[20:21]
	;; [unrolled: 1-line block ×16, first 2 shown]
	v_min3_f32 v128, v66, v151, v128
	v_cvt_f32_f64_e32 v66, v[154:155]
	v_cvt_f32_f64_e32 v151, v[152:153]
	;; [unrolled: 1-line block ×30, first 2 shown]
	v_min3_f32 v127, v66, v151, v127
	v_min3_f32 v119, v58, v56, v119
	;; [unrolled: 1-line block ×15, first 2 shown]
	s_mov_b32 s37, 2
	s_mov_b64 s[12:13], 0
	s_cbranch_vccz .LBB177_53
; %bb.54:                               ;   in Loop: Header=BB177_30 Depth=1
	s_add_i32 s39, s39, 8
	s_add_i32 s36, s36, 8
	s_cmp_ge_i32 s36, s40
	ds_write_b64 v148, v[68:69]
	ds_write2st64_b64 v149, v[70:71], v[72:73] offset1:4
	ds_write2st64_b64 v149, v[74:75], v[76:77] offset0:8 offset1:12
	s_waitcnt lgkmcnt(0)
	s_barrier
	s_cbranch_scc0 .LBB177_30
.LBB177_55:
	s_mov_b32 s4, 0
	s_mov_b64 s[2:3], -1
.LBB177_56:                             ; =>This Inner Loop Header: Depth=1
	v_cndmask_b32_e64 v0, 0, 1, s[2:3]
	s_lshl_b32 s2, s4, 3
	v_cmp_ne_u32_e32 vcc, 1, v0
	v_lshl_add_u32 v0, v132, 5, s2
	v_lshl_add_u32 v20, v133, 5, s2
	ds_read_b128 v[32:35], v0 offset:18432
	ds_read_b128 v[28:31], v0 offset:18688
	;; [unrolled: 1-line block ×16, first 2 shown]
	s_waitcnt lgkmcnt(7)
	v_add_f64 v[64:65], v[34:35], v[62:63]
	v_add_f64 v[66:67], v[32:33], v[60:61]
	v_cvt_f32_f64_e32 v66, v[66:67]
	v_cvt_f32_f64_e32 v64, v[64:65]
	v_min3_f32 v143, v66, v64, v143
	v_add_f64 v[64:65], v[30:31], v[62:63]
	v_add_f64 v[66:67], v[28:29], v[60:61]
	v_cvt_f32_f64_e32 v66, v[66:67]
	v_cvt_f32_f64_e32 v64, v[64:65]
	v_min3_f32 v142, v66, v64, v142
	v_add_f64 v[64:65], v[26:27], v[62:63]
	v_add_f64 v[66:67], v[24:25], v[60:61]
	v_cvt_f32_f64_e32 v66, v[66:67]
	v_cvt_f32_f64_e32 v64, v[64:65]
	v_min3_f32 v141, v66, v64, v141
	v_add_f64 v[64:65], v[18:19], v[62:63]
	v_add_f64 v[66:67], v[16:17], v[60:61]
	v_cvt_f32_f64_e32 v66, v[66:67]
	v_cvt_f32_f64_e32 v64, v[64:65]
	v_min3_f32 v140, v66, v64, v140
	v_add_f64 v[64:65], v[14:15], v[62:63]
	v_add_f64 v[66:67], v[12:13], v[60:61]
	v_cvt_f32_f64_e32 v66, v[66:67]
	v_cvt_f32_f64_e32 v64, v[64:65]
	v_min3_f32 v139, v66, v64, v139
	v_add_f64 v[64:65], v[10:11], v[62:63]
	v_add_f64 v[66:67], v[8:9], v[60:61]
	v_cvt_f32_f64_e32 v66, v[66:67]
	v_cvt_f32_f64_e32 v64, v[64:65]
	v_min3_f32 v138, v66, v64, v138
	v_add_f64 v[64:65], v[6:7], v[62:63]
	v_add_f64 v[66:67], v[4:5], v[60:61]
	v_add_f64 v[62:63], v[2:3], v[62:63]
	v_add_f64 v[60:61], v[0:1], v[60:61]
	v_cvt_f32_f64_e32 v60, v[60:61]
	v_cvt_f32_f64_e32 v61, v[62:63]
	v_min3_f32 v136, v60, v61, v136
	s_waitcnt lgkmcnt(6)
	v_add_f64 v[60:61], v[34:35], v[58:59]
	v_add_f64 v[62:63], v[32:33], v[56:57]
	v_cvt_f32_f64_e32 v62, v[62:63]
	v_cvt_f32_f64_e32 v60, v[60:61]
	v_min3_f32 v135, v62, v60, v135
	v_add_f64 v[60:61], v[30:31], v[58:59]
	v_add_f64 v[62:63], v[28:29], v[56:57]
	v_cvt_f32_f64_e32 v62, v[62:63]
	v_cvt_f32_f64_e32 v60, v[60:61]
	v_min3_f32 v134, v62, v60, v134
	v_add_f64 v[60:61], v[26:27], v[58:59]
	v_add_f64 v[62:63], v[24:25], v[56:57]
	v_cvt_f32_f64_e32 v62, v[62:63]
	v_cvt_f32_f64_e32 v60, v[60:61]
	v_min3_f32 v131, v62, v60, v131
	v_add_f64 v[60:61], v[18:19], v[58:59]
	v_add_f64 v[62:63], v[16:17], v[56:57]
	v_cvt_f32_f64_e32 v62, v[62:63]
	v_cvt_f32_f64_e32 v60, v[60:61]
	v_min3_f32 v130, v62, v60, v130
	v_add_f64 v[60:61], v[14:15], v[58:59]
	v_add_f64 v[62:63], v[12:13], v[56:57]
	v_cvt_f32_f64_e32 v62, v[62:63]
	v_cvt_f32_f64_e32 v60, v[60:61]
	v_min3_f32 v129, v62, v60, v129
	v_add_f64 v[60:61], v[10:11], v[58:59]
	v_add_f64 v[62:63], v[8:9], v[56:57]
	v_cvt_f32_f64_e32 v62, v[62:63]
	v_cvt_f32_f64_e32 v60, v[60:61]
	v_min3_f32 v128, v62, v60, v128
	v_add_f64 v[60:61], v[6:7], v[58:59]
	v_add_f64 v[62:63], v[4:5], v[56:57]
	v_add_f64 v[58:59], v[2:3], v[58:59]
	v_add_f64 v[56:57], v[0:1], v[56:57]
	v_cvt_f32_f64_e32 v56, v[56:57]
	v_cvt_f32_f64_e32 v57, v[58:59]
	v_min3_f32 v126, v56, v57, v126
	;; [unrolled: 38-line block ×6, first 2 shown]
	s_waitcnt lgkmcnt(1)
	v_add_f64 v[40:41], v[34:35], v[38:39]
	v_add_f64 v[42:43], v[32:33], v[36:37]
	v_cvt_f32_f64_e32 v42, v[42:43]
	v_cvt_f32_f64_e32 v40, v[40:41]
	v_min3_f32 v93, v42, v40, v93
	v_add_f64 v[40:41], v[30:31], v[38:39]
	v_add_f64 v[42:43], v[28:29], v[36:37]
	v_cvt_f32_f64_e32 v42, v[42:43]
	v_cvt_f32_f64_e32 v40, v[40:41]
	v_min3_f32 v92, v42, v40, v92
	;; [unrolled: 5-line block ×6, first 2 shown]
	v_add_f64 v[40:41], v[6:7], v[38:39]
	v_add_f64 v[42:43], v[4:5], v[36:37]
	;; [unrolled: 1-line block ×4, first 2 shown]
	s_waitcnt lgkmcnt(0)
	v_add_f64 v[34:35], v[34:35], v[22:23]
	v_add_f64 v[32:33], v[32:33], v[20:21]
	;; [unrolled: 1-line block ×16, first 2 shown]
	v_cvt_f32_f64_e32 v66, v[66:67]
	v_cvt_f32_f64_e32 v64, v[64:65]
	v_cvt_f32_f64_e32 v62, v[62:63]
	v_cvt_f32_f64_e32 v60, v[60:61]
	v_cvt_f32_f64_e32 v58, v[58:59]
	v_cvt_f32_f64_e32 v56, v[56:57]
	v_cvt_f32_f64_e32 v54, v[54:55]
	v_cvt_f32_f64_e32 v52, v[52:53]
	v_cvt_f32_f64_e32 v50, v[50:51]
	v_cvt_f32_f64_e32 v48, v[48:49]
	v_cvt_f32_f64_e32 v46, v[46:47]
	v_cvt_f32_f64_e32 v44, v[44:45]
	v_cvt_f32_f64_e32 v42, v[42:43]
	v_cvt_f32_f64_e32 v40, v[40:41]
	v_cvt_f32_f64_e32 v36, v[36:37]
	v_cvt_f32_f64_e32 v37, v[38:39]
	v_cvt_f32_f64_e32 v32, v[32:33]
	v_cvt_f32_f64_e32 v33, v[34:35]
	v_cvt_f32_f64_e32 v28, v[28:29]
	v_cvt_f32_f64_e32 v29, v[30:31]
	v_cvt_f32_f64_e32 v24, v[24:25]
	v_cvt_f32_f64_e32 v25, v[26:27]
	v_cvt_f32_f64_e32 v16, v[16:17]
	v_cvt_f32_f64_e32 v17, v[18:19]
	v_cvt_f32_f64_e32 v12, v[12:13]
	v_cvt_f32_f64_e32 v13, v[14:15]
	v_cvt_f32_f64_e32 v8, v[8:9]
	v_cvt_f32_f64_e32 v9, v[10:11]
	v_cvt_f32_f64_e32 v4, v[4:5]
	v_cvt_f32_f64_e32 v5, v[6:7]
	v_cvt_f32_f64_e32 v0, v[0:1]
	v_cvt_f32_f64_e32 v1, v[2:3]
	v_min3_f32 v137, v66, v64, v137
	v_min3_f32 v127, v62, v60, v127
	;; [unrolled: 1-line block ×16, first 2 shown]
	s_mov_b32 s4, 2
	s_mov_b64 s[2:3], 0
	s_cbranch_vccz .LBB177_56
; %bb.57:
	s_load_dwordx2 s[2:3], s[0:1], 0x78
	s_load_dword s31, s[0:1], 0x58
	s_load_dword s30, s[0:1], 0x70
	v_add_u32_e32 v22, s33, v133
	v_add_u32_e32 v0, s17, v132
	s_waitcnt lgkmcnt(0)
	s_mul_i32 s1, s16, s3
	s_mul_hi_u32 s3, s16, s2
	s_mul_i32 s0, s16, s2
	s_add_i32 s1, s3, s1
	s_lshl_b64 s[0:1], s[0:1], 3
	s_add_u32 s22, s14, s0
	s_addc_u32 s23, s15, s1
	v_mad_i64_i32 v[2:3], s[0:1], v22, s31, 0
	v_lshl_add_u64 v[18:19], v[2:3], 3, s[26:27]
	v_mad_i64_i32 v[2:3], s[0:1], v22, s30, 0
	v_cmp_gt_i32_e64 s[2:3], s20, v0
	v_cmp_gt_i32_e64 s[18:19], s21, v22
	v_lshl_add_u64 v[16:17], v[2:3], 3, s[22:23]
	v_cndmask_b32_e64 v2, 0, 1, s[28:29]
	v_ashrrev_i32_e32 v1, 31, v0
	s_and_b64 s[6:7], s[2:3], s[18:19]
	v_cmp_ne_u32_e64 s[0:1], 1, v2
	s_and_saveexec_b64 s[4:5], s[6:7]
	s_cbranch_execz .LBB177_62
; %bb.58:
	s_and_b64 vcc, exec, s[0:1]
	s_cbranch_vccnz .LBB177_60
; %bb.59:
	v_lshl_add_u64 v[2:3], v[0:1], 3, v[18:19]
	flat_load_dwordx2 v[2:3], v[2:3]
	s_waitcnt vmcnt(0) lgkmcnt(0)
	v_mul_f64 v[2:3], s[24:25], v[2:3]
	s_branch .LBB177_61
.LBB177_60:
	v_mov_b64_e32 v[2:3], 0
.LBB177_61:
	v_cvt_f32_f64_e32 v2, v[2:3]
	v_max_f32_e32 v3, v143, v143
	v_min_f32_e32 v2, v2, v3
	v_cvt_f64_f32_e32 v[2:3], v2
	v_lshl_add_u64 v[4:5], v[0:1], 3, v[16:17]
	global_store_dwordx2 v[4:5], v[2:3], off
.LBB177_62:
	s_or_b64 exec, exec, s[4:5]
	v_add_u32_e32 v2, 8, v0
	v_cmp_gt_i32_e64 s[4:5], s20, v2
	v_ashrrev_i32_e32 v3, 31, v2
	s_and_b64 s[8:9], s[4:5], s[18:19]
	s_and_saveexec_b64 s[6:7], s[8:9]
	s_cbranch_execz .LBB177_67
; %bb.63:
	s_and_b64 vcc, exec, s[0:1]
	s_cbranch_vccnz .LBB177_65
; %bb.64:
	v_lshl_add_u64 v[4:5], v[2:3], 3, v[18:19]
	flat_load_dwordx2 v[4:5], v[4:5]
	s_waitcnt vmcnt(0) lgkmcnt(0)
	v_mul_f64 v[4:5], s[24:25], v[4:5]
	s_branch .LBB177_66
.LBB177_65:
	v_mov_b64_e32 v[4:5], 0
.LBB177_66:
	v_cvt_f32_f64_e32 v4, v[4:5]
	v_max_f32_e32 v5, v142, v142
	v_min_f32_e32 v4, v4, v5
	v_cvt_f64_f32_e32 v[4:5], v4
	v_lshl_add_u64 v[6:7], v[2:3], 3, v[16:17]
	global_store_dwordx2 v[6:7], v[4:5], off
.LBB177_67:
	s_or_b64 exec, exec, s[6:7]
	v_add_u32_e32 v4, 16, v0
	v_cmp_gt_i32_e64 s[6:7], s20, v4
	v_ashrrev_i32_e32 v5, 31, v4
	s_and_b64 s[10:11], s[6:7], s[18:19]
	;; [unrolled: 26-line block ×7, first 2 shown]
	s_and_saveexec_b64 s[18:19], s[28:29]
	s_cbranch_execz .LBB177_97
; %bb.93:
	s_and_b64 vcc, exec, s[0:1]
	s_cbranch_vccnz .LBB177_95
; %bb.94:
	v_lshl_add_u64 v[18:19], v[14:15], 3, v[18:19]
	flat_load_dwordx2 v[18:19], v[18:19]
	s_waitcnt vmcnt(0) lgkmcnt(0)
	v_mul_f64 v[18:19], s[24:25], v[18:19]
	s_branch .LBB177_96
.LBB177_95:
	v_mov_b64_e32 v[18:19], 0
.LBB177_96:
	v_cvt_f32_f64_e32 v18, v[18:19]
	v_max_f32_e32 v19, v136, v136
	v_min_f32_e32 v18, v18, v19
	v_cvt_f64_f32_e32 v[18:19], v18
	v_lshl_add_u64 v[16:17], v[14:15], 3, v[16:17]
	global_store_dwordx2 v[16:17], v[18:19], off
.LBB177_97:
	s_or_b64 exec, exec, s[18:19]
	v_add_u32_e32 v20, 32, v22
	v_mad_i64_i32 v[16:17], s[28:29], v20, s31, 0
	v_cmp_gt_i32_e64 s[18:19], s21, v20
	v_lshl_add_u64 v[18:19], v[16:17], 3, s[26:27]
	v_mad_i64_i32 v[16:17], s[28:29], v20, s30, 0
	v_lshl_add_u64 v[16:17], v[16:17], 3, s[22:23]
	s_and_b64 s[34:35], s[2:3], s[18:19]
	s_and_saveexec_b64 s[28:29], s[34:35]
	s_cbranch_execnz .LBB177_105
; %bb.98:
	s_or_b64 exec, exec, s[28:29]
	s_and_b64 s[34:35], s[4:5], s[18:19]
	s_and_saveexec_b64 s[28:29], s[34:35]
	s_cbranch_execnz .LBB177_109
.LBB177_99:
	s_or_b64 exec, exec, s[28:29]
	s_and_b64 s[34:35], s[6:7], s[18:19]
	s_and_saveexec_b64 s[28:29], s[34:35]
	s_cbranch_execnz .LBB177_113
.LBB177_100:
	s_or_b64 exec, exec, s[28:29]
	s_and_b64 s[34:35], s[8:9], s[18:19]
	s_and_saveexec_b64 s[28:29], s[34:35]
	s_cbranch_execnz .LBB177_117
.LBB177_101:
	s_or_b64 exec, exec, s[28:29]
	s_and_b64 s[34:35], s[10:11], s[18:19]
	s_and_saveexec_b64 s[28:29], s[34:35]
	s_cbranch_execnz .LBB177_121
.LBB177_102:
	s_or_b64 exec, exec, s[28:29]
	s_and_b64 s[34:35], s[12:13], s[18:19]
	s_and_saveexec_b64 s[28:29], s[34:35]
	s_cbranch_execnz .LBB177_125
.LBB177_103:
	s_or_b64 exec, exec, s[28:29]
	s_and_b64 s[34:35], s[14:15], s[18:19]
	s_and_saveexec_b64 s[28:29], s[34:35]
	s_cbranch_execnz .LBB177_129
.LBB177_104:
	s_or_b64 exec, exec, s[28:29]
	s_and_b64 s[28:29], s[16:17], s[18:19]
	s_and_saveexec_b64 s[18:19], s[28:29]
	s_cbranch_execnz .LBB177_133
	s_branch .LBB177_137
.LBB177_105:
	s_and_b64 vcc, exec, s[0:1]
	s_cbranch_vccnz .LBB177_107
; %bb.106:
	v_lshl_add_u64 v[20:21], v[0:1], 3, v[18:19]
	flat_load_dwordx2 v[20:21], v[20:21]
	s_waitcnt vmcnt(0) lgkmcnt(0)
	v_mul_f64 v[20:21], s[24:25], v[20:21]
	s_branch .LBB177_108
.LBB177_107:
	v_mov_b64_e32 v[20:21], 0
.LBB177_108:
	v_cvt_f32_f64_e32 v20, v[20:21]
	v_max_f32_e32 v21, v135, v135
	v_min_f32_e32 v20, v20, v21
	v_cvt_f64_f32_e32 v[20:21], v20
	v_lshl_add_u64 v[24:25], v[0:1], 3, v[16:17]
	global_store_dwordx2 v[24:25], v[20:21], off
	s_or_b64 exec, exec, s[28:29]
	s_and_b64 s[34:35], s[4:5], s[18:19]
	s_and_saveexec_b64 s[28:29], s[34:35]
	s_cbranch_execz .LBB177_99
.LBB177_109:
	s_and_b64 vcc, exec, s[0:1]
	s_cbranch_vccnz .LBB177_111
; %bb.110:
	v_lshl_add_u64 v[20:21], v[2:3], 3, v[18:19]
	flat_load_dwordx2 v[20:21], v[20:21]
	s_waitcnt vmcnt(0) lgkmcnt(0)
	v_mul_f64 v[20:21], s[24:25], v[20:21]
	s_branch .LBB177_112
.LBB177_111:
	v_mov_b64_e32 v[20:21], 0
.LBB177_112:
	v_cvt_f32_f64_e32 v20, v[20:21]
	v_max_f32_e32 v21, v134, v134
	v_min_f32_e32 v20, v20, v21
	v_cvt_f64_f32_e32 v[20:21], v20
	v_lshl_add_u64 v[24:25], v[2:3], 3, v[16:17]
	global_store_dwordx2 v[24:25], v[20:21], off
	s_or_b64 exec, exec, s[28:29]
	s_and_b64 s[34:35], s[6:7], s[18:19]
	s_and_saveexec_b64 s[28:29], s[34:35]
	s_cbranch_execz .LBB177_100
.LBB177_113:
	s_and_b64 vcc, exec, s[0:1]
	s_cbranch_vccnz .LBB177_115
; %bb.114:
	v_lshl_add_u64 v[20:21], v[4:5], 3, v[18:19]
	flat_load_dwordx2 v[20:21], v[20:21]
	s_waitcnt vmcnt(0) lgkmcnt(0)
	v_mul_f64 v[20:21], s[24:25], v[20:21]
	s_branch .LBB177_116
.LBB177_115:
	v_mov_b64_e32 v[20:21], 0
.LBB177_116:
	v_cvt_f32_f64_e32 v20, v[20:21]
	v_max_f32_e32 v21, v131, v131
	v_min_f32_e32 v20, v20, v21
	v_cvt_f64_f32_e32 v[20:21], v20
	v_lshl_add_u64 v[24:25], v[4:5], 3, v[16:17]
	global_store_dwordx2 v[24:25], v[20:21], off
	s_or_b64 exec, exec, s[28:29]
	s_and_b64 s[34:35], s[8:9], s[18:19]
	s_and_saveexec_b64 s[28:29], s[34:35]
	s_cbranch_execz .LBB177_101
.LBB177_117:
	s_and_b64 vcc, exec, s[0:1]
	s_cbranch_vccnz .LBB177_119
; %bb.118:
	v_lshl_add_u64 v[20:21], v[6:7], 3, v[18:19]
	flat_load_dwordx2 v[20:21], v[20:21]
	s_waitcnt vmcnt(0) lgkmcnt(0)
	v_mul_f64 v[20:21], s[24:25], v[20:21]
	s_branch .LBB177_120
.LBB177_119:
	v_mov_b64_e32 v[20:21], 0
.LBB177_120:
	v_cvt_f32_f64_e32 v20, v[20:21]
	v_max_f32_e32 v21, v130, v130
	v_min_f32_e32 v20, v20, v21
	v_cvt_f64_f32_e32 v[20:21], v20
	v_lshl_add_u64 v[24:25], v[6:7], 3, v[16:17]
	global_store_dwordx2 v[24:25], v[20:21], off
	s_or_b64 exec, exec, s[28:29]
	s_and_b64 s[34:35], s[10:11], s[18:19]
	s_and_saveexec_b64 s[28:29], s[34:35]
	s_cbranch_execz .LBB177_102
.LBB177_121:
	s_and_b64 vcc, exec, s[0:1]
	s_cbranch_vccnz .LBB177_123
; %bb.122:
	v_lshl_add_u64 v[20:21], v[8:9], 3, v[18:19]
	flat_load_dwordx2 v[20:21], v[20:21]
	s_waitcnt vmcnt(0) lgkmcnt(0)
	v_mul_f64 v[20:21], s[24:25], v[20:21]
	s_branch .LBB177_124
.LBB177_123:
	v_mov_b64_e32 v[20:21], 0
.LBB177_124:
	v_cvt_f32_f64_e32 v20, v[20:21]
	v_max_f32_e32 v21, v129, v129
	v_min_f32_e32 v20, v20, v21
	v_cvt_f64_f32_e32 v[20:21], v20
	v_lshl_add_u64 v[24:25], v[8:9], 3, v[16:17]
	global_store_dwordx2 v[24:25], v[20:21], off
	s_or_b64 exec, exec, s[28:29]
	s_and_b64 s[34:35], s[12:13], s[18:19]
	s_and_saveexec_b64 s[28:29], s[34:35]
	s_cbranch_execz .LBB177_103
.LBB177_125:
	s_and_b64 vcc, exec, s[0:1]
	s_cbranch_vccnz .LBB177_127
; %bb.126:
	v_lshl_add_u64 v[20:21], v[10:11], 3, v[18:19]
	flat_load_dwordx2 v[20:21], v[20:21]
	s_waitcnt vmcnt(0) lgkmcnt(0)
	v_mul_f64 v[20:21], s[24:25], v[20:21]
	s_branch .LBB177_128
.LBB177_127:
	v_mov_b64_e32 v[20:21], 0
.LBB177_128:
	v_cvt_f32_f64_e32 v20, v[20:21]
	v_max_f32_e32 v21, v128, v128
	v_min_f32_e32 v20, v20, v21
	v_cvt_f64_f32_e32 v[20:21], v20
	v_lshl_add_u64 v[24:25], v[10:11], 3, v[16:17]
	global_store_dwordx2 v[24:25], v[20:21], off
	s_or_b64 exec, exec, s[28:29]
	s_and_b64 s[34:35], s[14:15], s[18:19]
	s_and_saveexec_b64 s[28:29], s[34:35]
	s_cbranch_execz .LBB177_104
.LBB177_129:
	s_and_b64 vcc, exec, s[0:1]
	s_cbranch_vccnz .LBB177_131
; %bb.130:
	v_lshl_add_u64 v[20:21], v[12:13], 3, v[18:19]
	flat_load_dwordx2 v[20:21], v[20:21]
	s_waitcnt vmcnt(0) lgkmcnt(0)
	v_mul_f64 v[20:21], s[24:25], v[20:21]
	s_branch .LBB177_132
.LBB177_131:
	v_mov_b64_e32 v[20:21], 0
.LBB177_132:
	v_cvt_f32_f64_e32 v20, v[20:21]
	v_max_f32_e32 v21, v127, v127
	v_min_f32_e32 v20, v20, v21
	v_cvt_f64_f32_e32 v[20:21], v20
	v_lshl_add_u64 v[24:25], v[12:13], 3, v[16:17]
	global_store_dwordx2 v[24:25], v[20:21], off
	s_or_b64 exec, exec, s[28:29]
	s_and_b64 s[28:29], s[16:17], s[18:19]
	s_and_saveexec_b64 s[18:19], s[28:29]
	s_cbranch_execz .LBB177_137
.LBB177_133:
	s_and_b64 vcc, exec, s[0:1]
	s_cbranch_vccnz .LBB177_135
; %bb.134:
	v_lshl_add_u64 v[18:19], v[14:15], 3, v[18:19]
	flat_load_dwordx2 v[18:19], v[18:19]
	s_waitcnt vmcnt(0) lgkmcnt(0)
	v_mul_f64 v[18:19], s[24:25], v[18:19]
	s_branch .LBB177_136
.LBB177_135:
	v_mov_b64_e32 v[18:19], 0
.LBB177_136:
	v_cvt_f32_f64_e32 v18, v[18:19]
	v_max_f32_e32 v19, v126, v126
	v_min_f32_e32 v18, v18, v19
	v_cvt_f64_f32_e32 v[18:19], v18
	v_lshl_add_u64 v[16:17], v[14:15], 3, v[16:17]
	global_store_dwordx2 v[16:17], v[18:19], off
.LBB177_137:
	s_or_b64 exec, exec, s[18:19]
	v_add_u32_e32 v20, 64, v22
	v_mad_i64_i32 v[16:17], s[28:29], v20, s31, 0
	v_cmp_gt_i32_e64 s[18:19], s21, v20
	v_lshl_add_u64 v[18:19], v[16:17], 3, s[26:27]
	v_mad_i64_i32 v[16:17], s[28:29], v20, s30, 0
	v_lshl_add_u64 v[16:17], v[16:17], 3, s[22:23]
	s_and_b64 s[34:35], s[2:3], s[18:19]
	s_and_saveexec_b64 s[28:29], s[34:35]
	s_cbranch_execnz .LBB177_145
; %bb.138:
	s_or_b64 exec, exec, s[28:29]
	s_and_b64 s[34:35], s[4:5], s[18:19]
	s_and_saveexec_b64 s[28:29], s[34:35]
	s_cbranch_execnz .LBB177_149
.LBB177_139:
	s_or_b64 exec, exec, s[28:29]
	s_and_b64 s[34:35], s[6:7], s[18:19]
	s_and_saveexec_b64 s[28:29], s[34:35]
	s_cbranch_execnz .LBB177_153
.LBB177_140:
	s_or_b64 exec, exec, s[28:29]
	s_and_b64 s[34:35], s[8:9], s[18:19]
	s_and_saveexec_b64 s[28:29], s[34:35]
	s_cbranch_execnz .LBB177_157
.LBB177_141:
	s_or_b64 exec, exec, s[28:29]
	s_and_b64 s[34:35], s[10:11], s[18:19]
	s_and_saveexec_b64 s[28:29], s[34:35]
	s_cbranch_execnz .LBB177_161
.LBB177_142:
	s_or_b64 exec, exec, s[28:29]
	s_and_b64 s[34:35], s[12:13], s[18:19]
	s_and_saveexec_b64 s[28:29], s[34:35]
	s_cbranch_execnz .LBB177_165
.LBB177_143:
	s_or_b64 exec, exec, s[28:29]
	s_and_b64 s[34:35], s[14:15], s[18:19]
	s_and_saveexec_b64 s[28:29], s[34:35]
	s_cbranch_execnz .LBB177_169
.LBB177_144:
	s_or_b64 exec, exec, s[28:29]
	s_and_b64 s[28:29], s[16:17], s[18:19]
	s_and_saveexec_b64 s[18:19], s[28:29]
	s_cbranch_execnz .LBB177_173
	s_branch .LBB177_177
.LBB177_145:
	s_and_b64 vcc, exec, s[0:1]
	s_cbranch_vccnz .LBB177_147
; %bb.146:
	v_lshl_add_u64 v[20:21], v[0:1], 3, v[18:19]
	flat_load_dwordx2 v[20:21], v[20:21]
	s_waitcnt vmcnt(0) lgkmcnt(0)
	v_mul_f64 v[20:21], s[24:25], v[20:21]
	s_branch .LBB177_148
.LBB177_147:
	v_mov_b64_e32 v[20:21], 0
.LBB177_148:
	v_cvt_f32_f64_e32 v20, v[20:21]
	v_max_f32_e32 v21, v125, v125
	v_min_f32_e32 v20, v20, v21
	v_cvt_f64_f32_e32 v[20:21], v20
	v_lshl_add_u64 v[24:25], v[0:1], 3, v[16:17]
	global_store_dwordx2 v[24:25], v[20:21], off
	s_or_b64 exec, exec, s[28:29]
	s_and_b64 s[34:35], s[4:5], s[18:19]
	s_and_saveexec_b64 s[28:29], s[34:35]
	s_cbranch_execz .LBB177_139
.LBB177_149:
	s_and_b64 vcc, exec, s[0:1]
	s_cbranch_vccnz .LBB177_151
; %bb.150:
	v_lshl_add_u64 v[20:21], v[2:3], 3, v[18:19]
	flat_load_dwordx2 v[20:21], v[20:21]
	s_waitcnt vmcnt(0) lgkmcnt(0)
	v_mul_f64 v[20:21], s[24:25], v[20:21]
	s_branch .LBB177_152
.LBB177_151:
	v_mov_b64_e32 v[20:21], 0
.LBB177_152:
	v_cvt_f32_f64_e32 v20, v[20:21]
	v_max_f32_e32 v21, v124, v124
	v_min_f32_e32 v20, v20, v21
	v_cvt_f64_f32_e32 v[20:21], v20
	v_lshl_add_u64 v[24:25], v[2:3], 3, v[16:17]
	global_store_dwordx2 v[24:25], v[20:21], off
	s_or_b64 exec, exec, s[28:29]
	s_and_b64 s[34:35], s[6:7], s[18:19]
	s_and_saveexec_b64 s[28:29], s[34:35]
	s_cbranch_execz .LBB177_140
.LBB177_153:
	s_and_b64 vcc, exec, s[0:1]
	s_cbranch_vccnz .LBB177_155
; %bb.154:
	v_lshl_add_u64 v[20:21], v[4:5], 3, v[18:19]
	flat_load_dwordx2 v[20:21], v[20:21]
	s_waitcnt vmcnt(0) lgkmcnt(0)
	v_mul_f64 v[20:21], s[24:25], v[20:21]
	s_branch .LBB177_156
.LBB177_155:
	v_mov_b64_e32 v[20:21], 0
.LBB177_156:
	v_cvt_f32_f64_e32 v20, v[20:21]
	v_max_f32_e32 v21, v123, v123
	v_min_f32_e32 v20, v20, v21
	v_cvt_f64_f32_e32 v[20:21], v20
	v_lshl_add_u64 v[24:25], v[4:5], 3, v[16:17]
	global_store_dwordx2 v[24:25], v[20:21], off
	s_or_b64 exec, exec, s[28:29]
	s_and_b64 s[34:35], s[8:9], s[18:19]
	s_and_saveexec_b64 s[28:29], s[34:35]
	s_cbranch_execz .LBB177_141
.LBB177_157:
	s_and_b64 vcc, exec, s[0:1]
	s_cbranch_vccnz .LBB177_159
; %bb.158:
	v_lshl_add_u64 v[20:21], v[6:7], 3, v[18:19]
	flat_load_dwordx2 v[20:21], v[20:21]
	s_waitcnt vmcnt(0) lgkmcnt(0)
	v_mul_f64 v[20:21], s[24:25], v[20:21]
	s_branch .LBB177_160
.LBB177_159:
	v_mov_b64_e32 v[20:21], 0
.LBB177_160:
	v_cvt_f32_f64_e32 v20, v[20:21]
	v_max_f32_e32 v21, v122, v122
	v_min_f32_e32 v20, v20, v21
	v_cvt_f64_f32_e32 v[20:21], v20
	v_lshl_add_u64 v[24:25], v[6:7], 3, v[16:17]
	global_store_dwordx2 v[24:25], v[20:21], off
	s_or_b64 exec, exec, s[28:29]
	s_and_b64 s[34:35], s[10:11], s[18:19]
	s_and_saveexec_b64 s[28:29], s[34:35]
	s_cbranch_execz .LBB177_142
.LBB177_161:
	s_and_b64 vcc, exec, s[0:1]
	s_cbranch_vccnz .LBB177_163
; %bb.162:
	v_lshl_add_u64 v[20:21], v[8:9], 3, v[18:19]
	flat_load_dwordx2 v[20:21], v[20:21]
	s_waitcnt vmcnt(0) lgkmcnt(0)
	v_mul_f64 v[20:21], s[24:25], v[20:21]
	s_branch .LBB177_164
.LBB177_163:
	v_mov_b64_e32 v[20:21], 0
.LBB177_164:
	v_cvt_f32_f64_e32 v20, v[20:21]
	v_max_f32_e32 v21, v121, v121
	v_min_f32_e32 v20, v20, v21
	v_cvt_f64_f32_e32 v[20:21], v20
	v_lshl_add_u64 v[24:25], v[8:9], 3, v[16:17]
	global_store_dwordx2 v[24:25], v[20:21], off
	s_or_b64 exec, exec, s[28:29]
	s_and_b64 s[34:35], s[12:13], s[18:19]
	s_and_saveexec_b64 s[28:29], s[34:35]
	s_cbranch_execz .LBB177_143
.LBB177_165:
	s_and_b64 vcc, exec, s[0:1]
	s_cbranch_vccnz .LBB177_167
; %bb.166:
	v_lshl_add_u64 v[20:21], v[10:11], 3, v[18:19]
	flat_load_dwordx2 v[20:21], v[20:21]
	s_waitcnt vmcnt(0) lgkmcnt(0)
	v_mul_f64 v[20:21], s[24:25], v[20:21]
	s_branch .LBB177_168
.LBB177_167:
	v_mov_b64_e32 v[20:21], 0
.LBB177_168:
	v_cvt_f32_f64_e32 v20, v[20:21]
	v_max_f32_e32 v21, v120, v120
	v_min_f32_e32 v20, v20, v21
	v_cvt_f64_f32_e32 v[20:21], v20
	v_lshl_add_u64 v[24:25], v[10:11], 3, v[16:17]
	global_store_dwordx2 v[24:25], v[20:21], off
	s_or_b64 exec, exec, s[28:29]
	s_and_b64 s[34:35], s[14:15], s[18:19]
	s_and_saveexec_b64 s[28:29], s[34:35]
	s_cbranch_execz .LBB177_144
.LBB177_169:
	s_and_b64 vcc, exec, s[0:1]
	s_cbranch_vccnz .LBB177_171
; %bb.170:
	v_lshl_add_u64 v[20:21], v[12:13], 3, v[18:19]
	flat_load_dwordx2 v[20:21], v[20:21]
	s_waitcnt vmcnt(0) lgkmcnt(0)
	v_mul_f64 v[20:21], s[24:25], v[20:21]
	s_branch .LBB177_172
.LBB177_171:
	v_mov_b64_e32 v[20:21], 0
.LBB177_172:
	v_cvt_f32_f64_e32 v20, v[20:21]
	v_max_f32_e32 v21, v119, v119
	v_min_f32_e32 v20, v20, v21
	v_cvt_f64_f32_e32 v[20:21], v20
	v_lshl_add_u64 v[24:25], v[12:13], 3, v[16:17]
	global_store_dwordx2 v[24:25], v[20:21], off
	s_or_b64 exec, exec, s[28:29]
	s_and_b64 s[28:29], s[16:17], s[18:19]
	s_and_saveexec_b64 s[18:19], s[28:29]
	s_cbranch_execz .LBB177_177
.LBB177_173:
	s_and_b64 vcc, exec, s[0:1]
	s_cbranch_vccnz .LBB177_175
; %bb.174:
	v_lshl_add_u64 v[18:19], v[14:15], 3, v[18:19]
	flat_load_dwordx2 v[18:19], v[18:19]
	s_waitcnt vmcnt(0) lgkmcnt(0)
	v_mul_f64 v[18:19], s[24:25], v[18:19]
	s_branch .LBB177_176
.LBB177_175:
	v_mov_b64_e32 v[18:19], 0
.LBB177_176:
	v_cvt_f32_f64_e32 v18, v[18:19]
	v_max_f32_e32 v19, v118, v118
	v_min_f32_e32 v18, v18, v19
	v_cvt_f64_f32_e32 v[18:19], v18
	v_lshl_add_u64 v[16:17], v[14:15], 3, v[16:17]
	global_store_dwordx2 v[16:17], v[18:19], off
.LBB177_177:
	s_or_b64 exec, exec, s[18:19]
	v_add_u32_e32 v20, 0x60, v22
	v_mad_i64_i32 v[16:17], s[28:29], v20, s31, 0
	v_cmp_gt_i32_e64 s[18:19], s21, v20
	v_lshl_add_u64 v[18:19], v[16:17], 3, s[26:27]
	v_mad_i64_i32 v[16:17], s[28:29], v20, s30, 0
	v_lshl_add_u64 v[16:17], v[16:17], 3, s[22:23]
	s_and_b64 s[34:35], s[2:3], s[18:19]
	s_and_saveexec_b64 s[28:29], s[34:35]
	s_cbranch_execnz .LBB177_185
; %bb.178:
	s_or_b64 exec, exec, s[28:29]
	s_and_b64 s[34:35], s[4:5], s[18:19]
	s_and_saveexec_b64 s[28:29], s[34:35]
	s_cbranch_execnz .LBB177_189
.LBB177_179:
	s_or_b64 exec, exec, s[28:29]
	s_and_b64 s[34:35], s[6:7], s[18:19]
	s_and_saveexec_b64 s[28:29], s[34:35]
	s_cbranch_execnz .LBB177_193
.LBB177_180:
	s_or_b64 exec, exec, s[28:29]
	s_and_b64 s[34:35], s[8:9], s[18:19]
	s_and_saveexec_b64 s[28:29], s[34:35]
	s_cbranch_execnz .LBB177_197
.LBB177_181:
	s_or_b64 exec, exec, s[28:29]
	s_and_b64 s[34:35], s[10:11], s[18:19]
	s_and_saveexec_b64 s[28:29], s[34:35]
	s_cbranch_execnz .LBB177_201
.LBB177_182:
	s_or_b64 exec, exec, s[28:29]
	s_and_b64 s[34:35], s[12:13], s[18:19]
	s_and_saveexec_b64 s[28:29], s[34:35]
	s_cbranch_execnz .LBB177_205
.LBB177_183:
	s_or_b64 exec, exec, s[28:29]
	s_and_b64 s[34:35], s[14:15], s[18:19]
	s_and_saveexec_b64 s[28:29], s[34:35]
	s_cbranch_execnz .LBB177_209
.LBB177_184:
	s_or_b64 exec, exec, s[28:29]
	s_and_b64 s[28:29], s[16:17], s[18:19]
	s_and_saveexec_b64 s[18:19], s[28:29]
	s_cbranch_execnz .LBB177_213
	s_branch .LBB177_217
.LBB177_185:
	s_and_b64 vcc, exec, s[0:1]
	s_cbranch_vccnz .LBB177_187
; %bb.186:
	v_lshl_add_u64 v[20:21], v[0:1], 3, v[18:19]
	flat_load_dwordx2 v[20:21], v[20:21]
	s_waitcnt vmcnt(0) lgkmcnt(0)
	v_mul_f64 v[20:21], s[24:25], v[20:21]
	s_branch .LBB177_188
.LBB177_187:
	v_mov_b64_e32 v[20:21], 0
.LBB177_188:
	v_cvt_f32_f64_e32 v20, v[20:21]
	v_max_f32_e32 v21, v117, v117
	v_min_f32_e32 v20, v20, v21
	v_cvt_f64_f32_e32 v[20:21], v20
	v_lshl_add_u64 v[24:25], v[0:1], 3, v[16:17]
	global_store_dwordx2 v[24:25], v[20:21], off
	s_or_b64 exec, exec, s[28:29]
	s_and_b64 s[34:35], s[4:5], s[18:19]
	s_and_saveexec_b64 s[28:29], s[34:35]
	s_cbranch_execz .LBB177_179
.LBB177_189:
	s_and_b64 vcc, exec, s[0:1]
	s_cbranch_vccnz .LBB177_191
; %bb.190:
	v_lshl_add_u64 v[20:21], v[2:3], 3, v[18:19]
	flat_load_dwordx2 v[20:21], v[20:21]
	s_waitcnt vmcnt(0) lgkmcnt(0)
	v_mul_f64 v[20:21], s[24:25], v[20:21]
	s_branch .LBB177_192
.LBB177_191:
	v_mov_b64_e32 v[20:21], 0
.LBB177_192:
	v_cvt_f32_f64_e32 v20, v[20:21]
	v_max_f32_e32 v21, v116, v116
	v_min_f32_e32 v20, v20, v21
	v_cvt_f64_f32_e32 v[20:21], v20
	v_lshl_add_u64 v[24:25], v[2:3], 3, v[16:17]
	global_store_dwordx2 v[24:25], v[20:21], off
	s_or_b64 exec, exec, s[28:29]
	s_and_b64 s[34:35], s[6:7], s[18:19]
	s_and_saveexec_b64 s[28:29], s[34:35]
	s_cbranch_execz .LBB177_180
.LBB177_193:
	s_and_b64 vcc, exec, s[0:1]
	s_cbranch_vccnz .LBB177_195
; %bb.194:
	v_lshl_add_u64 v[20:21], v[4:5], 3, v[18:19]
	flat_load_dwordx2 v[20:21], v[20:21]
	s_waitcnt vmcnt(0) lgkmcnt(0)
	v_mul_f64 v[20:21], s[24:25], v[20:21]
	s_branch .LBB177_196
.LBB177_195:
	v_mov_b64_e32 v[20:21], 0
.LBB177_196:
	v_cvt_f32_f64_e32 v20, v[20:21]
	v_max_f32_e32 v21, v115, v115
	v_min_f32_e32 v20, v20, v21
	v_cvt_f64_f32_e32 v[20:21], v20
	v_lshl_add_u64 v[24:25], v[4:5], 3, v[16:17]
	global_store_dwordx2 v[24:25], v[20:21], off
	s_or_b64 exec, exec, s[28:29]
	s_and_b64 s[34:35], s[8:9], s[18:19]
	s_and_saveexec_b64 s[28:29], s[34:35]
	s_cbranch_execz .LBB177_181
.LBB177_197:
	s_and_b64 vcc, exec, s[0:1]
	s_cbranch_vccnz .LBB177_199
; %bb.198:
	v_lshl_add_u64 v[20:21], v[6:7], 3, v[18:19]
	flat_load_dwordx2 v[20:21], v[20:21]
	s_waitcnt vmcnt(0) lgkmcnt(0)
	v_mul_f64 v[20:21], s[24:25], v[20:21]
	s_branch .LBB177_200
.LBB177_199:
	v_mov_b64_e32 v[20:21], 0
.LBB177_200:
	v_cvt_f32_f64_e32 v20, v[20:21]
	v_max_f32_e32 v21, v114, v114
	v_min_f32_e32 v20, v20, v21
	v_cvt_f64_f32_e32 v[20:21], v20
	v_lshl_add_u64 v[24:25], v[6:7], 3, v[16:17]
	global_store_dwordx2 v[24:25], v[20:21], off
	s_or_b64 exec, exec, s[28:29]
	s_and_b64 s[34:35], s[10:11], s[18:19]
	s_and_saveexec_b64 s[28:29], s[34:35]
	s_cbranch_execz .LBB177_182
.LBB177_201:
	s_and_b64 vcc, exec, s[0:1]
	s_cbranch_vccnz .LBB177_203
; %bb.202:
	v_lshl_add_u64 v[20:21], v[8:9], 3, v[18:19]
	flat_load_dwordx2 v[20:21], v[20:21]
	s_waitcnt vmcnt(0) lgkmcnt(0)
	v_mul_f64 v[20:21], s[24:25], v[20:21]
	s_branch .LBB177_204
.LBB177_203:
	v_mov_b64_e32 v[20:21], 0
.LBB177_204:
	v_cvt_f32_f64_e32 v20, v[20:21]
	v_max_f32_e32 v21, v113, v113
	v_min_f32_e32 v20, v20, v21
	v_cvt_f64_f32_e32 v[20:21], v20
	v_lshl_add_u64 v[24:25], v[8:9], 3, v[16:17]
	global_store_dwordx2 v[24:25], v[20:21], off
	s_or_b64 exec, exec, s[28:29]
	s_and_b64 s[34:35], s[12:13], s[18:19]
	s_and_saveexec_b64 s[28:29], s[34:35]
	s_cbranch_execz .LBB177_183
.LBB177_205:
	s_and_b64 vcc, exec, s[0:1]
	s_cbranch_vccnz .LBB177_207
; %bb.206:
	v_lshl_add_u64 v[20:21], v[10:11], 3, v[18:19]
	flat_load_dwordx2 v[20:21], v[20:21]
	s_waitcnt vmcnt(0) lgkmcnt(0)
	v_mul_f64 v[20:21], s[24:25], v[20:21]
	s_branch .LBB177_208
.LBB177_207:
	v_mov_b64_e32 v[20:21], 0
.LBB177_208:
	v_cvt_f32_f64_e32 v20, v[20:21]
	v_max_f32_e32 v21, v112, v112
	v_min_f32_e32 v20, v20, v21
	v_cvt_f64_f32_e32 v[20:21], v20
	v_lshl_add_u64 v[24:25], v[10:11], 3, v[16:17]
	global_store_dwordx2 v[24:25], v[20:21], off
	s_or_b64 exec, exec, s[28:29]
	s_and_b64 s[34:35], s[14:15], s[18:19]
	s_and_saveexec_b64 s[28:29], s[34:35]
	s_cbranch_execz .LBB177_184
.LBB177_209:
	s_and_b64 vcc, exec, s[0:1]
	s_cbranch_vccnz .LBB177_211
; %bb.210:
	v_lshl_add_u64 v[20:21], v[12:13], 3, v[18:19]
	flat_load_dwordx2 v[20:21], v[20:21]
	s_waitcnt vmcnt(0) lgkmcnt(0)
	v_mul_f64 v[20:21], s[24:25], v[20:21]
	s_branch .LBB177_212
.LBB177_211:
	v_mov_b64_e32 v[20:21], 0
.LBB177_212:
	v_cvt_f32_f64_e32 v20, v[20:21]
	v_max_f32_e32 v21, v111, v111
	v_min_f32_e32 v20, v20, v21
	v_cvt_f64_f32_e32 v[20:21], v20
	v_lshl_add_u64 v[24:25], v[12:13], 3, v[16:17]
	global_store_dwordx2 v[24:25], v[20:21], off
	s_or_b64 exec, exec, s[28:29]
	s_and_b64 s[28:29], s[16:17], s[18:19]
	s_and_saveexec_b64 s[18:19], s[28:29]
	s_cbranch_execz .LBB177_217
.LBB177_213:
	s_and_b64 vcc, exec, s[0:1]
	s_cbranch_vccnz .LBB177_215
; %bb.214:
	v_lshl_add_u64 v[18:19], v[14:15], 3, v[18:19]
	flat_load_dwordx2 v[18:19], v[18:19]
	s_waitcnt vmcnt(0) lgkmcnt(0)
	v_mul_f64 v[18:19], s[24:25], v[18:19]
	s_branch .LBB177_216
.LBB177_215:
	v_mov_b64_e32 v[18:19], 0
.LBB177_216:
	v_cvt_f32_f64_e32 v18, v[18:19]
	v_max_f32_e32 v19, v110, v110
	v_min_f32_e32 v18, v18, v19
	v_cvt_f64_f32_e32 v[18:19], v18
	v_lshl_add_u64 v[16:17], v[14:15], 3, v[16:17]
	global_store_dwordx2 v[16:17], v[18:19], off
.LBB177_217:
	s_or_b64 exec, exec, s[18:19]
	v_add_u32_e32 v20, 0x80, v22
	v_mad_i64_i32 v[16:17], s[28:29], v20, s31, 0
	v_cmp_gt_i32_e64 s[18:19], s21, v20
	v_lshl_add_u64 v[18:19], v[16:17], 3, s[26:27]
	v_mad_i64_i32 v[16:17], s[28:29], v20, s30, 0
	v_lshl_add_u64 v[16:17], v[16:17], 3, s[22:23]
	s_and_b64 s[34:35], s[2:3], s[18:19]
	s_and_saveexec_b64 s[28:29], s[34:35]
	s_cbranch_execnz .LBB177_225
; %bb.218:
	s_or_b64 exec, exec, s[28:29]
	s_and_b64 s[34:35], s[4:5], s[18:19]
	s_and_saveexec_b64 s[28:29], s[34:35]
	s_cbranch_execnz .LBB177_229
.LBB177_219:
	s_or_b64 exec, exec, s[28:29]
	s_and_b64 s[34:35], s[6:7], s[18:19]
	s_and_saveexec_b64 s[28:29], s[34:35]
	s_cbranch_execnz .LBB177_233
.LBB177_220:
	s_or_b64 exec, exec, s[28:29]
	s_and_b64 s[34:35], s[8:9], s[18:19]
	s_and_saveexec_b64 s[28:29], s[34:35]
	s_cbranch_execnz .LBB177_237
.LBB177_221:
	s_or_b64 exec, exec, s[28:29]
	s_and_b64 s[34:35], s[10:11], s[18:19]
	s_and_saveexec_b64 s[28:29], s[34:35]
	s_cbranch_execnz .LBB177_241
.LBB177_222:
	s_or_b64 exec, exec, s[28:29]
	s_and_b64 s[34:35], s[12:13], s[18:19]
	s_and_saveexec_b64 s[28:29], s[34:35]
	s_cbranch_execnz .LBB177_245
.LBB177_223:
	s_or_b64 exec, exec, s[28:29]
	s_and_b64 s[34:35], s[14:15], s[18:19]
	s_and_saveexec_b64 s[28:29], s[34:35]
	s_cbranch_execnz .LBB177_249
.LBB177_224:
	s_or_b64 exec, exec, s[28:29]
	s_and_b64 s[28:29], s[16:17], s[18:19]
	s_and_saveexec_b64 s[18:19], s[28:29]
	s_cbranch_execnz .LBB177_253
	s_branch .LBB177_257
.LBB177_225:
	s_and_b64 vcc, exec, s[0:1]
	s_cbranch_vccnz .LBB177_227
; %bb.226:
	v_lshl_add_u64 v[20:21], v[0:1], 3, v[18:19]
	flat_load_dwordx2 v[20:21], v[20:21]
	s_waitcnt vmcnt(0) lgkmcnt(0)
	v_mul_f64 v[20:21], s[24:25], v[20:21]
	s_branch .LBB177_228
.LBB177_227:
	v_mov_b64_e32 v[20:21], 0
.LBB177_228:
	v_cvt_f32_f64_e32 v20, v[20:21]
	v_max_f32_e32 v21, v109, v109
	v_min_f32_e32 v20, v20, v21
	v_cvt_f64_f32_e32 v[20:21], v20
	v_lshl_add_u64 v[24:25], v[0:1], 3, v[16:17]
	global_store_dwordx2 v[24:25], v[20:21], off
	s_or_b64 exec, exec, s[28:29]
	s_and_b64 s[34:35], s[4:5], s[18:19]
	s_and_saveexec_b64 s[28:29], s[34:35]
	s_cbranch_execz .LBB177_219
.LBB177_229:
	s_and_b64 vcc, exec, s[0:1]
	s_cbranch_vccnz .LBB177_231
; %bb.230:
	v_lshl_add_u64 v[20:21], v[2:3], 3, v[18:19]
	flat_load_dwordx2 v[20:21], v[20:21]
	s_waitcnt vmcnt(0) lgkmcnt(0)
	v_mul_f64 v[20:21], s[24:25], v[20:21]
	s_branch .LBB177_232
.LBB177_231:
	v_mov_b64_e32 v[20:21], 0
.LBB177_232:
	v_cvt_f32_f64_e32 v20, v[20:21]
	v_max_f32_e32 v21, v108, v108
	v_min_f32_e32 v20, v20, v21
	v_cvt_f64_f32_e32 v[20:21], v20
	v_lshl_add_u64 v[24:25], v[2:3], 3, v[16:17]
	global_store_dwordx2 v[24:25], v[20:21], off
	s_or_b64 exec, exec, s[28:29]
	s_and_b64 s[34:35], s[6:7], s[18:19]
	s_and_saveexec_b64 s[28:29], s[34:35]
	s_cbranch_execz .LBB177_220
.LBB177_233:
	s_and_b64 vcc, exec, s[0:1]
	s_cbranch_vccnz .LBB177_235
; %bb.234:
	v_lshl_add_u64 v[20:21], v[4:5], 3, v[18:19]
	flat_load_dwordx2 v[20:21], v[20:21]
	s_waitcnt vmcnt(0) lgkmcnt(0)
	v_mul_f64 v[20:21], s[24:25], v[20:21]
	s_branch .LBB177_236
.LBB177_235:
	v_mov_b64_e32 v[20:21], 0
.LBB177_236:
	v_cvt_f32_f64_e32 v20, v[20:21]
	v_max_f32_e32 v21, v107, v107
	v_min_f32_e32 v20, v20, v21
	v_cvt_f64_f32_e32 v[20:21], v20
	v_lshl_add_u64 v[24:25], v[4:5], 3, v[16:17]
	global_store_dwordx2 v[24:25], v[20:21], off
	s_or_b64 exec, exec, s[28:29]
	s_and_b64 s[34:35], s[8:9], s[18:19]
	s_and_saveexec_b64 s[28:29], s[34:35]
	s_cbranch_execz .LBB177_221
.LBB177_237:
	s_and_b64 vcc, exec, s[0:1]
	s_cbranch_vccnz .LBB177_239
; %bb.238:
	v_lshl_add_u64 v[20:21], v[6:7], 3, v[18:19]
	flat_load_dwordx2 v[20:21], v[20:21]
	s_waitcnt vmcnt(0) lgkmcnt(0)
	v_mul_f64 v[20:21], s[24:25], v[20:21]
	s_branch .LBB177_240
.LBB177_239:
	v_mov_b64_e32 v[20:21], 0
.LBB177_240:
	v_cvt_f32_f64_e32 v20, v[20:21]
	v_max_f32_e32 v21, v106, v106
	v_min_f32_e32 v20, v20, v21
	v_cvt_f64_f32_e32 v[20:21], v20
	v_lshl_add_u64 v[24:25], v[6:7], 3, v[16:17]
	global_store_dwordx2 v[24:25], v[20:21], off
	s_or_b64 exec, exec, s[28:29]
	s_and_b64 s[34:35], s[10:11], s[18:19]
	s_and_saveexec_b64 s[28:29], s[34:35]
	s_cbranch_execz .LBB177_222
.LBB177_241:
	s_and_b64 vcc, exec, s[0:1]
	s_cbranch_vccnz .LBB177_243
; %bb.242:
	v_lshl_add_u64 v[20:21], v[8:9], 3, v[18:19]
	flat_load_dwordx2 v[20:21], v[20:21]
	s_waitcnt vmcnt(0) lgkmcnt(0)
	v_mul_f64 v[20:21], s[24:25], v[20:21]
	s_branch .LBB177_244
.LBB177_243:
	v_mov_b64_e32 v[20:21], 0
.LBB177_244:
	v_cvt_f32_f64_e32 v20, v[20:21]
	v_max_f32_e32 v21, v105, v105
	v_min_f32_e32 v20, v20, v21
	v_cvt_f64_f32_e32 v[20:21], v20
	v_lshl_add_u64 v[24:25], v[8:9], 3, v[16:17]
	global_store_dwordx2 v[24:25], v[20:21], off
	s_or_b64 exec, exec, s[28:29]
	s_and_b64 s[34:35], s[12:13], s[18:19]
	s_and_saveexec_b64 s[28:29], s[34:35]
	s_cbranch_execz .LBB177_223
.LBB177_245:
	s_and_b64 vcc, exec, s[0:1]
	s_cbranch_vccnz .LBB177_247
; %bb.246:
	v_lshl_add_u64 v[20:21], v[10:11], 3, v[18:19]
	flat_load_dwordx2 v[20:21], v[20:21]
	s_waitcnt vmcnt(0) lgkmcnt(0)
	v_mul_f64 v[20:21], s[24:25], v[20:21]
	s_branch .LBB177_248
.LBB177_247:
	v_mov_b64_e32 v[20:21], 0
.LBB177_248:
	v_cvt_f32_f64_e32 v20, v[20:21]
	v_max_f32_e32 v21, v104, v104
	v_min_f32_e32 v20, v20, v21
	v_cvt_f64_f32_e32 v[20:21], v20
	v_lshl_add_u64 v[24:25], v[10:11], 3, v[16:17]
	global_store_dwordx2 v[24:25], v[20:21], off
	s_or_b64 exec, exec, s[28:29]
	s_and_b64 s[34:35], s[14:15], s[18:19]
	s_and_saveexec_b64 s[28:29], s[34:35]
	s_cbranch_execz .LBB177_224
.LBB177_249:
	s_and_b64 vcc, exec, s[0:1]
	s_cbranch_vccnz .LBB177_251
; %bb.250:
	v_lshl_add_u64 v[20:21], v[12:13], 3, v[18:19]
	flat_load_dwordx2 v[20:21], v[20:21]
	s_waitcnt vmcnt(0) lgkmcnt(0)
	v_mul_f64 v[20:21], s[24:25], v[20:21]
	s_branch .LBB177_252
.LBB177_251:
	v_mov_b64_e32 v[20:21], 0
.LBB177_252:
	v_cvt_f32_f64_e32 v20, v[20:21]
	v_max_f32_e32 v21, v103, v103
	v_min_f32_e32 v20, v20, v21
	v_cvt_f64_f32_e32 v[20:21], v20
	v_lshl_add_u64 v[24:25], v[12:13], 3, v[16:17]
	global_store_dwordx2 v[24:25], v[20:21], off
	s_or_b64 exec, exec, s[28:29]
	s_and_b64 s[28:29], s[16:17], s[18:19]
	s_and_saveexec_b64 s[18:19], s[28:29]
	s_cbranch_execz .LBB177_257
.LBB177_253:
	s_and_b64 vcc, exec, s[0:1]
	s_cbranch_vccnz .LBB177_255
; %bb.254:
	v_lshl_add_u64 v[18:19], v[14:15], 3, v[18:19]
	flat_load_dwordx2 v[18:19], v[18:19]
	s_waitcnt vmcnt(0) lgkmcnt(0)
	v_mul_f64 v[18:19], s[24:25], v[18:19]
	s_branch .LBB177_256
.LBB177_255:
	v_mov_b64_e32 v[18:19], 0
.LBB177_256:
	v_cvt_f32_f64_e32 v18, v[18:19]
	v_max_f32_e32 v19, v102, v102
	v_min_f32_e32 v18, v18, v19
	v_cvt_f64_f32_e32 v[18:19], v18
	v_lshl_add_u64 v[16:17], v[14:15], 3, v[16:17]
	global_store_dwordx2 v[16:17], v[18:19], off
.LBB177_257:
	s_or_b64 exec, exec, s[18:19]
	v_add_u32_e32 v20, 0xa0, v22
	v_mad_i64_i32 v[16:17], s[28:29], v20, s31, 0
	v_cmp_gt_i32_e64 s[18:19], s21, v20
	v_lshl_add_u64 v[18:19], v[16:17], 3, s[26:27]
	v_mad_i64_i32 v[16:17], s[28:29], v20, s30, 0
	v_lshl_add_u64 v[16:17], v[16:17], 3, s[22:23]
	s_and_b64 s[34:35], s[2:3], s[18:19]
	s_and_saveexec_b64 s[28:29], s[34:35]
	s_cbranch_execnz .LBB177_265
; %bb.258:
	s_or_b64 exec, exec, s[28:29]
	s_and_b64 s[34:35], s[4:5], s[18:19]
	s_and_saveexec_b64 s[28:29], s[34:35]
	s_cbranch_execnz .LBB177_269
.LBB177_259:
	s_or_b64 exec, exec, s[28:29]
	s_and_b64 s[34:35], s[6:7], s[18:19]
	s_and_saveexec_b64 s[28:29], s[34:35]
	s_cbranch_execnz .LBB177_273
.LBB177_260:
	s_or_b64 exec, exec, s[28:29]
	s_and_b64 s[34:35], s[8:9], s[18:19]
	s_and_saveexec_b64 s[28:29], s[34:35]
	s_cbranch_execnz .LBB177_277
.LBB177_261:
	s_or_b64 exec, exec, s[28:29]
	s_and_b64 s[34:35], s[10:11], s[18:19]
	s_and_saveexec_b64 s[28:29], s[34:35]
	s_cbranch_execnz .LBB177_281
.LBB177_262:
	s_or_b64 exec, exec, s[28:29]
	s_and_b64 s[34:35], s[12:13], s[18:19]
	s_and_saveexec_b64 s[28:29], s[34:35]
	s_cbranch_execnz .LBB177_285
.LBB177_263:
	s_or_b64 exec, exec, s[28:29]
	s_and_b64 s[34:35], s[14:15], s[18:19]
	s_and_saveexec_b64 s[28:29], s[34:35]
	s_cbranch_execnz .LBB177_289
.LBB177_264:
	s_or_b64 exec, exec, s[28:29]
	s_and_b64 s[28:29], s[16:17], s[18:19]
	s_and_saveexec_b64 s[18:19], s[28:29]
	s_cbranch_execnz .LBB177_293
	s_branch .LBB177_297
.LBB177_265:
	s_and_b64 vcc, exec, s[0:1]
	s_cbranch_vccnz .LBB177_267
; %bb.266:
	v_lshl_add_u64 v[20:21], v[0:1], 3, v[18:19]
	flat_load_dwordx2 v[20:21], v[20:21]
	s_waitcnt vmcnt(0) lgkmcnt(0)
	v_mul_f64 v[20:21], s[24:25], v[20:21]
	s_branch .LBB177_268
.LBB177_267:
	v_mov_b64_e32 v[20:21], 0
.LBB177_268:
	v_cvt_f32_f64_e32 v20, v[20:21]
	v_max_f32_e32 v21, v101, v101
	v_min_f32_e32 v20, v20, v21
	v_cvt_f64_f32_e32 v[20:21], v20
	v_lshl_add_u64 v[24:25], v[0:1], 3, v[16:17]
	global_store_dwordx2 v[24:25], v[20:21], off
	s_or_b64 exec, exec, s[28:29]
	s_and_b64 s[34:35], s[4:5], s[18:19]
	s_and_saveexec_b64 s[28:29], s[34:35]
	s_cbranch_execz .LBB177_259
.LBB177_269:
	s_and_b64 vcc, exec, s[0:1]
	s_cbranch_vccnz .LBB177_271
; %bb.270:
	v_lshl_add_u64 v[20:21], v[2:3], 3, v[18:19]
	flat_load_dwordx2 v[20:21], v[20:21]
	s_waitcnt vmcnt(0) lgkmcnt(0)
	v_mul_f64 v[20:21], s[24:25], v[20:21]
	s_branch .LBB177_272
.LBB177_271:
	v_mov_b64_e32 v[20:21], 0
.LBB177_272:
	v_cvt_f32_f64_e32 v20, v[20:21]
	v_max_f32_e32 v21, v100, v100
	v_min_f32_e32 v20, v20, v21
	v_cvt_f64_f32_e32 v[20:21], v20
	v_lshl_add_u64 v[24:25], v[2:3], 3, v[16:17]
	global_store_dwordx2 v[24:25], v[20:21], off
	s_or_b64 exec, exec, s[28:29]
	s_and_b64 s[34:35], s[6:7], s[18:19]
	s_and_saveexec_b64 s[28:29], s[34:35]
	s_cbranch_execz .LBB177_260
.LBB177_273:
	s_and_b64 vcc, exec, s[0:1]
	s_cbranch_vccnz .LBB177_275
; %bb.274:
	v_lshl_add_u64 v[20:21], v[4:5], 3, v[18:19]
	flat_load_dwordx2 v[20:21], v[20:21]
	s_waitcnt vmcnt(0) lgkmcnt(0)
	v_mul_f64 v[20:21], s[24:25], v[20:21]
	s_branch .LBB177_276
.LBB177_275:
	v_mov_b64_e32 v[20:21], 0
.LBB177_276:
	v_cvt_f32_f64_e32 v20, v[20:21]
	v_max_f32_e32 v21, v99, v99
	v_min_f32_e32 v20, v20, v21
	v_cvt_f64_f32_e32 v[20:21], v20
	v_lshl_add_u64 v[24:25], v[4:5], 3, v[16:17]
	global_store_dwordx2 v[24:25], v[20:21], off
	s_or_b64 exec, exec, s[28:29]
	s_and_b64 s[34:35], s[8:9], s[18:19]
	s_and_saveexec_b64 s[28:29], s[34:35]
	s_cbranch_execz .LBB177_261
.LBB177_277:
	s_and_b64 vcc, exec, s[0:1]
	s_cbranch_vccnz .LBB177_279
; %bb.278:
	v_lshl_add_u64 v[20:21], v[6:7], 3, v[18:19]
	flat_load_dwordx2 v[20:21], v[20:21]
	s_waitcnt vmcnt(0) lgkmcnt(0)
	v_mul_f64 v[20:21], s[24:25], v[20:21]
	s_branch .LBB177_280
.LBB177_279:
	v_mov_b64_e32 v[20:21], 0
.LBB177_280:
	v_cvt_f32_f64_e32 v20, v[20:21]
	v_max_f32_e32 v21, v98, v98
	v_min_f32_e32 v20, v20, v21
	v_cvt_f64_f32_e32 v[20:21], v20
	v_lshl_add_u64 v[24:25], v[6:7], 3, v[16:17]
	global_store_dwordx2 v[24:25], v[20:21], off
	s_or_b64 exec, exec, s[28:29]
	s_and_b64 s[34:35], s[10:11], s[18:19]
	s_and_saveexec_b64 s[28:29], s[34:35]
	s_cbranch_execz .LBB177_262
.LBB177_281:
	s_and_b64 vcc, exec, s[0:1]
	s_cbranch_vccnz .LBB177_283
; %bb.282:
	v_lshl_add_u64 v[20:21], v[8:9], 3, v[18:19]
	flat_load_dwordx2 v[20:21], v[20:21]
	s_waitcnt vmcnt(0) lgkmcnt(0)
	v_mul_f64 v[20:21], s[24:25], v[20:21]
	s_branch .LBB177_284
.LBB177_283:
	v_mov_b64_e32 v[20:21], 0
.LBB177_284:
	v_cvt_f32_f64_e32 v20, v[20:21]
	v_max_f32_e32 v21, v97, v97
	v_min_f32_e32 v20, v20, v21
	v_cvt_f64_f32_e32 v[20:21], v20
	v_lshl_add_u64 v[24:25], v[8:9], 3, v[16:17]
	global_store_dwordx2 v[24:25], v[20:21], off
	s_or_b64 exec, exec, s[28:29]
	s_and_b64 s[34:35], s[12:13], s[18:19]
	s_and_saveexec_b64 s[28:29], s[34:35]
	s_cbranch_execz .LBB177_263
.LBB177_285:
	s_and_b64 vcc, exec, s[0:1]
	s_cbranch_vccnz .LBB177_287
; %bb.286:
	v_lshl_add_u64 v[20:21], v[10:11], 3, v[18:19]
	flat_load_dwordx2 v[20:21], v[20:21]
	s_waitcnt vmcnt(0) lgkmcnt(0)
	v_mul_f64 v[20:21], s[24:25], v[20:21]
	s_branch .LBB177_288
.LBB177_287:
	v_mov_b64_e32 v[20:21], 0
.LBB177_288:
	v_cvt_f32_f64_e32 v20, v[20:21]
	v_max_f32_e32 v21, v96, v96
	v_min_f32_e32 v20, v20, v21
	v_cvt_f64_f32_e32 v[20:21], v20
	v_lshl_add_u64 v[24:25], v[10:11], 3, v[16:17]
	global_store_dwordx2 v[24:25], v[20:21], off
	s_or_b64 exec, exec, s[28:29]
	s_and_b64 s[34:35], s[14:15], s[18:19]
	s_and_saveexec_b64 s[28:29], s[34:35]
	s_cbranch_execz .LBB177_264
.LBB177_289:
	s_and_b64 vcc, exec, s[0:1]
	s_cbranch_vccnz .LBB177_291
; %bb.290:
	v_lshl_add_u64 v[20:21], v[12:13], 3, v[18:19]
	flat_load_dwordx2 v[20:21], v[20:21]
	s_waitcnt vmcnt(0) lgkmcnt(0)
	v_mul_f64 v[20:21], s[24:25], v[20:21]
	s_branch .LBB177_292
.LBB177_291:
	v_mov_b64_e32 v[20:21], 0
.LBB177_292:
	v_cvt_f32_f64_e32 v20, v[20:21]
	v_max_f32_e32 v21, v95, v95
	v_min_f32_e32 v20, v20, v21
	v_cvt_f64_f32_e32 v[20:21], v20
	v_lshl_add_u64 v[24:25], v[12:13], 3, v[16:17]
	global_store_dwordx2 v[24:25], v[20:21], off
	s_or_b64 exec, exec, s[28:29]
	s_and_b64 s[28:29], s[16:17], s[18:19]
	s_and_saveexec_b64 s[18:19], s[28:29]
	s_cbranch_execz .LBB177_297
.LBB177_293:
	s_and_b64 vcc, exec, s[0:1]
	s_cbranch_vccnz .LBB177_295
; %bb.294:
	v_lshl_add_u64 v[18:19], v[14:15], 3, v[18:19]
	flat_load_dwordx2 v[18:19], v[18:19]
	s_waitcnt vmcnt(0) lgkmcnt(0)
	v_mul_f64 v[18:19], s[24:25], v[18:19]
	s_branch .LBB177_296
.LBB177_295:
	v_mov_b64_e32 v[18:19], 0
.LBB177_296:
	v_cvt_f32_f64_e32 v18, v[18:19]
	v_max_f32_e32 v19, v94, v94
	v_min_f32_e32 v18, v18, v19
	v_cvt_f64_f32_e32 v[18:19], v18
	v_lshl_add_u64 v[16:17], v[14:15], 3, v[16:17]
	global_store_dwordx2 v[16:17], v[18:19], off
.LBB177_297:
	s_or_b64 exec, exec, s[18:19]
	v_add_u32_e32 v20, 0xc0, v22
	v_mad_i64_i32 v[16:17], s[28:29], v20, s31, 0
	v_cmp_gt_i32_e64 s[18:19], s21, v20
	v_lshl_add_u64 v[18:19], v[16:17], 3, s[26:27]
	v_mad_i64_i32 v[16:17], s[28:29], v20, s30, 0
	v_lshl_add_u64 v[16:17], v[16:17], 3, s[22:23]
	s_and_b64 s[34:35], s[2:3], s[18:19]
	s_and_saveexec_b64 s[28:29], s[34:35]
	s_cbranch_execnz .LBB177_305
; %bb.298:
	s_or_b64 exec, exec, s[28:29]
	s_and_b64 s[34:35], s[4:5], s[18:19]
	s_and_saveexec_b64 s[28:29], s[34:35]
	s_cbranch_execnz .LBB177_309
.LBB177_299:
	s_or_b64 exec, exec, s[28:29]
	s_and_b64 s[34:35], s[6:7], s[18:19]
	s_and_saveexec_b64 s[28:29], s[34:35]
	s_cbranch_execnz .LBB177_313
.LBB177_300:
	s_or_b64 exec, exec, s[28:29]
	s_and_b64 s[34:35], s[8:9], s[18:19]
	s_and_saveexec_b64 s[28:29], s[34:35]
	s_cbranch_execnz .LBB177_317
.LBB177_301:
	s_or_b64 exec, exec, s[28:29]
	s_and_b64 s[34:35], s[10:11], s[18:19]
	s_and_saveexec_b64 s[28:29], s[34:35]
	s_cbranch_execnz .LBB177_321
.LBB177_302:
	s_or_b64 exec, exec, s[28:29]
	s_and_b64 s[34:35], s[12:13], s[18:19]
	s_and_saveexec_b64 s[28:29], s[34:35]
	s_cbranch_execnz .LBB177_325
.LBB177_303:
	s_or_b64 exec, exec, s[28:29]
	s_and_b64 s[34:35], s[14:15], s[18:19]
	s_and_saveexec_b64 s[28:29], s[34:35]
	s_cbranch_execnz .LBB177_329
.LBB177_304:
	s_or_b64 exec, exec, s[28:29]
	s_and_b64 s[28:29], s[16:17], s[18:19]
	s_and_saveexec_b64 s[18:19], s[28:29]
	s_cbranch_execnz .LBB177_333
	s_branch .LBB177_337
.LBB177_305:
	s_and_b64 vcc, exec, s[0:1]
	s_cbranch_vccnz .LBB177_307
; %bb.306:
	v_lshl_add_u64 v[20:21], v[0:1], 3, v[18:19]
	flat_load_dwordx2 v[20:21], v[20:21]
	s_waitcnt vmcnt(0) lgkmcnt(0)
	v_mul_f64 v[20:21], s[24:25], v[20:21]
	s_branch .LBB177_308
.LBB177_307:
	v_mov_b64_e32 v[20:21], 0
.LBB177_308:
	v_cvt_f32_f64_e32 v20, v[20:21]
	v_max_f32_e32 v21, v93, v93
	v_min_f32_e32 v20, v20, v21
	v_cvt_f64_f32_e32 v[20:21], v20
	v_lshl_add_u64 v[24:25], v[0:1], 3, v[16:17]
	global_store_dwordx2 v[24:25], v[20:21], off
	s_or_b64 exec, exec, s[28:29]
	s_and_b64 s[34:35], s[4:5], s[18:19]
	s_and_saveexec_b64 s[28:29], s[34:35]
	s_cbranch_execz .LBB177_299
.LBB177_309:
	s_and_b64 vcc, exec, s[0:1]
	s_cbranch_vccnz .LBB177_311
; %bb.310:
	v_lshl_add_u64 v[20:21], v[2:3], 3, v[18:19]
	flat_load_dwordx2 v[20:21], v[20:21]
	s_waitcnt vmcnt(0) lgkmcnt(0)
	v_mul_f64 v[20:21], s[24:25], v[20:21]
	s_branch .LBB177_312
.LBB177_311:
	v_mov_b64_e32 v[20:21], 0
.LBB177_312:
	v_cvt_f32_f64_e32 v20, v[20:21]
	v_max_f32_e32 v21, v92, v92
	v_min_f32_e32 v20, v20, v21
	v_cvt_f64_f32_e32 v[20:21], v20
	v_lshl_add_u64 v[24:25], v[2:3], 3, v[16:17]
	global_store_dwordx2 v[24:25], v[20:21], off
	s_or_b64 exec, exec, s[28:29]
	s_and_b64 s[34:35], s[6:7], s[18:19]
	s_and_saveexec_b64 s[28:29], s[34:35]
	s_cbranch_execz .LBB177_300
.LBB177_313:
	s_and_b64 vcc, exec, s[0:1]
	s_cbranch_vccnz .LBB177_315
; %bb.314:
	v_lshl_add_u64 v[20:21], v[4:5], 3, v[18:19]
	flat_load_dwordx2 v[20:21], v[20:21]
	s_waitcnt vmcnt(0) lgkmcnt(0)
	v_mul_f64 v[20:21], s[24:25], v[20:21]
	s_branch .LBB177_316
.LBB177_315:
	v_mov_b64_e32 v[20:21], 0
.LBB177_316:
	v_cvt_f32_f64_e32 v20, v[20:21]
	v_max_f32_e32 v21, v91, v91
	v_min_f32_e32 v20, v20, v21
	v_cvt_f64_f32_e32 v[20:21], v20
	v_lshl_add_u64 v[24:25], v[4:5], 3, v[16:17]
	global_store_dwordx2 v[24:25], v[20:21], off
	s_or_b64 exec, exec, s[28:29]
	s_and_b64 s[34:35], s[8:9], s[18:19]
	s_and_saveexec_b64 s[28:29], s[34:35]
	s_cbranch_execz .LBB177_301
.LBB177_317:
	s_and_b64 vcc, exec, s[0:1]
	s_cbranch_vccnz .LBB177_319
; %bb.318:
	v_lshl_add_u64 v[20:21], v[6:7], 3, v[18:19]
	flat_load_dwordx2 v[20:21], v[20:21]
	s_waitcnt vmcnt(0) lgkmcnt(0)
	v_mul_f64 v[20:21], s[24:25], v[20:21]
	s_branch .LBB177_320
.LBB177_319:
	v_mov_b64_e32 v[20:21], 0
.LBB177_320:
	v_cvt_f32_f64_e32 v20, v[20:21]
	v_max_f32_e32 v21, v90, v90
	v_min_f32_e32 v20, v20, v21
	v_cvt_f64_f32_e32 v[20:21], v20
	v_lshl_add_u64 v[24:25], v[6:7], 3, v[16:17]
	global_store_dwordx2 v[24:25], v[20:21], off
	s_or_b64 exec, exec, s[28:29]
	s_and_b64 s[34:35], s[10:11], s[18:19]
	s_and_saveexec_b64 s[28:29], s[34:35]
	s_cbranch_execz .LBB177_302
.LBB177_321:
	s_and_b64 vcc, exec, s[0:1]
	s_cbranch_vccnz .LBB177_323
; %bb.322:
	v_lshl_add_u64 v[20:21], v[8:9], 3, v[18:19]
	flat_load_dwordx2 v[20:21], v[20:21]
	s_waitcnt vmcnt(0) lgkmcnt(0)
	v_mul_f64 v[20:21], s[24:25], v[20:21]
	s_branch .LBB177_324
.LBB177_323:
	v_mov_b64_e32 v[20:21], 0
.LBB177_324:
	v_cvt_f32_f64_e32 v20, v[20:21]
	v_max_f32_e32 v21, v89, v89
	v_min_f32_e32 v20, v20, v21
	v_cvt_f64_f32_e32 v[20:21], v20
	v_lshl_add_u64 v[24:25], v[8:9], 3, v[16:17]
	global_store_dwordx2 v[24:25], v[20:21], off
	s_or_b64 exec, exec, s[28:29]
	s_and_b64 s[34:35], s[12:13], s[18:19]
	s_and_saveexec_b64 s[28:29], s[34:35]
	s_cbranch_execz .LBB177_303
.LBB177_325:
	s_and_b64 vcc, exec, s[0:1]
	s_cbranch_vccnz .LBB177_327
; %bb.326:
	v_lshl_add_u64 v[20:21], v[10:11], 3, v[18:19]
	flat_load_dwordx2 v[20:21], v[20:21]
	s_waitcnt vmcnt(0) lgkmcnt(0)
	v_mul_f64 v[20:21], s[24:25], v[20:21]
	s_branch .LBB177_328
.LBB177_327:
	v_mov_b64_e32 v[20:21], 0
.LBB177_328:
	v_cvt_f32_f64_e32 v20, v[20:21]
	v_max_f32_e32 v21, v88, v88
	v_min_f32_e32 v20, v20, v21
	v_cvt_f64_f32_e32 v[20:21], v20
	v_lshl_add_u64 v[24:25], v[10:11], 3, v[16:17]
	global_store_dwordx2 v[24:25], v[20:21], off
	s_or_b64 exec, exec, s[28:29]
	s_and_b64 s[34:35], s[14:15], s[18:19]
	s_and_saveexec_b64 s[28:29], s[34:35]
	s_cbranch_execz .LBB177_304
.LBB177_329:
	s_and_b64 vcc, exec, s[0:1]
	s_cbranch_vccnz .LBB177_331
; %bb.330:
	v_lshl_add_u64 v[20:21], v[12:13], 3, v[18:19]
	flat_load_dwordx2 v[20:21], v[20:21]
	s_waitcnt vmcnt(0) lgkmcnt(0)
	v_mul_f64 v[20:21], s[24:25], v[20:21]
	s_branch .LBB177_332
.LBB177_331:
	v_mov_b64_e32 v[20:21], 0
.LBB177_332:
	v_cvt_f32_f64_e32 v20, v[20:21]
	v_max_f32_e32 v21, v87, v87
	v_min_f32_e32 v20, v20, v21
	v_cvt_f64_f32_e32 v[20:21], v20
	v_lshl_add_u64 v[24:25], v[12:13], 3, v[16:17]
	global_store_dwordx2 v[24:25], v[20:21], off
	s_or_b64 exec, exec, s[28:29]
	s_and_b64 s[28:29], s[16:17], s[18:19]
	s_and_saveexec_b64 s[18:19], s[28:29]
	s_cbranch_execz .LBB177_337
.LBB177_333:
	s_and_b64 vcc, exec, s[0:1]
	s_cbranch_vccnz .LBB177_335
; %bb.334:
	v_lshl_add_u64 v[18:19], v[14:15], 3, v[18:19]
	flat_load_dwordx2 v[18:19], v[18:19]
	s_waitcnt vmcnt(0) lgkmcnt(0)
	v_mul_f64 v[18:19], s[24:25], v[18:19]
	s_branch .LBB177_336
.LBB177_335:
	v_mov_b64_e32 v[18:19], 0
.LBB177_336:
	v_cvt_f32_f64_e32 v18, v[18:19]
	v_max_f32_e32 v19, v86, v86
	v_min_f32_e32 v18, v18, v19
	v_cvt_f64_f32_e32 v[18:19], v18
	v_lshl_add_u64 v[16:17], v[14:15], 3, v[16:17]
	global_store_dwordx2 v[16:17], v[18:19], off
.LBB177_337:
	s_or_b64 exec, exec, s[18:19]
	v_add_u32_e32 v20, 0xe0, v22
	v_cmp_gt_i32_e64 s[18:19], s21, v20
	v_mad_i64_i32 v[16:17], s[20:21], v20, s31, 0
	v_lshl_add_u64 v[18:19], v[16:17], 3, s[26:27]
	v_mad_i64_i32 v[16:17], s[20:21], v20, s30, 0
	v_lshl_add_u64 v[16:17], v[16:17], 3, s[22:23]
	s_and_b64 s[20:21], s[2:3], s[18:19]
	s_and_saveexec_b64 s[2:3], s[20:21]
	s_cbranch_execnz .LBB177_346
; %bb.338:
	s_or_b64 exec, exec, s[2:3]
	s_and_b64 s[4:5], s[4:5], s[18:19]
	s_and_saveexec_b64 s[2:3], s[4:5]
	s_cbranch_execnz .LBB177_350
.LBB177_339:
	s_or_b64 exec, exec, s[2:3]
	s_and_b64 s[4:5], s[6:7], s[18:19]
	s_and_saveexec_b64 s[2:3], s[4:5]
	s_cbranch_execnz .LBB177_354
.LBB177_340:
	s_or_b64 exec, exec, s[2:3]
	s_and_b64 s[4:5], s[8:9], s[18:19]
	s_and_saveexec_b64 s[2:3], s[4:5]
	s_cbranch_execnz .LBB177_358
.LBB177_341:
	s_or_b64 exec, exec, s[2:3]
	s_and_b64 s[4:5], s[10:11], s[18:19]
	s_and_saveexec_b64 s[2:3], s[4:5]
	s_cbranch_execnz .LBB177_362
.LBB177_342:
	s_or_b64 exec, exec, s[2:3]
	s_and_b64 s[4:5], s[12:13], s[18:19]
	s_and_saveexec_b64 s[2:3], s[4:5]
	s_cbranch_execnz .LBB177_366
.LBB177_343:
	s_or_b64 exec, exec, s[2:3]
	s_and_b64 s[4:5], s[14:15], s[18:19]
	s_and_saveexec_b64 s[2:3], s[4:5]
	s_cbranch_execnz .LBB177_370
.LBB177_344:
	s_or_b64 exec, exec, s[2:3]
	s_and_b64 s[2:3], s[16:17], s[18:19]
	s_and_saveexec_b64 s[4:5], s[2:3]
	s_cbranch_execnz .LBB177_374
.LBB177_345:
	s_endpgm
.LBB177_346:
	s_and_b64 vcc, exec, s[0:1]
	s_cbranch_vccnz .LBB177_348
; %bb.347:
	v_lshl_add_u64 v[20:21], v[0:1], 3, v[18:19]
	flat_load_dwordx2 v[20:21], v[20:21]
	s_waitcnt vmcnt(0) lgkmcnt(0)
	v_mul_f64 v[20:21], s[24:25], v[20:21]
	v_cvt_f32_f64_e32 v20, v[20:21]
	s_branch .LBB177_349
.LBB177_348:
	v_mov_b32_e32 v20, 0
.LBB177_349:
	v_max_f32_e32 v21, v85, v85
	v_max_f32_e32 v20, v20, v20
	v_min_f32_e32 v20, v20, v21
	v_cvt_f64_f32_e32 v[20:21], v20
	v_lshl_add_u64 v[0:1], v[0:1], 3, v[16:17]
	global_store_dwordx2 v[0:1], v[20:21], off
	s_or_b64 exec, exec, s[2:3]
	s_and_b64 s[4:5], s[4:5], s[18:19]
	s_and_saveexec_b64 s[2:3], s[4:5]
	s_cbranch_execz .LBB177_339
.LBB177_350:
	s_and_b64 vcc, exec, s[0:1]
	s_cbranch_vccnz .LBB177_352
; %bb.351:
	v_lshl_add_u64 v[0:1], v[2:3], 3, v[18:19]
	flat_load_dwordx2 v[0:1], v[0:1]
	s_waitcnt vmcnt(0) lgkmcnt(0)
	v_mul_f64 v[0:1], s[24:25], v[0:1]
	v_cvt_f32_f64_e32 v0, v[0:1]
	s_branch .LBB177_353
.LBB177_352:
	v_mov_b32_e32 v0, 0
.LBB177_353:
	v_max_f32_e32 v1, v84, v84
	v_max_f32_e32 v0, v0, v0
	v_min_f32_e32 v0, v0, v1
	v_cvt_f64_f32_e32 v[0:1], v0
	v_lshl_add_u64 v[2:3], v[2:3], 3, v[16:17]
	global_store_dwordx2 v[2:3], v[0:1], off
	s_or_b64 exec, exec, s[2:3]
	s_and_b64 s[4:5], s[6:7], s[18:19]
	s_and_saveexec_b64 s[2:3], s[4:5]
	s_cbranch_execz .LBB177_340
.LBB177_354:
	s_and_b64 vcc, exec, s[0:1]
	s_cbranch_vccnz .LBB177_356
; %bb.355:
	v_lshl_add_u64 v[0:1], v[4:5], 3, v[18:19]
	flat_load_dwordx2 v[0:1], v[0:1]
	s_waitcnt vmcnt(0) lgkmcnt(0)
	v_mul_f64 v[0:1], s[24:25], v[0:1]
	v_cvt_f32_f64_e32 v0, v[0:1]
	s_branch .LBB177_357
.LBB177_356:
	v_mov_b32_e32 v0, 0
.LBB177_357:
	v_max_f32_e32 v1, v83, v83
	v_max_f32_e32 v0, v0, v0
	v_min_f32_e32 v0, v0, v1
	v_cvt_f64_f32_e32 v[0:1], v0
	v_lshl_add_u64 v[2:3], v[4:5], 3, v[16:17]
	global_store_dwordx2 v[2:3], v[0:1], off
	s_or_b64 exec, exec, s[2:3]
	s_and_b64 s[4:5], s[8:9], s[18:19]
	s_and_saveexec_b64 s[2:3], s[4:5]
	s_cbranch_execz .LBB177_341
.LBB177_358:
	s_and_b64 vcc, exec, s[0:1]
	s_cbranch_vccnz .LBB177_360
; %bb.359:
	v_lshl_add_u64 v[0:1], v[6:7], 3, v[18:19]
	flat_load_dwordx2 v[0:1], v[0:1]
	s_waitcnt vmcnt(0) lgkmcnt(0)
	v_mul_f64 v[0:1], s[24:25], v[0:1]
	v_cvt_f32_f64_e32 v0, v[0:1]
	s_branch .LBB177_361
.LBB177_360:
	v_mov_b32_e32 v0, 0
.LBB177_361:
	v_max_f32_e32 v1, v82, v82
	v_max_f32_e32 v0, v0, v0
	v_min_f32_e32 v0, v0, v1
	v_cvt_f64_f32_e32 v[0:1], v0
	v_lshl_add_u64 v[2:3], v[6:7], 3, v[16:17]
	global_store_dwordx2 v[2:3], v[0:1], off
	s_or_b64 exec, exec, s[2:3]
	s_and_b64 s[4:5], s[10:11], s[18:19]
	s_and_saveexec_b64 s[2:3], s[4:5]
	s_cbranch_execz .LBB177_342
.LBB177_362:
	s_and_b64 vcc, exec, s[0:1]
	s_cbranch_vccnz .LBB177_364
; %bb.363:
	v_lshl_add_u64 v[0:1], v[8:9], 3, v[18:19]
	flat_load_dwordx2 v[0:1], v[0:1]
	s_waitcnt vmcnt(0) lgkmcnt(0)
	v_mul_f64 v[0:1], s[24:25], v[0:1]
	v_cvt_f32_f64_e32 v0, v[0:1]
	s_branch .LBB177_365
.LBB177_364:
	v_mov_b32_e32 v0, 0
.LBB177_365:
	v_max_f32_e32 v1, v81, v81
	v_max_f32_e32 v0, v0, v0
	v_min_f32_e32 v0, v0, v1
	v_cvt_f64_f32_e32 v[0:1], v0
	v_lshl_add_u64 v[2:3], v[8:9], 3, v[16:17]
	global_store_dwordx2 v[2:3], v[0:1], off
	s_or_b64 exec, exec, s[2:3]
	s_and_b64 s[4:5], s[12:13], s[18:19]
	s_and_saveexec_b64 s[2:3], s[4:5]
	s_cbranch_execz .LBB177_343
.LBB177_366:
	s_and_b64 vcc, exec, s[0:1]
	s_cbranch_vccnz .LBB177_368
; %bb.367:
	v_lshl_add_u64 v[0:1], v[10:11], 3, v[18:19]
	flat_load_dwordx2 v[0:1], v[0:1]
	s_waitcnt vmcnt(0) lgkmcnt(0)
	v_mul_f64 v[0:1], s[24:25], v[0:1]
	v_cvt_f32_f64_e32 v0, v[0:1]
	s_branch .LBB177_369
.LBB177_368:
	v_mov_b32_e32 v0, 0
.LBB177_369:
	v_max_f32_e32 v1, v80, v80
	v_max_f32_e32 v0, v0, v0
	v_min_f32_e32 v0, v0, v1
	v_cvt_f64_f32_e32 v[0:1], v0
	v_lshl_add_u64 v[2:3], v[10:11], 3, v[16:17]
	global_store_dwordx2 v[2:3], v[0:1], off
	s_or_b64 exec, exec, s[2:3]
	s_and_b64 s[4:5], s[14:15], s[18:19]
	s_and_saveexec_b64 s[2:3], s[4:5]
	s_cbranch_execz .LBB177_344
.LBB177_370:
	s_and_b64 vcc, exec, s[0:1]
	s_cbranch_vccnz .LBB177_372
; %bb.371:
	v_lshl_add_u64 v[0:1], v[12:13], 3, v[18:19]
	flat_load_dwordx2 v[0:1], v[0:1]
	s_waitcnt vmcnt(0) lgkmcnt(0)
	v_mul_f64 v[0:1], s[24:25], v[0:1]
	v_cvt_f32_f64_e32 v0, v[0:1]
	s_branch .LBB177_373
.LBB177_372:
	v_mov_b32_e32 v0, 0
.LBB177_373:
	v_max_f32_e32 v1, v79, v79
	v_max_f32_e32 v0, v0, v0
	v_min_f32_e32 v0, v0, v1
	v_cvt_f64_f32_e32 v[0:1], v0
	v_lshl_add_u64 v[2:3], v[12:13], 3, v[16:17]
	global_store_dwordx2 v[2:3], v[0:1], off
	s_or_b64 exec, exec, s[2:3]
	s_and_b64 s[2:3], s[16:17], s[18:19]
	s_and_saveexec_b64 s[4:5], s[2:3]
	s_cbranch_execz .LBB177_345
.LBB177_374:
	s_and_b64 vcc, exec, s[0:1]
	s_cbranch_vccnz .LBB177_376
; %bb.375:
	v_lshl_add_u64 v[0:1], v[14:15], 3, v[18:19]
	flat_load_dwordx2 v[0:1], v[0:1]
	s_waitcnt vmcnt(0) lgkmcnt(0)
	v_mul_f64 v[0:1], s[24:25], v[0:1]
	v_cvt_f32_f64_e32 v0, v[0:1]
	s_branch .LBB177_377
.LBB177_376:
	v_mov_b32_e32 v0, 0
.LBB177_377:
	v_max_f32_e32 v1, v78, v78
	v_max_f32_e32 v0, v0, v0
	v_min_f32_e32 v0, v0, v1
	v_cvt_f64_f32_e32 v[0:1], v0
	v_lshl_add_u64 v[2:3], v[14:15], 3, v[16:17]
	global_store_dwordx2 v[2:3], v[0:1], off
	s_endpgm
	.section	.rodata,"a",@progbits
	.p2align	6, 0x0
	.amdhsa_kernel _ZN12_GLOBAL__N_120geam_min_plus_kernelId15HIP_vector_typeIdLj2EEdLi8ELi32ELi64ELi256ELi4ELi4ELi64ELi64ELi4ELc84ELc84ELb0ELb1ELb1EPKdS3_dEEviiiT16_PT17_ilS7_ilS5_S7_ilPT18_ili26rocblas_geam_ex_operation_
		.amdhsa_group_segment_fixed_size 20480
		.amdhsa_private_segment_fixed_size 0
		.amdhsa_kernarg_size 136
		.amdhsa_user_sgpr_count 2
		.amdhsa_user_sgpr_dispatch_ptr 0
		.amdhsa_user_sgpr_queue_ptr 0
		.amdhsa_user_sgpr_kernarg_segment_ptr 1
		.amdhsa_user_sgpr_dispatch_id 0
		.amdhsa_user_sgpr_kernarg_preload_length 0
		.amdhsa_user_sgpr_kernarg_preload_offset 0
		.amdhsa_user_sgpr_private_segment_size 0
		.amdhsa_uses_dynamic_stack 0
		.amdhsa_enable_private_segment 0
		.amdhsa_system_sgpr_workgroup_id_x 1
		.amdhsa_system_sgpr_workgroup_id_y 0
		.amdhsa_system_sgpr_workgroup_id_z 1
		.amdhsa_system_sgpr_workgroup_info 0
		.amdhsa_system_vgpr_workitem_id 1
		.amdhsa_next_free_vgpr 160
		.amdhsa_next_free_sgpr 44
		.amdhsa_accum_offset 160
		.amdhsa_reserve_vcc 1
		.amdhsa_float_round_mode_32 0
		.amdhsa_float_round_mode_16_64 0
		.amdhsa_float_denorm_mode_32 3
		.amdhsa_float_denorm_mode_16_64 3
		.amdhsa_dx10_clamp 1
		.amdhsa_ieee_mode 1
		.amdhsa_fp16_overflow 0
		.amdhsa_tg_split 0
		.amdhsa_exception_fp_ieee_invalid_op 0
		.amdhsa_exception_fp_denorm_src 0
		.amdhsa_exception_fp_ieee_div_zero 0
		.amdhsa_exception_fp_ieee_overflow 0
		.amdhsa_exception_fp_ieee_underflow 0
		.amdhsa_exception_fp_ieee_inexact 0
		.amdhsa_exception_int_div_zero 0
	.end_amdhsa_kernel
	.section	.text._ZN12_GLOBAL__N_120geam_min_plus_kernelId15HIP_vector_typeIdLj2EEdLi8ELi32ELi64ELi256ELi4ELi4ELi64ELi64ELi4ELc84ELc84ELb0ELb1ELb1EPKdS3_dEEviiiT16_PT17_ilS7_ilS5_S7_ilPT18_ili26rocblas_geam_ex_operation_,"axG",@progbits,_ZN12_GLOBAL__N_120geam_min_plus_kernelId15HIP_vector_typeIdLj2EEdLi8ELi32ELi64ELi256ELi4ELi4ELi64ELi64ELi4ELc84ELc84ELb0ELb1ELb1EPKdS3_dEEviiiT16_PT17_ilS7_ilS5_S7_ilPT18_ili26rocblas_geam_ex_operation_,comdat
.Lfunc_end177:
	.size	_ZN12_GLOBAL__N_120geam_min_plus_kernelId15HIP_vector_typeIdLj2EEdLi8ELi32ELi64ELi256ELi4ELi4ELi64ELi64ELi4ELc84ELc84ELb0ELb1ELb1EPKdS3_dEEviiiT16_PT17_ilS7_ilS5_S7_ilPT18_ili26rocblas_geam_ex_operation_, .Lfunc_end177-_ZN12_GLOBAL__N_120geam_min_plus_kernelId15HIP_vector_typeIdLj2EEdLi8ELi32ELi64ELi256ELi4ELi4ELi64ELi64ELi4ELc84ELc84ELb0ELb1ELb1EPKdS3_dEEviiiT16_PT17_ilS7_ilS5_S7_ilPT18_ili26rocblas_geam_ex_operation_
                                        ; -- End function
	.section	.AMDGPU.csdata,"",@progbits
; Kernel info:
; codeLenInByte = 19144
; NumSgprs: 50
; NumVgprs: 160
; NumAgprs: 0
; TotalNumVgprs: 160
; ScratchSize: 0
; MemoryBound: 0
; FloatMode: 240
; IeeeMode: 1
; LDSByteSize: 20480 bytes/workgroup (compile time only)
; SGPRBlocks: 6
; VGPRBlocks: 19
; NumSGPRsForWavesPerEU: 50
; NumVGPRsForWavesPerEU: 160
; AccumOffset: 160
; Occupancy: 3
; WaveLimiterHint : 0
; COMPUTE_PGM_RSRC2:SCRATCH_EN: 0
; COMPUTE_PGM_RSRC2:USER_SGPR: 2
; COMPUTE_PGM_RSRC2:TRAP_HANDLER: 0
; COMPUTE_PGM_RSRC2:TGID_X_EN: 1
; COMPUTE_PGM_RSRC2:TGID_Y_EN: 0
; COMPUTE_PGM_RSRC2:TGID_Z_EN: 1
; COMPUTE_PGM_RSRC2:TIDIG_COMP_CNT: 1
; COMPUTE_PGM_RSRC3_GFX90A:ACCUM_OFFSET: 39
; COMPUTE_PGM_RSRC3_GFX90A:TG_SPLIT: 0
	.section	.text._ZN12_GLOBAL__N_120geam_min_plus_kernelId15HIP_vector_typeIdLj2EEdLi8ELi32ELi64ELi256ELi4ELi4ELi64ELi64ELi4ELc84ELc84ELb1ELb1ELb1EdKddEEviiiT16_PT17_ilS6_ilS4_S6_ilPT18_ili26rocblas_geam_ex_operation_,"axG",@progbits,_ZN12_GLOBAL__N_120geam_min_plus_kernelId15HIP_vector_typeIdLj2EEdLi8ELi32ELi64ELi256ELi4ELi4ELi64ELi64ELi4ELc84ELc84ELb1ELb1ELb1EdKddEEviiiT16_PT17_ilS6_ilS4_S6_ilPT18_ili26rocblas_geam_ex_operation_,comdat
	.globl	_ZN12_GLOBAL__N_120geam_min_plus_kernelId15HIP_vector_typeIdLj2EEdLi8ELi32ELi64ELi256ELi4ELi4ELi64ELi64ELi4ELc84ELc84ELb1ELb1ELb1EdKddEEviiiT16_PT17_ilS6_ilS4_S6_ilPT18_ili26rocblas_geam_ex_operation_ ; -- Begin function _ZN12_GLOBAL__N_120geam_min_plus_kernelId15HIP_vector_typeIdLj2EEdLi8ELi32ELi64ELi256ELi4ELi4ELi64ELi64ELi4ELc84ELc84ELb1ELb1ELb1EdKddEEviiiT16_PT17_ilS6_ilS4_S6_ilPT18_ili26rocblas_geam_ex_operation_
	.p2align	8
	.type	_ZN12_GLOBAL__N_120geam_min_plus_kernelId15HIP_vector_typeIdLj2EEdLi8ELi32ELi64ELi256ELi4ELi4ELi64ELi64ELi4ELc84ELc84ELb1ELb1ELb1EdKddEEviiiT16_PT17_ilS6_ilS4_S6_ilPT18_ili26rocblas_geam_ex_operation_,@function
_ZN12_GLOBAL__N_120geam_min_plus_kernelId15HIP_vector_typeIdLj2EEdLi8ELi32ELi64ELi256ELi4ELi4ELi64ELi64ELi4ELc84ELc84ELb1ELb1ELb1EdKddEEviiiT16_PT17_ilS6_ilS4_S6_ilPT18_ili26rocblas_geam_ex_operation_: ; @_ZN12_GLOBAL__N_120geam_min_plus_kernelId15HIP_vector_typeIdLj2EEdLi8ELi32ELi64ELi256ELi4ELi4ELi64ELi64ELi4ELc84ELc84ELb1ELb1ELb1EdKddEEviiiT16_PT17_ilS6_ilS4_S6_ilPT18_ili26rocblas_geam_ex_operation_
; %bb.0:
	s_load_dwordx4 s[8:11], s[0:1], 0x10
	s_load_dwordx4 s[4:7], s[0:1], 0x28
	s_mov_b64 s[30:31], 0
	s_waitcnt lgkmcnt(0)
	v_cmp_eq_f64_e64 s[8:9], s[8:9], 0
	s_and_b64 vcc, exec, s[8:9]
	s_cbranch_vccnz .LBB178_2
; %bb.1:
	s_mul_i32 s5, s3, s5
	s_mul_hi_u32 s12, s3, s4
	s_add_i32 s5, s12, s5
	s_mul_i32 s4, s3, s4
	s_lshl_b64 s[4:5], s[4:5], 3
	s_add_u32 s30, s10, s4
	s_addc_u32 s31, s11, s5
.LBB178_2:
	s_load_dwordx4 s[20:23], s[0:1], 0x40
	s_load_dwordx2 s[4:5], s[0:1], 0x50
	s_andn2_b64 vcc, exec, s[8:9]
	s_cbranch_vccnz .LBB178_4
; %bb.3:
	s_mov_b32 s17, 0
	s_mov_b64 s[18:19], 0
	s_cbranch_execz .LBB178_5
	s_branch .LBB178_6
.LBB178_4:
                                        ; implicit-def: $sgpr18_sgpr19
                                        ; implicit-def: $sgpr16_sgpr17
.LBB178_5:
	s_waitcnt lgkmcnt(0)
	s_mul_i32 s8, s3, s21
	s_mul_hi_u32 s9, s3, s20
	s_add_i32 s9, s9, s8
	s_mul_i32 s8, s3, s20
	s_lshl_b64 s[8:9], s[8:9], 3
	s_add_u32 s18, s6, s8
	s_mov_b32 s17, 0
	s_addc_u32 s19, s7, s9
.LBB178_6:
	s_load_dwordx4 s[12:15], s[0:1], 0x60
	s_waitcnt lgkmcnt(0)
	v_cmp_eq_f64_e64 s[6:7], s[22:23], 0
	s_mov_b64 s[20:21], 0
	v_cmp_neq_f64_e64 s[28:29], s[22:23], 0
	s_and_b64 vcc, exec, s[6:7]
	s_cbranch_vccnz .LBB178_8
; %bb.7:
	s_mul_i32 s6, s3, s13
	s_mul_hi_u32 s7, s3, s12
	s_add_i32 s6, s7, s6
	s_mul_i32 s7, s17, s12
	s_add_i32 s7, s6, s7
	s_mul_i32 s6, s3, s12
	s_lshl_b64 s[6:7], s[6:7], 3
	s_add_u32 s20, s4, s6
	s_addc_u32 s21, s5, s7
.LBB178_8:
	s_load_dwordx4 s[24:27], s[0:1], 0x0
	s_load_dword s38, s[0:1], 0x20
	v_and_b32_e32 v133, 0x3ff, v0
	v_bfe_u32 v134, v0, 10, 10
	v_lshl_add_u32 v4, v134, 3, v133
	s_waitcnt lgkmcnt(0)
	s_add_i32 s4, s24, -1
	s_ashr_i32 s5, s4, 31
	s_lshr_b32 s5, s5, 26
	s_add_i32 s4, s4, s5
	s_ashr_i32 s4, s4, 6
	s_add_i32 s5, s4, 1
	v_cvt_f32_u32_e32 v1, s5
	s_not_b32 s4, s4
	v_lshrrev_b32_e32 v14, 2, v4
	s_mov_b32 s6, -1
	v_rcp_iflag_f32_e32 v2, v1
	v_and_b32_e32 v144, 3, v133
	s_mov_b32 s7, 0x7fefffff
	v_cmp_gt_i32_e32 vcc, s26, v144
	v_mul_f32_e32 v2, 0x4f7ffffe, v2
	v_cvt_u32_f32_e32 v2, v2
	v_mov_b64_e32 v[0:1], s[6:7]
	v_readfirstlane_b32 s8, v2
	s_mul_i32 s4, s4, s8
	s_mul_hi_u32 s4, s8, s4
	s_add_i32 s8, s8, s4
	s_mul_hi_u32 s4, s2, s8
	s_mul_i32 s8, s4, s5
	s_sub_i32 s8, s2, s8
	s_add_i32 s9, s4, 1
	s_sub_i32 s10, s8, s5
	s_cmp_ge_u32 s8, s5
	s_cselect_b32 s4, s9, s4
	s_cselect_b32 s8, s10, s8
	s_add_i32 s9, s4, 1
	s_cmp_ge_u32 s8, s5
	s_cselect_b32 s8, s9, s4
	s_mul_i32 s4, s8, s5
	s_sub_i32 s2, s2, s4
	s_lshl_b32 s2, s2, 6
	v_add_u32_e32 v72, s2, v14
	v_cmp_le_i32_e64 s[4:5], s24, v72
	s_xor_b64 s[12:13], s[4:5], -1
	s_and_b64 s[10:11], vcc, s[12:13]
	v_lshlrev_b32_e32 v2, 3, v144
	s_and_saveexec_b64 s[4:5], s[10:11]
	s_cbranch_execz .LBB178_10
; %bb.9:
	v_mad_i64_i32 v[0:1], s[10:11], v72, s38, 0
	v_lshl_add_u64 v[0:1], v[0:1], 3, s[30:31]
	v_mov_b32_e32 v3, 0
	v_lshl_add_u64 v[0:1], v[0:1], 0, v[2:3]
	flat_load_dwordx2 v[0:1], v[0:1]
.LBB178_10:
	s_or_b64 exec, exec, s[4:5]
	s_load_dword s27, s[0:1], 0x38
	v_and_b32_e32 v73, 63, v4
	s_lshl_b32 s16, s8, 8
	v_lshrrev_b32_e32 v145, 6, v4
	v_or_b32_e32 v60, s16, v73
	v_cmp_le_i32_e32 vcc, s26, v145
	s_waitcnt lgkmcnt(0)
	v_mad_i64_i32 v[4:5], s[4:5], s27, v145, 0
	v_cmp_le_i32_e64 s[10:11], s25, v60
	s_or_b64 s[4:5], s[10:11], vcc
	v_lshl_add_u64 v[12:13], v[4:5], 3, s[18:19]
	s_xor_b64 s[8:9], s[4:5], -1
	v_mov_b64_e32 v[4:5], s[6:7]
	v_ashrrev_i32_e32 v61, 31, v60
	s_and_saveexec_b64 s[4:5], s[8:9]
	s_cbranch_execz .LBB178_12
; %bb.11:
	v_lshl_add_u64 v[4:5], v[60:61], 3, v[12:13]
	flat_load_dwordx2 v[4:5], v[4:5]
.LBB178_12:
	s_or_b64 exec, exec, s[4:5]
	v_or_b32_e32 v3, 64, v60
	v_cmp_le_i32_e64 s[4:5], s25, v3
	s_mov_b32 s8, -1
	s_or_b64 s[6:7], s[4:5], vcc
	s_mov_b32 s9, 0x7fefffff
	s_xor_b64 s[34:35], s[6:7], -1
	v_mov_b64_e32 v[6:7], s[8:9]
	s_and_saveexec_b64 s[6:7], s[34:35]
	s_cbranch_execz .LBB178_14
; %bb.13:
	v_lshl_add_u64 v[6:7], v[60:61], 3, v[12:13]
	flat_load_dwordx2 v[6:7], v[6:7] offset:512
.LBB178_14:
	s_or_b64 exec, exec, s[6:7]
	v_or_b32_e32 v3, 0x80, v60
	v_cmp_le_i32_e64 s[6:7], s25, v3
	s_or_b64 s[34:35], s[6:7], vcc
	s_ashr_i32 s33, s27, 31
	s_xor_b64 s[34:35], s[34:35], -1
	v_mov_b64_e32 v[8:9], s[8:9]
	s_and_saveexec_b64 s[8:9], s[34:35]
	s_cbranch_execz .LBB178_16
; %bb.15:
	v_lshl_add_u64 v[8:9], v[60:61], 3, v[12:13]
	flat_load_dwordx2 v[8:9], v[8:9] offset:1024
.LBB178_16:
	s_or_b64 exec, exec, s[8:9]
	v_or_b32_e32 v3, 0xc0, v60
	v_cmp_le_i32_e64 s[8:9], s25, v3
	s_or_b64 s[34:35], s[8:9], vcc
	s_xor_b64 s[40:41], s[34:35], -1
	s_mov_b32 s34, -1
	s_mov_b32 s35, 0x7fefffff
	v_mov_b64_e32 v[10:11], s[34:35]
	s_and_saveexec_b64 s[36:37], s[40:41]
	s_cbranch_execz .LBB178_18
; %bb.17:
	v_lshl_add_u64 v[10:11], v[60:61], 3, v[12:13]
	flat_load_dwordx2 v[10:11], v[10:11] offset:1536
.LBB178_18:
	s_or_b64 exec, exec, s[36:37]
	v_or_b32_e32 v3, 4, v144
	v_cmp_gt_i32_e32 vcc, s26, v3
	s_and_b64 s[36:37], vcc, s[12:13]
	v_mov_b64_e32 v[62:63], s[34:35]
	s_and_saveexec_b64 s[34:35], s[36:37]
	s_cbranch_execz .LBB178_20
; %bb.19:
	v_mad_i64_i32 v[12:13], s[36:37], v72, s38, 0
	v_lshl_add_u64 v[12:13], v[12:13], 3, s[30:31]
	v_mov_b32_e32 v3, 0
	v_lshl_add_u64 v[12:13], v[12:13], 0, v[2:3]
	flat_load_dwordx2 v[62:63], v[12:13] offset:32
.LBB178_20:
	s_or_b64 exec, exec, s[34:35]
	v_add_u32_e32 v3, 4, v145
	v_cmp_le_i32_e32 vcc, s26, v3
	v_mad_i64_i32 v[12:13], s[34:35], s27, v3, 0
	s_or_b64 s[34:35], s[10:11], vcc
	s_xor_b64 s[40:41], s[34:35], -1
	s_mov_b32 s34, -1
	s_mov_b32 s35, 0x7fefffff
	v_lshl_add_u64 v[12:13], v[12:13], 3, s[18:19]
	v_mov_b64_e32 v[64:65], s[34:35]
	s_and_saveexec_b64 s[36:37], s[40:41]
	s_cbranch_execz .LBB178_22
; %bb.21:
	v_lshl_add_u64 v[16:17], v[60:61], 3, v[12:13]
	flat_load_dwordx2 v[64:65], v[16:17]
.LBB178_22:
	s_or_b64 exec, exec, s[36:37]
	s_or_b64 s[36:37], s[4:5], vcc
	s_xor_b64 s[36:37], s[36:37], -1
	v_mov_b64_e32 v[66:67], s[34:35]
	s_and_saveexec_b64 s[34:35], s[36:37]
	s_cbranch_execz .LBB178_24
; %bb.23:
	v_lshl_add_u64 v[16:17], v[60:61], 3, v[12:13]
	flat_load_dwordx2 v[66:67], v[16:17] offset:512
.LBB178_24:
	s_or_b64 exec, exec, s[34:35]
	s_or_b64 s[34:35], s[6:7], vcc
	s_xor_b64 s[40:41], s[34:35], -1
	s_mov_b32 s34, -1
	s_mov_b32 s35, 0x7fefffff
	v_mov_b64_e32 v[68:69], s[34:35]
	s_and_saveexec_b64 s[36:37], s[40:41]
	s_cbranch_execz .LBB178_26
; %bb.25:
	v_lshl_add_u64 v[16:17], v[60:61], 3, v[12:13]
	flat_load_dwordx2 v[68:69], v[16:17] offset:1024
.LBB178_26:
	s_or_b64 exec, exec, s[36:37]
	s_or_b64 s[36:37], s[8:9], vcc
	s_xor_b64 s[36:37], s[36:37], -1
	v_mov_b64_e32 v[70:71], s[34:35]
	s_and_saveexec_b64 s[34:35], s[36:37]
	s_cbranch_execz .LBB178_28
; %bb.27:
	v_lshl_add_u64 v[12:13], v[60:61], 3, v[12:13]
	flat_load_dwordx2 v[70:71], v[12:13] offset:1536
.LBB178_28:
	s_or_b64 exec, exec, s[34:35]
	v_lshl_or_b32 v74, v14, 5, v2
	s_waitcnt vmcnt(0)
	ds_write_b64 v74, v[0:1] offset:16384
	v_lshlrev_b32_e32 v0, 3, v145
	v_add_u32_e32 v146, 0x4000, v74
	v_lshl_add_u32 v147, v73, 5, v0
	s_mov_b32 s36, 0
	s_mov_b64 s[34:35], -1
	v_mov_b32_e32 v78, 0x7f800000
	v_mov_b32_e32 v79, 0x7f800000
	;; [unrolled: 1-line block ×64, first 2 shown]
	s_waitcnt lgkmcnt(0)
	ds_write2st64_b64 v147, v[4:5], v[6:7] offset1:4
	ds_write2st64_b64 v147, v[8:9], v[10:11] offset0:8 offset1:12
	s_waitcnt lgkmcnt(0)
	s_barrier
.LBB178_29:                             ; =>This Inner Loop Header: Depth=1
	v_cndmask_b32_e64 v0, 0, 1, s[34:35]
	s_lshl_b32 s34, s36, 3
	v_cmp_ne_u32_e32 vcc, 1, v0
	v_lshl_add_u32 v0, v133, 5, s34
	v_lshl_add_u32 v20, v134, 5, s34
	ds_read_b128 v[32:35], v0 offset:16384
	ds_read_b128 v[28:31], v0 offset:16640
	;; [unrolled: 1-line block ×8, first 2 shown]
	ds_read_b128 v[148:151], v20
	ds_read_b128 v[56:59], v20 offset:1024
	ds_read_b128 v[52:55], v20 offset:2048
	;; [unrolled: 1-line block ×7, first 2 shown]
	s_waitcnt lgkmcnt(7)
	v_add_f64 v[76:77], v[34:35], v[150:151]
	v_add_f64 v[152:153], v[32:33], v[148:149]
	v_cvt_f32_f64_e32 v75, v[152:153]
	v_cvt_f32_f64_e32 v76, v[76:77]
	v_min3_f32 v143, v75, v76, v143
	v_add_f64 v[76:77], v[30:31], v[150:151]
	v_add_f64 v[152:153], v[28:29], v[148:149]
	v_cvt_f32_f64_e32 v75, v[152:153]
	v_cvt_f32_f64_e32 v76, v[76:77]
	v_min3_f32 v142, v75, v76, v142
	;; [unrolled: 5-line block ×8, first 2 shown]
	s_waitcnt lgkmcnt(6)
	v_add_f64 v[76:77], v[34:35], v[58:59]
	v_add_f64 v[148:149], v[32:33], v[56:57]
	v_cvt_f32_f64_e32 v75, v[148:149]
	v_cvt_f32_f64_e32 v76, v[76:77]
	v_min3_f32 v135, v75, v76, v135
	v_add_f64 v[76:77], v[30:31], v[58:59]
	v_add_f64 v[148:149], v[28:29], v[56:57]
	v_cvt_f32_f64_e32 v75, v[148:149]
	v_cvt_f32_f64_e32 v76, v[76:77]
	v_min3_f32 v132, v75, v76, v132
	v_add_f64 v[76:77], v[26:27], v[58:59]
	v_add_f64 v[148:149], v[24:25], v[56:57]
	v_cvt_f32_f64_e32 v75, v[148:149]
	v_cvt_f32_f64_e32 v76, v[76:77]
	v_min3_f32 v131, v75, v76, v131
	v_add_f64 v[76:77], v[18:19], v[58:59]
	v_add_f64 v[148:149], v[16:17], v[56:57]
	v_cvt_f32_f64_e32 v75, v[148:149]
	v_cvt_f32_f64_e32 v76, v[76:77]
	v_min3_f32 v130, v75, v76, v130
	v_add_f64 v[76:77], v[14:15], v[58:59]
	v_add_f64 v[148:149], v[12:13], v[56:57]
	v_cvt_f32_f64_e32 v75, v[148:149]
	v_cvt_f32_f64_e32 v76, v[76:77]
	v_min3_f32 v129, v75, v76, v129
	v_add_f64 v[76:77], v[10:11], v[58:59]
	v_add_f64 v[148:149], v[8:9], v[56:57]
	v_cvt_f32_f64_e32 v75, v[148:149]
	v_cvt_f32_f64_e32 v76, v[76:77]
	v_min3_f32 v128, v75, v76, v128
	v_add_f64 v[76:77], v[6:7], v[58:59]
	v_add_f64 v[148:149], v[4:5], v[56:57]
	v_add_f64 v[58:59], v[2:3], v[58:59]
	v_add_f64 v[56:57], v[0:1], v[56:57]
	v_cvt_f32_f64_e32 v56, v[56:57]
	v_cvt_f32_f64_e32 v57, v[58:59]
	v_min3_f32 v126, v56, v57, v126
	s_waitcnt lgkmcnt(5)
	v_add_f64 v[56:57], v[34:35], v[54:55]
	v_add_f64 v[58:59], v[32:33], v[52:53]
	v_cvt_f32_f64_e32 v58, v[58:59]
	v_cvt_f32_f64_e32 v56, v[56:57]
	v_min3_f32 v125, v58, v56, v125
	v_add_f64 v[56:57], v[30:31], v[54:55]
	v_add_f64 v[58:59], v[28:29], v[52:53]
	v_cvt_f32_f64_e32 v58, v[58:59]
	v_cvt_f32_f64_e32 v56, v[56:57]
	v_min3_f32 v124, v58, v56, v124
	v_add_f64 v[56:57], v[26:27], v[54:55]
	v_add_f64 v[58:59], v[24:25], v[52:53]
	v_cvt_f32_f64_e32 v58, v[58:59]
	v_cvt_f32_f64_e32 v56, v[56:57]
	v_min3_f32 v123, v58, v56, v123
	v_add_f64 v[56:57], v[18:19], v[54:55]
	v_add_f64 v[58:59], v[16:17], v[52:53]
	v_cvt_f32_f64_e32 v58, v[58:59]
	v_cvt_f32_f64_e32 v56, v[56:57]
	v_min3_f32 v122, v58, v56, v122
	v_add_f64 v[56:57], v[14:15], v[54:55]
	v_add_f64 v[58:59], v[12:13], v[52:53]
	v_cvt_f32_f64_e32 v58, v[58:59]
	v_cvt_f32_f64_e32 v56, v[56:57]
	v_min3_f32 v121, v58, v56, v121
	v_add_f64 v[56:57], v[10:11], v[54:55]
	v_add_f64 v[58:59], v[8:9], v[52:53]
	v_cvt_f32_f64_e32 v58, v[58:59]
	v_cvt_f32_f64_e32 v56, v[56:57]
	v_min3_f32 v120, v58, v56, v120
	v_add_f64 v[56:57], v[6:7], v[54:55]
	v_add_f64 v[58:59], v[4:5], v[52:53]
	v_add_f64 v[54:55], v[2:3], v[54:55]
	v_add_f64 v[52:53], v[0:1], v[52:53]
	v_cvt_f32_f64_e32 v52, v[52:53]
	v_cvt_f32_f64_e32 v53, v[54:55]
	v_min3_f32 v118, v52, v53, v118
	;; [unrolled: 38-line block ×5, first 2 shown]
	s_waitcnt lgkmcnt(1)
	v_add_f64 v[40:41], v[34:35], v[38:39]
	v_add_f64 v[42:43], v[32:33], v[36:37]
	v_cvt_f32_f64_e32 v42, v[42:43]
	v_cvt_f32_f64_e32 v40, v[40:41]
	v_min3_f32 v93, v42, v40, v93
	v_add_f64 v[40:41], v[30:31], v[38:39]
	v_add_f64 v[42:43], v[28:29], v[36:37]
	v_cvt_f32_f64_e32 v42, v[42:43]
	v_cvt_f32_f64_e32 v40, v[40:41]
	v_min3_f32 v92, v42, v40, v92
	;; [unrolled: 5-line block ×6, first 2 shown]
	v_add_f64 v[40:41], v[6:7], v[38:39]
	v_add_f64 v[42:43], v[4:5], v[36:37]
	v_add_f64 v[38:39], v[2:3], v[38:39]
	v_add_f64 v[36:37], v[0:1], v[36:37]
	s_waitcnt lgkmcnt(0)
	v_add_f64 v[34:35], v[34:35], v[22:23]
	v_add_f64 v[32:33], v[32:33], v[20:21]
	;; [unrolled: 1-line block ×16, first 2 shown]
	v_cvt_f32_f64_e32 v75, v[148:149]
	v_cvt_f32_f64_e32 v76, v[76:77]
	;; [unrolled: 1-line block ×30, first 2 shown]
	v_min3_f32 v127, v75, v76, v127
	v_min3_f32 v119, v58, v56, v119
	;; [unrolled: 1-line block ×15, first 2 shown]
	s_mov_b32 s36, 2
	s_mov_b64 s[34:35], 0
	s_cbranch_vccz .LBB178_29
; %bb.30:
	v_lshlrev_b32_e32 v0, 5, v73
	v_lshl_add_u32 v0, v145, 3, v0
	s_cmp_gt_i32 s26, 8
	s_mov_b32 s36, 8
	ds_write_b64 v74, v[62:63] offset:18432
	ds_write2st64_b64 v0, v[64:65], v[66:67] offset0:16 offset1:20
	ds_write2st64_b64 v0, v[68:69], v[70:71] offset0:24 offset1:28
	s_waitcnt lgkmcnt(0)
	s_barrier
	s_cbranch_scc0 .LBB178_57
; %bb.31:
	v_or_b32_e32 v149, 0x2000, v0
	v_mad_i64_i32 v[0:1], s[34:35], v72, s38, 0
	v_lshl_add_u64 v[62:63], v[0:1], 3, s[30:31]
	s_mov_b32 s30, -1
	v_add_u32_e32 v148, 0x4800, v74
	s_add_i32 s37, s26, -8
	v_lshl_add_u64 v[64:65], v[62:63], 0, 32
	s_mov_b32 s38, 0
	s_mov_b32 s31, 0x7fefffff
	v_mov_b32_e32 v67, 0
.LBB178_32:                             ; =>This Loop Header: Depth=1
                                        ;     Child Loop BB178_43 Depth 2
                                        ;     Child Loop BB178_55 Depth 2
	v_or_b32_e32 v66, s36, v144
	v_cmp_gt_i32_e32 vcc, s26, v66
	s_and_b64 s[40:41], vcc, s[12:13]
	v_mov_b64_e32 v[68:69], s[30:31]
	s_and_saveexec_b64 s[34:35], s[40:41]
	s_cbranch_execz .LBB178_34
; %bb.33:                               ;   in Loop: Header=BB178_32 Depth=1
	v_lshl_add_u64 v[0:1], v[66:67], 3, v[62:63]
	flat_load_dwordx2 v[68:69], v[0:1]
.LBB178_34:                             ;   in Loop: Header=BB178_32 Depth=1
	s_or_b64 exec, exec, s[34:35]
	v_add_u32_e32 v3, s36, v145
	v_mad_u64_u32 v[0:1], s[34:35], v3, s27, 0
	v_mov_b32_e32 v2, v1
	v_cmp_le_i32_e32 vcc, s26, v3
	v_mad_u64_u32 v[2:3], s[34:35], v3, s33, v[2:3]
	v_mov_b32_e32 v1, v2
	v_lshl_add_u64 v[0:1], v[0:1], 3, s[18:19]
	s_or_b64 s[34:35], s[10:11], vcc
	s_xor_b64 s[40:41], s[34:35], -1
	v_mov_b64_e32 v[70:71], s[30:31]
	v_lshl_add_u64 v[0:1], v[60:61], 3, v[0:1]
	s_and_saveexec_b64 s[34:35], s[40:41]
	s_cbranch_execz .LBB178_36
; %bb.35:                               ;   in Loop: Header=BB178_32 Depth=1
	flat_load_dwordx2 v[70:71], v[0:1]
.LBB178_36:                             ;   in Loop: Header=BB178_32 Depth=1
	s_or_b64 exec, exec, s[34:35]
	s_or_b64 s[34:35], s[4:5], vcc
	s_xor_b64 s[40:41], s[34:35], -1
	v_mov_b64_e32 v[72:73], s[30:31]
	s_and_saveexec_b64 s[34:35], s[40:41]
	s_cbranch_execz .LBB178_38
; %bb.37:                               ;   in Loop: Header=BB178_32 Depth=1
	flat_load_dwordx2 v[72:73], v[0:1] offset:512
.LBB178_38:                             ;   in Loop: Header=BB178_32 Depth=1
	s_or_b64 exec, exec, s[34:35]
	s_or_b64 s[34:35], s[6:7], vcc
	s_xor_b64 s[40:41], s[34:35], -1
	v_mov_b64_e32 v[74:75], s[30:31]
	s_and_saveexec_b64 s[34:35], s[40:41]
	s_cbranch_execz .LBB178_40
; %bb.39:                               ;   in Loop: Header=BB178_32 Depth=1
	flat_load_dwordx2 v[74:75], v[0:1] offset:1024
.LBB178_40:                             ;   in Loop: Header=BB178_32 Depth=1
	;; [unrolled: 9-line block ×3, first 2 shown]
	s_or_b64 exec, exec, s[34:35]
	s_mov_b32 s39, 0
	s_mov_b64 s[34:35], -1
.LBB178_43:                             ;   Parent Loop BB178_32 Depth=1
                                        ; =>  This Inner Loop Header: Depth=2
	v_cndmask_b32_e64 v0, 0, 1, s[34:35]
	s_lshl_b32 s34, s39, 3
	v_cmp_ne_u32_e32 vcc, 1, v0
	v_lshl_add_u32 v0, v133, 5, s34
	v_lshl_add_u32 v20, v134, 5, s34
	ds_read_b128 v[32:35], v0 offset:18432
	ds_read_b128 v[28:31], v0 offset:18688
	;; [unrolled: 1-line block ×16, first 2 shown]
	s_waitcnt lgkmcnt(0)
	v_add_f64 v[154:155], v[34:35], v[152:153]
	v_add_f64 v[156:157], v[32:33], v[150:151]
	v_cvt_f32_f64_e32 v156, v[156:157]
	v_cvt_f32_f64_e32 v154, v[154:155]
	v_min3_f32 v143, v156, v154, v143
	v_add_f64 v[154:155], v[30:31], v[152:153]
	v_add_f64 v[156:157], v[28:29], v[150:151]
	v_cvt_f32_f64_e32 v156, v[156:157]
	v_cvt_f32_f64_e32 v154, v[154:155]
	v_min3_f32 v142, v156, v154, v142
	v_add_f64 v[154:155], v[26:27], v[152:153]
	v_add_f64 v[156:157], v[24:25], v[150:151]
	v_cvt_f32_f64_e32 v156, v[156:157]
	v_cvt_f32_f64_e32 v154, v[154:155]
	v_min3_f32 v141, v156, v154, v141
	v_add_f64 v[154:155], v[18:19], v[152:153]
	v_add_f64 v[156:157], v[16:17], v[150:151]
	v_cvt_f32_f64_e32 v156, v[156:157]
	v_cvt_f32_f64_e32 v154, v[154:155]
	v_min3_f32 v140, v156, v154, v140
	v_add_f64 v[154:155], v[14:15], v[152:153]
	v_add_f64 v[156:157], v[12:13], v[150:151]
	v_cvt_f32_f64_e32 v156, v[156:157]
	v_cvt_f32_f64_e32 v154, v[154:155]
	v_min3_f32 v139, v156, v154, v139
	v_add_f64 v[154:155], v[10:11], v[152:153]
	v_add_f64 v[156:157], v[8:9], v[150:151]
	v_cvt_f32_f64_e32 v156, v[156:157]
	v_cvt_f32_f64_e32 v154, v[154:155]
	v_min3_f32 v138, v156, v154, v138
	v_add_f64 v[154:155], v[6:7], v[152:153]
	v_add_f64 v[156:157], v[4:5], v[150:151]
	v_add_f64 v[152:153], v[2:3], v[152:153]
	v_add_f64 v[150:151], v[0:1], v[150:151]
	v_cvt_f32_f64_e32 v150, v[150:151]
	v_cvt_f32_f64_e32 v151, v[152:153]
	v_min3_f32 v136, v150, v151, v136
	v_add_f64 v[150:151], v[34:35], v[58:59]
	v_add_f64 v[152:153], v[32:33], v[56:57]
	v_cvt_f32_f64_e32 v152, v[152:153]
	v_cvt_f32_f64_e32 v150, v[150:151]
	v_min3_f32 v135, v152, v150, v135
	v_add_f64 v[150:151], v[30:31], v[58:59]
	v_add_f64 v[152:153], v[28:29], v[56:57]
	v_cvt_f32_f64_e32 v152, v[152:153]
	v_cvt_f32_f64_e32 v150, v[150:151]
	v_min3_f32 v132, v152, v150, v132
	v_add_f64 v[150:151], v[26:27], v[58:59]
	v_add_f64 v[152:153], v[24:25], v[56:57]
	v_cvt_f32_f64_e32 v152, v[152:153]
	v_cvt_f32_f64_e32 v150, v[150:151]
	v_min3_f32 v131, v152, v150, v131
	v_add_f64 v[150:151], v[18:19], v[58:59]
	v_add_f64 v[152:153], v[16:17], v[56:57]
	v_cvt_f32_f64_e32 v152, v[152:153]
	v_cvt_f32_f64_e32 v150, v[150:151]
	v_min3_f32 v130, v152, v150, v130
	v_add_f64 v[150:151], v[14:15], v[58:59]
	v_add_f64 v[152:153], v[12:13], v[56:57]
	v_cvt_f32_f64_e32 v152, v[152:153]
	v_cvt_f32_f64_e32 v150, v[150:151]
	v_min3_f32 v129, v152, v150, v129
	v_add_f64 v[150:151], v[10:11], v[58:59]
	v_add_f64 v[152:153], v[8:9], v[56:57]
	v_cvt_f32_f64_e32 v152, v[152:153]
	v_cvt_f32_f64_e32 v150, v[150:151]
	v_min3_f32 v128, v152, v150, v128
	v_add_f64 v[150:151], v[6:7], v[58:59]
	v_add_f64 v[152:153], v[4:5], v[56:57]
	v_add_f64 v[58:59], v[2:3], v[58:59]
	v_add_f64 v[56:57], v[0:1], v[56:57]
	v_cvt_f32_f64_e32 v56, v[56:57]
	v_cvt_f32_f64_e32 v57, v[58:59]
	v_min3_f32 v126, v56, v57, v126
	;; [unrolled: 37-line block ×6, first 2 shown]
	v_add_f64 v[40:41], v[34:35], v[38:39]
	v_add_f64 v[42:43], v[32:33], v[36:37]
	v_cvt_f32_f64_e32 v42, v[42:43]
	v_cvt_f32_f64_e32 v40, v[40:41]
	v_min3_f32 v93, v42, v40, v93
	v_add_f64 v[40:41], v[30:31], v[38:39]
	v_add_f64 v[42:43], v[28:29], v[36:37]
	v_cvt_f32_f64_e32 v42, v[42:43]
	v_cvt_f32_f64_e32 v40, v[40:41]
	v_min3_f32 v92, v42, v40, v92
	;; [unrolled: 5-line block ×6, first 2 shown]
	v_add_f64 v[40:41], v[6:7], v[38:39]
	v_add_f64 v[42:43], v[4:5], v[36:37]
	;; [unrolled: 1-line block ×20, first 2 shown]
	v_cvt_f32_f64_e32 v156, v[156:157]
	v_cvt_f32_f64_e32 v154, v[154:155]
	;; [unrolled: 1-line block ×32, first 2 shown]
	v_min3_f32 v137, v156, v154, v137
	v_min3_f32 v127, v152, v150, v127
	;; [unrolled: 1-line block ×16, first 2 shown]
	s_mov_b32 s39, 2
	s_mov_b64 s[34:35], 0
	s_cbranch_vccz .LBB178_43
; %bb.44:                               ;   in Loop: Header=BB178_32 Depth=1
	v_or_b32_e32 v0, 4, v66
	v_cmp_gt_i32_e32 vcc, s26, v0
	s_waitcnt vmcnt(0)
	ds_write_b64 v146, v[68:69]
	ds_write2st64_b64 v147, v[70:71], v[72:73] offset1:4
	ds_write2st64_b64 v147, v[74:75], v[76:77] offset0:8 offset1:12
	s_and_b64 s[40:41], vcc, s[12:13]
	v_mov_b64_e32 v[68:69], s[30:31]
	s_waitcnt lgkmcnt(0)
	s_barrier
	s_and_saveexec_b64 s[34:35], s[40:41]
	s_cbranch_execz .LBB178_46
; %bb.45:                               ;   in Loop: Header=BB178_32 Depth=1
	v_lshl_add_u64 v[0:1], v[66:67], 3, v[64:65]
	flat_load_dwordx2 v[68:69], v[0:1]
.LBB178_46:                             ;   in Loop: Header=BB178_32 Depth=1
	s_or_b64 exec, exec, s[34:35]
	v_add3_u32 v3, v145, s36, 4
	v_mad_u64_u32 v[0:1], s[34:35], v3, s27, 0
	v_mov_b32_e32 v2, v1
	v_cmp_le_i32_e32 vcc, s26, v3
	v_mad_u64_u32 v[2:3], s[34:35], v3, s33, v[2:3]
	v_mov_b32_e32 v1, v2
	v_lshl_add_u64 v[0:1], v[0:1], 3, s[18:19]
	s_or_b64 s[34:35], s[10:11], vcc
	s_xor_b64 s[40:41], s[34:35], -1
	v_mov_b64_e32 v[70:71], s[30:31]
	v_lshl_add_u64 v[0:1], v[60:61], 3, v[0:1]
	s_and_saveexec_b64 s[34:35], s[40:41]
	s_cbranch_execz .LBB178_48
; %bb.47:                               ;   in Loop: Header=BB178_32 Depth=1
	flat_load_dwordx2 v[70:71], v[0:1]
.LBB178_48:                             ;   in Loop: Header=BB178_32 Depth=1
	s_or_b64 exec, exec, s[34:35]
	s_or_b64 s[34:35], s[4:5], vcc
	s_xor_b64 s[40:41], s[34:35], -1
	v_mov_b64_e32 v[72:73], s[30:31]
	s_and_saveexec_b64 s[34:35], s[40:41]
	s_cbranch_execz .LBB178_50
; %bb.49:                               ;   in Loop: Header=BB178_32 Depth=1
	flat_load_dwordx2 v[72:73], v[0:1] offset:512
.LBB178_50:                             ;   in Loop: Header=BB178_32 Depth=1
	s_or_b64 exec, exec, s[34:35]
	s_or_b64 s[34:35], s[6:7], vcc
	s_xor_b64 s[40:41], s[34:35], -1
	v_mov_b64_e32 v[74:75], s[30:31]
	s_and_saveexec_b64 s[34:35], s[40:41]
	s_cbranch_execz .LBB178_52
; %bb.51:                               ;   in Loop: Header=BB178_32 Depth=1
	flat_load_dwordx2 v[74:75], v[0:1] offset:1024
.LBB178_52:                             ;   in Loop: Header=BB178_32 Depth=1
	;; [unrolled: 9-line block ×3, first 2 shown]
	s_or_b64 exec, exec, s[34:35]
	s_mov_b32 s39, 0
	s_mov_b64 s[34:35], -1
.LBB178_55:                             ;   Parent Loop BB178_32 Depth=1
                                        ; =>  This Inner Loop Header: Depth=2
	v_cndmask_b32_e64 v0, 0, 1, s[34:35]
	s_lshl_b32 s34, s39, 3
	v_cmp_ne_u32_e32 vcc, 1, v0
	v_lshl_add_u32 v0, v133, 5, s34
	v_lshl_add_u32 v20, v134, 5, s34
	ds_read_b128 v[32:35], v0 offset:16384
	ds_read_b128 v[28:31], v0 offset:16640
	;; [unrolled: 1-line block ×8, first 2 shown]
	ds_read_b128 v[150:153], v20
	ds_read_b128 v[56:59], v20 offset:1024
	ds_read_b128 v[52:55], v20 offset:2048
	;; [unrolled: 1-line block ×7, first 2 shown]
	s_waitcnt lgkmcnt(0)
	v_add_f64 v[154:155], v[34:35], v[152:153]
	v_add_f64 v[156:157], v[32:33], v[150:151]
	v_cvt_f32_f64_e32 v66, v[156:157]
	v_cvt_f32_f64_e32 v154, v[154:155]
	v_min3_f32 v143, v66, v154, v143
	v_add_f64 v[154:155], v[30:31], v[152:153]
	v_add_f64 v[156:157], v[28:29], v[150:151]
	v_cvt_f32_f64_e32 v66, v[156:157]
	v_cvt_f32_f64_e32 v154, v[154:155]
	v_min3_f32 v142, v66, v154, v142
	;; [unrolled: 5-line block ×6, first 2 shown]
	v_add_f64 v[154:155], v[6:7], v[152:153]
	v_add_f64 v[156:157], v[4:5], v[150:151]
	v_cvt_f32_f64_e32 v66, v[156:157]
	v_cvt_f32_f64_e32 v154, v[154:155]
	v_add_f64 v[152:153], v[2:3], v[152:153]
	v_add_f64 v[150:151], v[0:1], v[150:151]
	v_min3_f32 v137, v66, v154, v137
	v_cvt_f32_f64_e32 v66, v[150:151]
	v_cvt_f32_f64_e32 v150, v[152:153]
	v_min3_f32 v136, v66, v150, v136
	v_add_f64 v[150:151], v[34:35], v[58:59]
	v_add_f64 v[152:153], v[32:33], v[56:57]
	v_cvt_f32_f64_e32 v66, v[152:153]
	v_cvt_f32_f64_e32 v150, v[150:151]
	v_min3_f32 v135, v66, v150, v135
	v_add_f64 v[150:151], v[30:31], v[58:59]
	v_add_f64 v[152:153], v[28:29], v[56:57]
	v_cvt_f32_f64_e32 v66, v[152:153]
	v_cvt_f32_f64_e32 v150, v[150:151]
	v_min3_f32 v132, v66, v150, v132
	v_add_f64 v[150:151], v[26:27], v[58:59]
	v_add_f64 v[152:153], v[24:25], v[56:57]
	v_cvt_f32_f64_e32 v66, v[152:153]
	v_cvt_f32_f64_e32 v150, v[150:151]
	v_min3_f32 v131, v66, v150, v131
	v_add_f64 v[150:151], v[18:19], v[58:59]
	v_add_f64 v[152:153], v[16:17], v[56:57]
	v_cvt_f32_f64_e32 v66, v[152:153]
	v_cvt_f32_f64_e32 v150, v[150:151]
	v_min3_f32 v130, v66, v150, v130
	v_add_f64 v[150:151], v[14:15], v[58:59]
	v_add_f64 v[152:153], v[12:13], v[56:57]
	v_cvt_f32_f64_e32 v66, v[152:153]
	v_cvt_f32_f64_e32 v150, v[150:151]
	v_min3_f32 v129, v66, v150, v129
	v_add_f64 v[150:151], v[10:11], v[58:59]
	v_add_f64 v[152:153], v[8:9], v[56:57]
	v_cvt_f32_f64_e32 v66, v[152:153]
	v_cvt_f32_f64_e32 v150, v[150:151]
	v_min3_f32 v128, v66, v150, v128
	v_add_f64 v[150:151], v[6:7], v[58:59]
	v_add_f64 v[152:153], v[4:5], v[56:57]
	v_add_f64 v[58:59], v[2:3], v[58:59]
	v_add_f64 v[56:57], v[0:1], v[56:57]
	v_cvt_f32_f64_e32 v56, v[56:57]
	v_cvt_f32_f64_e32 v57, v[58:59]
	v_min3_f32 v126, v56, v57, v126
	v_add_f64 v[56:57], v[34:35], v[54:55]
	v_add_f64 v[58:59], v[32:33], v[52:53]
	v_cvt_f32_f64_e32 v58, v[58:59]
	v_cvt_f32_f64_e32 v56, v[56:57]
	v_min3_f32 v125, v58, v56, v125
	v_add_f64 v[56:57], v[30:31], v[54:55]
	v_add_f64 v[58:59], v[28:29], v[52:53]
	v_cvt_f32_f64_e32 v58, v[58:59]
	v_cvt_f32_f64_e32 v56, v[56:57]
	v_min3_f32 v124, v58, v56, v124
	v_add_f64 v[56:57], v[26:27], v[54:55]
	v_add_f64 v[58:59], v[24:25], v[52:53]
	v_cvt_f32_f64_e32 v58, v[58:59]
	v_cvt_f32_f64_e32 v56, v[56:57]
	v_min3_f32 v123, v58, v56, v123
	v_add_f64 v[56:57], v[18:19], v[54:55]
	v_add_f64 v[58:59], v[16:17], v[52:53]
	v_cvt_f32_f64_e32 v58, v[58:59]
	v_cvt_f32_f64_e32 v56, v[56:57]
	v_min3_f32 v122, v58, v56, v122
	v_add_f64 v[56:57], v[14:15], v[54:55]
	v_add_f64 v[58:59], v[12:13], v[52:53]
	v_cvt_f32_f64_e32 v58, v[58:59]
	v_cvt_f32_f64_e32 v56, v[56:57]
	v_min3_f32 v121, v58, v56, v121
	v_add_f64 v[56:57], v[10:11], v[54:55]
	v_add_f64 v[58:59], v[8:9], v[52:53]
	v_cvt_f32_f64_e32 v58, v[58:59]
	v_cvt_f32_f64_e32 v56, v[56:57]
	v_min3_f32 v120, v58, v56, v120
	v_add_f64 v[56:57], v[6:7], v[54:55]
	v_add_f64 v[58:59], v[4:5], v[52:53]
	v_add_f64 v[54:55], v[2:3], v[54:55]
	v_add_f64 v[52:53], v[0:1], v[52:53]
	;; [unrolled: 37-line block ×6, first 2 shown]
	v_add_f64 v[34:35], v[34:35], v[22:23]
	v_add_f64 v[32:33], v[32:33], v[20:21]
	;; [unrolled: 1-line block ×16, first 2 shown]
	v_cvt_f32_f64_e32 v66, v[152:153]
	v_cvt_f32_f64_e32 v150, v[150:151]
	;; [unrolled: 1-line block ×30, first 2 shown]
	v_min3_f32 v127, v66, v150, v127
	v_min3_f32 v119, v58, v56, v119
	;; [unrolled: 1-line block ×15, first 2 shown]
	s_mov_b32 s39, 2
	s_mov_b64 s[34:35], 0
	s_cbranch_vccz .LBB178_55
; %bb.56:                               ;   in Loop: Header=BB178_32 Depth=1
	s_add_i32 s36, s36, 8
	s_add_i32 s38, s38, 8
	s_cmp_ge_i32 s38, s37
	s_waitcnt vmcnt(0)
	ds_write_b64 v148, v[68:69]
	ds_write2st64_b64 v149, v[70:71], v[72:73] offset1:4
	ds_write2st64_b64 v149, v[74:75], v[76:77] offset0:8 offset1:12
	s_waitcnt lgkmcnt(0)
	s_barrier
	s_cbranch_scc0 .LBB178_32
.LBB178_57:
	s_mov_b32 s6, 0
	s_mov_b64 s[4:5], -1
.LBB178_58:                             ; =>This Inner Loop Header: Depth=1
	v_cndmask_b32_e64 v0, 0, 1, s[4:5]
	s_lshl_b32 s4, s6, 3
	v_cmp_ne_u32_e32 vcc, 1, v0
	v_lshl_add_u32 v0, v133, 5, s4
	v_lshl_add_u32 v20, v134, 5, s4
	ds_read_b128 v[32:35], v0 offset:18432
	ds_read_b128 v[28:31], v0 offset:18688
	;; [unrolled: 1-line block ×16, first 2 shown]
	s_waitcnt lgkmcnt(7)
	v_add_f64 v[64:65], v[34:35], v[62:63]
	v_add_f64 v[66:67], v[32:33], v[60:61]
	v_cvt_f32_f64_e32 v66, v[66:67]
	v_cvt_f32_f64_e32 v64, v[64:65]
	v_min3_f32 v143, v66, v64, v143
	v_add_f64 v[64:65], v[30:31], v[62:63]
	v_add_f64 v[66:67], v[28:29], v[60:61]
	v_cvt_f32_f64_e32 v66, v[66:67]
	v_cvt_f32_f64_e32 v64, v[64:65]
	v_min3_f32 v142, v66, v64, v142
	v_add_f64 v[64:65], v[26:27], v[62:63]
	v_add_f64 v[66:67], v[24:25], v[60:61]
	v_cvt_f32_f64_e32 v66, v[66:67]
	v_cvt_f32_f64_e32 v64, v[64:65]
	v_min3_f32 v141, v66, v64, v141
	v_add_f64 v[64:65], v[18:19], v[62:63]
	v_add_f64 v[66:67], v[16:17], v[60:61]
	v_cvt_f32_f64_e32 v66, v[66:67]
	v_cvt_f32_f64_e32 v64, v[64:65]
	v_min3_f32 v140, v66, v64, v140
	v_add_f64 v[64:65], v[14:15], v[62:63]
	v_add_f64 v[66:67], v[12:13], v[60:61]
	v_cvt_f32_f64_e32 v66, v[66:67]
	v_cvt_f32_f64_e32 v64, v[64:65]
	v_min3_f32 v139, v66, v64, v139
	v_add_f64 v[64:65], v[10:11], v[62:63]
	v_add_f64 v[66:67], v[8:9], v[60:61]
	v_cvt_f32_f64_e32 v66, v[66:67]
	v_cvt_f32_f64_e32 v64, v[64:65]
	v_min3_f32 v138, v66, v64, v138
	v_add_f64 v[64:65], v[6:7], v[62:63]
	v_add_f64 v[66:67], v[4:5], v[60:61]
	v_add_f64 v[62:63], v[2:3], v[62:63]
	v_add_f64 v[60:61], v[0:1], v[60:61]
	v_cvt_f32_f64_e32 v60, v[60:61]
	v_cvt_f32_f64_e32 v61, v[62:63]
	v_min3_f32 v136, v60, v61, v136
	s_waitcnt lgkmcnt(6)
	v_add_f64 v[60:61], v[34:35], v[58:59]
	v_add_f64 v[62:63], v[32:33], v[56:57]
	v_cvt_f32_f64_e32 v62, v[62:63]
	v_cvt_f32_f64_e32 v60, v[60:61]
	v_min3_f32 v135, v62, v60, v135
	v_add_f64 v[60:61], v[30:31], v[58:59]
	v_add_f64 v[62:63], v[28:29], v[56:57]
	v_cvt_f32_f64_e32 v62, v[62:63]
	v_cvt_f32_f64_e32 v60, v[60:61]
	v_min3_f32 v132, v62, v60, v132
	v_add_f64 v[60:61], v[26:27], v[58:59]
	v_add_f64 v[62:63], v[24:25], v[56:57]
	v_cvt_f32_f64_e32 v62, v[62:63]
	v_cvt_f32_f64_e32 v60, v[60:61]
	v_min3_f32 v131, v62, v60, v131
	v_add_f64 v[60:61], v[18:19], v[58:59]
	v_add_f64 v[62:63], v[16:17], v[56:57]
	v_cvt_f32_f64_e32 v62, v[62:63]
	v_cvt_f32_f64_e32 v60, v[60:61]
	v_min3_f32 v130, v62, v60, v130
	v_add_f64 v[60:61], v[14:15], v[58:59]
	v_add_f64 v[62:63], v[12:13], v[56:57]
	v_cvt_f32_f64_e32 v62, v[62:63]
	v_cvt_f32_f64_e32 v60, v[60:61]
	v_min3_f32 v129, v62, v60, v129
	v_add_f64 v[60:61], v[10:11], v[58:59]
	v_add_f64 v[62:63], v[8:9], v[56:57]
	v_cvt_f32_f64_e32 v62, v[62:63]
	v_cvt_f32_f64_e32 v60, v[60:61]
	v_min3_f32 v128, v62, v60, v128
	v_add_f64 v[60:61], v[6:7], v[58:59]
	v_add_f64 v[62:63], v[4:5], v[56:57]
	v_add_f64 v[58:59], v[2:3], v[58:59]
	v_add_f64 v[56:57], v[0:1], v[56:57]
	v_cvt_f32_f64_e32 v56, v[56:57]
	v_cvt_f32_f64_e32 v57, v[58:59]
	v_min3_f32 v126, v56, v57, v126
	;; [unrolled: 38-line block ×6, first 2 shown]
	s_waitcnt lgkmcnt(1)
	v_add_f64 v[40:41], v[34:35], v[38:39]
	v_add_f64 v[42:43], v[32:33], v[36:37]
	v_cvt_f32_f64_e32 v42, v[42:43]
	v_cvt_f32_f64_e32 v40, v[40:41]
	v_min3_f32 v93, v42, v40, v93
	v_add_f64 v[40:41], v[30:31], v[38:39]
	v_add_f64 v[42:43], v[28:29], v[36:37]
	v_cvt_f32_f64_e32 v42, v[42:43]
	v_cvt_f32_f64_e32 v40, v[40:41]
	v_min3_f32 v92, v42, v40, v92
	;; [unrolled: 5-line block ×6, first 2 shown]
	v_add_f64 v[40:41], v[6:7], v[38:39]
	v_add_f64 v[42:43], v[4:5], v[36:37]
	;; [unrolled: 1-line block ×4, first 2 shown]
	s_waitcnt lgkmcnt(0)
	v_add_f64 v[34:35], v[34:35], v[22:23]
	v_add_f64 v[32:33], v[32:33], v[20:21]
	;; [unrolled: 1-line block ×16, first 2 shown]
	v_cvt_f32_f64_e32 v66, v[66:67]
	v_cvt_f32_f64_e32 v64, v[64:65]
	;; [unrolled: 1-line block ×32, first 2 shown]
	v_min3_f32 v137, v66, v64, v137
	v_min3_f32 v127, v62, v60, v127
	;; [unrolled: 1-line block ×16, first 2 shown]
	s_mov_b32 s6, 2
	s_mov_b64 s[4:5], 0
	s_cbranch_vccz .LBB178_58
; %bb.59:
	s_load_dwordx2 s[4:5], s[0:1], 0x78
	s_load_dword s31, s[0:1], 0x58
	s_load_dword s30, s[0:1], 0x70
	v_add_u32_e32 v22, s16, v134
	v_add_u32_e32 v0, s2, v133
	s_waitcnt lgkmcnt(0)
	s_mul_i32 s0, s3, s5
	s_mul_hi_u32 s1, s3, s4
	s_mul_i32 s5, s17, s4
	s_add_i32 s0, s1, s0
	s_add_i32 s1, s0, s5
	s_mul_i32 s0, s3, s4
	s_lshl_b64 s[0:1], s[0:1], 3
	s_add_u32 s26, s14, s0
	s_addc_u32 s27, s15, s1
	v_mad_i64_i32 v[2:3], s[0:1], v22, s31, 0
	v_lshl_add_u64 v[18:19], v[2:3], 3, s[20:21]
	v_mad_i64_i32 v[2:3], s[0:1], v22, s30, 0
	v_cmp_gt_i32_e64 s[2:3], s24, v0
	v_cmp_gt_i32_e64 s[18:19], s25, v22
	v_lshl_add_u64 v[16:17], v[2:3], 3, s[26:27]
	v_cndmask_b32_e64 v2, 0, 1, s[28:29]
	v_ashrrev_i32_e32 v1, 31, v0
	s_and_b64 s[6:7], s[2:3], s[18:19]
	v_cmp_ne_u32_e64 s[0:1], 1, v2
	s_and_saveexec_b64 s[4:5], s[6:7]
	s_cbranch_execz .LBB178_64
; %bb.60:
	s_and_b64 vcc, exec, s[0:1]
	s_cbranch_vccnz .LBB178_62
; %bb.61:
	v_lshl_add_u64 v[2:3], v[0:1], 3, v[18:19]
	flat_load_dwordx2 v[2:3], v[2:3]
	s_waitcnt vmcnt(0) lgkmcnt(0)
	v_mul_f64 v[2:3], v[2:3], s[22:23]
	s_branch .LBB178_63
.LBB178_62:
	v_mov_b64_e32 v[2:3], 0
.LBB178_63:
	v_cvt_f32_f64_e32 v2, v[2:3]
	v_max_f32_e32 v3, v143, v143
	v_min_f32_e32 v2, v2, v3
	v_cvt_f64_f32_e32 v[2:3], v2
	v_lshl_add_u64 v[4:5], v[0:1], 3, v[16:17]
	global_store_dwordx2 v[4:5], v[2:3], off
.LBB178_64:
	s_or_b64 exec, exec, s[4:5]
	v_add_u32_e32 v2, 8, v0
	v_cmp_gt_i32_e64 s[4:5], s24, v2
	v_ashrrev_i32_e32 v3, 31, v2
	s_and_b64 s[8:9], s[4:5], s[18:19]
	s_and_saveexec_b64 s[6:7], s[8:9]
	s_cbranch_execz .LBB178_69
; %bb.65:
	s_and_b64 vcc, exec, s[0:1]
	s_cbranch_vccnz .LBB178_67
; %bb.66:
	v_lshl_add_u64 v[4:5], v[2:3], 3, v[18:19]
	flat_load_dwordx2 v[4:5], v[4:5]
	s_waitcnt vmcnt(0) lgkmcnt(0)
	v_mul_f64 v[4:5], v[4:5], s[22:23]
	s_branch .LBB178_68
.LBB178_67:
	v_mov_b64_e32 v[4:5], 0
.LBB178_68:
	v_cvt_f32_f64_e32 v4, v[4:5]
	v_max_f32_e32 v5, v142, v142
	v_min_f32_e32 v4, v4, v5
	v_cvt_f64_f32_e32 v[4:5], v4
	v_lshl_add_u64 v[6:7], v[2:3], 3, v[16:17]
	global_store_dwordx2 v[6:7], v[4:5], off
.LBB178_69:
	s_or_b64 exec, exec, s[6:7]
	v_add_u32_e32 v4, 16, v0
	v_cmp_gt_i32_e64 s[6:7], s24, v4
	v_ashrrev_i32_e32 v5, 31, v4
	s_and_b64 s[10:11], s[6:7], s[18:19]
	;; [unrolled: 26-line block ×7, first 2 shown]
	s_and_saveexec_b64 s[18:19], s[28:29]
	s_cbranch_execz .LBB178_99
; %bb.95:
	s_and_b64 vcc, exec, s[0:1]
	s_cbranch_vccnz .LBB178_97
; %bb.96:
	v_lshl_add_u64 v[18:19], v[14:15], 3, v[18:19]
	flat_load_dwordx2 v[18:19], v[18:19]
	s_waitcnt vmcnt(0) lgkmcnt(0)
	v_mul_f64 v[18:19], v[18:19], s[22:23]
	s_branch .LBB178_98
.LBB178_97:
	v_mov_b64_e32 v[18:19], 0
.LBB178_98:
	v_cvt_f32_f64_e32 v18, v[18:19]
	v_max_f32_e32 v19, v136, v136
	v_min_f32_e32 v18, v18, v19
	v_cvt_f64_f32_e32 v[18:19], v18
	v_lshl_add_u64 v[16:17], v[14:15], 3, v[16:17]
	global_store_dwordx2 v[16:17], v[18:19], off
.LBB178_99:
	s_or_b64 exec, exec, s[18:19]
	v_add_u32_e32 v20, 32, v22
	v_mad_i64_i32 v[16:17], s[28:29], v20, s31, 0
	v_cmp_gt_i32_e64 s[18:19], s25, v20
	v_lshl_add_u64 v[18:19], v[16:17], 3, s[20:21]
	v_mad_i64_i32 v[16:17], s[28:29], v20, s30, 0
	v_lshl_add_u64 v[16:17], v[16:17], 3, s[26:27]
	s_and_b64 s[34:35], s[2:3], s[18:19]
	s_and_saveexec_b64 s[28:29], s[34:35]
	s_cbranch_execnz .LBB178_107
; %bb.100:
	s_or_b64 exec, exec, s[28:29]
	s_and_b64 s[34:35], s[4:5], s[18:19]
	s_and_saveexec_b64 s[28:29], s[34:35]
	s_cbranch_execnz .LBB178_111
.LBB178_101:
	s_or_b64 exec, exec, s[28:29]
	s_and_b64 s[34:35], s[6:7], s[18:19]
	s_and_saveexec_b64 s[28:29], s[34:35]
	s_cbranch_execnz .LBB178_115
.LBB178_102:
	s_or_b64 exec, exec, s[28:29]
	s_and_b64 s[34:35], s[8:9], s[18:19]
	s_and_saveexec_b64 s[28:29], s[34:35]
	s_cbranch_execnz .LBB178_119
.LBB178_103:
	s_or_b64 exec, exec, s[28:29]
	s_and_b64 s[34:35], s[10:11], s[18:19]
	s_and_saveexec_b64 s[28:29], s[34:35]
	s_cbranch_execnz .LBB178_123
.LBB178_104:
	s_or_b64 exec, exec, s[28:29]
	s_and_b64 s[34:35], s[12:13], s[18:19]
	s_and_saveexec_b64 s[28:29], s[34:35]
	s_cbranch_execnz .LBB178_127
.LBB178_105:
	s_or_b64 exec, exec, s[28:29]
	s_and_b64 s[34:35], s[14:15], s[18:19]
	s_and_saveexec_b64 s[28:29], s[34:35]
	s_cbranch_execnz .LBB178_131
.LBB178_106:
	s_or_b64 exec, exec, s[28:29]
	s_and_b64 s[28:29], s[16:17], s[18:19]
	s_and_saveexec_b64 s[18:19], s[28:29]
	s_cbranch_execnz .LBB178_135
	s_branch .LBB178_139
.LBB178_107:
	s_and_b64 vcc, exec, s[0:1]
	s_cbranch_vccnz .LBB178_109
; %bb.108:
	v_lshl_add_u64 v[20:21], v[0:1], 3, v[18:19]
	flat_load_dwordx2 v[20:21], v[20:21]
	s_waitcnt vmcnt(0) lgkmcnt(0)
	v_mul_f64 v[20:21], v[20:21], s[22:23]
	s_branch .LBB178_110
.LBB178_109:
	v_mov_b64_e32 v[20:21], 0
.LBB178_110:
	v_cvt_f32_f64_e32 v20, v[20:21]
	v_max_f32_e32 v21, v135, v135
	v_min_f32_e32 v20, v20, v21
	v_cvt_f64_f32_e32 v[20:21], v20
	v_lshl_add_u64 v[24:25], v[0:1], 3, v[16:17]
	global_store_dwordx2 v[24:25], v[20:21], off
	s_or_b64 exec, exec, s[28:29]
	s_and_b64 s[34:35], s[4:5], s[18:19]
	s_and_saveexec_b64 s[28:29], s[34:35]
	s_cbranch_execz .LBB178_101
.LBB178_111:
	s_and_b64 vcc, exec, s[0:1]
	s_cbranch_vccnz .LBB178_113
; %bb.112:
	v_lshl_add_u64 v[20:21], v[2:3], 3, v[18:19]
	flat_load_dwordx2 v[20:21], v[20:21]
	s_waitcnt vmcnt(0) lgkmcnt(0)
	v_mul_f64 v[20:21], v[20:21], s[22:23]
	s_branch .LBB178_114
.LBB178_113:
	v_mov_b64_e32 v[20:21], 0
.LBB178_114:
	v_cvt_f32_f64_e32 v20, v[20:21]
	v_max_f32_e32 v21, v132, v132
	v_min_f32_e32 v20, v20, v21
	v_cvt_f64_f32_e32 v[20:21], v20
	v_lshl_add_u64 v[24:25], v[2:3], 3, v[16:17]
	global_store_dwordx2 v[24:25], v[20:21], off
	s_or_b64 exec, exec, s[28:29]
	s_and_b64 s[34:35], s[6:7], s[18:19]
	s_and_saveexec_b64 s[28:29], s[34:35]
	s_cbranch_execz .LBB178_102
.LBB178_115:
	s_and_b64 vcc, exec, s[0:1]
	s_cbranch_vccnz .LBB178_117
; %bb.116:
	v_lshl_add_u64 v[20:21], v[4:5], 3, v[18:19]
	flat_load_dwordx2 v[20:21], v[20:21]
	s_waitcnt vmcnt(0) lgkmcnt(0)
	v_mul_f64 v[20:21], v[20:21], s[22:23]
	s_branch .LBB178_118
.LBB178_117:
	v_mov_b64_e32 v[20:21], 0
.LBB178_118:
	v_cvt_f32_f64_e32 v20, v[20:21]
	v_max_f32_e32 v21, v131, v131
	v_min_f32_e32 v20, v20, v21
	v_cvt_f64_f32_e32 v[20:21], v20
	v_lshl_add_u64 v[24:25], v[4:5], 3, v[16:17]
	global_store_dwordx2 v[24:25], v[20:21], off
	s_or_b64 exec, exec, s[28:29]
	s_and_b64 s[34:35], s[8:9], s[18:19]
	s_and_saveexec_b64 s[28:29], s[34:35]
	s_cbranch_execz .LBB178_103
.LBB178_119:
	s_and_b64 vcc, exec, s[0:1]
	s_cbranch_vccnz .LBB178_121
; %bb.120:
	v_lshl_add_u64 v[20:21], v[6:7], 3, v[18:19]
	flat_load_dwordx2 v[20:21], v[20:21]
	s_waitcnt vmcnt(0) lgkmcnt(0)
	v_mul_f64 v[20:21], v[20:21], s[22:23]
	s_branch .LBB178_122
.LBB178_121:
	v_mov_b64_e32 v[20:21], 0
.LBB178_122:
	v_cvt_f32_f64_e32 v20, v[20:21]
	v_max_f32_e32 v21, v130, v130
	v_min_f32_e32 v20, v20, v21
	v_cvt_f64_f32_e32 v[20:21], v20
	v_lshl_add_u64 v[24:25], v[6:7], 3, v[16:17]
	global_store_dwordx2 v[24:25], v[20:21], off
	s_or_b64 exec, exec, s[28:29]
	s_and_b64 s[34:35], s[10:11], s[18:19]
	s_and_saveexec_b64 s[28:29], s[34:35]
	s_cbranch_execz .LBB178_104
.LBB178_123:
	s_and_b64 vcc, exec, s[0:1]
	s_cbranch_vccnz .LBB178_125
; %bb.124:
	v_lshl_add_u64 v[20:21], v[8:9], 3, v[18:19]
	flat_load_dwordx2 v[20:21], v[20:21]
	s_waitcnt vmcnt(0) lgkmcnt(0)
	v_mul_f64 v[20:21], v[20:21], s[22:23]
	s_branch .LBB178_126
.LBB178_125:
	v_mov_b64_e32 v[20:21], 0
.LBB178_126:
	v_cvt_f32_f64_e32 v20, v[20:21]
	v_max_f32_e32 v21, v129, v129
	v_min_f32_e32 v20, v20, v21
	v_cvt_f64_f32_e32 v[20:21], v20
	v_lshl_add_u64 v[24:25], v[8:9], 3, v[16:17]
	global_store_dwordx2 v[24:25], v[20:21], off
	s_or_b64 exec, exec, s[28:29]
	s_and_b64 s[34:35], s[12:13], s[18:19]
	s_and_saveexec_b64 s[28:29], s[34:35]
	s_cbranch_execz .LBB178_105
.LBB178_127:
	s_and_b64 vcc, exec, s[0:1]
	s_cbranch_vccnz .LBB178_129
; %bb.128:
	v_lshl_add_u64 v[20:21], v[10:11], 3, v[18:19]
	flat_load_dwordx2 v[20:21], v[20:21]
	s_waitcnt vmcnt(0) lgkmcnt(0)
	v_mul_f64 v[20:21], v[20:21], s[22:23]
	s_branch .LBB178_130
.LBB178_129:
	v_mov_b64_e32 v[20:21], 0
.LBB178_130:
	v_cvt_f32_f64_e32 v20, v[20:21]
	v_max_f32_e32 v21, v128, v128
	v_min_f32_e32 v20, v20, v21
	v_cvt_f64_f32_e32 v[20:21], v20
	v_lshl_add_u64 v[24:25], v[10:11], 3, v[16:17]
	global_store_dwordx2 v[24:25], v[20:21], off
	s_or_b64 exec, exec, s[28:29]
	s_and_b64 s[34:35], s[14:15], s[18:19]
	s_and_saveexec_b64 s[28:29], s[34:35]
	s_cbranch_execz .LBB178_106
.LBB178_131:
	s_and_b64 vcc, exec, s[0:1]
	s_cbranch_vccnz .LBB178_133
; %bb.132:
	v_lshl_add_u64 v[20:21], v[12:13], 3, v[18:19]
	flat_load_dwordx2 v[20:21], v[20:21]
	s_waitcnt vmcnt(0) lgkmcnt(0)
	v_mul_f64 v[20:21], v[20:21], s[22:23]
	s_branch .LBB178_134
.LBB178_133:
	v_mov_b64_e32 v[20:21], 0
.LBB178_134:
	v_cvt_f32_f64_e32 v20, v[20:21]
	v_max_f32_e32 v21, v127, v127
	v_min_f32_e32 v20, v20, v21
	v_cvt_f64_f32_e32 v[20:21], v20
	v_lshl_add_u64 v[24:25], v[12:13], 3, v[16:17]
	global_store_dwordx2 v[24:25], v[20:21], off
	s_or_b64 exec, exec, s[28:29]
	s_and_b64 s[28:29], s[16:17], s[18:19]
	s_and_saveexec_b64 s[18:19], s[28:29]
	s_cbranch_execz .LBB178_139
.LBB178_135:
	s_and_b64 vcc, exec, s[0:1]
	s_cbranch_vccnz .LBB178_137
; %bb.136:
	v_lshl_add_u64 v[18:19], v[14:15], 3, v[18:19]
	flat_load_dwordx2 v[18:19], v[18:19]
	s_waitcnt vmcnt(0) lgkmcnt(0)
	v_mul_f64 v[18:19], v[18:19], s[22:23]
	s_branch .LBB178_138
.LBB178_137:
	v_mov_b64_e32 v[18:19], 0
.LBB178_138:
	v_cvt_f32_f64_e32 v18, v[18:19]
	v_max_f32_e32 v19, v126, v126
	v_min_f32_e32 v18, v18, v19
	v_cvt_f64_f32_e32 v[18:19], v18
	v_lshl_add_u64 v[16:17], v[14:15], 3, v[16:17]
	global_store_dwordx2 v[16:17], v[18:19], off
.LBB178_139:
	s_or_b64 exec, exec, s[18:19]
	v_add_u32_e32 v20, 64, v22
	v_mad_i64_i32 v[16:17], s[28:29], v20, s31, 0
	v_cmp_gt_i32_e64 s[18:19], s25, v20
	v_lshl_add_u64 v[18:19], v[16:17], 3, s[20:21]
	v_mad_i64_i32 v[16:17], s[28:29], v20, s30, 0
	v_lshl_add_u64 v[16:17], v[16:17], 3, s[26:27]
	s_and_b64 s[34:35], s[2:3], s[18:19]
	s_and_saveexec_b64 s[28:29], s[34:35]
	s_cbranch_execnz .LBB178_147
; %bb.140:
	s_or_b64 exec, exec, s[28:29]
	s_and_b64 s[34:35], s[4:5], s[18:19]
	s_and_saveexec_b64 s[28:29], s[34:35]
	s_cbranch_execnz .LBB178_151
.LBB178_141:
	s_or_b64 exec, exec, s[28:29]
	s_and_b64 s[34:35], s[6:7], s[18:19]
	s_and_saveexec_b64 s[28:29], s[34:35]
	s_cbranch_execnz .LBB178_155
.LBB178_142:
	s_or_b64 exec, exec, s[28:29]
	s_and_b64 s[34:35], s[8:9], s[18:19]
	s_and_saveexec_b64 s[28:29], s[34:35]
	s_cbranch_execnz .LBB178_159
.LBB178_143:
	s_or_b64 exec, exec, s[28:29]
	s_and_b64 s[34:35], s[10:11], s[18:19]
	s_and_saveexec_b64 s[28:29], s[34:35]
	s_cbranch_execnz .LBB178_163
.LBB178_144:
	s_or_b64 exec, exec, s[28:29]
	s_and_b64 s[34:35], s[12:13], s[18:19]
	s_and_saveexec_b64 s[28:29], s[34:35]
	s_cbranch_execnz .LBB178_167
.LBB178_145:
	s_or_b64 exec, exec, s[28:29]
	s_and_b64 s[34:35], s[14:15], s[18:19]
	s_and_saveexec_b64 s[28:29], s[34:35]
	s_cbranch_execnz .LBB178_171
.LBB178_146:
	s_or_b64 exec, exec, s[28:29]
	s_and_b64 s[28:29], s[16:17], s[18:19]
	s_and_saveexec_b64 s[18:19], s[28:29]
	s_cbranch_execnz .LBB178_175
	s_branch .LBB178_179
.LBB178_147:
	s_and_b64 vcc, exec, s[0:1]
	s_cbranch_vccnz .LBB178_149
; %bb.148:
	v_lshl_add_u64 v[20:21], v[0:1], 3, v[18:19]
	flat_load_dwordx2 v[20:21], v[20:21]
	s_waitcnt vmcnt(0) lgkmcnt(0)
	v_mul_f64 v[20:21], v[20:21], s[22:23]
	s_branch .LBB178_150
.LBB178_149:
	v_mov_b64_e32 v[20:21], 0
.LBB178_150:
	v_cvt_f32_f64_e32 v20, v[20:21]
	v_max_f32_e32 v21, v125, v125
	v_min_f32_e32 v20, v20, v21
	v_cvt_f64_f32_e32 v[20:21], v20
	v_lshl_add_u64 v[24:25], v[0:1], 3, v[16:17]
	global_store_dwordx2 v[24:25], v[20:21], off
	s_or_b64 exec, exec, s[28:29]
	s_and_b64 s[34:35], s[4:5], s[18:19]
	s_and_saveexec_b64 s[28:29], s[34:35]
	s_cbranch_execz .LBB178_141
.LBB178_151:
	s_and_b64 vcc, exec, s[0:1]
	s_cbranch_vccnz .LBB178_153
; %bb.152:
	v_lshl_add_u64 v[20:21], v[2:3], 3, v[18:19]
	flat_load_dwordx2 v[20:21], v[20:21]
	s_waitcnt vmcnt(0) lgkmcnt(0)
	v_mul_f64 v[20:21], v[20:21], s[22:23]
	s_branch .LBB178_154
.LBB178_153:
	v_mov_b64_e32 v[20:21], 0
.LBB178_154:
	v_cvt_f32_f64_e32 v20, v[20:21]
	v_max_f32_e32 v21, v124, v124
	v_min_f32_e32 v20, v20, v21
	v_cvt_f64_f32_e32 v[20:21], v20
	v_lshl_add_u64 v[24:25], v[2:3], 3, v[16:17]
	global_store_dwordx2 v[24:25], v[20:21], off
	s_or_b64 exec, exec, s[28:29]
	s_and_b64 s[34:35], s[6:7], s[18:19]
	s_and_saveexec_b64 s[28:29], s[34:35]
	s_cbranch_execz .LBB178_142
.LBB178_155:
	s_and_b64 vcc, exec, s[0:1]
	s_cbranch_vccnz .LBB178_157
; %bb.156:
	v_lshl_add_u64 v[20:21], v[4:5], 3, v[18:19]
	flat_load_dwordx2 v[20:21], v[20:21]
	s_waitcnt vmcnt(0) lgkmcnt(0)
	v_mul_f64 v[20:21], v[20:21], s[22:23]
	s_branch .LBB178_158
.LBB178_157:
	v_mov_b64_e32 v[20:21], 0
.LBB178_158:
	v_cvt_f32_f64_e32 v20, v[20:21]
	v_max_f32_e32 v21, v123, v123
	v_min_f32_e32 v20, v20, v21
	v_cvt_f64_f32_e32 v[20:21], v20
	v_lshl_add_u64 v[24:25], v[4:5], 3, v[16:17]
	global_store_dwordx2 v[24:25], v[20:21], off
	s_or_b64 exec, exec, s[28:29]
	s_and_b64 s[34:35], s[8:9], s[18:19]
	s_and_saveexec_b64 s[28:29], s[34:35]
	s_cbranch_execz .LBB178_143
.LBB178_159:
	s_and_b64 vcc, exec, s[0:1]
	s_cbranch_vccnz .LBB178_161
; %bb.160:
	v_lshl_add_u64 v[20:21], v[6:7], 3, v[18:19]
	flat_load_dwordx2 v[20:21], v[20:21]
	s_waitcnt vmcnt(0) lgkmcnt(0)
	v_mul_f64 v[20:21], v[20:21], s[22:23]
	s_branch .LBB178_162
.LBB178_161:
	v_mov_b64_e32 v[20:21], 0
.LBB178_162:
	v_cvt_f32_f64_e32 v20, v[20:21]
	v_max_f32_e32 v21, v122, v122
	v_min_f32_e32 v20, v20, v21
	v_cvt_f64_f32_e32 v[20:21], v20
	v_lshl_add_u64 v[24:25], v[6:7], 3, v[16:17]
	global_store_dwordx2 v[24:25], v[20:21], off
	s_or_b64 exec, exec, s[28:29]
	s_and_b64 s[34:35], s[10:11], s[18:19]
	s_and_saveexec_b64 s[28:29], s[34:35]
	s_cbranch_execz .LBB178_144
.LBB178_163:
	s_and_b64 vcc, exec, s[0:1]
	s_cbranch_vccnz .LBB178_165
; %bb.164:
	v_lshl_add_u64 v[20:21], v[8:9], 3, v[18:19]
	flat_load_dwordx2 v[20:21], v[20:21]
	s_waitcnt vmcnt(0) lgkmcnt(0)
	v_mul_f64 v[20:21], v[20:21], s[22:23]
	s_branch .LBB178_166
.LBB178_165:
	v_mov_b64_e32 v[20:21], 0
.LBB178_166:
	v_cvt_f32_f64_e32 v20, v[20:21]
	v_max_f32_e32 v21, v121, v121
	v_min_f32_e32 v20, v20, v21
	v_cvt_f64_f32_e32 v[20:21], v20
	v_lshl_add_u64 v[24:25], v[8:9], 3, v[16:17]
	global_store_dwordx2 v[24:25], v[20:21], off
	s_or_b64 exec, exec, s[28:29]
	s_and_b64 s[34:35], s[12:13], s[18:19]
	s_and_saveexec_b64 s[28:29], s[34:35]
	s_cbranch_execz .LBB178_145
.LBB178_167:
	s_and_b64 vcc, exec, s[0:1]
	s_cbranch_vccnz .LBB178_169
; %bb.168:
	v_lshl_add_u64 v[20:21], v[10:11], 3, v[18:19]
	flat_load_dwordx2 v[20:21], v[20:21]
	s_waitcnt vmcnt(0) lgkmcnt(0)
	v_mul_f64 v[20:21], v[20:21], s[22:23]
	s_branch .LBB178_170
.LBB178_169:
	v_mov_b64_e32 v[20:21], 0
.LBB178_170:
	v_cvt_f32_f64_e32 v20, v[20:21]
	v_max_f32_e32 v21, v120, v120
	v_min_f32_e32 v20, v20, v21
	v_cvt_f64_f32_e32 v[20:21], v20
	v_lshl_add_u64 v[24:25], v[10:11], 3, v[16:17]
	global_store_dwordx2 v[24:25], v[20:21], off
	s_or_b64 exec, exec, s[28:29]
	s_and_b64 s[34:35], s[14:15], s[18:19]
	s_and_saveexec_b64 s[28:29], s[34:35]
	s_cbranch_execz .LBB178_146
.LBB178_171:
	s_and_b64 vcc, exec, s[0:1]
	s_cbranch_vccnz .LBB178_173
; %bb.172:
	v_lshl_add_u64 v[20:21], v[12:13], 3, v[18:19]
	flat_load_dwordx2 v[20:21], v[20:21]
	s_waitcnt vmcnt(0) lgkmcnt(0)
	v_mul_f64 v[20:21], v[20:21], s[22:23]
	s_branch .LBB178_174
.LBB178_173:
	v_mov_b64_e32 v[20:21], 0
.LBB178_174:
	v_cvt_f32_f64_e32 v20, v[20:21]
	v_max_f32_e32 v21, v119, v119
	v_min_f32_e32 v20, v20, v21
	v_cvt_f64_f32_e32 v[20:21], v20
	v_lshl_add_u64 v[24:25], v[12:13], 3, v[16:17]
	global_store_dwordx2 v[24:25], v[20:21], off
	s_or_b64 exec, exec, s[28:29]
	s_and_b64 s[28:29], s[16:17], s[18:19]
	s_and_saveexec_b64 s[18:19], s[28:29]
	s_cbranch_execz .LBB178_179
.LBB178_175:
	s_and_b64 vcc, exec, s[0:1]
	s_cbranch_vccnz .LBB178_177
; %bb.176:
	v_lshl_add_u64 v[18:19], v[14:15], 3, v[18:19]
	flat_load_dwordx2 v[18:19], v[18:19]
	s_waitcnt vmcnt(0) lgkmcnt(0)
	v_mul_f64 v[18:19], v[18:19], s[22:23]
	s_branch .LBB178_178
.LBB178_177:
	v_mov_b64_e32 v[18:19], 0
.LBB178_178:
	v_cvt_f32_f64_e32 v18, v[18:19]
	v_max_f32_e32 v19, v118, v118
	v_min_f32_e32 v18, v18, v19
	v_cvt_f64_f32_e32 v[18:19], v18
	v_lshl_add_u64 v[16:17], v[14:15], 3, v[16:17]
	global_store_dwordx2 v[16:17], v[18:19], off
.LBB178_179:
	s_or_b64 exec, exec, s[18:19]
	v_add_u32_e32 v20, 0x60, v22
	v_mad_i64_i32 v[16:17], s[28:29], v20, s31, 0
	v_cmp_gt_i32_e64 s[18:19], s25, v20
	v_lshl_add_u64 v[18:19], v[16:17], 3, s[20:21]
	v_mad_i64_i32 v[16:17], s[28:29], v20, s30, 0
	v_lshl_add_u64 v[16:17], v[16:17], 3, s[26:27]
	s_and_b64 s[34:35], s[2:3], s[18:19]
	s_and_saveexec_b64 s[28:29], s[34:35]
	s_cbranch_execnz .LBB178_187
; %bb.180:
	s_or_b64 exec, exec, s[28:29]
	s_and_b64 s[34:35], s[4:5], s[18:19]
	s_and_saveexec_b64 s[28:29], s[34:35]
	s_cbranch_execnz .LBB178_191
.LBB178_181:
	s_or_b64 exec, exec, s[28:29]
	s_and_b64 s[34:35], s[6:7], s[18:19]
	s_and_saveexec_b64 s[28:29], s[34:35]
	s_cbranch_execnz .LBB178_195
.LBB178_182:
	s_or_b64 exec, exec, s[28:29]
	s_and_b64 s[34:35], s[8:9], s[18:19]
	s_and_saveexec_b64 s[28:29], s[34:35]
	s_cbranch_execnz .LBB178_199
.LBB178_183:
	s_or_b64 exec, exec, s[28:29]
	s_and_b64 s[34:35], s[10:11], s[18:19]
	s_and_saveexec_b64 s[28:29], s[34:35]
	s_cbranch_execnz .LBB178_203
.LBB178_184:
	s_or_b64 exec, exec, s[28:29]
	s_and_b64 s[34:35], s[12:13], s[18:19]
	s_and_saveexec_b64 s[28:29], s[34:35]
	s_cbranch_execnz .LBB178_207
.LBB178_185:
	s_or_b64 exec, exec, s[28:29]
	s_and_b64 s[34:35], s[14:15], s[18:19]
	s_and_saveexec_b64 s[28:29], s[34:35]
	s_cbranch_execnz .LBB178_211
.LBB178_186:
	s_or_b64 exec, exec, s[28:29]
	s_and_b64 s[28:29], s[16:17], s[18:19]
	s_and_saveexec_b64 s[18:19], s[28:29]
	s_cbranch_execnz .LBB178_215
	s_branch .LBB178_219
.LBB178_187:
	s_and_b64 vcc, exec, s[0:1]
	s_cbranch_vccnz .LBB178_189
; %bb.188:
	v_lshl_add_u64 v[20:21], v[0:1], 3, v[18:19]
	flat_load_dwordx2 v[20:21], v[20:21]
	s_waitcnt vmcnt(0) lgkmcnt(0)
	v_mul_f64 v[20:21], v[20:21], s[22:23]
	s_branch .LBB178_190
.LBB178_189:
	v_mov_b64_e32 v[20:21], 0
.LBB178_190:
	v_cvt_f32_f64_e32 v20, v[20:21]
	v_max_f32_e32 v21, v117, v117
	v_min_f32_e32 v20, v20, v21
	v_cvt_f64_f32_e32 v[20:21], v20
	v_lshl_add_u64 v[24:25], v[0:1], 3, v[16:17]
	global_store_dwordx2 v[24:25], v[20:21], off
	s_or_b64 exec, exec, s[28:29]
	s_and_b64 s[34:35], s[4:5], s[18:19]
	s_and_saveexec_b64 s[28:29], s[34:35]
	s_cbranch_execz .LBB178_181
.LBB178_191:
	s_and_b64 vcc, exec, s[0:1]
	s_cbranch_vccnz .LBB178_193
; %bb.192:
	v_lshl_add_u64 v[20:21], v[2:3], 3, v[18:19]
	flat_load_dwordx2 v[20:21], v[20:21]
	s_waitcnt vmcnt(0) lgkmcnt(0)
	v_mul_f64 v[20:21], v[20:21], s[22:23]
	s_branch .LBB178_194
.LBB178_193:
	v_mov_b64_e32 v[20:21], 0
.LBB178_194:
	v_cvt_f32_f64_e32 v20, v[20:21]
	v_max_f32_e32 v21, v116, v116
	v_min_f32_e32 v20, v20, v21
	v_cvt_f64_f32_e32 v[20:21], v20
	v_lshl_add_u64 v[24:25], v[2:3], 3, v[16:17]
	global_store_dwordx2 v[24:25], v[20:21], off
	s_or_b64 exec, exec, s[28:29]
	s_and_b64 s[34:35], s[6:7], s[18:19]
	s_and_saveexec_b64 s[28:29], s[34:35]
	s_cbranch_execz .LBB178_182
.LBB178_195:
	s_and_b64 vcc, exec, s[0:1]
	s_cbranch_vccnz .LBB178_197
; %bb.196:
	v_lshl_add_u64 v[20:21], v[4:5], 3, v[18:19]
	flat_load_dwordx2 v[20:21], v[20:21]
	s_waitcnt vmcnt(0) lgkmcnt(0)
	v_mul_f64 v[20:21], v[20:21], s[22:23]
	s_branch .LBB178_198
.LBB178_197:
	v_mov_b64_e32 v[20:21], 0
.LBB178_198:
	v_cvt_f32_f64_e32 v20, v[20:21]
	v_max_f32_e32 v21, v115, v115
	v_min_f32_e32 v20, v20, v21
	v_cvt_f64_f32_e32 v[20:21], v20
	v_lshl_add_u64 v[24:25], v[4:5], 3, v[16:17]
	global_store_dwordx2 v[24:25], v[20:21], off
	s_or_b64 exec, exec, s[28:29]
	s_and_b64 s[34:35], s[8:9], s[18:19]
	s_and_saveexec_b64 s[28:29], s[34:35]
	s_cbranch_execz .LBB178_183
.LBB178_199:
	s_and_b64 vcc, exec, s[0:1]
	s_cbranch_vccnz .LBB178_201
; %bb.200:
	v_lshl_add_u64 v[20:21], v[6:7], 3, v[18:19]
	flat_load_dwordx2 v[20:21], v[20:21]
	s_waitcnt vmcnt(0) lgkmcnt(0)
	v_mul_f64 v[20:21], v[20:21], s[22:23]
	s_branch .LBB178_202
.LBB178_201:
	v_mov_b64_e32 v[20:21], 0
.LBB178_202:
	v_cvt_f32_f64_e32 v20, v[20:21]
	v_max_f32_e32 v21, v114, v114
	v_min_f32_e32 v20, v20, v21
	v_cvt_f64_f32_e32 v[20:21], v20
	v_lshl_add_u64 v[24:25], v[6:7], 3, v[16:17]
	global_store_dwordx2 v[24:25], v[20:21], off
	s_or_b64 exec, exec, s[28:29]
	s_and_b64 s[34:35], s[10:11], s[18:19]
	s_and_saveexec_b64 s[28:29], s[34:35]
	s_cbranch_execz .LBB178_184
.LBB178_203:
	s_and_b64 vcc, exec, s[0:1]
	s_cbranch_vccnz .LBB178_205
; %bb.204:
	v_lshl_add_u64 v[20:21], v[8:9], 3, v[18:19]
	flat_load_dwordx2 v[20:21], v[20:21]
	s_waitcnt vmcnt(0) lgkmcnt(0)
	v_mul_f64 v[20:21], v[20:21], s[22:23]
	s_branch .LBB178_206
.LBB178_205:
	v_mov_b64_e32 v[20:21], 0
.LBB178_206:
	v_cvt_f32_f64_e32 v20, v[20:21]
	v_max_f32_e32 v21, v113, v113
	v_min_f32_e32 v20, v20, v21
	v_cvt_f64_f32_e32 v[20:21], v20
	v_lshl_add_u64 v[24:25], v[8:9], 3, v[16:17]
	global_store_dwordx2 v[24:25], v[20:21], off
	s_or_b64 exec, exec, s[28:29]
	s_and_b64 s[34:35], s[12:13], s[18:19]
	s_and_saveexec_b64 s[28:29], s[34:35]
	s_cbranch_execz .LBB178_185
.LBB178_207:
	s_and_b64 vcc, exec, s[0:1]
	s_cbranch_vccnz .LBB178_209
; %bb.208:
	v_lshl_add_u64 v[20:21], v[10:11], 3, v[18:19]
	flat_load_dwordx2 v[20:21], v[20:21]
	s_waitcnt vmcnt(0) lgkmcnt(0)
	v_mul_f64 v[20:21], v[20:21], s[22:23]
	s_branch .LBB178_210
.LBB178_209:
	v_mov_b64_e32 v[20:21], 0
.LBB178_210:
	v_cvt_f32_f64_e32 v20, v[20:21]
	v_max_f32_e32 v21, v112, v112
	v_min_f32_e32 v20, v20, v21
	v_cvt_f64_f32_e32 v[20:21], v20
	v_lshl_add_u64 v[24:25], v[10:11], 3, v[16:17]
	global_store_dwordx2 v[24:25], v[20:21], off
	s_or_b64 exec, exec, s[28:29]
	s_and_b64 s[34:35], s[14:15], s[18:19]
	s_and_saveexec_b64 s[28:29], s[34:35]
	s_cbranch_execz .LBB178_186
.LBB178_211:
	s_and_b64 vcc, exec, s[0:1]
	s_cbranch_vccnz .LBB178_213
; %bb.212:
	v_lshl_add_u64 v[20:21], v[12:13], 3, v[18:19]
	flat_load_dwordx2 v[20:21], v[20:21]
	s_waitcnt vmcnt(0) lgkmcnt(0)
	v_mul_f64 v[20:21], v[20:21], s[22:23]
	s_branch .LBB178_214
.LBB178_213:
	v_mov_b64_e32 v[20:21], 0
.LBB178_214:
	v_cvt_f32_f64_e32 v20, v[20:21]
	v_max_f32_e32 v21, v111, v111
	v_min_f32_e32 v20, v20, v21
	v_cvt_f64_f32_e32 v[20:21], v20
	v_lshl_add_u64 v[24:25], v[12:13], 3, v[16:17]
	global_store_dwordx2 v[24:25], v[20:21], off
	s_or_b64 exec, exec, s[28:29]
	s_and_b64 s[28:29], s[16:17], s[18:19]
	s_and_saveexec_b64 s[18:19], s[28:29]
	s_cbranch_execz .LBB178_219
.LBB178_215:
	s_and_b64 vcc, exec, s[0:1]
	s_cbranch_vccnz .LBB178_217
; %bb.216:
	v_lshl_add_u64 v[18:19], v[14:15], 3, v[18:19]
	flat_load_dwordx2 v[18:19], v[18:19]
	s_waitcnt vmcnt(0) lgkmcnt(0)
	v_mul_f64 v[18:19], v[18:19], s[22:23]
	s_branch .LBB178_218
.LBB178_217:
	v_mov_b64_e32 v[18:19], 0
.LBB178_218:
	v_cvt_f32_f64_e32 v18, v[18:19]
	v_max_f32_e32 v19, v110, v110
	v_min_f32_e32 v18, v18, v19
	v_cvt_f64_f32_e32 v[18:19], v18
	v_lshl_add_u64 v[16:17], v[14:15], 3, v[16:17]
	global_store_dwordx2 v[16:17], v[18:19], off
.LBB178_219:
	s_or_b64 exec, exec, s[18:19]
	v_add_u32_e32 v20, 0x80, v22
	v_mad_i64_i32 v[16:17], s[28:29], v20, s31, 0
	v_cmp_gt_i32_e64 s[18:19], s25, v20
	v_lshl_add_u64 v[18:19], v[16:17], 3, s[20:21]
	v_mad_i64_i32 v[16:17], s[28:29], v20, s30, 0
	v_lshl_add_u64 v[16:17], v[16:17], 3, s[26:27]
	s_and_b64 s[34:35], s[2:3], s[18:19]
	s_and_saveexec_b64 s[28:29], s[34:35]
	s_cbranch_execnz .LBB178_227
; %bb.220:
	s_or_b64 exec, exec, s[28:29]
	s_and_b64 s[34:35], s[4:5], s[18:19]
	s_and_saveexec_b64 s[28:29], s[34:35]
	s_cbranch_execnz .LBB178_231
.LBB178_221:
	s_or_b64 exec, exec, s[28:29]
	s_and_b64 s[34:35], s[6:7], s[18:19]
	s_and_saveexec_b64 s[28:29], s[34:35]
	s_cbranch_execnz .LBB178_235
.LBB178_222:
	s_or_b64 exec, exec, s[28:29]
	s_and_b64 s[34:35], s[8:9], s[18:19]
	s_and_saveexec_b64 s[28:29], s[34:35]
	s_cbranch_execnz .LBB178_239
.LBB178_223:
	s_or_b64 exec, exec, s[28:29]
	s_and_b64 s[34:35], s[10:11], s[18:19]
	s_and_saveexec_b64 s[28:29], s[34:35]
	s_cbranch_execnz .LBB178_243
.LBB178_224:
	s_or_b64 exec, exec, s[28:29]
	s_and_b64 s[34:35], s[12:13], s[18:19]
	s_and_saveexec_b64 s[28:29], s[34:35]
	s_cbranch_execnz .LBB178_247
.LBB178_225:
	s_or_b64 exec, exec, s[28:29]
	s_and_b64 s[34:35], s[14:15], s[18:19]
	s_and_saveexec_b64 s[28:29], s[34:35]
	s_cbranch_execnz .LBB178_251
.LBB178_226:
	s_or_b64 exec, exec, s[28:29]
	s_and_b64 s[28:29], s[16:17], s[18:19]
	s_and_saveexec_b64 s[18:19], s[28:29]
	s_cbranch_execnz .LBB178_255
	s_branch .LBB178_259
.LBB178_227:
	s_and_b64 vcc, exec, s[0:1]
	s_cbranch_vccnz .LBB178_229
; %bb.228:
	v_lshl_add_u64 v[20:21], v[0:1], 3, v[18:19]
	flat_load_dwordx2 v[20:21], v[20:21]
	s_waitcnt vmcnt(0) lgkmcnt(0)
	v_mul_f64 v[20:21], v[20:21], s[22:23]
	s_branch .LBB178_230
.LBB178_229:
	v_mov_b64_e32 v[20:21], 0
.LBB178_230:
	v_cvt_f32_f64_e32 v20, v[20:21]
	v_max_f32_e32 v21, v109, v109
	v_min_f32_e32 v20, v20, v21
	v_cvt_f64_f32_e32 v[20:21], v20
	v_lshl_add_u64 v[24:25], v[0:1], 3, v[16:17]
	global_store_dwordx2 v[24:25], v[20:21], off
	s_or_b64 exec, exec, s[28:29]
	s_and_b64 s[34:35], s[4:5], s[18:19]
	s_and_saveexec_b64 s[28:29], s[34:35]
	s_cbranch_execz .LBB178_221
.LBB178_231:
	s_and_b64 vcc, exec, s[0:1]
	s_cbranch_vccnz .LBB178_233
; %bb.232:
	v_lshl_add_u64 v[20:21], v[2:3], 3, v[18:19]
	flat_load_dwordx2 v[20:21], v[20:21]
	s_waitcnt vmcnt(0) lgkmcnt(0)
	v_mul_f64 v[20:21], v[20:21], s[22:23]
	s_branch .LBB178_234
.LBB178_233:
	v_mov_b64_e32 v[20:21], 0
.LBB178_234:
	v_cvt_f32_f64_e32 v20, v[20:21]
	v_max_f32_e32 v21, v108, v108
	v_min_f32_e32 v20, v20, v21
	v_cvt_f64_f32_e32 v[20:21], v20
	v_lshl_add_u64 v[24:25], v[2:3], 3, v[16:17]
	global_store_dwordx2 v[24:25], v[20:21], off
	s_or_b64 exec, exec, s[28:29]
	s_and_b64 s[34:35], s[6:7], s[18:19]
	s_and_saveexec_b64 s[28:29], s[34:35]
	s_cbranch_execz .LBB178_222
.LBB178_235:
	s_and_b64 vcc, exec, s[0:1]
	s_cbranch_vccnz .LBB178_237
; %bb.236:
	v_lshl_add_u64 v[20:21], v[4:5], 3, v[18:19]
	flat_load_dwordx2 v[20:21], v[20:21]
	s_waitcnt vmcnt(0) lgkmcnt(0)
	v_mul_f64 v[20:21], v[20:21], s[22:23]
	s_branch .LBB178_238
.LBB178_237:
	v_mov_b64_e32 v[20:21], 0
.LBB178_238:
	v_cvt_f32_f64_e32 v20, v[20:21]
	v_max_f32_e32 v21, v107, v107
	v_min_f32_e32 v20, v20, v21
	v_cvt_f64_f32_e32 v[20:21], v20
	v_lshl_add_u64 v[24:25], v[4:5], 3, v[16:17]
	global_store_dwordx2 v[24:25], v[20:21], off
	s_or_b64 exec, exec, s[28:29]
	s_and_b64 s[34:35], s[8:9], s[18:19]
	s_and_saveexec_b64 s[28:29], s[34:35]
	s_cbranch_execz .LBB178_223
.LBB178_239:
	s_and_b64 vcc, exec, s[0:1]
	s_cbranch_vccnz .LBB178_241
; %bb.240:
	v_lshl_add_u64 v[20:21], v[6:7], 3, v[18:19]
	flat_load_dwordx2 v[20:21], v[20:21]
	s_waitcnt vmcnt(0) lgkmcnt(0)
	v_mul_f64 v[20:21], v[20:21], s[22:23]
	s_branch .LBB178_242
.LBB178_241:
	v_mov_b64_e32 v[20:21], 0
.LBB178_242:
	v_cvt_f32_f64_e32 v20, v[20:21]
	v_max_f32_e32 v21, v106, v106
	v_min_f32_e32 v20, v20, v21
	v_cvt_f64_f32_e32 v[20:21], v20
	v_lshl_add_u64 v[24:25], v[6:7], 3, v[16:17]
	global_store_dwordx2 v[24:25], v[20:21], off
	s_or_b64 exec, exec, s[28:29]
	s_and_b64 s[34:35], s[10:11], s[18:19]
	s_and_saveexec_b64 s[28:29], s[34:35]
	s_cbranch_execz .LBB178_224
.LBB178_243:
	s_and_b64 vcc, exec, s[0:1]
	s_cbranch_vccnz .LBB178_245
; %bb.244:
	v_lshl_add_u64 v[20:21], v[8:9], 3, v[18:19]
	flat_load_dwordx2 v[20:21], v[20:21]
	s_waitcnt vmcnt(0) lgkmcnt(0)
	v_mul_f64 v[20:21], v[20:21], s[22:23]
	s_branch .LBB178_246
.LBB178_245:
	v_mov_b64_e32 v[20:21], 0
.LBB178_246:
	v_cvt_f32_f64_e32 v20, v[20:21]
	v_max_f32_e32 v21, v105, v105
	v_min_f32_e32 v20, v20, v21
	v_cvt_f64_f32_e32 v[20:21], v20
	v_lshl_add_u64 v[24:25], v[8:9], 3, v[16:17]
	global_store_dwordx2 v[24:25], v[20:21], off
	s_or_b64 exec, exec, s[28:29]
	s_and_b64 s[34:35], s[12:13], s[18:19]
	s_and_saveexec_b64 s[28:29], s[34:35]
	s_cbranch_execz .LBB178_225
.LBB178_247:
	s_and_b64 vcc, exec, s[0:1]
	s_cbranch_vccnz .LBB178_249
; %bb.248:
	v_lshl_add_u64 v[20:21], v[10:11], 3, v[18:19]
	flat_load_dwordx2 v[20:21], v[20:21]
	s_waitcnt vmcnt(0) lgkmcnt(0)
	v_mul_f64 v[20:21], v[20:21], s[22:23]
	s_branch .LBB178_250
.LBB178_249:
	v_mov_b64_e32 v[20:21], 0
.LBB178_250:
	v_cvt_f32_f64_e32 v20, v[20:21]
	v_max_f32_e32 v21, v104, v104
	v_min_f32_e32 v20, v20, v21
	v_cvt_f64_f32_e32 v[20:21], v20
	v_lshl_add_u64 v[24:25], v[10:11], 3, v[16:17]
	global_store_dwordx2 v[24:25], v[20:21], off
	s_or_b64 exec, exec, s[28:29]
	s_and_b64 s[34:35], s[14:15], s[18:19]
	s_and_saveexec_b64 s[28:29], s[34:35]
	s_cbranch_execz .LBB178_226
.LBB178_251:
	s_and_b64 vcc, exec, s[0:1]
	s_cbranch_vccnz .LBB178_253
; %bb.252:
	v_lshl_add_u64 v[20:21], v[12:13], 3, v[18:19]
	flat_load_dwordx2 v[20:21], v[20:21]
	s_waitcnt vmcnt(0) lgkmcnt(0)
	v_mul_f64 v[20:21], v[20:21], s[22:23]
	s_branch .LBB178_254
.LBB178_253:
	v_mov_b64_e32 v[20:21], 0
.LBB178_254:
	v_cvt_f32_f64_e32 v20, v[20:21]
	v_max_f32_e32 v21, v103, v103
	v_min_f32_e32 v20, v20, v21
	v_cvt_f64_f32_e32 v[20:21], v20
	v_lshl_add_u64 v[24:25], v[12:13], 3, v[16:17]
	global_store_dwordx2 v[24:25], v[20:21], off
	s_or_b64 exec, exec, s[28:29]
	s_and_b64 s[28:29], s[16:17], s[18:19]
	s_and_saveexec_b64 s[18:19], s[28:29]
	s_cbranch_execz .LBB178_259
.LBB178_255:
	s_and_b64 vcc, exec, s[0:1]
	s_cbranch_vccnz .LBB178_257
; %bb.256:
	v_lshl_add_u64 v[18:19], v[14:15], 3, v[18:19]
	flat_load_dwordx2 v[18:19], v[18:19]
	s_waitcnt vmcnt(0) lgkmcnt(0)
	v_mul_f64 v[18:19], v[18:19], s[22:23]
	s_branch .LBB178_258
.LBB178_257:
	v_mov_b64_e32 v[18:19], 0
.LBB178_258:
	v_cvt_f32_f64_e32 v18, v[18:19]
	v_max_f32_e32 v19, v102, v102
	v_min_f32_e32 v18, v18, v19
	v_cvt_f64_f32_e32 v[18:19], v18
	v_lshl_add_u64 v[16:17], v[14:15], 3, v[16:17]
	global_store_dwordx2 v[16:17], v[18:19], off
.LBB178_259:
	s_or_b64 exec, exec, s[18:19]
	v_add_u32_e32 v20, 0xa0, v22
	v_mad_i64_i32 v[16:17], s[28:29], v20, s31, 0
	v_cmp_gt_i32_e64 s[18:19], s25, v20
	v_lshl_add_u64 v[18:19], v[16:17], 3, s[20:21]
	v_mad_i64_i32 v[16:17], s[28:29], v20, s30, 0
	v_lshl_add_u64 v[16:17], v[16:17], 3, s[26:27]
	s_and_b64 s[34:35], s[2:3], s[18:19]
	s_and_saveexec_b64 s[28:29], s[34:35]
	s_cbranch_execnz .LBB178_267
; %bb.260:
	s_or_b64 exec, exec, s[28:29]
	s_and_b64 s[34:35], s[4:5], s[18:19]
	s_and_saveexec_b64 s[28:29], s[34:35]
	s_cbranch_execnz .LBB178_271
.LBB178_261:
	s_or_b64 exec, exec, s[28:29]
	s_and_b64 s[34:35], s[6:7], s[18:19]
	s_and_saveexec_b64 s[28:29], s[34:35]
	s_cbranch_execnz .LBB178_275
.LBB178_262:
	s_or_b64 exec, exec, s[28:29]
	s_and_b64 s[34:35], s[8:9], s[18:19]
	s_and_saveexec_b64 s[28:29], s[34:35]
	s_cbranch_execnz .LBB178_279
.LBB178_263:
	s_or_b64 exec, exec, s[28:29]
	s_and_b64 s[34:35], s[10:11], s[18:19]
	s_and_saveexec_b64 s[28:29], s[34:35]
	s_cbranch_execnz .LBB178_283
.LBB178_264:
	s_or_b64 exec, exec, s[28:29]
	s_and_b64 s[34:35], s[12:13], s[18:19]
	s_and_saveexec_b64 s[28:29], s[34:35]
	s_cbranch_execnz .LBB178_287
.LBB178_265:
	s_or_b64 exec, exec, s[28:29]
	s_and_b64 s[34:35], s[14:15], s[18:19]
	s_and_saveexec_b64 s[28:29], s[34:35]
	s_cbranch_execnz .LBB178_291
.LBB178_266:
	s_or_b64 exec, exec, s[28:29]
	s_and_b64 s[28:29], s[16:17], s[18:19]
	s_and_saveexec_b64 s[18:19], s[28:29]
	s_cbranch_execnz .LBB178_295
	s_branch .LBB178_299
.LBB178_267:
	s_and_b64 vcc, exec, s[0:1]
	s_cbranch_vccnz .LBB178_269
; %bb.268:
	v_lshl_add_u64 v[20:21], v[0:1], 3, v[18:19]
	flat_load_dwordx2 v[20:21], v[20:21]
	s_waitcnt vmcnt(0) lgkmcnt(0)
	v_mul_f64 v[20:21], v[20:21], s[22:23]
	s_branch .LBB178_270
.LBB178_269:
	v_mov_b64_e32 v[20:21], 0
.LBB178_270:
	v_cvt_f32_f64_e32 v20, v[20:21]
	v_max_f32_e32 v21, v101, v101
	v_min_f32_e32 v20, v20, v21
	v_cvt_f64_f32_e32 v[20:21], v20
	v_lshl_add_u64 v[24:25], v[0:1], 3, v[16:17]
	global_store_dwordx2 v[24:25], v[20:21], off
	s_or_b64 exec, exec, s[28:29]
	s_and_b64 s[34:35], s[4:5], s[18:19]
	s_and_saveexec_b64 s[28:29], s[34:35]
	s_cbranch_execz .LBB178_261
.LBB178_271:
	s_and_b64 vcc, exec, s[0:1]
	s_cbranch_vccnz .LBB178_273
; %bb.272:
	v_lshl_add_u64 v[20:21], v[2:3], 3, v[18:19]
	flat_load_dwordx2 v[20:21], v[20:21]
	s_waitcnt vmcnt(0) lgkmcnt(0)
	v_mul_f64 v[20:21], v[20:21], s[22:23]
	s_branch .LBB178_274
.LBB178_273:
	v_mov_b64_e32 v[20:21], 0
.LBB178_274:
	v_cvt_f32_f64_e32 v20, v[20:21]
	v_max_f32_e32 v21, v100, v100
	v_min_f32_e32 v20, v20, v21
	v_cvt_f64_f32_e32 v[20:21], v20
	v_lshl_add_u64 v[24:25], v[2:3], 3, v[16:17]
	global_store_dwordx2 v[24:25], v[20:21], off
	s_or_b64 exec, exec, s[28:29]
	s_and_b64 s[34:35], s[6:7], s[18:19]
	s_and_saveexec_b64 s[28:29], s[34:35]
	s_cbranch_execz .LBB178_262
.LBB178_275:
	s_and_b64 vcc, exec, s[0:1]
	s_cbranch_vccnz .LBB178_277
; %bb.276:
	v_lshl_add_u64 v[20:21], v[4:5], 3, v[18:19]
	flat_load_dwordx2 v[20:21], v[20:21]
	s_waitcnt vmcnt(0) lgkmcnt(0)
	v_mul_f64 v[20:21], v[20:21], s[22:23]
	s_branch .LBB178_278
.LBB178_277:
	v_mov_b64_e32 v[20:21], 0
.LBB178_278:
	v_cvt_f32_f64_e32 v20, v[20:21]
	v_max_f32_e32 v21, v99, v99
	v_min_f32_e32 v20, v20, v21
	v_cvt_f64_f32_e32 v[20:21], v20
	v_lshl_add_u64 v[24:25], v[4:5], 3, v[16:17]
	global_store_dwordx2 v[24:25], v[20:21], off
	s_or_b64 exec, exec, s[28:29]
	s_and_b64 s[34:35], s[8:9], s[18:19]
	s_and_saveexec_b64 s[28:29], s[34:35]
	s_cbranch_execz .LBB178_263
.LBB178_279:
	s_and_b64 vcc, exec, s[0:1]
	s_cbranch_vccnz .LBB178_281
; %bb.280:
	v_lshl_add_u64 v[20:21], v[6:7], 3, v[18:19]
	flat_load_dwordx2 v[20:21], v[20:21]
	s_waitcnt vmcnt(0) lgkmcnt(0)
	v_mul_f64 v[20:21], v[20:21], s[22:23]
	s_branch .LBB178_282
.LBB178_281:
	v_mov_b64_e32 v[20:21], 0
.LBB178_282:
	v_cvt_f32_f64_e32 v20, v[20:21]
	v_max_f32_e32 v21, v98, v98
	v_min_f32_e32 v20, v20, v21
	v_cvt_f64_f32_e32 v[20:21], v20
	v_lshl_add_u64 v[24:25], v[6:7], 3, v[16:17]
	global_store_dwordx2 v[24:25], v[20:21], off
	s_or_b64 exec, exec, s[28:29]
	s_and_b64 s[34:35], s[10:11], s[18:19]
	s_and_saveexec_b64 s[28:29], s[34:35]
	s_cbranch_execz .LBB178_264
.LBB178_283:
	s_and_b64 vcc, exec, s[0:1]
	s_cbranch_vccnz .LBB178_285
; %bb.284:
	v_lshl_add_u64 v[20:21], v[8:9], 3, v[18:19]
	flat_load_dwordx2 v[20:21], v[20:21]
	s_waitcnt vmcnt(0) lgkmcnt(0)
	v_mul_f64 v[20:21], v[20:21], s[22:23]
	s_branch .LBB178_286
.LBB178_285:
	v_mov_b64_e32 v[20:21], 0
.LBB178_286:
	v_cvt_f32_f64_e32 v20, v[20:21]
	v_max_f32_e32 v21, v97, v97
	v_min_f32_e32 v20, v20, v21
	v_cvt_f64_f32_e32 v[20:21], v20
	v_lshl_add_u64 v[24:25], v[8:9], 3, v[16:17]
	global_store_dwordx2 v[24:25], v[20:21], off
	s_or_b64 exec, exec, s[28:29]
	s_and_b64 s[34:35], s[12:13], s[18:19]
	s_and_saveexec_b64 s[28:29], s[34:35]
	s_cbranch_execz .LBB178_265
.LBB178_287:
	s_and_b64 vcc, exec, s[0:1]
	s_cbranch_vccnz .LBB178_289
; %bb.288:
	v_lshl_add_u64 v[20:21], v[10:11], 3, v[18:19]
	flat_load_dwordx2 v[20:21], v[20:21]
	s_waitcnt vmcnt(0) lgkmcnt(0)
	v_mul_f64 v[20:21], v[20:21], s[22:23]
	s_branch .LBB178_290
.LBB178_289:
	v_mov_b64_e32 v[20:21], 0
.LBB178_290:
	v_cvt_f32_f64_e32 v20, v[20:21]
	v_max_f32_e32 v21, v96, v96
	v_min_f32_e32 v20, v20, v21
	v_cvt_f64_f32_e32 v[20:21], v20
	v_lshl_add_u64 v[24:25], v[10:11], 3, v[16:17]
	global_store_dwordx2 v[24:25], v[20:21], off
	s_or_b64 exec, exec, s[28:29]
	s_and_b64 s[34:35], s[14:15], s[18:19]
	s_and_saveexec_b64 s[28:29], s[34:35]
	s_cbranch_execz .LBB178_266
.LBB178_291:
	s_and_b64 vcc, exec, s[0:1]
	s_cbranch_vccnz .LBB178_293
; %bb.292:
	v_lshl_add_u64 v[20:21], v[12:13], 3, v[18:19]
	flat_load_dwordx2 v[20:21], v[20:21]
	s_waitcnt vmcnt(0) lgkmcnt(0)
	v_mul_f64 v[20:21], v[20:21], s[22:23]
	s_branch .LBB178_294
.LBB178_293:
	v_mov_b64_e32 v[20:21], 0
.LBB178_294:
	v_cvt_f32_f64_e32 v20, v[20:21]
	v_max_f32_e32 v21, v95, v95
	v_min_f32_e32 v20, v20, v21
	v_cvt_f64_f32_e32 v[20:21], v20
	v_lshl_add_u64 v[24:25], v[12:13], 3, v[16:17]
	global_store_dwordx2 v[24:25], v[20:21], off
	s_or_b64 exec, exec, s[28:29]
	s_and_b64 s[28:29], s[16:17], s[18:19]
	s_and_saveexec_b64 s[18:19], s[28:29]
	s_cbranch_execz .LBB178_299
.LBB178_295:
	s_and_b64 vcc, exec, s[0:1]
	s_cbranch_vccnz .LBB178_297
; %bb.296:
	v_lshl_add_u64 v[18:19], v[14:15], 3, v[18:19]
	flat_load_dwordx2 v[18:19], v[18:19]
	s_waitcnt vmcnt(0) lgkmcnt(0)
	v_mul_f64 v[18:19], v[18:19], s[22:23]
	s_branch .LBB178_298
.LBB178_297:
	v_mov_b64_e32 v[18:19], 0
.LBB178_298:
	v_cvt_f32_f64_e32 v18, v[18:19]
	v_max_f32_e32 v19, v94, v94
	v_min_f32_e32 v18, v18, v19
	v_cvt_f64_f32_e32 v[18:19], v18
	v_lshl_add_u64 v[16:17], v[14:15], 3, v[16:17]
	global_store_dwordx2 v[16:17], v[18:19], off
.LBB178_299:
	s_or_b64 exec, exec, s[18:19]
	v_add_u32_e32 v20, 0xc0, v22
	v_mad_i64_i32 v[16:17], s[28:29], v20, s31, 0
	v_cmp_gt_i32_e64 s[18:19], s25, v20
	v_lshl_add_u64 v[18:19], v[16:17], 3, s[20:21]
	v_mad_i64_i32 v[16:17], s[28:29], v20, s30, 0
	v_lshl_add_u64 v[16:17], v[16:17], 3, s[26:27]
	s_and_b64 s[34:35], s[2:3], s[18:19]
	s_and_saveexec_b64 s[28:29], s[34:35]
	s_cbranch_execnz .LBB178_307
; %bb.300:
	s_or_b64 exec, exec, s[28:29]
	s_and_b64 s[34:35], s[4:5], s[18:19]
	s_and_saveexec_b64 s[28:29], s[34:35]
	s_cbranch_execnz .LBB178_311
.LBB178_301:
	s_or_b64 exec, exec, s[28:29]
	s_and_b64 s[34:35], s[6:7], s[18:19]
	s_and_saveexec_b64 s[28:29], s[34:35]
	s_cbranch_execnz .LBB178_315
.LBB178_302:
	s_or_b64 exec, exec, s[28:29]
	s_and_b64 s[34:35], s[8:9], s[18:19]
	s_and_saveexec_b64 s[28:29], s[34:35]
	s_cbranch_execnz .LBB178_319
.LBB178_303:
	s_or_b64 exec, exec, s[28:29]
	s_and_b64 s[34:35], s[10:11], s[18:19]
	s_and_saveexec_b64 s[28:29], s[34:35]
	s_cbranch_execnz .LBB178_323
.LBB178_304:
	s_or_b64 exec, exec, s[28:29]
	s_and_b64 s[34:35], s[12:13], s[18:19]
	s_and_saveexec_b64 s[28:29], s[34:35]
	s_cbranch_execnz .LBB178_327
.LBB178_305:
	s_or_b64 exec, exec, s[28:29]
	s_and_b64 s[34:35], s[14:15], s[18:19]
	s_and_saveexec_b64 s[28:29], s[34:35]
	s_cbranch_execnz .LBB178_331
.LBB178_306:
	s_or_b64 exec, exec, s[28:29]
	s_and_b64 s[28:29], s[16:17], s[18:19]
	s_and_saveexec_b64 s[18:19], s[28:29]
	s_cbranch_execnz .LBB178_335
	s_branch .LBB178_339
.LBB178_307:
	s_and_b64 vcc, exec, s[0:1]
	s_cbranch_vccnz .LBB178_309
; %bb.308:
	v_lshl_add_u64 v[20:21], v[0:1], 3, v[18:19]
	flat_load_dwordx2 v[20:21], v[20:21]
	s_waitcnt vmcnt(0) lgkmcnt(0)
	v_mul_f64 v[20:21], v[20:21], s[22:23]
	s_branch .LBB178_310
.LBB178_309:
	v_mov_b64_e32 v[20:21], 0
.LBB178_310:
	v_cvt_f32_f64_e32 v20, v[20:21]
	v_max_f32_e32 v21, v93, v93
	v_min_f32_e32 v20, v20, v21
	v_cvt_f64_f32_e32 v[20:21], v20
	v_lshl_add_u64 v[24:25], v[0:1], 3, v[16:17]
	global_store_dwordx2 v[24:25], v[20:21], off
	s_or_b64 exec, exec, s[28:29]
	s_and_b64 s[34:35], s[4:5], s[18:19]
	s_and_saveexec_b64 s[28:29], s[34:35]
	s_cbranch_execz .LBB178_301
.LBB178_311:
	s_and_b64 vcc, exec, s[0:1]
	s_cbranch_vccnz .LBB178_313
; %bb.312:
	v_lshl_add_u64 v[20:21], v[2:3], 3, v[18:19]
	flat_load_dwordx2 v[20:21], v[20:21]
	s_waitcnt vmcnt(0) lgkmcnt(0)
	v_mul_f64 v[20:21], v[20:21], s[22:23]
	s_branch .LBB178_314
.LBB178_313:
	v_mov_b64_e32 v[20:21], 0
.LBB178_314:
	v_cvt_f32_f64_e32 v20, v[20:21]
	v_max_f32_e32 v21, v92, v92
	v_min_f32_e32 v20, v20, v21
	v_cvt_f64_f32_e32 v[20:21], v20
	v_lshl_add_u64 v[24:25], v[2:3], 3, v[16:17]
	global_store_dwordx2 v[24:25], v[20:21], off
	s_or_b64 exec, exec, s[28:29]
	s_and_b64 s[34:35], s[6:7], s[18:19]
	s_and_saveexec_b64 s[28:29], s[34:35]
	s_cbranch_execz .LBB178_302
.LBB178_315:
	s_and_b64 vcc, exec, s[0:1]
	s_cbranch_vccnz .LBB178_317
; %bb.316:
	v_lshl_add_u64 v[20:21], v[4:5], 3, v[18:19]
	flat_load_dwordx2 v[20:21], v[20:21]
	s_waitcnt vmcnt(0) lgkmcnt(0)
	v_mul_f64 v[20:21], v[20:21], s[22:23]
	s_branch .LBB178_318
.LBB178_317:
	v_mov_b64_e32 v[20:21], 0
.LBB178_318:
	v_cvt_f32_f64_e32 v20, v[20:21]
	v_max_f32_e32 v21, v91, v91
	v_min_f32_e32 v20, v20, v21
	v_cvt_f64_f32_e32 v[20:21], v20
	v_lshl_add_u64 v[24:25], v[4:5], 3, v[16:17]
	global_store_dwordx2 v[24:25], v[20:21], off
	s_or_b64 exec, exec, s[28:29]
	s_and_b64 s[34:35], s[8:9], s[18:19]
	s_and_saveexec_b64 s[28:29], s[34:35]
	s_cbranch_execz .LBB178_303
.LBB178_319:
	s_and_b64 vcc, exec, s[0:1]
	s_cbranch_vccnz .LBB178_321
; %bb.320:
	v_lshl_add_u64 v[20:21], v[6:7], 3, v[18:19]
	flat_load_dwordx2 v[20:21], v[20:21]
	s_waitcnt vmcnt(0) lgkmcnt(0)
	v_mul_f64 v[20:21], v[20:21], s[22:23]
	s_branch .LBB178_322
.LBB178_321:
	v_mov_b64_e32 v[20:21], 0
.LBB178_322:
	v_cvt_f32_f64_e32 v20, v[20:21]
	v_max_f32_e32 v21, v90, v90
	v_min_f32_e32 v20, v20, v21
	v_cvt_f64_f32_e32 v[20:21], v20
	v_lshl_add_u64 v[24:25], v[6:7], 3, v[16:17]
	global_store_dwordx2 v[24:25], v[20:21], off
	s_or_b64 exec, exec, s[28:29]
	s_and_b64 s[34:35], s[10:11], s[18:19]
	s_and_saveexec_b64 s[28:29], s[34:35]
	s_cbranch_execz .LBB178_304
.LBB178_323:
	s_and_b64 vcc, exec, s[0:1]
	s_cbranch_vccnz .LBB178_325
; %bb.324:
	v_lshl_add_u64 v[20:21], v[8:9], 3, v[18:19]
	flat_load_dwordx2 v[20:21], v[20:21]
	s_waitcnt vmcnt(0) lgkmcnt(0)
	v_mul_f64 v[20:21], v[20:21], s[22:23]
	s_branch .LBB178_326
.LBB178_325:
	v_mov_b64_e32 v[20:21], 0
.LBB178_326:
	v_cvt_f32_f64_e32 v20, v[20:21]
	v_max_f32_e32 v21, v89, v89
	v_min_f32_e32 v20, v20, v21
	v_cvt_f64_f32_e32 v[20:21], v20
	v_lshl_add_u64 v[24:25], v[8:9], 3, v[16:17]
	global_store_dwordx2 v[24:25], v[20:21], off
	s_or_b64 exec, exec, s[28:29]
	s_and_b64 s[34:35], s[12:13], s[18:19]
	s_and_saveexec_b64 s[28:29], s[34:35]
	s_cbranch_execz .LBB178_305
.LBB178_327:
	s_and_b64 vcc, exec, s[0:1]
	s_cbranch_vccnz .LBB178_329
; %bb.328:
	v_lshl_add_u64 v[20:21], v[10:11], 3, v[18:19]
	flat_load_dwordx2 v[20:21], v[20:21]
	s_waitcnt vmcnt(0) lgkmcnt(0)
	v_mul_f64 v[20:21], v[20:21], s[22:23]
	s_branch .LBB178_330
.LBB178_329:
	v_mov_b64_e32 v[20:21], 0
.LBB178_330:
	v_cvt_f32_f64_e32 v20, v[20:21]
	v_max_f32_e32 v21, v88, v88
	v_min_f32_e32 v20, v20, v21
	v_cvt_f64_f32_e32 v[20:21], v20
	v_lshl_add_u64 v[24:25], v[10:11], 3, v[16:17]
	global_store_dwordx2 v[24:25], v[20:21], off
	s_or_b64 exec, exec, s[28:29]
	s_and_b64 s[34:35], s[14:15], s[18:19]
	s_and_saveexec_b64 s[28:29], s[34:35]
	s_cbranch_execz .LBB178_306
.LBB178_331:
	s_and_b64 vcc, exec, s[0:1]
	s_cbranch_vccnz .LBB178_333
; %bb.332:
	v_lshl_add_u64 v[20:21], v[12:13], 3, v[18:19]
	flat_load_dwordx2 v[20:21], v[20:21]
	s_waitcnt vmcnt(0) lgkmcnt(0)
	v_mul_f64 v[20:21], v[20:21], s[22:23]
	s_branch .LBB178_334
.LBB178_333:
	v_mov_b64_e32 v[20:21], 0
.LBB178_334:
	v_cvt_f32_f64_e32 v20, v[20:21]
	v_max_f32_e32 v21, v87, v87
	v_min_f32_e32 v20, v20, v21
	v_cvt_f64_f32_e32 v[20:21], v20
	v_lshl_add_u64 v[24:25], v[12:13], 3, v[16:17]
	global_store_dwordx2 v[24:25], v[20:21], off
	s_or_b64 exec, exec, s[28:29]
	s_and_b64 s[28:29], s[16:17], s[18:19]
	s_and_saveexec_b64 s[18:19], s[28:29]
	s_cbranch_execz .LBB178_339
.LBB178_335:
	s_and_b64 vcc, exec, s[0:1]
	s_cbranch_vccnz .LBB178_337
; %bb.336:
	v_lshl_add_u64 v[18:19], v[14:15], 3, v[18:19]
	flat_load_dwordx2 v[18:19], v[18:19]
	s_waitcnt vmcnt(0) lgkmcnt(0)
	v_mul_f64 v[18:19], v[18:19], s[22:23]
	s_branch .LBB178_338
.LBB178_337:
	v_mov_b64_e32 v[18:19], 0
.LBB178_338:
	v_cvt_f32_f64_e32 v18, v[18:19]
	v_max_f32_e32 v19, v86, v86
	v_min_f32_e32 v18, v18, v19
	v_cvt_f64_f32_e32 v[18:19], v18
	v_lshl_add_u64 v[16:17], v[14:15], 3, v[16:17]
	global_store_dwordx2 v[16:17], v[18:19], off
.LBB178_339:
	s_or_b64 exec, exec, s[18:19]
	v_add_u32_e32 v20, 0xe0, v22
	v_cmp_gt_i32_e64 s[18:19], s25, v20
	v_mad_i64_i32 v[16:17], s[24:25], v20, s31, 0
	v_lshl_add_u64 v[18:19], v[16:17], 3, s[20:21]
	v_mad_i64_i32 v[16:17], s[20:21], v20, s30, 0
	v_lshl_add_u64 v[16:17], v[16:17], 3, s[26:27]
	s_and_b64 s[20:21], s[2:3], s[18:19]
	s_and_saveexec_b64 s[2:3], s[20:21]
	s_cbranch_execnz .LBB178_348
; %bb.340:
	s_or_b64 exec, exec, s[2:3]
	s_and_b64 s[4:5], s[4:5], s[18:19]
	s_and_saveexec_b64 s[2:3], s[4:5]
	s_cbranch_execnz .LBB178_352
.LBB178_341:
	s_or_b64 exec, exec, s[2:3]
	s_and_b64 s[4:5], s[6:7], s[18:19]
	s_and_saveexec_b64 s[2:3], s[4:5]
	s_cbranch_execnz .LBB178_356
.LBB178_342:
	s_or_b64 exec, exec, s[2:3]
	s_and_b64 s[4:5], s[8:9], s[18:19]
	s_and_saveexec_b64 s[2:3], s[4:5]
	s_cbranch_execnz .LBB178_360
.LBB178_343:
	s_or_b64 exec, exec, s[2:3]
	s_and_b64 s[4:5], s[10:11], s[18:19]
	s_and_saveexec_b64 s[2:3], s[4:5]
	s_cbranch_execnz .LBB178_364
.LBB178_344:
	s_or_b64 exec, exec, s[2:3]
	s_and_b64 s[4:5], s[12:13], s[18:19]
	s_and_saveexec_b64 s[2:3], s[4:5]
	s_cbranch_execnz .LBB178_368
.LBB178_345:
	s_or_b64 exec, exec, s[2:3]
	s_and_b64 s[4:5], s[14:15], s[18:19]
	s_and_saveexec_b64 s[2:3], s[4:5]
	s_cbranch_execnz .LBB178_372
.LBB178_346:
	s_or_b64 exec, exec, s[2:3]
	s_and_b64 s[2:3], s[16:17], s[18:19]
	s_and_saveexec_b64 s[4:5], s[2:3]
	s_cbranch_execnz .LBB178_376
.LBB178_347:
	s_endpgm
.LBB178_348:
	s_and_b64 vcc, exec, s[0:1]
	s_cbranch_vccnz .LBB178_350
; %bb.349:
	v_lshl_add_u64 v[20:21], v[0:1], 3, v[18:19]
	flat_load_dwordx2 v[20:21], v[20:21]
	s_waitcnt vmcnt(0) lgkmcnt(0)
	v_mul_f64 v[20:21], v[20:21], s[22:23]
	v_cvt_f32_f64_e32 v20, v[20:21]
	s_branch .LBB178_351
.LBB178_350:
	v_mov_b32_e32 v20, 0
.LBB178_351:
	v_max_f32_e32 v21, v85, v85
	v_max_f32_e32 v20, v20, v20
	v_min_f32_e32 v20, v20, v21
	v_cvt_f64_f32_e32 v[20:21], v20
	v_lshl_add_u64 v[0:1], v[0:1], 3, v[16:17]
	global_store_dwordx2 v[0:1], v[20:21], off
	s_or_b64 exec, exec, s[2:3]
	s_and_b64 s[4:5], s[4:5], s[18:19]
	s_and_saveexec_b64 s[2:3], s[4:5]
	s_cbranch_execz .LBB178_341
.LBB178_352:
	s_and_b64 vcc, exec, s[0:1]
	s_cbranch_vccnz .LBB178_354
; %bb.353:
	v_lshl_add_u64 v[0:1], v[2:3], 3, v[18:19]
	flat_load_dwordx2 v[0:1], v[0:1]
	s_waitcnt vmcnt(0) lgkmcnt(0)
	v_mul_f64 v[0:1], v[0:1], s[22:23]
	v_cvt_f32_f64_e32 v0, v[0:1]
	s_branch .LBB178_355
.LBB178_354:
	v_mov_b32_e32 v0, 0
.LBB178_355:
	v_max_f32_e32 v1, v84, v84
	v_max_f32_e32 v0, v0, v0
	v_min_f32_e32 v0, v0, v1
	v_cvt_f64_f32_e32 v[0:1], v0
	v_lshl_add_u64 v[2:3], v[2:3], 3, v[16:17]
	global_store_dwordx2 v[2:3], v[0:1], off
	s_or_b64 exec, exec, s[2:3]
	s_and_b64 s[4:5], s[6:7], s[18:19]
	s_and_saveexec_b64 s[2:3], s[4:5]
	s_cbranch_execz .LBB178_342
.LBB178_356:
	s_and_b64 vcc, exec, s[0:1]
	s_cbranch_vccnz .LBB178_358
; %bb.357:
	v_lshl_add_u64 v[0:1], v[4:5], 3, v[18:19]
	flat_load_dwordx2 v[0:1], v[0:1]
	s_waitcnt vmcnt(0) lgkmcnt(0)
	v_mul_f64 v[0:1], v[0:1], s[22:23]
	v_cvt_f32_f64_e32 v0, v[0:1]
	s_branch .LBB178_359
.LBB178_358:
	v_mov_b32_e32 v0, 0
.LBB178_359:
	v_max_f32_e32 v1, v83, v83
	v_max_f32_e32 v0, v0, v0
	v_min_f32_e32 v0, v0, v1
	v_cvt_f64_f32_e32 v[0:1], v0
	v_lshl_add_u64 v[2:3], v[4:5], 3, v[16:17]
	global_store_dwordx2 v[2:3], v[0:1], off
	s_or_b64 exec, exec, s[2:3]
	s_and_b64 s[4:5], s[8:9], s[18:19]
	s_and_saveexec_b64 s[2:3], s[4:5]
	s_cbranch_execz .LBB178_343
.LBB178_360:
	s_and_b64 vcc, exec, s[0:1]
	s_cbranch_vccnz .LBB178_362
; %bb.361:
	v_lshl_add_u64 v[0:1], v[6:7], 3, v[18:19]
	flat_load_dwordx2 v[0:1], v[0:1]
	s_waitcnt vmcnt(0) lgkmcnt(0)
	v_mul_f64 v[0:1], v[0:1], s[22:23]
	v_cvt_f32_f64_e32 v0, v[0:1]
	s_branch .LBB178_363
.LBB178_362:
	v_mov_b32_e32 v0, 0
.LBB178_363:
	v_max_f32_e32 v1, v82, v82
	v_max_f32_e32 v0, v0, v0
	v_min_f32_e32 v0, v0, v1
	v_cvt_f64_f32_e32 v[0:1], v0
	v_lshl_add_u64 v[2:3], v[6:7], 3, v[16:17]
	global_store_dwordx2 v[2:3], v[0:1], off
	s_or_b64 exec, exec, s[2:3]
	s_and_b64 s[4:5], s[10:11], s[18:19]
	s_and_saveexec_b64 s[2:3], s[4:5]
	s_cbranch_execz .LBB178_344
.LBB178_364:
	s_and_b64 vcc, exec, s[0:1]
	s_cbranch_vccnz .LBB178_366
; %bb.365:
	v_lshl_add_u64 v[0:1], v[8:9], 3, v[18:19]
	flat_load_dwordx2 v[0:1], v[0:1]
	s_waitcnt vmcnt(0) lgkmcnt(0)
	v_mul_f64 v[0:1], v[0:1], s[22:23]
	v_cvt_f32_f64_e32 v0, v[0:1]
	s_branch .LBB178_367
.LBB178_366:
	v_mov_b32_e32 v0, 0
.LBB178_367:
	v_max_f32_e32 v1, v81, v81
	v_max_f32_e32 v0, v0, v0
	v_min_f32_e32 v0, v0, v1
	v_cvt_f64_f32_e32 v[0:1], v0
	v_lshl_add_u64 v[2:3], v[8:9], 3, v[16:17]
	global_store_dwordx2 v[2:3], v[0:1], off
	s_or_b64 exec, exec, s[2:3]
	s_and_b64 s[4:5], s[12:13], s[18:19]
	s_and_saveexec_b64 s[2:3], s[4:5]
	s_cbranch_execz .LBB178_345
.LBB178_368:
	s_and_b64 vcc, exec, s[0:1]
	s_cbranch_vccnz .LBB178_370
; %bb.369:
	v_lshl_add_u64 v[0:1], v[10:11], 3, v[18:19]
	flat_load_dwordx2 v[0:1], v[0:1]
	s_waitcnt vmcnt(0) lgkmcnt(0)
	v_mul_f64 v[0:1], v[0:1], s[22:23]
	v_cvt_f32_f64_e32 v0, v[0:1]
	s_branch .LBB178_371
.LBB178_370:
	v_mov_b32_e32 v0, 0
.LBB178_371:
	v_max_f32_e32 v1, v80, v80
	v_max_f32_e32 v0, v0, v0
	v_min_f32_e32 v0, v0, v1
	v_cvt_f64_f32_e32 v[0:1], v0
	v_lshl_add_u64 v[2:3], v[10:11], 3, v[16:17]
	global_store_dwordx2 v[2:3], v[0:1], off
	s_or_b64 exec, exec, s[2:3]
	s_and_b64 s[4:5], s[14:15], s[18:19]
	s_and_saveexec_b64 s[2:3], s[4:5]
	s_cbranch_execz .LBB178_346
.LBB178_372:
	s_and_b64 vcc, exec, s[0:1]
	s_cbranch_vccnz .LBB178_374
; %bb.373:
	v_lshl_add_u64 v[0:1], v[12:13], 3, v[18:19]
	flat_load_dwordx2 v[0:1], v[0:1]
	s_waitcnt vmcnt(0) lgkmcnt(0)
	v_mul_f64 v[0:1], v[0:1], s[22:23]
	v_cvt_f32_f64_e32 v0, v[0:1]
	s_branch .LBB178_375
.LBB178_374:
	v_mov_b32_e32 v0, 0
.LBB178_375:
	v_max_f32_e32 v1, v79, v79
	v_max_f32_e32 v0, v0, v0
	v_min_f32_e32 v0, v0, v1
	v_cvt_f64_f32_e32 v[0:1], v0
	v_lshl_add_u64 v[2:3], v[12:13], 3, v[16:17]
	global_store_dwordx2 v[2:3], v[0:1], off
	s_or_b64 exec, exec, s[2:3]
	s_and_b64 s[2:3], s[16:17], s[18:19]
	s_and_saveexec_b64 s[4:5], s[2:3]
	s_cbranch_execz .LBB178_347
.LBB178_376:
	s_and_b64 vcc, exec, s[0:1]
	s_cbranch_vccnz .LBB178_378
; %bb.377:
	v_lshl_add_u64 v[0:1], v[14:15], 3, v[18:19]
	flat_load_dwordx2 v[0:1], v[0:1]
	s_waitcnt vmcnt(0) lgkmcnt(0)
	v_mul_f64 v[0:1], v[0:1], s[22:23]
	v_cvt_f32_f64_e32 v0, v[0:1]
	s_branch .LBB178_379
.LBB178_378:
	v_mov_b32_e32 v0, 0
.LBB178_379:
	v_max_f32_e32 v1, v78, v78
	v_max_f32_e32 v0, v0, v0
	v_min_f32_e32 v0, v0, v1
	v_cvt_f64_f32_e32 v[0:1], v0
	v_lshl_add_u64 v[2:3], v[14:15], 3, v[16:17]
	global_store_dwordx2 v[2:3], v[0:1], off
	s_endpgm
	.section	.rodata,"a",@progbits
	.p2align	6, 0x0
	.amdhsa_kernel _ZN12_GLOBAL__N_120geam_min_plus_kernelId15HIP_vector_typeIdLj2EEdLi8ELi32ELi64ELi256ELi4ELi4ELi64ELi64ELi4ELc84ELc84ELb1ELb1ELb1EdKddEEviiiT16_PT17_ilS6_ilS4_S6_ilPT18_ili26rocblas_geam_ex_operation_
		.amdhsa_group_segment_fixed_size 20480
		.amdhsa_private_segment_fixed_size 0
		.amdhsa_kernarg_size 136
		.amdhsa_user_sgpr_count 2
		.amdhsa_user_sgpr_dispatch_ptr 0
		.amdhsa_user_sgpr_queue_ptr 0
		.amdhsa_user_sgpr_kernarg_segment_ptr 1
		.amdhsa_user_sgpr_dispatch_id 0
		.amdhsa_user_sgpr_kernarg_preload_length 0
		.amdhsa_user_sgpr_kernarg_preload_offset 0
		.amdhsa_user_sgpr_private_segment_size 0
		.amdhsa_uses_dynamic_stack 0
		.amdhsa_enable_private_segment 0
		.amdhsa_system_sgpr_workgroup_id_x 1
		.amdhsa_system_sgpr_workgroup_id_y 0
		.amdhsa_system_sgpr_workgroup_id_z 1
		.amdhsa_system_sgpr_workgroup_info 0
		.amdhsa_system_vgpr_workitem_id 1
		.amdhsa_next_free_vgpr 158
		.amdhsa_next_free_sgpr 42
		.amdhsa_accum_offset 160
		.amdhsa_reserve_vcc 1
		.amdhsa_float_round_mode_32 0
		.amdhsa_float_round_mode_16_64 0
		.amdhsa_float_denorm_mode_32 3
		.amdhsa_float_denorm_mode_16_64 3
		.amdhsa_dx10_clamp 1
		.amdhsa_ieee_mode 1
		.amdhsa_fp16_overflow 0
		.amdhsa_tg_split 0
		.amdhsa_exception_fp_ieee_invalid_op 0
		.amdhsa_exception_fp_denorm_src 0
		.amdhsa_exception_fp_ieee_div_zero 0
		.amdhsa_exception_fp_ieee_overflow 0
		.amdhsa_exception_fp_ieee_underflow 0
		.amdhsa_exception_fp_ieee_inexact 0
		.amdhsa_exception_int_div_zero 0
	.end_amdhsa_kernel
	.section	.text._ZN12_GLOBAL__N_120geam_min_plus_kernelId15HIP_vector_typeIdLj2EEdLi8ELi32ELi64ELi256ELi4ELi4ELi64ELi64ELi4ELc84ELc84ELb1ELb1ELb1EdKddEEviiiT16_PT17_ilS6_ilS4_S6_ilPT18_ili26rocblas_geam_ex_operation_,"axG",@progbits,_ZN12_GLOBAL__N_120geam_min_plus_kernelId15HIP_vector_typeIdLj2EEdLi8ELi32ELi64ELi256ELi4ELi4ELi64ELi64ELi4ELc84ELc84ELb1ELb1ELb1EdKddEEviiiT16_PT17_ilS6_ilS4_S6_ilPT18_ili26rocblas_geam_ex_operation_,comdat
.Lfunc_end178:
	.size	_ZN12_GLOBAL__N_120geam_min_plus_kernelId15HIP_vector_typeIdLj2EEdLi8ELi32ELi64ELi256ELi4ELi4ELi64ELi64ELi4ELc84ELc84ELb1ELb1ELb1EdKddEEviiiT16_PT17_ilS6_ilS4_S6_ilPT18_ili26rocblas_geam_ex_operation_, .Lfunc_end178-_ZN12_GLOBAL__N_120geam_min_plus_kernelId15HIP_vector_typeIdLj2EEdLi8ELi32ELi64ELi256ELi4ELi4ELi64ELi64ELi4ELc84ELc84ELb1ELb1ELb1EdKddEEviiiT16_PT17_ilS6_ilS4_S6_ilPT18_ili26rocblas_geam_ex_operation_
                                        ; -- End function
	.section	.AMDGPU.csdata,"",@progbits
; Kernel info:
; codeLenInByte = 18576
; NumSgprs: 48
; NumVgprs: 158
; NumAgprs: 0
; TotalNumVgprs: 158
; ScratchSize: 0
; MemoryBound: 0
; FloatMode: 240
; IeeeMode: 1
; LDSByteSize: 20480 bytes/workgroup (compile time only)
; SGPRBlocks: 5
; VGPRBlocks: 19
; NumSGPRsForWavesPerEU: 48
; NumVGPRsForWavesPerEU: 158
; AccumOffset: 160
; Occupancy: 3
; WaveLimiterHint : 0
; COMPUTE_PGM_RSRC2:SCRATCH_EN: 0
; COMPUTE_PGM_RSRC2:USER_SGPR: 2
; COMPUTE_PGM_RSRC2:TRAP_HANDLER: 0
; COMPUTE_PGM_RSRC2:TGID_X_EN: 1
; COMPUTE_PGM_RSRC2:TGID_Y_EN: 0
; COMPUTE_PGM_RSRC2:TGID_Z_EN: 1
; COMPUTE_PGM_RSRC2:TIDIG_COMP_CNT: 1
; COMPUTE_PGM_RSRC3_GFX90A:ACCUM_OFFSET: 39
; COMPUTE_PGM_RSRC3_GFX90A:TG_SPLIT: 0
	.section	.text._ZN12_GLOBAL__N_120geam_min_plus_kernelId15HIP_vector_typeIdLj2EEdLi8ELi32ELi64ELi256ELi4ELi4ELi64ELi64ELi4ELc84ELc84ELb0ELb1ELb1EdKddEEviiiT16_PT17_ilS6_ilS4_S6_ilPT18_ili26rocblas_geam_ex_operation_,"axG",@progbits,_ZN12_GLOBAL__N_120geam_min_plus_kernelId15HIP_vector_typeIdLj2EEdLi8ELi32ELi64ELi256ELi4ELi4ELi64ELi64ELi4ELc84ELc84ELb0ELb1ELb1EdKddEEviiiT16_PT17_ilS6_ilS4_S6_ilPT18_ili26rocblas_geam_ex_operation_,comdat
	.globl	_ZN12_GLOBAL__N_120geam_min_plus_kernelId15HIP_vector_typeIdLj2EEdLi8ELi32ELi64ELi256ELi4ELi4ELi64ELi64ELi4ELc84ELc84ELb0ELb1ELb1EdKddEEviiiT16_PT17_ilS6_ilS4_S6_ilPT18_ili26rocblas_geam_ex_operation_ ; -- Begin function _ZN12_GLOBAL__N_120geam_min_plus_kernelId15HIP_vector_typeIdLj2EEdLi8ELi32ELi64ELi256ELi4ELi4ELi64ELi64ELi4ELc84ELc84ELb0ELb1ELb1EdKddEEviiiT16_PT17_ilS6_ilS4_S6_ilPT18_ili26rocblas_geam_ex_operation_
	.p2align	8
	.type	_ZN12_GLOBAL__N_120geam_min_plus_kernelId15HIP_vector_typeIdLj2EEdLi8ELi32ELi64ELi256ELi4ELi4ELi64ELi64ELi4ELc84ELc84ELb0ELb1ELb1EdKddEEviiiT16_PT17_ilS6_ilS4_S6_ilPT18_ili26rocblas_geam_ex_operation_,@function
_ZN12_GLOBAL__N_120geam_min_plus_kernelId15HIP_vector_typeIdLj2EEdLi8ELi32ELi64ELi256ELi4ELi4ELi64ELi64ELi4ELc84ELc84ELb0ELb1ELb1EdKddEEviiiT16_PT17_ilS6_ilS4_S6_ilPT18_ili26rocblas_geam_ex_operation_: ; @_ZN12_GLOBAL__N_120geam_min_plus_kernelId15HIP_vector_typeIdLj2EEdLi8ELi32ELi64ELi256ELi4ELi4ELi64ELi64ELi4ELc84ELc84ELb0ELb1ELb1EdKddEEviiiT16_PT17_ilS6_ilS4_S6_ilPT18_ili26rocblas_geam_ex_operation_
; %bb.0:
	s_load_dwordx4 s[28:31], s[0:1], 0x10
	s_load_dwordx4 s[4:7], s[0:1], 0x28
	s_mov_b64 s[40:41], 0
	s_waitcnt lgkmcnt(0)
	v_cmp_eq_f64_e64 s[36:37], s[28:29], 0
	v_cmp_neq_f64_e64 s[8:9], s[28:29], 0
	s_and_b64 vcc, exec, s[36:37]
	s_cbranch_vccnz .LBB179_2
; %bb.1:
	s_mul_i32 s5, s3, s5
	s_mul_hi_u32 s10, s3, s4
	s_add_i32 s5, s10, s5
	s_mul_i32 s4, s3, s4
	s_lshl_b64 s[4:5], s[4:5], 3
	s_add_u32 s40, s30, s4
	s_addc_u32 s41, s31, s5
.LBB179_2:
	s_load_dwordx4 s[20:23], s[0:1], 0x40
	s_load_dwordx2 s[4:5], s[0:1], 0x50
	s_and_b64 vcc, exec, s[8:9]
	s_cbranch_vccz .LBB179_4
; %bb.3:
	s_waitcnt lgkmcnt(0)
	s_mul_i32 s8, s3, s21
	s_mul_hi_u32 s9, s3, s20
	s_add_i32 s9, s9, s8
	s_mul_i32 s8, s3, s20
	s_lshl_b64 s[8:9], s[8:9], 3
	s_add_u32 s38, s6, s8
	s_mov_b32 s31, 0
	s_addc_u32 s39, s7, s9
	s_cbranch_execz .LBB179_5
	s_branch .LBB179_6
.LBB179_4:
                                        ; implicit-def: $sgpr38_sgpr39
                                        ; implicit-def: $sgpr30_sgpr31
.LBB179_5:
	s_mov_b32 s31, 0
	s_mov_b64 s[38:39], 0
.LBB179_6:
	s_load_dwordx4 s[16:19], s[0:1], 0x60
	s_waitcnt lgkmcnt(0)
	v_cmp_eq_f64_e64 s[6:7], s[22:23], 0
	s_mov_b64 s[20:21], 0
	v_cmp_neq_f64_e64 s[34:35], s[22:23], 0
	s_and_b64 vcc, exec, s[6:7]
	s_cbranch_vccnz .LBB179_8
; %bb.7:
	s_mul_i32 s6, s3, s17
	s_mul_hi_u32 s7, s3, s16
	s_add_i32 s6, s7, s6
	s_mul_i32 s7, s31, s16
	s_add_i32 s7, s6, s7
	s_mul_i32 s6, s3, s16
	s_lshl_b64 s[6:7], s[6:7], 3
	s_add_u32 s20, s4, s6
	s_addc_u32 s21, s5, s7
.LBB179_8:
	s_load_dwordx4 s[24:27], s[0:1], 0x0
	s_load_dword s42, s[0:1], 0x20
	v_and_b32_e32 v132, 0x3ff, v0
	v_bfe_u32 v133, v0, 10, 10
	v_lshl_add_u32 v5, v133, 3, v132
	s_waitcnt lgkmcnt(0)
	s_add_i32 s4, s24, -1
	s_ashr_i32 s5, s4, 31
	s_lshr_b32 s5, s5, 26
	s_add_i32 s5, s4, s5
	s_ashr_i32 s5, s5, 6
	s_add_i32 s7, s5, 1
	v_cvt_f32_u32_e32 v1, s7
	s_not_b32 s5, s5
	v_lshrrev_b32_e32 v14, 2, v5
	v_and_b32_e32 v144, 3, v132
	v_rcp_iflag_f32_e32 v0, v1
	v_cmp_le_i32_e32 vcc, s26, v144
	v_mov_b32_e32 v4, 0x7fefffff
	v_mul_f32_e32 v0, 0x4f7ffffe, v0
	v_cvt_u32_f32_e32 v0, v0
	s_nop 0
	v_readfirstlane_b32 s6, v0
	s_mul_i32 s5, s5, s6
	s_mul_hi_u32 s5, s6, s5
	s_add_i32 s6, s6, s5
	s_mul_hi_u32 s5, s2, s6
	s_mul_i32 s6, s5, s7
	s_sub_i32 s6, s2, s6
	s_add_i32 s8, s5, 1
	s_sub_i32 s9, s6, s7
	s_cmp_ge_u32 s6, s7
	s_cselect_b32 s5, s8, s5
	s_cselect_b32 s6, s9, s6
	s_add_i32 s8, s5, 1
	s_cmp_ge_u32 s6, s7
	s_cselect_b32 s6, s8, s5
	s_mul_i32 s5, s6, s7
	s_sub_i32 s2, s2, s5
	s_lshl_b32 s2, s2, 6
	v_add_u32_e32 v0, s2, v14
	v_cmp_le_i32_e64 s[12:13], s24, v0
	s_or_b64 vcc, vcc, s[12:13]
	v_min_i32_e32 v72, s4, v0
	s_or_b64 s[4:5], s[36:37], vcc
	v_cndmask_b32_e32 v3, 0, v4, vcc
	s_xor_b64 s[8:9], s[4:5], -1
	v_cndmask_b32_e64 v2, 0, -1, vcc
	v_lshlrev_b32_e32 v0, 3, v144
	s_and_saveexec_b64 s[4:5], s[8:9]
	s_cbranch_execz .LBB179_10
; %bb.9:
	v_mad_i64_i32 v[2:3], s[8:9], v72, s42, 0
	v_lshl_add_u64 v[2:3], v[2:3], 3, s[40:41]
	v_mov_b32_e32 v1, 0
	v_lshl_add_u64 v[2:3], v[2:3], 0, v[0:1]
	flat_load_dwordx2 v[2:3], v[2:3]
	s_waitcnt vmcnt(0) lgkmcnt(0)
	v_mul_f64 v[2:3], v[2:3], s[28:29]
.LBB179_10:
	s_or_b64 exec, exec, s[4:5]
	s_load_dword s17, s[0:1], 0x38
	v_lshrrev_b32_e32 v145, 6, v5
	s_add_i32 s27, s26, -1
	v_and_b32_e32 v73, 63, v5
	s_lshl_b32 s16, s6, 8
	v_min_i32_e32 v1, s27, v145
	v_or_b32_e32 v60, s16, v73
	s_waitcnt lgkmcnt(0)
	v_mad_i64_i32 v[6:7], s[4:5], s17, v1, 0
	v_cmp_le_i32_e32 vcc, s26, v145
	v_cmp_le_i32_e64 s[4:5], s25, v60
	s_or_b64 s[6:7], s[4:5], vcc
	s_or_b64 s[8:9], s[36:37], s[6:7]
	v_lshl_add_u64 v[12:13], v[6:7], 3, s[38:39]
	v_cndmask_b32_e64 v5, 0, v4, s[6:7]
	s_xor_b64 s[8:9], s[8:9], -1
	v_cndmask_b32_e64 v4, 0, -1, s[6:7]
	v_ashrrev_i32_e32 v61, 31, v60
	s_and_saveexec_b64 s[6:7], s[8:9]
	s_cbranch_execz .LBB179_12
; %bb.11:
	v_lshl_add_u64 v[4:5], v[60:61], 3, v[12:13]
	flat_load_dwordx2 v[4:5], v[4:5]
	s_waitcnt vmcnt(0) lgkmcnt(0)
	v_mul_f64 v[4:5], v[4:5], s[28:29]
.LBB179_12:
	s_or_b64 exec, exec, s[6:7]
	v_or_b32_e32 v1, 64, v60
	v_cmp_le_i32_e64 s[6:7], s25, v1
	s_or_b64 s[8:9], s[6:7], vcc
	v_mov_b32_e32 v1, 0x7fefffff
	s_or_b64 s[10:11], s[36:37], s[8:9]
	v_cndmask_b32_e64 v7, 0, v1, s[8:9]
	s_xor_b64 s[10:11], s[10:11], -1
	v_cndmask_b32_e64 v6, 0, -1, s[8:9]
	s_and_saveexec_b64 s[8:9], s[10:11]
	s_cbranch_execz .LBB179_14
; %bb.13:
	v_lshl_add_u64 v[6:7], v[60:61], 3, v[12:13]
	flat_load_dwordx2 v[6:7], v[6:7] offset:512
	s_waitcnt vmcnt(0) lgkmcnt(0)
	v_mul_f64 v[6:7], v[6:7], s[28:29]
.LBB179_14:
	s_or_b64 exec, exec, s[8:9]
	v_or_b32_e32 v8, 0x80, v60
	v_cmp_le_i32_e64 s[8:9], s25, v8
	s_or_b64 s[10:11], s[8:9], vcc
	s_or_b64 s[14:15], s[36:37], s[10:11]
	v_cndmask_b32_e64 v9, 0, v1, s[10:11]
	s_xor_b64 s[14:15], s[14:15], -1
	v_cndmask_b32_e64 v8, 0, -1, s[10:11]
	s_and_saveexec_b64 s[10:11], s[14:15]
	s_cbranch_execz .LBB179_16
; %bb.15:
	v_lshl_add_u64 v[8:9], v[60:61], 3, v[12:13]
	flat_load_dwordx2 v[8:9], v[8:9] offset:1024
	s_waitcnt vmcnt(0) lgkmcnt(0)
	v_mul_f64 v[8:9], v[8:9], s[28:29]
.LBB179_16:
	s_or_b64 exec, exec, s[10:11]
	v_or_b32_e32 v1, 0xc0, v60
	v_cmp_le_i32_e64 s[10:11], s25, v1
	s_or_b64 vcc, s[10:11], vcc
	v_mov_b32_e32 v1, 0x7fefffff
	s_or_b64 s[14:15], s[36:37], vcc
	v_cndmask_b32_e32 v11, 0, v1, vcc
	s_xor_b64 s[44:45], s[14:15], -1
	v_cndmask_b32_e64 v10, 0, -1, vcc
	s_and_saveexec_b64 s[14:15], s[44:45]
	s_cbranch_execz .LBB179_18
; %bb.17:
	v_lshl_add_u64 v[10:11], v[60:61], 3, v[12:13]
	flat_load_dwordx2 v[10:11], v[10:11] offset:1536
	s_waitcnt vmcnt(0) lgkmcnt(0)
	v_mul_f64 v[10:11], v[10:11], s[28:29]
.LBB179_18:
	s_or_b64 exec, exec, s[14:15]
	v_or_b32_e32 v12, 4, v144
	v_cmp_le_i32_e32 vcc, s26, v12
	s_or_b64 vcc, vcc, s[12:13]
	s_or_b64 s[14:15], s[36:37], vcc
	v_cndmask_b32_e32 v63, 0, v1, vcc
	s_xor_b64 s[44:45], s[14:15], -1
	v_cndmask_b32_e64 v62, 0, -1, vcc
	s_and_saveexec_b64 s[14:15], s[44:45]
	s_cbranch_execz .LBB179_20
; %bb.19:
	v_mad_i64_i32 v[12:13], s[44:45], v72, s42, 0
	v_lshl_add_u64 v[12:13], v[12:13], 3, s[40:41]
	v_mov_b32_e32 v1, 0
	v_lshl_add_u64 v[12:13], v[12:13], 0, v[0:1]
	flat_load_dwordx2 v[12:13], v[12:13] offset:32
	s_waitcnt vmcnt(0) lgkmcnt(0)
	v_mul_f64 v[62:63], v[12:13], s[28:29]
.LBB179_20:
	s_or_b64 exec, exec, s[14:15]
	v_add_u32_e32 v1, 4, v145
	v_cmp_le_i32_e32 vcc, s26, v1
	v_min_i32_e32 v1, s27, v1
	v_mad_i64_i32 v[12:13], s[14:15], s17, v1, 0
	s_or_b64 s[14:15], s[4:5], vcc
	v_mov_b32_e32 v1, 0x7fefffff
	s_or_b64 s[44:45], s[36:37], s[14:15]
	v_lshl_add_u64 v[12:13], v[12:13], 3, s[38:39]
	v_cndmask_b32_e64 v65, 0, v1, s[14:15]
	s_xor_b64 s[44:45], s[44:45], -1
	v_cndmask_b32_e64 v64, 0, -1, s[14:15]
	s_and_saveexec_b64 s[14:15], s[44:45]
	s_cbranch_execz .LBB179_22
; %bb.21:
	v_lshl_add_u64 v[16:17], v[60:61], 3, v[12:13]
	flat_load_dwordx2 v[16:17], v[16:17]
	s_waitcnt vmcnt(0) lgkmcnt(0)
	v_mul_f64 v[64:65], v[16:17], s[28:29]
.LBB179_22:
	s_or_b64 exec, exec, s[14:15]
	s_or_b64 s[14:15], s[6:7], vcc
	s_or_b64 s[44:45], s[36:37], s[14:15]
	v_cndmask_b32_e64 v67, 0, v1, s[14:15]
	s_xor_b64 s[44:45], s[44:45], -1
	v_cndmask_b32_e64 v66, 0, -1, s[14:15]
	s_and_saveexec_b64 s[14:15], s[44:45]
	s_cbranch_execz .LBB179_24
; %bb.23:
	v_lshl_add_u64 v[16:17], v[60:61], 3, v[12:13]
	flat_load_dwordx2 v[16:17], v[16:17] offset:512
	s_waitcnt vmcnt(0) lgkmcnt(0)
	v_mul_f64 v[66:67], v[16:17], s[28:29]
.LBB179_24:
	s_or_b64 exec, exec, s[14:15]
	s_or_b64 s[14:15], s[8:9], vcc
	v_mov_b32_e32 v1, 0x7fefffff
	s_or_b64 s[44:45], s[36:37], s[14:15]
	v_cndmask_b32_e64 v69, 0, v1, s[14:15]
	s_xor_b64 s[44:45], s[44:45], -1
	v_cndmask_b32_e64 v68, 0, -1, s[14:15]
	s_and_saveexec_b64 s[14:15], s[44:45]
	s_cbranch_execz .LBB179_26
; %bb.25:
	v_lshl_add_u64 v[16:17], v[60:61], 3, v[12:13]
	flat_load_dwordx2 v[16:17], v[16:17] offset:1024
	s_waitcnt vmcnt(0) lgkmcnt(0)
	v_mul_f64 v[68:69], v[16:17], s[28:29]
.LBB179_26:
	s_or_b64 exec, exec, s[14:15]
	s_or_b64 vcc, s[10:11], vcc
	s_or_b64 s[14:15], s[36:37], vcc
	v_cndmask_b32_e32 v71, 0, v1, vcc
	s_xor_b64 s[44:45], s[14:15], -1
	s_mov_b32 s30, 0
	v_cndmask_b32_e64 v70, 0, -1, vcc
	s_and_saveexec_b64 s[14:15], s[44:45]
	s_cbranch_execz .LBB179_28
; %bb.27:
	v_lshl_add_u64 v[12:13], v[60:61], 3, v[12:13]
	flat_load_dwordx2 v[12:13], v[12:13] offset:1536
	s_waitcnt vmcnt(0) lgkmcnt(0)
	v_mul_f64 v[70:71], v[12:13], s[28:29]
.LBB179_28:
	s_or_b64 exec, exec, s[14:15]
	v_lshl_or_b32 v74, v14, 5, v0
	v_lshlrev_b32_e32 v0, 3, v145
	v_add_u32_e32 v146, 0x4000, v74
	v_lshl_add_u32 v147, v73, 5, v0
	s_mov_b64 s[14:15], -1
	v_mov_b32_e32 v78, 0x7f800000
	v_mov_b32_e32 v79, 0x7f800000
	;; [unrolled: 1-line block ×64, first 2 shown]
	ds_write_b64 v74, v[2:3] offset:16384
	ds_write2st64_b64 v147, v[4:5], v[6:7] offset1:4
	ds_write2st64_b64 v147, v[8:9], v[10:11] offset0:8 offset1:12
	s_waitcnt lgkmcnt(0)
	s_barrier
.LBB179_29:                             ; =>This Inner Loop Header: Depth=1
	v_cndmask_b32_e64 v0, 0, 1, s[14:15]
	s_lshl_b32 s14, s30, 3
	v_cmp_ne_u32_e32 vcc, 1, v0
	v_lshl_add_u32 v0, v132, 5, s14
	v_lshl_add_u32 v20, v133, 5, s14
	ds_read_b128 v[32:35], v0 offset:16384
	ds_read_b128 v[28:31], v0 offset:16640
	;; [unrolled: 1-line block ×8, first 2 shown]
	ds_read_b128 v[148:151], v20
	ds_read_b128 v[56:59], v20 offset:1024
	ds_read_b128 v[52:55], v20 offset:2048
	;; [unrolled: 1-line block ×7, first 2 shown]
	s_waitcnt lgkmcnt(7)
	v_add_f64 v[76:77], v[34:35], v[150:151]
	v_add_f64 v[152:153], v[32:33], v[148:149]
	v_cvt_f32_f64_e32 v75, v[152:153]
	v_cvt_f32_f64_e32 v76, v[76:77]
	v_min3_f32 v143, v75, v76, v143
	v_add_f64 v[76:77], v[30:31], v[150:151]
	v_add_f64 v[152:153], v[28:29], v[148:149]
	v_cvt_f32_f64_e32 v75, v[152:153]
	v_cvt_f32_f64_e32 v76, v[76:77]
	v_min3_f32 v142, v75, v76, v142
	;; [unrolled: 5-line block ×8, first 2 shown]
	s_waitcnt lgkmcnt(6)
	v_add_f64 v[76:77], v[34:35], v[58:59]
	v_add_f64 v[148:149], v[32:33], v[56:57]
	v_cvt_f32_f64_e32 v75, v[148:149]
	v_cvt_f32_f64_e32 v76, v[76:77]
	v_min3_f32 v135, v75, v76, v135
	v_add_f64 v[76:77], v[30:31], v[58:59]
	v_add_f64 v[148:149], v[28:29], v[56:57]
	v_cvt_f32_f64_e32 v75, v[148:149]
	v_cvt_f32_f64_e32 v76, v[76:77]
	v_min3_f32 v134, v75, v76, v134
	v_add_f64 v[76:77], v[26:27], v[58:59]
	v_add_f64 v[148:149], v[24:25], v[56:57]
	v_cvt_f32_f64_e32 v75, v[148:149]
	v_cvt_f32_f64_e32 v76, v[76:77]
	v_min3_f32 v131, v75, v76, v131
	v_add_f64 v[76:77], v[18:19], v[58:59]
	v_add_f64 v[148:149], v[16:17], v[56:57]
	v_cvt_f32_f64_e32 v75, v[148:149]
	v_cvt_f32_f64_e32 v76, v[76:77]
	v_min3_f32 v130, v75, v76, v130
	v_add_f64 v[76:77], v[14:15], v[58:59]
	v_add_f64 v[148:149], v[12:13], v[56:57]
	v_cvt_f32_f64_e32 v75, v[148:149]
	v_cvt_f32_f64_e32 v76, v[76:77]
	v_min3_f32 v129, v75, v76, v129
	v_add_f64 v[76:77], v[10:11], v[58:59]
	v_add_f64 v[148:149], v[8:9], v[56:57]
	v_cvt_f32_f64_e32 v75, v[148:149]
	v_cvt_f32_f64_e32 v76, v[76:77]
	v_min3_f32 v128, v75, v76, v128
	v_add_f64 v[76:77], v[6:7], v[58:59]
	v_add_f64 v[148:149], v[4:5], v[56:57]
	v_add_f64 v[58:59], v[2:3], v[58:59]
	v_add_f64 v[56:57], v[0:1], v[56:57]
	v_cvt_f32_f64_e32 v56, v[56:57]
	v_cvt_f32_f64_e32 v57, v[58:59]
	v_min3_f32 v126, v56, v57, v126
	s_waitcnt lgkmcnt(5)
	v_add_f64 v[56:57], v[34:35], v[54:55]
	v_add_f64 v[58:59], v[32:33], v[52:53]
	v_cvt_f32_f64_e32 v58, v[58:59]
	v_cvt_f32_f64_e32 v56, v[56:57]
	v_min3_f32 v125, v58, v56, v125
	v_add_f64 v[56:57], v[30:31], v[54:55]
	v_add_f64 v[58:59], v[28:29], v[52:53]
	v_cvt_f32_f64_e32 v58, v[58:59]
	v_cvt_f32_f64_e32 v56, v[56:57]
	v_min3_f32 v124, v58, v56, v124
	v_add_f64 v[56:57], v[26:27], v[54:55]
	v_add_f64 v[58:59], v[24:25], v[52:53]
	v_cvt_f32_f64_e32 v58, v[58:59]
	v_cvt_f32_f64_e32 v56, v[56:57]
	v_min3_f32 v123, v58, v56, v123
	v_add_f64 v[56:57], v[18:19], v[54:55]
	v_add_f64 v[58:59], v[16:17], v[52:53]
	v_cvt_f32_f64_e32 v58, v[58:59]
	v_cvt_f32_f64_e32 v56, v[56:57]
	v_min3_f32 v122, v58, v56, v122
	v_add_f64 v[56:57], v[14:15], v[54:55]
	v_add_f64 v[58:59], v[12:13], v[52:53]
	v_cvt_f32_f64_e32 v58, v[58:59]
	v_cvt_f32_f64_e32 v56, v[56:57]
	v_min3_f32 v121, v58, v56, v121
	v_add_f64 v[56:57], v[10:11], v[54:55]
	v_add_f64 v[58:59], v[8:9], v[52:53]
	v_cvt_f32_f64_e32 v58, v[58:59]
	v_cvt_f32_f64_e32 v56, v[56:57]
	v_min3_f32 v120, v58, v56, v120
	v_add_f64 v[56:57], v[6:7], v[54:55]
	v_add_f64 v[58:59], v[4:5], v[52:53]
	v_add_f64 v[54:55], v[2:3], v[54:55]
	v_add_f64 v[52:53], v[0:1], v[52:53]
	v_cvt_f32_f64_e32 v52, v[52:53]
	v_cvt_f32_f64_e32 v53, v[54:55]
	v_min3_f32 v118, v52, v53, v118
	;; [unrolled: 38-line block ×5, first 2 shown]
	s_waitcnt lgkmcnt(1)
	v_add_f64 v[40:41], v[34:35], v[38:39]
	v_add_f64 v[42:43], v[32:33], v[36:37]
	v_cvt_f32_f64_e32 v42, v[42:43]
	v_cvt_f32_f64_e32 v40, v[40:41]
	v_min3_f32 v93, v42, v40, v93
	v_add_f64 v[40:41], v[30:31], v[38:39]
	v_add_f64 v[42:43], v[28:29], v[36:37]
	v_cvt_f32_f64_e32 v42, v[42:43]
	v_cvt_f32_f64_e32 v40, v[40:41]
	v_min3_f32 v92, v42, v40, v92
	;; [unrolled: 5-line block ×6, first 2 shown]
	v_add_f64 v[40:41], v[6:7], v[38:39]
	v_add_f64 v[42:43], v[4:5], v[36:37]
	;; [unrolled: 1-line block ×4, first 2 shown]
	s_waitcnt lgkmcnt(0)
	v_add_f64 v[34:35], v[34:35], v[22:23]
	v_add_f64 v[32:33], v[32:33], v[20:21]
	;; [unrolled: 1-line block ×16, first 2 shown]
	v_cvt_f32_f64_e32 v75, v[148:149]
	v_cvt_f32_f64_e32 v76, v[76:77]
	;; [unrolled: 1-line block ×30, first 2 shown]
	v_min3_f32 v127, v75, v76, v127
	v_min3_f32 v119, v58, v56, v119
	;; [unrolled: 1-line block ×15, first 2 shown]
	s_mov_b32 s30, 2
	s_mov_b64 s[14:15], 0
	s_cbranch_vccz .LBB179_29
; %bb.30:
	v_lshlrev_b32_e32 v0, 5, v73
	v_lshl_add_u32 v0, v145, 3, v0
	s_cmp_gt_i32 s26, 8
	s_mov_b32 s30, 8
	ds_write_b64 v74, v[62:63] offset:18432
	ds_write2st64_b64 v0, v[64:65], v[66:67] offset0:16 offset1:20
	ds_write2st64_b64 v0, v[68:69], v[70:71] offset0:24 offset1:28
	s_waitcnt lgkmcnt(0)
	s_barrier
	s_cbranch_scc0 .LBB179_57
; %bb.31:
	v_or_b32_e32 v149, 0x2000, v0
	v_mad_i64_i32 v[0:1], s[14:15], v72, s42, 0
	v_lshl_add_u64 v[62:63], v[0:1], 3, s[40:41]
	v_add_u32_e32 v148, 0x4800, v74
	s_add_i32 s33, s26, -8
	v_lshl_add_u64 v[64:65], v[62:63], 0, 32
	s_mov_b32 s40, 0
	v_mov_b32_e32 v150, 0x7fefffff
	v_mov_b32_e32 v67, 0
.LBB179_32:                             ; =>This Loop Header: Depth=1
                                        ;     Child Loop BB179_43 Depth 2
                                        ;     Child Loop BB179_55 Depth 2
	v_or_b32_e32 v66, s30, v144
	v_cmp_le_i32_e32 vcc, s26, v66
	s_or_b64 vcc, vcc, s[12:13]
	s_or_b64 s[14:15], s[36:37], vcc
	v_cndmask_b32_e32 v69, 0, v150, vcc
	s_xor_b64 s[42:43], s[14:15], -1
	v_cndmask_b32_e64 v68, 0, -1, vcc
	s_and_saveexec_b64 s[14:15], s[42:43]
	s_cbranch_execz .LBB179_34
; %bb.33:                               ;   in Loop: Header=BB179_32 Depth=1
	v_lshl_add_u64 v[0:1], v[66:67], 3, v[62:63]
	flat_load_dwordx2 v[0:1], v[0:1]
	s_waitcnt vmcnt(0) lgkmcnt(0)
	v_mul_f64 v[68:69], v[0:1], s[28:29]
.LBB179_34:                             ;   in Loop: Header=BB179_32 Depth=1
	s_or_b64 exec, exec, s[14:15]
	v_add_u32_e32 v0, s30, v145
	v_cmp_le_i32_e32 vcc, s26, v0
	v_min_i32_e32 v0, s27, v0
	v_mad_i64_i32 v[0:1], s[14:15], v0, s17, 0
	s_or_b64 s[14:15], s[4:5], vcc
	v_lshl_add_u64 v[0:1], v[0:1], 3, s[38:39]
	s_or_b64 s[42:43], s[36:37], s[14:15]
	v_cndmask_b32_e64 v71, 0, v150, s[14:15]
	s_xor_b64 s[42:43], s[42:43], -1
	v_cndmask_b32_e64 v70, 0, -1, s[14:15]
	v_lshl_add_u64 v[0:1], v[60:61], 3, v[0:1]
	s_and_saveexec_b64 s[14:15], s[42:43]
	s_cbranch_execz .LBB179_36
; %bb.35:                               ;   in Loop: Header=BB179_32 Depth=1
	flat_load_dwordx2 v[2:3], v[0:1]
	s_waitcnt vmcnt(0) lgkmcnt(0)
	v_mul_f64 v[70:71], v[2:3], s[28:29]
.LBB179_36:                             ;   in Loop: Header=BB179_32 Depth=1
	s_or_b64 exec, exec, s[14:15]
	s_or_b64 s[14:15], s[6:7], vcc
	s_or_b64 s[42:43], s[36:37], s[14:15]
	v_cndmask_b32_e64 v73, 0, v150, s[14:15]
	s_xor_b64 s[42:43], s[42:43], -1
	v_cndmask_b32_e64 v72, 0, -1, s[14:15]
	s_and_saveexec_b64 s[14:15], s[42:43]
	s_cbranch_execz .LBB179_38
; %bb.37:                               ;   in Loop: Header=BB179_32 Depth=1
	flat_load_dwordx2 v[2:3], v[0:1] offset:512
	s_waitcnt vmcnt(0) lgkmcnt(0)
	v_mul_f64 v[72:73], v[2:3], s[28:29]
.LBB179_38:                             ;   in Loop: Header=BB179_32 Depth=1
	s_or_b64 exec, exec, s[14:15]
	s_or_b64 s[14:15], s[8:9], vcc
	s_or_b64 s[42:43], s[36:37], s[14:15]
	v_cndmask_b32_e64 v75, 0, v150, s[14:15]
	s_xor_b64 s[42:43], s[42:43], -1
	v_cndmask_b32_e64 v74, 0, -1, s[14:15]
	s_and_saveexec_b64 s[14:15], s[42:43]
	s_cbranch_execz .LBB179_40
; %bb.39:                               ;   in Loop: Header=BB179_32 Depth=1
	flat_load_dwordx2 v[2:3], v[0:1] offset:1024
	s_waitcnt vmcnt(0) lgkmcnt(0)
	v_mul_f64 v[74:75], v[2:3], s[28:29]
.LBB179_40:                             ;   in Loop: Header=BB179_32 Depth=1
	s_or_b64 exec, exec, s[14:15]
	s_or_b64 vcc, s[10:11], vcc
	s_or_b64 s[14:15], s[36:37], vcc
	v_cndmask_b32_e32 v77, 0, v150, vcc
	s_xor_b64 s[42:43], s[14:15], -1
	v_cndmask_b32_e64 v76, 0, -1, vcc
	s_and_saveexec_b64 s[14:15], s[42:43]
	s_cbranch_execz .LBB179_42
; %bb.41:                               ;   in Loop: Header=BB179_32 Depth=1
	flat_load_dwordx2 v[0:1], v[0:1] offset:1536
	s_waitcnt vmcnt(0) lgkmcnt(0)
	v_mul_f64 v[76:77], v[0:1], s[28:29]
.LBB179_42:                             ;   in Loop: Header=BB179_32 Depth=1
	s_or_b64 exec, exec, s[14:15]
	s_mov_b32 s41, 0
	s_mov_b64 s[14:15], -1
.LBB179_43:                             ;   Parent Loop BB179_32 Depth=1
                                        ; =>  This Inner Loop Header: Depth=2
	v_cndmask_b32_e64 v0, 0, 1, s[14:15]
	s_lshl_b32 s14, s41, 3
	v_cmp_ne_u32_e32 vcc, 1, v0
	v_lshl_add_u32 v0, v132, 5, s14
	v_lshl_add_u32 v20, v133, 5, s14
	ds_read_b128 v[32:35], v0 offset:18432
	ds_read_b128 v[28:31], v0 offset:18688
	;; [unrolled: 1-line block ×16, first 2 shown]
	s_waitcnt lgkmcnt(7)
	v_add_f64 v[156:157], v[34:35], v[154:155]
	v_add_f64 v[158:159], v[32:33], v[152:153]
	v_cvt_f32_f64_e32 v151, v[158:159]
	v_cvt_f32_f64_e32 v156, v[156:157]
	v_min3_f32 v143, v151, v156, v143
	v_add_f64 v[156:157], v[30:31], v[154:155]
	v_add_f64 v[158:159], v[28:29], v[152:153]
	v_cvt_f32_f64_e32 v151, v[158:159]
	v_cvt_f32_f64_e32 v156, v[156:157]
	v_min3_f32 v142, v151, v156, v142
	;; [unrolled: 5-line block ×6, first 2 shown]
	v_add_f64 v[156:157], v[6:7], v[154:155]
	v_add_f64 v[158:159], v[4:5], v[152:153]
	v_cvt_f32_f64_e32 v151, v[158:159]
	v_cvt_f32_f64_e32 v156, v[156:157]
	v_add_f64 v[154:155], v[2:3], v[154:155]
	v_add_f64 v[152:153], v[0:1], v[152:153]
	v_min3_f32 v137, v151, v156, v137
	v_cvt_f32_f64_e32 v151, v[152:153]
	v_cvt_f32_f64_e32 v152, v[154:155]
	v_min3_f32 v136, v151, v152, v136
	s_waitcnt lgkmcnt(6)
	v_add_f64 v[152:153], v[34:35], v[58:59]
	v_add_f64 v[154:155], v[32:33], v[56:57]
	v_cvt_f32_f64_e32 v151, v[154:155]
	v_cvt_f32_f64_e32 v152, v[152:153]
	v_min3_f32 v135, v151, v152, v135
	v_add_f64 v[152:153], v[30:31], v[58:59]
	v_add_f64 v[154:155], v[28:29], v[56:57]
	v_cvt_f32_f64_e32 v151, v[154:155]
	v_cvt_f32_f64_e32 v152, v[152:153]
	v_min3_f32 v134, v151, v152, v134
	v_add_f64 v[152:153], v[26:27], v[58:59]
	v_add_f64 v[154:155], v[24:25], v[56:57]
	v_cvt_f32_f64_e32 v151, v[154:155]
	v_cvt_f32_f64_e32 v152, v[152:153]
	v_min3_f32 v131, v151, v152, v131
	v_add_f64 v[152:153], v[18:19], v[58:59]
	v_add_f64 v[154:155], v[16:17], v[56:57]
	v_cvt_f32_f64_e32 v151, v[154:155]
	v_cvt_f32_f64_e32 v152, v[152:153]
	v_min3_f32 v130, v151, v152, v130
	v_add_f64 v[152:153], v[14:15], v[58:59]
	v_add_f64 v[154:155], v[12:13], v[56:57]
	v_cvt_f32_f64_e32 v151, v[154:155]
	v_cvt_f32_f64_e32 v152, v[152:153]
	v_min3_f32 v129, v151, v152, v129
	v_add_f64 v[152:153], v[10:11], v[58:59]
	v_add_f64 v[154:155], v[8:9], v[56:57]
	v_cvt_f32_f64_e32 v151, v[154:155]
	v_cvt_f32_f64_e32 v152, v[152:153]
	v_min3_f32 v128, v151, v152, v128
	v_add_f64 v[152:153], v[6:7], v[58:59]
	v_add_f64 v[154:155], v[4:5], v[56:57]
	v_add_f64 v[58:59], v[2:3], v[58:59]
	v_add_f64 v[56:57], v[0:1], v[56:57]
	v_cvt_f32_f64_e32 v56, v[56:57]
	v_cvt_f32_f64_e32 v57, v[58:59]
	v_min3_f32 v126, v56, v57, v126
	s_waitcnt lgkmcnt(5)
	v_add_f64 v[56:57], v[34:35], v[54:55]
	v_add_f64 v[58:59], v[32:33], v[52:53]
	v_cvt_f32_f64_e32 v58, v[58:59]
	v_cvt_f32_f64_e32 v56, v[56:57]
	v_min3_f32 v125, v58, v56, v125
	v_add_f64 v[56:57], v[30:31], v[54:55]
	v_add_f64 v[58:59], v[28:29], v[52:53]
	v_cvt_f32_f64_e32 v58, v[58:59]
	v_cvt_f32_f64_e32 v56, v[56:57]
	v_min3_f32 v124, v58, v56, v124
	v_add_f64 v[56:57], v[26:27], v[54:55]
	v_add_f64 v[58:59], v[24:25], v[52:53]
	v_cvt_f32_f64_e32 v58, v[58:59]
	v_cvt_f32_f64_e32 v56, v[56:57]
	v_min3_f32 v123, v58, v56, v123
	v_add_f64 v[56:57], v[18:19], v[54:55]
	v_add_f64 v[58:59], v[16:17], v[52:53]
	v_cvt_f32_f64_e32 v58, v[58:59]
	v_cvt_f32_f64_e32 v56, v[56:57]
	v_min3_f32 v122, v58, v56, v122
	v_add_f64 v[56:57], v[14:15], v[54:55]
	v_add_f64 v[58:59], v[12:13], v[52:53]
	v_cvt_f32_f64_e32 v58, v[58:59]
	v_cvt_f32_f64_e32 v56, v[56:57]
	v_min3_f32 v121, v58, v56, v121
	v_add_f64 v[56:57], v[10:11], v[54:55]
	v_add_f64 v[58:59], v[8:9], v[52:53]
	v_cvt_f32_f64_e32 v58, v[58:59]
	v_cvt_f32_f64_e32 v56, v[56:57]
	v_min3_f32 v120, v58, v56, v120
	v_add_f64 v[56:57], v[6:7], v[54:55]
	v_add_f64 v[58:59], v[4:5], v[52:53]
	v_add_f64 v[54:55], v[2:3], v[54:55]
	v_add_f64 v[52:53], v[0:1], v[52:53]
	;; [unrolled: 38-line block ×6, first 2 shown]
	s_waitcnt lgkmcnt(0)
	v_add_f64 v[34:35], v[34:35], v[22:23]
	v_add_f64 v[32:33], v[32:33], v[20:21]
	;; [unrolled: 1-line block ×16, first 2 shown]
	v_cvt_f32_f64_e32 v151, v[154:155]
	v_cvt_f32_f64_e32 v152, v[152:153]
	;; [unrolled: 1-line block ×30, first 2 shown]
	v_min3_f32 v127, v151, v152, v127
	v_min3_f32 v119, v58, v56, v119
	;; [unrolled: 1-line block ×15, first 2 shown]
	s_mov_b32 s41, 2
	s_mov_b64 s[14:15], 0
	s_cbranch_vccz .LBB179_43
; %bb.44:                               ;   in Loop: Header=BB179_32 Depth=1
	v_or_b32_e32 v0, 4, v66
	v_cmp_le_i32_e32 vcc, s26, v0
	s_or_b64 vcc, vcc, s[12:13]
	s_or_b64 s[14:15], s[36:37], vcc
	ds_write_b64 v146, v[68:69]
	ds_write2st64_b64 v147, v[70:71], v[72:73] offset1:4
	ds_write2st64_b64 v147, v[74:75], v[76:77] offset0:8 offset1:12
	v_cndmask_b32_e32 v69, 0, v150, vcc
	s_xor_b64 s[42:43], s[14:15], -1
	v_cndmask_b32_e64 v68, 0, -1, vcc
	s_waitcnt lgkmcnt(0)
	s_barrier
	s_and_saveexec_b64 s[14:15], s[42:43]
	s_cbranch_execz .LBB179_46
; %bb.45:                               ;   in Loop: Header=BB179_32 Depth=1
	v_lshl_add_u64 v[0:1], v[66:67], 3, v[64:65]
	flat_load_dwordx2 v[0:1], v[0:1]
	s_waitcnt vmcnt(0) lgkmcnt(0)
	v_mul_f64 v[68:69], v[0:1], s[28:29]
.LBB179_46:                             ;   in Loop: Header=BB179_32 Depth=1
	s_or_b64 exec, exec, s[14:15]
	v_add3_u32 v0, v145, s30, 4
	v_cmp_le_i32_e32 vcc, s26, v0
	v_min_i32_e32 v0, s27, v0
	v_mad_i64_i32 v[0:1], s[14:15], v0, s17, 0
	s_or_b64 s[14:15], s[4:5], vcc
	v_lshl_add_u64 v[0:1], v[0:1], 3, s[38:39]
	s_or_b64 s[42:43], s[36:37], s[14:15]
	v_cndmask_b32_e64 v71, 0, v150, s[14:15]
	s_xor_b64 s[42:43], s[42:43], -1
	v_cndmask_b32_e64 v70, 0, -1, s[14:15]
	v_lshl_add_u64 v[0:1], v[60:61], 3, v[0:1]
	s_and_saveexec_b64 s[14:15], s[42:43]
	s_cbranch_execz .LBB179_48
; %bb.47:                               ;   in Loop: Header=BB179_32 Depth=1
	flat_load_dwordx2 v[2:3], v[0:1]
	s_waitcnt vmcnt(0) lgkmcnt(0)
	v_mul_f64 v[70:71], v[2:3], s[28:29]
.LBB179_48:                             ;   in Loop: Header=BB179_32 Depth=1
	s_or_b64 exec, exec, s[14:15]
	s_or_b64 s[14:15], s[6:7], vcc
	s_or_b64 s[42:43], s[36:37], s[14:15]
	v_cndmask_b32_e64 v73, 0, v150, s[14:15]
	s_xor_b64 s[42:43], s[42:43], -1
	v_cndmask_b32_e64 v72, 0, -1, s[14:15]
	s_and_saveexec_b64 s[14:15], s[42:43]
	s_cbranch_execz .LBB179_50
; %bb.49:                               ;   in Loop: Header=BB179_32 Depth=1
	flat_load_dwordx2 v[2:3], v[0:1] offset:512
	s_waitcnt vmcnt(0) lgkmcnt(0)
	v_mul_f64 v[72:73], v[2:3], s[28:29]
.LBB179_50:                             ;   in Loop: Header=BB179_32 Depth=1
	s_or_b64 exec, exec, s[14:15]
	s_or_b64 s[14:15], s[8:9], vcc
	s_or_b64 s[42:43], s[36:37], s[14:15]
	v_cndmask_b32_e64 v75, 0, v150, s[14:15]
	s_xor_b64 s[42:43], s[42:43], -1
	v_cndmask_b32_e64 v74, 0, -1, s[14:15]
	s_and_saveexec_b64 s[14:15], s[42:43]
	s_cbranch_execz .LBB179_52
; %bb.51:                               ;   in Loop: Header=BB179_32 Depth=1
	flat_load_dwordx2 v[2:3], v[0:1] offset:1024
	s_waitcnt vmcnt(0) lgkmcnt(0)
	v_mul_f64 v[74:75], v[2:3], s[28:29]
.LBB179_52:                             ;   in Loop: Header=BB179_32 Depth=1
	s_or_b64 exec, exec, s[14:15]
	s_or_b64 vcc, s[10:11], vcc
	s_or_b64 s[14:15], s[36:37], vcc
	v_cndmask_b32_e32 v77, 0, v150, vcc
	s_xor_b64 s[42:43], s[14:15], -1
	v_cndmask_b32_e64 v76, 0, -1, vcc
	s_and_saveexec_b64 s[14:15], s[42:43]
	s_cbranch_execz .LBB179_54
; %bb.53:                               ;   in Loop: Header=BB179_32 Depth=1
	flat_load_dwordx2 v[0:1], v[0:1] offset:1536
	s_waitcnt vmcnt(0) lgkmcnt(0)
	v_mul_f64 v[76:77], v[0:1], s[28:29]
.LBB179_54:                             ;   in Loop: Header=BB179_32 Depth=1
	s_or_b64 exec, exec, s[14:15]
	s_mov_b32 s41, 0
	s_mov_b64 s[14:15], -1
.LBB179_55:                             ;   Parent Loop BB179_32 Depth=1
                                        ; =>  This Inner Loop Header: Depth=2
	v_cndmask_b32_e64 v0, 0, 1, s[14:15]
	s_lshl_b32 s14, s41, 3
	v_cmp_ne_u32_e32 vcc, 1, v0
	v_lshl_add_u32 v0, v132, 5, s14
	v_lshl_add_u32 v20, v133, 5, s14
	ds_read_b128 v[32:35], v0 offset:16384
	ds_read_b128 v[28:31], v0 offset:16640
	;; [unrolled: 1-line block ×8, first 2 shown]
	ds_read_b128 v[152:155], v20
	ds_read_b128 v[56:59], v20 offset:1024
	ds_read_b128 v[52:55], v20 offset:2048
	;; [unrolled: 1-line block ×7, first 2 shown]
	s_waitcnt lgkmcnt(7)
	v_add_f64 v[156:157], v[34:35], v[154:155]
	v_add_f64 v[158:159], v[32:33], v[152:153]
	v_cvt_f32_f64_e32 v66, v[158:159]
	v_cvt_f32_f64_e32 v151, v[156:157]
	v_add_f64 v[156:157], v[30:31], v[154:155]
	v_add_f64 v[158:159], v[28:29], v[152:153]
	v_min3_f32 v143, v66, v151, v143
	v_cvt_f32_f64_e32 v66, v[158:159]
	v_cvt_f32_f64_e32 v151, v[156:157]
	v_add_f64 v[156:157], v[26:27], v[154:155]
	v_add_f64 v[158:159], v[24:25], v[152:153]
	v_min3_f32 v142, v66, v151, v142
	;; [unrolled: 5-line block ×7, first 2 shown]
	v_cvt_f32_f64_e32 v66, v[152:153]
	v_cvt_f32_f64_e32 v151, v[154:155]
	s_waitcnt lgkmcnt(6)
	v_add_f64 v[152:153], v[34:35], v[58:59]
	v_add_f64 v[154:155], v[32:33], v[56:57]
	v_min3_f32 v136, v66, v151, v136
	v_cvt_f32_f64_e32 v66, v[154:155]
	v_cvt_f32_f64_e32 v151, v[152:153]
	v_add_f64 v[152:153], v[30:31], v[58:59]
	v_add_f64 v[154:155], v[28:29], v[56:57]
	v_min3_f32 v135, v66, v151, v135
	v_cvt_f32_f64_e32 v66, v[154:155]
	v_cvt_f32_f64_e32 v151, v[152:153]
	;; [unrolled: 5-line block ×6, first 2 shown]
	v_add_f64 v[152:153], v[6:7], v[58:59]
	v_add_f64 v[154:155], v[4:5], v[56:57]
	v_add_f64 v[58:59], v[2:3], v[58:59]
	v_add_f64 v[56:57], v[0:1], v[56:57]
	v_cvt_f32_f64_e32 v56, v[56:57]
	v_cvt_f32_f64_e32 v57, v[58:59]
	v_min3_f32 v126, v56, v57, v126
	s_waitcnt lgkmcnt(5)
	v_add_f64 v[56:57], v[34:35], v[54:55]
	v_add_f64 v[58:59], v[32:33], v[52:53]
	v_cvt_f32_f64_e32 v58, v[58:59]
	v_cvt_f32_f64_e32 v56, v[56:57]
	v_min3_f32 v125, v58, v56, v125
	v_add_f64 v[56:57], v[30:31], v[54:55]
	v_add_f64 v[58:59], v[28:29], v[52:53]
	v_cvt_f32_f64_e32 v58, v[58:59]
	v_cvt_f32_f64_e32 v56, v[56:57]
	v_min3_f32 v124, v58, v56, v124
	v_add_f64 v[56:57], v[26:27], v[54:55]
	v_add_f64 v[58:59], v[24:25], v[52:53]
	v_cvt_f32_f64_e32 v58, v[58:59]
	v_cvt_f32_f64_e32 v56, v[56:57]
	v_min3_f32 v123, v58, v56, v123
	v_add_f64 v[56:57], v[18:19], v[54:55]
	v_add_f64 v[58:59], v[16:17], v[52:53]
	v_cvt_f32_f64_e32 v58, v[58:59]
	v_cvt_f32_f64_e32 v56, v[56:57]
	v_min3_f32 v122, v58, v56, v122
	v_add_f64 v[56:57], v[14:15], v[54:55]
	v_add_f64 v[58:59], v[12:13], v[52:53]
	v_cvt_f32_f64_e32 v58, v[58:59]
	v_cvt_f32_f64_e32 v56, v[56:57]
	v_min3_f32 v121, v58, v56, v121
	v_add_f64 v[56:57], v[10:11], v[54:55]
	v_add_f64 v[58:59], v[8:9], v[52:53]
	v_cvt_f32_f64_e32 v58, v[58:59]
	v_cvt_f32_f64_e32 v56, v[56:57]
	v_min3_f32 v120, v58, v56, v120
	v_add_f64 v[56:57], v[6:7], v[54:55]
	v_add_f64 v[58:59], v[4:5], v[52:53]
	v_add_f64 v[54:55], v[2:3], v[54:55]
	v_add_f64 v[52:53], v[0:1], v[52:53]
	v_cvt_f32_f64_e32 v52, v[52:53]
	v_cvt_f32_f64_e32 v53, v[54:55]
	v_min3_f32 v118, v52, v53, v118
	s_waitcnt lgkmcnt(4)
	v_add_f64 v[52:53], v[34:35], v[50:51]
	v_add_f64 v[54:55], v[32:33], v[48:49]
	v_cvt_f32_f64_e32 v54, v[54:55]
	v_cvt_f32_f64_e32 v52, v[52:53]
	v_min3_f32 v117, v54, v52, v117
	v_add_f64 v[52:53], v[30:31], v[50:51]
	v_add_f64 v[54:55], v[28:29], v[48:49]
	v_cvt_f32_f64_e32 v54, v[54:55]
	v_cvt_f32_f64_e32 v52, v[52:53]
	v_min3_f32 v116, v54, v52, v116
	v_add_f64 v[52:53], v[26:27], v[50:51]
	v_add_f64 v[54:55], v[24:25], v[48:49]
	v_cvt_f32_f64_e32 v54, v[54:55]
	v_cvt_f32_f64_e32 v52, v[52:53]
	v_min3_f32 v115, v54, v52, v115
	v_add_f64 v[52:53], v[18:19], v[50:51]
	v_add_f64 v[54:55], v[16:17], v[48:49]
	v_cvt_f32_f64_e32 v54, v[54:55]
	v_cvt_f32_f64_e32 v52, v[52:53]
	v_min3_f32 v114, v54, v52, v114
	v_add_f64 v[52:53], v[14:15], v[50:51]
	v_add_f64 v[54:55], v[12:13], v[48:49]
	v_cvt_f32_f64_e32 v54, v[54:55]
	v_cvt_f32_f64_e32 v52, v[52:53]
	v_min3_f32 v113, v54, v52, v113
	v_add_f64 v[52:53], v[10:11], v[50:51]
	v_add_f64 v[54:55], v[8:9], v[48:49]
	v_cvt_f32_f64_e32 v54, v[54:55]
	v_cvt_f32_f64_e32 v52, v[52:53]
	v_min3_f32 v112, v54, v52, v112
	;; [unrolled: 38-line block ×5, first 2 shown]
	v_add_f64 v[40:41], v[6:7], v[38:39]
	v_add_f64 v[42:43], v[4:5], v[36:37]
	;; [unrolled: 1-line block ×4, first 2 shown]
	s_waitcnt lgkmcnt(0)
	v_add_f64 v[34:35], v[34:35], v[22:23]
	v_add_f64 v[32:33], v[32:33], v[20:21]
	;; [unrolled: 1-line block ×16, first 2 shown]
	v_min3_f32 v128, v66, v151, v128
	v_cvt_f32_f64_e32 v66, v[154:155]
	v_cvt_f32_f64_e32 v151, v[152:153]
	v_cvt_f32_f64_e32 v58, v[58:59]
	v_cvt_f32_f64_e32 v56, v[56:57]
	v_cvt_f32_f64_e32 v54, v[54:55]
	v_cvt_f32_f64_e32 v52, v[52:53]
	v_cvt_f32_f64_e32 v50, v[50:51]
	v_cvt_f32_f64_e32 v48, v[48:49]
	v_cvt_f32_f64_e32 v46, v[46:47]
	v_cvt_f32_f64_e32 v44, v[44:45]
	v_cvt_f32_f64_e32 v42, v[42:43]
	v_cvt_f32_f64_e32 v40, v[40:41]
	v_cvt_f32_f64_e32 v36, v[36:37]
	v_cvt_f32_f64_e32 v37, v[38:39]
	v_cvt_f32_f64_e32 v32, v[32:33]
	v_cvt_f32_f64_e32 v33, v[34:35]
	v_cvt_f32_f64_e32 v28, v[28:29]
	v_cvt_f32_f64_e32 v29, v[30:31]
	v_cvt_f32_f64_e32 v24, v[24:25]
	v_cvt_f32_f64_e32 v25, v[26:27]
	v_cvt_f32_f64_e32 v16, v[16:17]
	v_cvt_f32_f64_e32 v17, v[18:19]
	v_cvt_f32_f64_e32 v12, v[12:13]
	v_cvt_f32_f64_e32 v13, v[14:15]
	v_cvt_f32_f64_e32 v8, v[8:9]
	v_cvt_f32_f64_e32 v9, v[10:11]
	v_cvt_f32_f64_e32 v4, v[4:5]
	v_cvt_f32_f64_e32 v5, v[6:7]
	v_cvt_f32_f64_e32 v0, v[0:1]
	v_cvt_f32_f64_e32 v1, v[2:3]
	v_min3_f32 v127, v66, v151, v127
	v_min3_f32 v119, v58, v56, v119
	;; [unrolled: 1-line block ×15, first 2 shown]
	s_mov_b32 s41, 2
	s_mov_b64 s[14:15], 0
	s_cbranch_vccz .LBB179_55
; %bb.56:                               ;   in Loop: Header=BB179_32 Depth=1
	s_add_i32 s30, s30, 8
	s_add_i32 s40, s40, 8
	s_cmp_ge_i32 s40, s33
	ds_write_b64 v148, v[68:69]
	ds_write2st64_b64 v149, v[70:71], v[72:73] offset1:4
	ds_write2st64_b64 v149, v[74:75], v[76:77] offset0:8 offset1:12
	s_waitcnt lgkmcnt(0)
	s_barrier
	s_cbranch_scc0 .LBB179_32
.LBB179_57:
	s_mov_b32 s6, 0
	s_mov_b64 s[4:5], -1
.LBB179_58:                             ; =>This Inner Loop Header: Depth=1
	v_cndmask_b32_e64 v0, 0, 1, s[4:5]
	s_lshl_b32 s4, s6, 3
	v_cmp_ne_u32_e32 vcc, 1, v0
	v_lshl_add_u32 v0, v132, 5, s4
	v_lshl_add_u32 v20, v133, 5, s4
	ds_read_b128 v[32:35], v0 offset:18432
	ds_read_b128 v[28:31], v0 offset:18688
	;; [unrolled: 1-line block ×16, first 2 shown]
	s_waitcnt lgkmcnt(7)
	v_add_f64 v[64:65], v[34:35], v[62:63]
	v_add_f64 v[66:67], v[32:33], v[60:61]
	v_cvt_f32_f64_e32 v66, v[66:67]
	v_cvt_f32_f64_e32 v64, v[64:65]
	v_min3_f32 v143, v66, v64, v143
	v_add_f64 v[64:65], v[30:31], v[62:63]
	v_add_f64 v[66:67], v[28:29], v[60:61]
	v_cvt_f32_f64_e32 v66, v[66:67]
	v_cvt_f32_f64_e32 v64, v[64:65]
	v_min3_f32 v142, v66, v64, v142
	v_add_f64 v[64:65], v[26:27], v[62:63]
	v_add_f64 v[66:67], v[24:25], v[60:61]
	v_cvt_f32_f64_e32 v66, v[66:67]
	v_cvt_f32_f64_e32 v64, v[64:65]
	v_min3_f32 v141, v66, v64, v141
	v_add_f64 v[64:65], v[18:19], v[62:63]
	v_add_f64 v[66:67], v[16:17], v[60:61]
	v_cvt_f32_f64_e32 v66, v[66:67]
	v_cvt_f32_f64_e32 v64, v[64:65]
	v_min3_f32 v140, v66, v64, v140
	v_add_f64 v[64:65], v[14:15], v[62:63]
	v_add_f64 v[66:67], v[12:13], v[60:61]
	v_cvt_f32_f64_e32 v66, v[66:67]
	v_cvt_f32_f64_e32 v64, v[64:65]
	v_min3_f32 v139, v66, v64, v139
	v_add_f64 v[64:65], v[10:11], v[62:63]
	v_add_f64 v[66:67], v[8:9], v[60:61]
	v_cvt_f32_f64_e32 v66, v[66:67]
	v_cvt_f32_f64_e32 v64, v[64:65]
	v_min3_f32 v138, v66, v64, v138
	v_add_f64 v[64:65], v[6:7], v[62:63]
	v_add_f64 v[66:67], v[4:5], v[60:61]
	v_add_f64 v[62:63], v[2:3], v[62:63]
	v_add_f64 v[60:61], v[0:1], v[60:61]
	v_cvt_f32_f64_e32 v60, v[60:61]
	v_cvt_f32_f64_e32 v61, v[62:63]
	v_min3_f32 v136, v60, v61, v136
	s_waitcnt lgkmcnt(6)
	v_add_f64 v[60:61], v[34:35], v[58:59]
	v_add_f64 v[62:63], v[32:33], v[56:57]
	v_cvt_f32_f64_e32 v62, v[62:63]
	v_cvt_f32_f64_e32 v60, v[60:61]
	v_min3_f32 v135, v62, v60, v135
	v_add_f64 v[60:61], v[30:31], v[58:59]
	v_add_f64 v[62:63], v[28:29], v[56:57]
	v_cvt_f32_f64_e32 v62, v[62:63]
	v_cvt_f32_f64_e32 v60, v[60:61]
	v_min3_f32 v134, v62, v60, v134
	v_add_f64 v[60:61], v[26:27], v[58:59]
	v_add_f64 v[62:63], v[24:25], v[56:57]
	v_cvt_f32_f64_e32 v62, v[62:63]
	v_cvt_f32_f64_e32 v60, v[60:61]
	v_min3_f32 v131, v62, v60, v131
	v_add_f64 v[60:61], v[18:19], v[58:59]
	v_add_f64 v[62:63], v[16:17], v[56:57]
	v_cvt_f32_f64_e32 v62, v[62:63]
	v_cvt_f32_f64_e32 v60, v[60:61]
	v_min3_f32 v130, v62, v60, v130
	v_add_f64 v[60:61], v[14:15], v[58:59]
	v_add_f64 v[62:63], v[12:13], v[56:57]
	v_cvt_f32_f64_e32 v62, v[62:63]
	v_cvt_f32_f64_e32 v60, v[60:61]
	v_min3_f32 v129, v62, v60, v129
	v_add_f64 v[60:61], v[10:11], v[58:59]
	v_add_f64 v[62:63], v[8:9], v[56:57]
	v_cvt_f32_f64_e32 v62, v[62:63]
	v_cvt_f32_f64_e32 v60, v[60:61]
	v_min3_f32 v128, v62, v60, v128
	v_add_f64 v[60:61], v[6:7], v[58:59]
	v_add_f64 v[62:63], v[4:5], v[56:57]
	v_add_f64 v[58:59], v[2:3], v[58:59]
	v_add_f64 v[56:57], v[0:1], v[56:57]
	v_cvt_f32_f64_e32 v56, v[56:57]
	v_cvt_f32_f64_e32 v57, v[58:59]
	v_min3_f32 v126, v56, v57, v126
	;; [unrolled: 38-line block ×6, first 2 shown]
	s_waitcnt lgkmcnt(1)
	v_add_f64 v[40:41], v[34:35], v[38:39]
	v_add_f64 v[42:43], v[32:33], v[36:37]
	v_cvt_f32_f64_e32 v42, v[42:43]
	v_cvt_f32_f64_e32 v40, v[40:41]
	v_min3_f32 v93, v42, v40, v93
	v_add_f64 v[40:41], v[30:31], v[38:39]
	v_add_f64 v[42:43], v[28:29], v[36:37]
	v_cvt_f32_f64_e32 v42, v[42:43]
	v_cvt_f32_f64_e32 v40, v[40:41]
	v_min3_f32 v92, v42, v40, v92
	;; [unrolled: 5-line block ×6, first 2 shown]
	v_add_f64 v[40:41], v[6:7], v[38:39]
	v_add_f64 v[42:43], v[4:5], v[36:37]
	;; [unrolled: 1-line block ×4, first 2 shown]
	s_waitcnt lgkmcnt(0)
	v_add_f64 v[34:35], v[34:35], v[22:23]
	v_add_f64 v[32:33], v[32:33], v[20:21]
	;; [unrolled: 1-line block ×16, first 2 shown]
	v_cvt_f32_f64_e32 v66, v[66:67]
	v_cvt_f32_f64_e32 v64, v[64:65]
	v_cvt_f32_f64_e32 v62, v[62:63]
	v_cvt_f32_f64_e32 v60, v[60:61]
	v_cvt_f32_f64_e32 v58, v[58:59]
	v_cvt_f32_f64_e32 v56, v[56:57]
	v_cvt_f32_f64_e32 v54, v[54:55]
	v_cvt_f32_f64_e32 v52, v[52:53]
	v_cvt_f32_f64_e32 v50, v[50:51]
	v_cvt_f32_f64_e32 v48, v[48:49]
	v_cvt_f32_f64_e32 v46, v[46:47]
	v_cvt_f32_f64_e32 v44, v[44:45]
	v_cvt_f32_f64_e32 v42, v[42:43]
	v_cvt_f32_f64_e32 v40, v[40:41]
	v_cvt_f32_f64_e32 v36, v[36:37]
	v_cvt_f32_f64_e32 v37, v[38:39]
	v_cvt_f32_f64_e32 v32, v[32:33]
	v_cvt_f32_f64_e32 v33, v[34:35]
	v_cvt_f32_f64_e32 v28, v[28:29]
	v_cvt_f32_f64_e32 v29, v[30:31]
	v_cvt_f32_f64_e32 v24, v[24:25]
	v_cvt_f32_f64_e32 v25, v[26:27]
	v_cvt_f32_f64_e32 v16, v[16:17]
	v_cvt_f32_f64_e32 v17, v[18:19]
	v_cvt_f32_f64_e32 v12, v[12:13]
	v_cvt_f32_f64_e32 v13, v[14:15]
	v_cvt_f32_f64_e32 v8, v[8:9]
	v_cvt_f32_f64_e32 v9, v[10:11]
	v_cvt_f32_f64_e32 v4, v[4:5]
	v_cvt_f32_f64_e32 v5, v[6:7]
	v_cvt_f32_f64_e32 v0, v[0:1]
	v_cvt_f32_f64_e32 v1, v[2:3]
	v_min3_f32 v137, v66, v64, v137
	v_min3_f32 v127, v62, v60, v127
	;; [unrolled: 1-line block ×16, first 2 shown]
	s_mov_b32 s6, 2
	s_mov_b64 s[4:5], 0
	s_cbranch_vccz .LBB179_58
; %bb.59:
	s_load_dwordx2 s[4:5], s[0:1], 0x78
	s_load_dword s33, s[0:1], 0x58
	s_load_dword s30, s[0:1], 0x70
	v_add_u32_e32 v22, s16, v133
	v_add_u32_e32 v0, s2, v132
	s_waitcnt lgkmcnt(0)
	s_mul_i32 s0, s3, s5
	s_mul_hi_u32 s1, s3, s4
	s_mul_i32 s5, s31, s4
	s_add_i32 s0, s1, s0
	s_add_i32 s1, s0, s5
	s_mul_i32 s0, s3, s4
	s_lshl_b64 s[0:1], s[0:1], 3
	s_add_u32 s26, s18, s0
	s_addc_u32 s27, s19, s1
	v_mad_i64_i32 v[2:3], s[0:1], v22, s33, 0
	v_lshl_add_u64 v[18:19], v[2:3], 3, s[20:21]
	v_mad_i64_i32 v[2:3], s[0:1], v22, s30, 0
	v_cmp_gt_i32_e64 s[2:3], s24, v0
	v_cmp_gt_i32_e64 s[18:19], s25, v22
	v_lshl_add_u64 v[16:17], v[2:3], 3, s[26:27]
	v_cndmask_b32_e64 v2, 0, 1, s[34:35]
	v_ashrrev_i32_e32 v1, 31, v0
	s_and_b64 s[6:7], s[2:3], s[18:19]
	v_cmp_ne_u32_e64 s[0:1], 1, v2
	s_and_saveexec_b64 s[4:5], s[6:7]
	s_cbranch_execz .LBB179_64
; %bb.60:
	s_and_b64 vcc, exec, s[0:1]
	s_cbranch_vccnz .LBB179_62
; %bb.61:
	v_lshl_add_u64 v[2:3], v[0:1], 3, v[18:19]
	flat_load_dwordx2 v[2:3], v[2:3]
	s_waitcnt vmcnt(0) lgkmcnt(0)
	v_mul_f64 v[2:3], v[2:3], s[22:23]
	s_branch .LBB179_63
.LBB179_62:
	v_mov_b64_e32 v[2:3], 0
.LBB179_63:
	v_cvt_f32_f64_e32 v2, v[2:3]
	v_max_f32_e32 v3, v143, v143
	v_min_f32_e32 v2, v2, v3
	v_cvt_f64_f32_e32 v[2:3], v2
	v_lshl_add_u64 v[4:5], v[0:1], 3, v[16:17]
	global_store_dwordx2 v[4:5], v[2:3], off
.LBB179_64:
	s_or_b64 exec, exec, s[4:5]
	v_add_u32_e32 v2, 8, v0
	v_cmp_gt_i32_e64 s[4:5], s24, v2
	v_ashrrev_i32_e32 v3, 31, v2
	s_and_b64 s[8:9], s[4:5], s[18:19]
	s_and_saveexec_b64 s[6:7], s[8:9]
	s_cbranch_execz .LBB179_69
; %bb.65:
	s_and_b64 vcc, exec, s[0:1]
	s_cbranch_vccnz .LBB179_67
; %bb.66:
	v_lshl_add_u64 v[4:5], v[2:3], 3, v[18:19]
	flat_load_dwordx2 v[4:5], v[4:5]
	s_waitcnt vmcnt(0) lgkmcnt(0)
	v_mul_f64 v[4:5], v[4:5], s[22:23]
	s_branch .LBB179_68
.LBB179_67:
	v_mov_b64_e32 v[4:5], 0
.LBB179_68:
	v_cvt_f32_f64_e32 v4, v[4:5]
	v_max_f32_e32 v5, v142, v142
	v_min_f32_e32 v4, v4, v5
	v_cvt_f64_f32_e32 v[4:5], v4
	v_lshl_add_u64 v[6:7], v[2:3], 3, v[16:17]
	global_store_dwordx2 v[6:7], v[4:5], off
.LBB179_69:
	s_or_b64 exec, exec, s[6:7]
	v_add_u32_e32 v4, 16, v0
	v_cmp_gt_i32_e64 s[6:7], s24, v4
	v_ashrrev_i32_e32 v5, 31, v4
	s_and_b64 s[10:11], s[6:7], s[18:19]
	s_and_saveexec_b64 s[8:9], s[10:11]
	s_cbranch_execz .LBB179_74
; %bb.70:
	s_and_b64 vcc, exec, s[0:1]
	s_cbranch_vccnz .LBB179_72
; %bb.71:
	v_lshl_add_u64 v[6:7], v[4:5], 3, v[18:19]
	flat_load_dwordx2 v[6:7], v[6:7]
	s_waitcnt vmcnt(0) lgkmcnt(0)
	v_mul_f64 v[6:7], v[6:7], s[22:23]
	s_branch .LBB179_73
.LBB179_72:
	v_mov_b64_e32 v[6:7], 0
.LBB179_73:
	v_cvt_f32_f64_e32 v6, v[6:7]
	v_max_f32_e32 v7, v141, v141
	v_min_f32_e32 v6, v6, v7
	v_cvt_f64_f32_e32 v[6:7], v6
	v_lshl_add_u64 v[8:9], v[4:5], 3, v[16:17]
	global_store_dwordx2 v[8:9], v[6:7], off
.LBB179_74:
	s_or_b64 exec, exec, s[8:9]
	v_add_u32_e32 v6, 24, v0
	v_cmp_gt_i32_e64 s[8:9], s24, v6
	v_ashrrev_i32_e32 v7, 31, v6
	s_and_b64 s[12:13], s[8:9], s[18:19]
	s_and_saveexec_b64 s[10:11], s[12:13]
	s_cbranch_execz .LBB179_79
; %bb.75:
	s_and_b64 vcc, exec, s[0:1]
	s_cbranch_vccnz .LBB179_77
; %bb.76:
	v_lshl_add_u64 v[8:9], v[6:7], 3, v[18:19]
	flat_load_dwordx2 v[8:9], v[8:9]
	s_waitcnt vmcnt(0) lgkmcnt(0)
	v_mul_f64 v[8:9], v[8:9], s[22:23]
	s_branch .LBB179_78
.LBB179_77:
	v_mov_b64_e32 v[8:9], 0
.LBB179_78:
	v_cvt_f32_f64_e32 v8, v[8:9]
	v_max_f32_e32 v9, v140, v140
	v_min_f32_e32 v8, v8, v9
	v_cvt_f64_f32_e32 v[8:9], v8
	v_lshl_add_u64 v[10:11], v[6:7], 3, v[16:17]
	global_store_dwordx2 v[10:11], v[8:9], off
.LBB179_79:
	s_or_b64 exec, exec, s[10:11]
	v_add_u32_e32 v8, 32, v0
	v_cmp_gt_i32_e64 s[10:11], s24, v8
	v_ashrrev_i32_e32 v9, 31, v8
	s_and_b64 s[14:15], s[10:11], s[18:19]
	s_and_saveexec_b64 s[12:13], s[14:15]
	s_cbranch_execz .LBB179_84
; %bb.80:
	s_and_b64 vcc, exec, s[0:1]
	s_cbranch_vccnz .LBB179_82
; %bb.81:
	v_lshl_add_u64 v[10:11], v[8:9], 3, v[18:19]
	flat_load_dwordx2 v[10:11], v[10:11]
	s_waitcnt vmcnt(0) lgkmcnt(0)
	v_mul_f64 v[10:11], v[10:11], s[22:23]
	s_branch .LBB179_83
.LBB179_82:
	v_mov_b64_e32 v[10:11], 0
.LBB179_83:
	v_cvt_f32_f64_e32 v10, v[10:11]
	v_max_f32_e32 v11, v139, v139
	v_min_f32_e32 v10, v10, v11
	v_cvt_f64_f32_e32 v[10:11], v10
	v_lshl_add_u64 v[12:13], v[8:9], 3, v[16:17]
	global_store_dwordx2 v[12:13], v[10:11], off
.LBB179_84:
	s_or_b64 exec, exec, s[12:13]
	v_add_u32_e32 v10, 40, v0
	v_cmp_gt_i32_e64 s[12:13], s24, v10
	v_ashrrev_i32_e32 v11, 31, v10
	s_and_b64 s[16:17], s[12:13], s[18:19]
	s_and_saveexec_b64 s[14:15], s[16:17]
	s_cbranch_execz .LBB179_89
; %bb.85:
	s_and_b64 vcc, exec, s[0:1]
	s_cbranch_vccnz .LBB179_87
; %bb.86:
	v_lshl_add_u64 v[12:13], v[10:11], 3, v[18:19]
	flat_load_dwordx2 v[12:13], v[12:13]
	s_waitcnt vmcnt(0) lgkmcnt(0)
	v_mul_f64 v[12:13], v[12:13], s[22:23]
	s_branch .LBB179_88
.LBB179_87:
	v_mov_b64_e32 v[12:13], 0
.LBB179_88:
	v_cvt_f32_f64_e32 v12, v[12:13]
	v_max_f32_e32 v13, v138, v138
	v_min_f32_e32 v12, v12, v13
	v_cvt_f64_f32_e32 v[12:13], v12
	v_lshl_add_u64 v[14:15], v[10:11], 3, v[16:17]
	global_store_dwordx2 v[14:15], v[12:13], off
.LBB179_89:
	s_or_b64 exec, exec, s[14:15]
	v_add_u32_e32 v12, 48, v0
	v_cmp_gt_i32_e64 s[14:15], s24, v12
	v_ashrrev_i32_e32 v13, 31, v12
	s_and_b64 s[28:29], s[14:15], s[18:19]
	s_and_saveexec_b64 s[16:17], s[28:29]
	s_cbranch_execz .LBB179_94
; %bb.90:
	s_and_b64 vcc, exec, s[0:1]
	s_cbranch_vccnz .LBB179_92
; %bb.91:
	v_lshl_add_u64 v[14:15], v[12:13], 3, v[18:19]
	flat_load_dwordx2 v[14:15], v[14:15]
	s_waitcnt vmcnt(0) lgkmcnt(0)
	v_mul_f64 v[14:15], v[14:15], s[22:23]
	s_branch .LBB179_93
.LBB179_92:
	v_mov_b64_e32 v[14:15], 0
.LBB179_93:
	v_cvt_f32_f64_e32 v14, v[14:15]
	v_max_f32_e32 v15, v137, v137
	v_min_f32_e32 v14, v14, v15
	v_cvt_f64_f32_e32 v[14:15], v14
	v_lshl_add_u64 v[20:21], v[12:13], 3, v[16:17]
	global_store_dwordx2 v[20:21], v[14:15], off
.LBB179_94:
	s_or_b64 exec, exec, s[16:17]
	v_add_u32_e32 v14, 56, v0
	v_cmp_gt_i32_e64 s[16:17], s24, v14
	v_ashrrev_i32_e32 v15, 31, v14
	s_and_b64 s[28:29], s[16:17], s[18:19]
	s_and_saveexec_b64 s[18:19], s[28:29]
	s_cbranch_execz .LBB179_99
; %bb.95:
	s_and_b64 vcc, exec, s[0:1]
	s_cbranch_vccnz .LBB179_97
; %bb.96:
	v_lshl_add_u64 v[18:19], v[14:15], 3, v[18:19]
	flat_load_dwordx2 v[18:19], v[18:19]
	s_waitcnt vmcnt(0) lgkmcnt(0)
	v_mul_f64 v[18:19], v[18:19], s[22:23]
	s_branch .LBB179_98
.LBB179_97:
	v_mov_b64_e32 v[18:19], 0
.LBB179_98:
	v_cvt_f32_f64_e32 v18, v[18:19]
	v_max_f32_e32 v19, v136, v136
	v_min_f32_e32 v18, v18, v19
	v_cvt_f64_f32_e32 v[18:19], v18
	v_lshl_add_u64 v[16:17], v[14:15], 3, v[16:17]
	global_store_dwordx2 v[16:17], v[18:19], off
.LBB179_99:
	s_or_b64 exec, exec, s[18:19]
	v_add_u32_e32 v20, 32, v22
	v_mad_i64_i32 v[16:17], s[28:29], v20, s33, 0
	v_cmp_gt_i32_e64 s[18:19], s25, v20
	v_lshl_add_u64 v[18:19], v[16:17], 3, s[20:21]
	v_mad_i64_i32 v[16:17], s[28:29], v20, s30, 0
	v_lshl_add_u64 v[16:17], v[16:17], 3, s[26:27]
	s_and_b64 s[34:35], s[2:3], s[18:19]
	s_and_saveexec_b64 s[28:29], s[34:35]
	s_cbranch_execnz .LBB179_107
; %bb.100:
	s_or_b64 exec, exec, s[28:29]
	s_and_b64 s[34:35], s[4:5], s[18:19]
	s_and_saveexec_b64 s[28:29], s[34:35]
	s_cbranch_execnz .LBB179_111
.LBB179_101:
	s_or_b64 exec, exec, s[28:29]
	s_and_b64 s[34:35], s[6:7], s[18:19]
	s_and_saveexec_b64 s[28:29], s[34:35]
	s_cbranch_execnz .LBB179_115
.LBB179_102:
	s_or_b64 exec, exec, s[28:29]
	s_and_b64 s[34:35], s[8:9], s[18:19]
	s_and_saveexec_b64 s[28:29], s[34:35]
	s_cbranch_execnz .LBB179_119
.LBB179_103:
	s_or_b64 exec, exec, s[28:29]
	s_and_b64 s[34:35], s[10:11], s[18:19]
	s_and_saveexec_b64 s[28:29], s[34:35]
	s_cbranch_execnz .LBB179_123
.LBB179_104:
	s_or_b64 exec, exec, s[28:29]
	s_and_b64 s[34:35], s[12:13], s[18:19]
	s_and_saveexec_b64 s[28:29], s[34:35]
	s_cbranch_execnz .LBB179_127
.LBB179_105:
	s_or_b64 exec, exec, s[28:29]
	s_and_b64 s[34:35], s[14:15], s[18:19]
	s_and_saveexec_b64 s[28:29], s[34:35]
	s_cbranch_execnz .LBB179_131
.LBB179_106:
	s_or_b64 exec, exec, s[28:29]
	s_and_b64 s[28:29], s[16:17], s[18:19]
	s_and_saveexec_b64 s[18:19], s[28:29]
	s_cbranch_execnz .LBB179_135
	s_branch .LBB179_139
.LBB179_107:
	s_and_b64 vcc, exec, s[0:1]
	s_cbranch_vccnz .LBB179_109
; %bb.108:
	v_lshl_add_u64 v[20:21], v[0:1], 3, v[18:19]
	flat_load_dwordx2 v[20:21], v[20:21]
	s_waitcnt vmcnt(0) lgkmcnt(0)
	v_mul_f64 v[20:21], v[20:21], s[22:23]
	s_branch .LBB179_110
.LBB179_109:
	v_mov_b64_e32 v[20:21], 0
.LBB179_110:
	v_cvt_f32_f64_e32 v20, v[20:21]
	v_max_f32_e32 v21, v135, v135
	v_min_f32_e32 v20, v20, v21
	v_cvt_f64_f32_e32 v[20:21], v20
	v_lshl_add_u64 v[24:25], v[0:1], 3, v[16:17]
	global_store_dwordx2 v[24:25], v[20:21], off
	s_or_b64 exec, exec, s[28:29]
	s_and_b64 s[34:35], s[4:5], s[18:19]
	s_and_saveexec_b64 s[28:29], s[34:35]
	s_cbranch_execz .LBB179_101
.LBB179_111:
	s_and_b64 vcc, exec, s[0:1]
	s_cbranch_vccnz .LBB179_113
; %bb.112:
	v_lshl_add_u64 v[20:21], v[2:3], 3, v[18:19]
	flat_load_dwordx2 v[20:21], v[20:21]
	s_waitcnt vmcnt(0) lgkmcnt(0)
	v_mul_f64 v[20:21], v[20:21], s[22:23]
	s_branch .LBB179_114
.LBB179_113:
	v_mov_b64_e32 v[20:21], 0
.LBB179_114:
	v_cvt_f32_f64_e32 v20, v[20:21]
	v_max_f32_e32 v21, v134, v134
	v_min_f32_e32 v20, v20, v21
	v_cvt_f64_f32_e32 v[20:21], v20
	v_lshl_add_u64 v[24:25], v[2:3], 3, v[16:17]
	global_store_dwordx2 v[24:25], v[20:21], off
	s_or_b64 exec, exec, s[28:29]
	s_and_b64 s[34:35], s[6:7], s[18:19]
	s_and_saveexec_b64 s[28:29], s[34:35]
	s_cbranch_execz .LBB179_102
.LBB179_115:
	s_and_b64 vcc, exec, s[0:1]
	s_cbranch_vccnz .LBB179_117
; %bb.116:
	v_lshl_add_u64 v[20:21], v[4:5], 3, v[18:19]
	flat_load_dwordx2 v[20:21], v[20:21]
	s_waitcnt vmcnt(0) lgkmcnt(0)
	v_mul_f64 v[20:21], v[20:21], s[22:23]
	s_branch .LBB179_118
.LBB179_117:
	v_mov_b64_e32 v[20:21], 0
.LBB179_118:
	v_cvt_f32_f64_e32 v20, v[20:21]
	v_max_f32_e32 v21, v131, v131
	v_min_f32_e32 v20, v20, v21
	v_cvt_f64_f32_e32 v[20:21], v20
	v_lshl_add_u64 v[24:25], v[4:5], 3, v[16:17]
	global_store_dwordx2 v[24:25], v[20:21], off
	s_or_b64 exec, exec, s[28:29]
	s_and_b64 s[34:35], s[8:9], s[18:19]
	s_and_saveexec_b64 s[28:29], s[34:35]
	s_cbranch_execz .LBB179_103
.LBB179_119:
	s_and_b64 vcc, exec, s[0:1]
	s_cbranch_vccnz .LBB179_121
; %bb.120:
	v_lshl_add_u64 v[20:21], v[6:7], 3, v[18:19]
	flat_load_dwordx2 v[20:21], v[20:21]
	s_waitcnt vmcnt(0) lgkmcnt(0)
	v_mul_f64 v[20:21], v[20:21], s[22:23]
	s_branch .LBB179_122
.LBB179_121:
	v_mov_b64_e32 v[20:21], 0
.LBB179_122:
	v_cvt_f32_f64_e32 v20, v[20:21]
	v_max_f32_e32 v21, v130, v130
	v_min_f32_e32 v20, v20, v21
	v_cvt_f64_f32_e32 v[20:21], v20
	v_lshl_add_u64 v[24:25], v[6:7], 3, v[16:17]
	global_store_dwordx2 v[24:25], v[20:21], off
	s_or_b64 exec, exec, s[28:29]
	s_and_b64 s[34:35], s[10:11], s[18:19]
	s_and_saveexec_b64 s[28:29], s[34:35]
	s_cbranch_execz .LBB179_104
.LBB179_123:
	s_and_b64 vcc, exec, s[0:1]
	s_cbranch_vccnz .LBB179_125
; %bb.124:
	v_lshl_add_u64 v[20:21], v[8:9], 3, v[18:19]
	flat_load_dwordx2 v[20:21], v[20:21]
	s_waitcnt vmcnt(0) lgkmcnt(0)
	v_mul_f64 v[20:21], v[20:21], s[22:23]
	s_branch .LBB179_126
.LBB179_125:
	v_mov_b64_e32 v[20:21], 0
.LBB179_126:
	v_cvt_f32_f64_e32 v20, v[20:21]
	v_max_f32_e32 v21, v129, v129
	v_min_f32_e32 v20, v20, v21
	v_cvt_f64_f32_e32 v[20:21], v20
	v_lshl_add_u64 v[24:25], v[8:9], 3, v[16:17]
	global_store_dwordx2 v[24:25], v[20:21], off
	s_or_b64 exec, exec, s[28:29]
	s_and_b64 s[34:35], s[12:13], s[18:19]
	s_and_saveexec_b64 s[28:29], s[34:35]
	s_cbranch_execz .LBB179_105
.LBB179_127:
	s_and_b64 vcc, exec, s[0:1]
	s_cbranch_vccnz .LBB179_129
; %bb.128:
	v_lshl_add_u64 v[20:21], v[10:11], 3, v[18:19]
	flat_load_dwordx2 v[20:21], v[20:21]
	s_waitcnt vmcnt(0) lgkmcnt(0)
	v_mul_f64 v[20:21], v[20:21], s[22:23]
	s_branch .LBB179_130
.LBB179_129:
	v_mov_b64_e32 v[20:21], 0
.LBB179_130:
	v_cvt_f32_f64_e32 v20, v[20:21]
	v_max_f32_e32 v21, v128, v128
	v_min_f32_e32 v20, v20, v21
	v_cvt_f64_f32_e32 v[20:21], v20
	v_lshl_add_u64 v[24:25], v[10:11], 3, v[16:17]
	global_store_dwordx2 v[24:25], v[20:21], off
	s_or_b64 exec, exec, s[28:29]
	s_and_b64 s[34:35], s[14:15], s[18:19]
	s_and_saveexec_b64 s[28:29], s[34:35]
	s_cbranch_execz .LBB179_106
.LBB179_131:
	s_and_b64 vcc, exec, s[0:1]
	s_cbranch_vccnz .LBB179_133
; %bb.132:
	v_lshl_add_u64 v[20:21], v[12:13], 3, v[18:19]
	flat_load_dwordx2 v[20:21], v[20:21]
	s_waitcnt vmcnt(0) lgkmcnt(0)
	v_mul_f64 v[20:21], v[20:21], s[22:23]
	s_branch .LBB179_134
.LBB179_133:
	v_mov_b64_e32 v[20:21], 0
.LBB179_134:
	v_cvt_f32_f64_e32 v20, v[20:21]
	v_max_f32_e32 v21, v127, v127
	v_min_f32_e32 v20, v20, v21
	v_cvt_f64_f32_e32 v[20:21], v20
	v_lshl_add_u64 v[24:25], v[12:13], 3, v[16:17]
	global_store_dwordx2 v[24:25], v[20:21], off
	s_or_b64 exec, exec, s[28:29]
	s_and_b64 s[28:29], s[16:17], s[18:19]
	s_and_saveexec_b64 s[18:19], s[28:29]
	s_cbranch_execz .LBB179_139
.LBB179_135:
	s_and_b64 vcc, exec, s[0:1]
	s_cbranch_vccnz .LBB179_137
; %bb.136:
	v_lshl_add_u64 v[18:19], v[14:15], 3, v[18:19]
	flat_load_dwordx2 v[18:19], v[18:19]
	s_waitcnt vmcnt(0) lgkmcnt(0)
	v_mul_f64 v[18:19], v[18:19], s[22:23]
	s_branch .LBB179_138
.LBB179_137:
	v_mov_b64_e32 v[18:19], 0
.LBB179_138:
	v_cvt_f32_f64_e32 v18, v[18:19]
	v_max_f32_e32 v19, v126, v126
	v_min_f32_e32 v18, v18, v19
	v_cvt_f64_f32_e32 v[18:19], v18
	v_lshl_add_u64 v[16:17], v[14:15], 3, v[16:17]
	global_store_dwordx2 v[16:17], v[18:19], off
.LBB179_139:
	s_or_b64 exec, exec, s[18:19]
	v_add_u32_e32 v20, 64, v22
	v_mad_i64_i32 v[16:17], s[28:29], v20, s33, 0
	v_cmp_gt_i32_e64 s[18:19], s25, v20
	v_lshl_add_u64 v[18:19], v[16:17], 3, s[20:21]
	v_mad_i64_i32 v[16:17], s[28:29], v20, s30, 0
	v_lshl_add_u64 v[16:17], v[16:17], 3, s[26:27]
	s_and_b64 s[34:35], s[2:3], s[18:19]
	s_and_saveexec_b64 s[28:29], s[34:35]
	s_cbranch_execnz .LBB179_147
; %bb.140:
	s_or_b64 exec, exec, s[28:29]
	s_and_b64 s[34:35], s[4:5], s[18:19]
	s_and_saveexec_b64 s[28:29], s[34:35]
	s_cbranch_execnz .LBB179_151
.LBB179_141:
	s_or_b64 exec, exec, s[28:29]
	s_and_b64 s[34:35], s[6:7], s[18:19]
	s_and_saveexec_b64 s[28:29], s[34:35]
	s_cbranch_execnz .LBB179_155
.LBB179_142:
	s_or_b64 exec, exec, s[28:29]
	s_and_b64 s[34:35], s[8:9], s[18:19]
	s_and_saveexec_b64 s[28:29], s[34:35]
	s_cbranch_execnz .LBB179_159
.LBB179_143:
	s_or_b64 exec, exec, s[28:29]
	s_and_b64 s[34:35], s[10:11], s[18:19]
	s_and_saveexec_b64 s[28:29], s[34:35]
	s_cbranch_execnz .LBB179_163
.LBB179_144:
	s_or_b64 exec, exec, s[28:29]
	s_and_b64 s[34:35], s[12:13], s[18:19]
	s_and_saveexec_b64 s[28:29], s[34:35]
	s_cbranch_execnz .LBB179_167
.LBB179_145:
	s_or_b64 exec, exec, s[28:29]
	s_and_b64 s[34:35], s[14:15], s[18:19]
	s_and_saveexec_b64 s[28:29], s[34:35]
	s_cbranch_execnz .LBB179_171
.LBB179_146:
	s_or_b64 exec, exec, s[28:29]
	s_and_b64 s[28:29], s[16:17], s[18:19]
	s_and_saveexec_b64 s[18:19], s[28:29]
	s_cbranch_execnz .LBB179_175
	s_branch .LBB179_179
.LBB179_147:
	s_and_b64 vcc, exec, s[0:1]
	s_cbranch_vccnz .LBB179_149
; %bb.148:
	v_lshl_add_u64 v[20:21], v[0:1], 3, v[18:19]
	flat_load_dwordx2 v[20:21], v[20:21]
	s_waitcnt vmcnt(0) lgkmcnt(0)
	v_mul_f64 v[20:21], v[20:21], s[22:23]
	s_branch .LBB179_150
.LBB179_149:
	v_mov_b64_e32 v[20:21], 0
.LBB179_150:
	v_cvt_f32_f64_e32 v20, v[20:21]
	v_max_f32_e32 v21, v125, v125
	v_min_f32_e32 v20, v20, v21
	v_cvt_f64_f32_e32 v[20:21], v20
	v_lshl_add_u64 v[24:25], v[0:1], 3, v[16:17]
	global_store_dwordx2 v[24:25], v[20:21], off
	s_or_b64 exec, exec, s[28:29]
	s_and_b64 s[34:35], s[4:5], s[18:19]
	s_and_saveexec_b64 s[28:29], s[34:35]
	s_cbranch_execz .LBB179_141
.LBB179_151:
	s_and_b64 vcc, exec, s[0:1]
	s_cbranch_vccnz .LBB179_153
; %bb.152:
	v_lshl_add_u64 v[20:21], v[2:3], 3, v[18:19]
	flat_load_dwordx2 v[20:21], v[20:21]
	s_waitcnt vmcnt(0) lgkmcnt(0)
	v_mul_f64 v[20:21], v[20:21], s[22:23]
	s_branch .LBB179_154
.LBB179_153:
	v_mov_b64_e32 v[20:21], 0
.LBB179_154:
	v_cvt_f32_f64_e32 v20, v[20:21]
	v_max_f32_e32 v21, v124, v124
	v_min_f32_e32 v20, v20, v21
	v_cvt_f64_f32_e32 v[20:21], v20
	v_lshl_add_u64 v[24:25], v[2:3], 3, v[16:17]
	global_store_dwordx2 v[24:25], v[20:21], off
	s_or_b64 exec, exec, s[28:29]
	s_and_b64 s[34:35], s[6:7], s[18:19]
	s_and_saveexec_b64 s[28:29], s[34:35]
	s_cbranch_execz .LBB179_142
.LBB179_155:
	s_and_b64 vcc, exec, s[0:1]
	s_cbranch_vccnz .LBB179_157
; %bb.156:
	v_lshl_add_u64 v[20:21], v[4:5], 3, v[18:19]
	flat_load_dwordx2 v[20:21], v[20:21]
	s_waitcnt vmcnt(0) lgkmcnt(0)
	v_mul_f64 v[20:21], v[20:21], s[22:23]
	s_branch .LBB179_158
.LBB179_157:
	v_mov_b64_e32 v[20:21], 0
.LBB179_158:
	v_cvt_f32_f64_e32 v20, v[20:21]
	v_max_f32_e32 v21, v123, v123
	v_min_f32_e32 v20, v20, v21
	v_cvt_f64_f32_e32 v[20:21], v20
	v_lshl_add_u64 v[24:25], v[4:5], 3, v[16:17]
	global_store_dwordx2 v[24:25], v[20:21], off
	s_or_b64 exec, exec, s[28:29]
	s_and_b64 s[34:35], s[8:9], s[18:19]
	s_and_saveexec_b64 s[28:29], s[34:35]
	s_cbranch_execz .LBB179_143
.LBB179_159:
	s_and_b64 vcc, exec, s[0:1]
	s_cbranch_vccnz .LBB179_161
; %bb.160:
	v_lshl_add_u64 v[20:21], v[6:7], 3, v[18:19]
	flat_load_dwordx2 v[20:21], v[20:21]
	s_waitcnt vmcnt(0) lgkmcnt(0)
	v_mul_f64 v[20:21], v[20:21], s[22:23]
	s_branch .LBB179_162
.LBB179_161:
	v_mov_b64_e32 v[20:21], 0
.LBB179_162:
	v_cvt_f32_f64_e32 v20, v[20:21]
	v_max_f32_e32 v21, v122, v122
	v_min_f32_e32 v20, v20, v21
	v_cvt_f64_f32_e32 v[20:21], v20
	v_lshl_add_u64 v[24:25], v[6:7], 3, v[16:17]
	global_store_dwordx2 v[24:25], v[20:21], off
	s_or_b64 exec, exec, s[28:29]
	s_and_b64 s[34:35], s[10:11], s[18:19]
	s_and_saveexec_b64 s[28:29], s[34:35]
	s_cbranch_execz .LBB179_144
.LBB179_163:
	s_and_b64 vcc, exec, s[0:1]
	s_cbranch_vccnz .LBB179_165
; %bb.164:
	v_lshl_add_u64 v[20:21], v[8:9], 3, v[18:19]
	flat_load_dwordx2 v[20:21], v[20:21]
	s_waitcnt vmcnt(0) lgkmcnt(0)
	v_mul_f64 v[20:21], v[20:21], s[22:23]
	s_branch .LBB179_166
.LBB179_165:
	v_mov_b64_e32 v[20:21], 0
.LBB179_166:
	v_cvt_f32_f64_e32 v20, v[20:21]
	v_max_f32_e32 v21, v121, v121
	v_min_f32_e32 v20, v20, v21
	v_cvt_f64_f32_e32 v[20:21], v20
	v_lshl_add_u64 v[24:25], v[8:9], 3, v[16:17]
	global_store_dwordx2 v[24:25], v[20:21], off
	s_or_b64 exec, exec, s[28:29]
	s_and_b64 s[34:35], s[12:13], s[18:19]
	s_and_saveexec_b64 s[28:29], s[34:35]
	s_cbranch_execz .LBB179_145
.LBB179_167:
	s_and_b64 vcc, exec, s[0:1]
	s_cbranch_vccnz .LBB179_169
; %bb.168:
	v_lshl_add_u64 v[20:21], v[10:11], 3, v[18:19]
	flat_load_dwordx2 v[20:21], v[20:21]
	s_waitcnt vmcnt(0) lgkmcnt(0)
	v_mul_f64 v[20:21], v[20:21], s[22:23]
	s_branch .LBB179_170
.LBB179_169:
	v_mov_b64_e32 v[20:21], 0
.LBB179_170:
	v_cvt_f32_f64_e32 v20, v[20:21]
	v_max_f32_e32 v21, v120, v120
	v_min_f32_e32 v20, v20, v21
	v_cvt_f64_f32_e32 v[20:21], v20
	v_lshl_add_u64 v[24:25], v[10:11], 3, v[16:17]
	global_store_dwordx2 v[24:25], v[20:21], off
	s_or_b64 exec, exec, s[28:29]
	s_and_b64 s[34:35], s[14:15], s[18:19]
	s_and_saveexec_b64 s[28:29], s[34:35]
	s_cbranch_execz .LBB179_146
.LBB179_171:
	s_and_b64 vcc, exec, s[0:1]
	s_cbranch_vccnz .LBB179_173
; %bb.172:
	v_lshl_add_u64 v[20:21], v[12:13], 3, v[18:19]
	flat_load_dwordx2 v[20:21], v[20:21]
	s_waitcnt vmcnt(0) lgkmcnt(0)
	v_mul_f64 v[20:21], v[20:21], s[22:23]
	s_branch .LBB179_174
.LBB179_173:
	v_mov_b64_e32 v[20:21], 0
.LBB179_174:
	v_cvt_f32_f64_e32 v20, v[20:21]
	v_max_f32_e32 v21, v119, v119
	v_min_f32_e32 v20, v20, v21
	v_cvt_f64_f32_e32 v[20:21], v20
	v_lshl_add_u64 v[24:25], v[12:13], 3, v[16:17]
	global_store_dwordx2 v[24:25], v[20:21], off
	s_or_b64 exec, exec, s[28:29]
	s_and_b64 s[28:29], s[16:17], s[18:19]
	s_and_saveexec_b64 s[18:19], s[28:29]
	s_cbranch_execz .LBB179_179
.LBB179_175:
	s_and_b64 vcc, exec, s[0:1]
	s_cbranch_vccnz .LBB179_177
; %bb.176:
	v_lshl_add_u64 v[18:19], v[14:15], 3, v[18:19]
	flat_load_dwordx2 v[18:19], v[18:19]
	s_waitcnt vmcnt(0) lgkmcnt(0)
	v_mul_f64 v[18:19], v[18:19], s[22:23]
	s_branch .LBB179_178
.LBB179_177:
	v_mov_b64_e32 v[18:19], 0
.LBB179_178:
	v_cvt_f32_f64_e32 v18, v[18:19]
	v_max_f32_e32 v19, v118, v118
	v_min_f32_e32 v18, v18, v19
	v_cvt_f64_f32_e32 v[18:19], v18
	v_lshl_add_u64 v[16:17], v[14:15], 3, v[16:17]
	global_store_dwordx2 v[16:17], v[18:19], off
.LBB179_179:
	s_or_b64 exec, exec, s[18:19]
	v_add_u32_e32 v20, 0x60, v22
	v_mad_i64_i32 v[16:17], s[28:29], v20, s33, 0
	v_cmp_gt_i32_e64 s[18:19], s25, v20
	v_lshl_add_u64 v[18:19], v[16:17], 3, s[20:21]
	v_mad_i64_i32 v[16:17], s[28:29], v20, s30, 0
	v_lshl_add_u64 v[16:17], v[16:17], 3, s[26:27]
	s_and_b64 s[34:35], s[2:3], s[18:19]
	s_and_saveexec_b64 s[28:29], s[34:35]
	s_cbranch_execnz .LBB179_187
; %bb.180:
	s_or_b64 exec, exec, s[28:29]
	s_and_b64 s[34:35], s[4:5], s[18:19]
	s_and_saveexec_b64 s[28:29], s[34:35]
	s_cbranch_execnz .LBB179_191
.LBB179_181:
	s_or_b64 exec, exec, s[28:29]
	s_and_b64 s[34:35], s[6:7], s[18:19]
	s_and_saveexec_b64 s[28:29], s[34:35]
	s_cbranch_execnz .LBB179_195
.LBB179_182:
	s_or_b64 exec, exec, s[28:29]
	s_and_b64 s[34:35], s[8:9], s[18:19]
	s_and_saveexec_b64 s[28:29], s[34:35]
	s_cbranch_execnz .LBB179_199
.LBB179_183:
	s_or_b64 exec, exec, s[28:29]
	s_and_b64 s[34:35], s[10:11], s[18:19]
	s_and_saveexec_b64 s[28:29], s[34:35]
	s_cbranch_execnz .LBB179_203
.LBB179_184:
	s_or_b64 exec, exec, s[28:29]
	s_and_b64 s[34:35], s[12:13], s[18:19]
	s_and_saveexec_b64 s[28:29], s[34:35]
	s_cbranch_execnz .LBB179_207
.LBB179_185:
	s_or_b64 exec, exec, s[28:29]
	s_and_b64 s[34:35], s[14:15], s[18:19]
	s_and_saveexec_b64 s[28:29], s[34:35]
	s_cbranch_execnz .LBB179_211
.LBB179_186:
	s_or_b64 exec, exec, s[28:29]
	s_and_b64 s[28:29], s[16:17], s[18:19]
	s_and_saveexec_b64 s[18:19], s[28:29]
	s_cbranch_execnz .LBB179_215
	s_branch .LBB179_219
.LBB179_187:
	s_and_b64 vcc, exec, s[0:1]
	s_cbranch_vccnz .LBB179_189
; %bb.188:
	v_lshl_add_u64 v[20:21], v[0:1], 3, v[18:19]
	flat_load_dwordx2 v[20:21], v[20:21]
	s_waitcnt vmcnt(0) lgkmcnt(0)
	v_mul_f64 v[20:21], v[20:21], s[22:23]
	s_branch .LBB179_190
.LBB179_189:
	v_mov_b64_e32 v[20:21], 0
.LBB179_190:
	v_cvt_f32_f64_e32 v20, v[20:21]
	v_max_f32_e32 v21, v117, v117
	v_min_f32_e32 v20, v20, v21
	v_cvt_f64_f32_e32 v[20:21], v20
	v_lshl_add_u64 v[24:25], v[0:1], 3, v[16:17]
	global_store_dwordx2 v[24:25], v[20:21], off
	s_or_b64 exec, exec, s[28:29]
	s_and_b64 s[34:35], s[4:5], s[18:19]
	s_and_saveexec_b64 s[28:29], s[34:35]
	s_cbranch_execz .LBB179_181
.LBB179_191:
	s_and_b64 vcc, exec, s[0:1]
	s_cbranch_vccnz .LBB179_193
; %bb.192:
	v_lshl_add_u64 v[20:21], v[2:3], 3, v[18:19]
	flat_load_dwordx2 v[20:21], v[20:21]
	s_waitcnt vmcnt(0) lgkmcnt(0)
	v_mul_f64 v[20:21], v[20:21], s[22:23]
	s_branch .LBB179_194
.LBB179_193:
	v_mov_b64_e32 v[20:21], 0
.LBB179_194:
	v_cvt_f32_f64_e32 v20, v[20:21]
	v_max_f32_e32 v21, v116, v116
	v_min_f32_e32 v20, v20, v21
	v_cvt_f64_f32_e32 v[20:21], v20
	v_lshl_add_u64 v[24:25], v[2:3], 3, v[16:17]
	global_store_dwordx2 v[24:25], v[20:21], off
	s_or_b64 exec, exec, s[28:29]
	s_and_b64 s[34:35], s[6:7], s[18:19]
	s_and_saveexec_b64 s[28:29], s[34:35]
	s_cbranch_execz .LBB179_182
.LBB179_195:
	s_and_b64 vcc, exec, s[0:1]
	s_cbranch_vccnz .LBB179_197
; %bb.196:
	v_lshl_add_u64 v[20:21], v[4:5], 3, v[18:19]
	flat_load_dwordx2 v[20:21], v[20:21]
	s_waitcnt vmcnt(0) lgkmcnt(0)
	v_mul_f64 v[20:21], v[20:21], s[22:23]
	s_branch .LBB179_198
.LBB179_197:
	v_mov_b64_e32 v[20:21], 0
.LBB179_198:
	v_cvt_f32_f64_e32 v20, v[20:21]
	v_max_f32_e32 v21, v115, v115
	v_min_f32_e32 v20, v20, v21
	v_cvt_f64_f32_e32 v[20:21], v20
	v_lshl_add_u64 v[24:25], v[4:5], 3, v[16:17]
	global_store_dwordx2 v[24:25], v[20:21], off
	s_or_b64 exec, exec, s[28:29]
	s_and_b64 s[34:35], s[8:9], s[18:19]
	s_and_saveexec_b64 s[28:29], s[34:35]
	s_cbranch_execz .LBB179_183
.LBB179_199:
	s_and_b64 vcc, exec, s[0:1]
	s_cbranch_vccnz .LBB179_201
; %bb.200:
	v_lshl_add_u64 v[20:21], v[6:7], 3, v[18:19]
	flat_load_dwordx2 v[20:21], v[20:21]
	s_waitcnt vmcnt(0) lgkmcnt(0)
	v_mul_f64 v[20:21], v[20:21], s[22:23]
	s_branch .LBB179_202
.LBB179_201:
	v_mov_b64_e32 v[20:21], 0
.LBB179_202:
	v_cvt_f32_f64_e32 v20, v[20:21]
	v_max_f32_e32 v21, v114, v114
	v_min_f32_e32 v20, v20, v21
	v_cvt_f64_f32_e32 v[20:21], v20
	v_lshl_add_u64 v[24:25], v[6:7], 3, v[16:17]
	global_store_dwordx2 v[24:25], v[20:21], off
	s_or_b64 exec, exec, s[28:29]
	s_and_b64 s[34:35], s[10:11], s[18:19]
	s_and_saveexec_b64 s[28:29], s[34:35]
	s_cbranch_execz .LBB179_184
.LBB179_203:
	s_and_b64 vcc, exec, s[0:1]
	s_cbranch_vccnz .LBB179_205
; %bb.204:
	v_lshl_add_u64 v[20:21], v[8:9], 3, v[18:19]
	flat_load_dwordx2 v[20:21], v[20:21]
	s_waitcnt vmcnt(0) lgkmcnt(0)
	v_mul_f64 v[20:21], v[20:21], s[22:23]
	s_branch .LBB179_206
.LBB179_205:
	v_mov_b64_e32 v[20:21], 0
.LBB179_206:
	v_cvt_f32_f64_e32 v20, v[20:21]
	v_max_f32_e32 v21, v113, v113
	v_min_f32_e32 v20, v20, v21
	v_cvt_f64_f32_e32 v[20:21], v20
	v_lshl_add_u64 v[24:25], v[8:9], 3, v[16:17]
	global_store_dwordx2 v[24:25], v[20:21], off
	s_or_b64 exec, exec, s[28:29]
	s_and_b64 s[34:35], s[12:13], s[18:19]
	s_and_saveexec_b64 s[28:29], s[34:35]
	s_cbranch_execz .LBB179_185
.LBB179_207:
	s_and_b64 vcc, exec, s[0:1]
	s_cbranch_vccnz .LBB179_209
; %bb.208:
	v_lshl_add_u64 v[20:21], v[10:11], 3, v[18:19]
	flat_load_dwordx2 v[20:21], v[20:21]
	s_waitcnt vmcnt(0) lgkmcnt(0)
	v_mul_f64 v[20:21], v[20:21], s[22:23]
	s_branch .LBB179_210
.LBB179_209:
	v_mov_b64_e32 v[20:21], 0
.LBB179_210:
	v_cvt_f32_f64_e32 v20, v[20:21]
	v_max_f32_e32 v21, v112, v112
	v_min_f32_e32 v20, v20, v21
	v_cvt_f64_f32_e32 v[20:21], v20
	v_lshl_add_u64 v[24:25], v[10:11], 3, v[16:17]
	global_store_dwordx2 v[24:25], v[20:21], off
	s_or_b64 exec, exec, s[28:29]
	s_and_b64 s[34:35], s[14:15], s[18:19]
	s_and_saveexec_b64 s[28:29], s[34:35]
	s_cbranch_execz .LBB179_186
.LBB179_211:
	s_and_b64 vcc, exec, s[0:1]
	s_cbranch_vccnz .LBB179_213
; %bb.212:
	v_lshl_add_u64 v[20:21], v[12:13], 3, v[18:19]
	flat_load_dwordx2 v[20:21], v[20:21]
	s_waitcnt vmcnt(0) lgkmcnt(0)
	v_mul_f64 v[20:21], v[20:21], s[22:23]
	s_branch .LBB179_214
.LBB179_213:
	v_mov_b64_e32 v[20:21], 0
.LBB179_214:
	v_cvt_f32_f64_e32 v20, v[20:21]
	v_max_f32_e32 v21, v111, v111
	v_min_f32_e32 v20, v20, v21
	v_cvt_f64_f32_e32 v[20:21], v20
	v_lshl_add_u64 v[24:25], v[12:13], 3, v[16:17]
	global_store_dwordx2 v[24:25], v[20:21], off
	s_or_b64 exec, exec, s[28:29]
	s_and_b64 s[28:29], s[16:17], s[18:19]
	s_and_saveexec_b64 s[18:19], s[28:29]
	s_cbranch_execz .LBB179_219
.LBB179_215:
	s_and_b64 vcc, exec, s[0:1]
	s_cbranch_vccnz .LBB179_217
; %bb.216:
	v_lshl_add_u64 v[18:19], v[14:15], 3, v[18:19]
	flat_load_dwordx2 v[18:19], v[18:19]
	s_waitcnt vmcnt(0) lgkmcnt(0)
	v_mul_f64 v[18:19], v[18:19], s[22:23]
	s_branch .LBB179_218
.LBB179_217:
	v_mov_b64_e32 v[18:19], 0
.LBB179_218:
	v_cvt_f32_f64_e32 v18, v[18:19]
	v_max_f32_e32 v19, v110, v110
	v_min_f32_e32 v18, v18, v19
	v_cvt_f64_f32_e32 v[18:19], v18
	v_lshl_add_u64 v[16:17], v[14:15], 3, v[16:17]
	global_store_dwordx2 v[16:17], v[18:19], off
.LBB179_219:
	s_or_b64 exec, exec, s[18:19]
	v_add_u32_e32 v20, 0x80, v22
	v_mad_i64_i32 v[16:17], s[28:29], v20, s33, 0
	v_cmp_gt_i32_e64 s[18:19], s25, v20
	v_lshl_add_u64 v[18:19], v[16:17], 3, s[20:21]
	v_mad_i64_i32 v[16:17], s[28:29], v20, s30, 0
	v_lshl_add_u64 v[16:17], v[16:17], 3, s[26:27]
	s_and_b64 s[34:35], s[2:3], s[18:19]
	s_and_saveexec_b64 s[28:29], s[34:35]
	s_cbranch_execnz .LBB179_227
; %bb.220:
	s_or_b64 exec, exec, s[28:29]
	s_and_b64 s[34:35], s[4:5], s[18:19]
	s_and_saveexec_b64 s[28:29], s[34:35]
	s_cbranch_execnz .LBB179_231
.LBB179_221:
	s_or_b64 exec, exec, s[28:29]
	s_and_b64 s[34:35], s[6:7], s[18:19]
	s_and_saveexec_b64 s[28:29], s[34:35]
	s_cbranch_execnz .LBB179_235
.LBB179_222:
	s_or_b64 exec, exec, s[28:29]
	s_and_b64 s[34:35], s[8:9], s[18:19]
	s_and_saveexec_b64 s[28:29], s[34:35]
	s_cbranch_execnz .LBB179_239
.LBB179_223:
	s_or_b64 exec, exec, s[28:29]
	s_and_b64 s[34:35], s[10:11], s[18:19]
	s_and_saveexec_b64 s[28:29], s[34:35]
	s_cbranch_execnz .LBB179_243
.LBB179_224:
	s_or_b64 exec, exec, s[28:29]
	s_and_b64 s[34:35], s[12:13], s[18:19]
	s_and_saveexec_b64 s[28:29], s[34:35]
	s_cbranch_execnz .LBB179_247
.LBB179_225:
	s_or_b64 exec, exec, s[28:29]
	s_and_b64 s[34:35], s[14:15], s[18:19]
	s_and_saveexec_b64 s[28:29], s[34:35]
	s_cbranch_execnz .LBB179_251
.LBB179_226:
	s_or_b64 exec, exec, s[28:29]
	s_and_b64 s[28:29], s[16:17], s[18:19]
	s_and_saveexec_b64 s[18:19], s[28:29]
	s_cbranch_execnz .LBB179_255
	s_branch .LBB179_259
.LBB179_227:
	s_and_b64 vcc, exec, s[0:1]
	s_cbranch_vccnz .LBB179_229
; %bb.228:
	v_lshl_add_u64 v[20:21], v[0:1], 3, v[18:19]
	flat_load_dwordx2 v[20:21], v[20:21]
	s_waitcnt vmcnt(0) lgkmcnt(0)
	v_mul_f64 v[20:21], v[20:21], s[22:23]
	s_branch .LBB179_230
.LBB179_229:
	v_mov_b64_e32 v[20:21], 0
.LBB179_230:
	v_cvt_f32_f64_e32 v20, v[20:21]
	v_max_f32_e32 v21, v109, v109
	v_min_f32_e32 v20, v20, v21
	v_cvt_f64_f32_e32 v[20:21], v20
	v_lshl_add_u64 v[24:25], v[0:1], 3, v[16:17]
	global_store_dwordx2 v[24:25], v[20:21], off
	s_or_b64 exec, exec, s[28:29]
	s_and_b64 s[34:35], s[4:5], s[18:19]
	s_and_saveexec_b64 s[28:29], s[34:35]
	s_cbranch_execz .LBB179_221
.LBB179_231:
	s_and_b64 vcc, exec, s[0:1]
	s_cbranch_vccnz .LBB179_233
; %bb.232:
	v_lshl_add_u64 v[20:21], v[2:3], 3, v[18:19]
	flat_load_dwordx2 v[20:21], v[20:21]
	s_waitcnt vmcnt(0) lgkmcnt(0)
	v_mul_f64 v[20:21], v[20:21], s[22:23]
	s_branch .LBB179_234
.LBB179_233:
	v_mov_b64_e32 v[20:21], 0
.LBB179_234:
	v_cvt_f32_f64_e32 v20, v[20:21]
	v_max_f32_e32 v21, v108, v108
	v_min_f32_e32 v20, v20, v21
	v_cvt_f64_f32_e32 v[20:21], v20
	v_lshl_add_u64 v[24:25], v[2:3], 3, v[16:17]
	global_store_dwordx2 v[24:25], v[20:21], off
	s_or_b64 exec, exec, s[28:29]
	s_and_b64 s[34:35], s[6:7], s[18:19]
	s_and_saveexec_b64 s[28:29], s[34:35]
	s_cbranch_execz .LBB179_222
.LBB179_235:
	s_and_b64 vcc, exec, s[0:1]
	s_cbranch_vccnz .LBB179_237
; %bb.236:
	v_lshl_add_u64 v[20:21], v[4:5], 3, v[18:19]
	flat_load_dwordx2 v[20:21], v[20:21]
	s_waitcnt vmcnt(0) lgkmcnt(0)
	v_mul_f64 v[20:21], v[20:21], s[22:23]
	s_branch .LBB179_238
.LBB179_237:
	v_mov_b64_e32 v[20:21], 0
.LBB179_238:
	v_cvt_f32_f64_e32 v20, v[20:21]
	v_max_f32_e32 v21, v107, v107
	v_min_f32_e32 v20, v20, v21
	v_cvt_f64_f32_e32 v[20:21], v20
	v_lshl_add_u64 v[24:25], v[4:5], 3, v[16:17]
	global_store_dwordx2 v[24:25], v[20:21], off
	s_or_b64 exec, exec, s[28:29]
	s_and_b64 s[34:35], s[8:9], s[18:19]
	s_and_saveexec_b64 s[28:29], s[34:35]
	s_cbranch_execz .LBB179_223
.LBB179_239:
	s_and_b64 vcc, exec, s[0:1]
	s_cbranch_vccnz .LBB179_241
; %bb.240:
	v_lshl_add_u64 v[20:21], v[6:7], 3, v[18:19]
	flat_load_dwordx2 v[20:21], v[20:21]
	s_waitcnt vmcnt(0) lgkmcnt(0)
	v_mul_f64 v[20:21], v[20:21], s[22:23]
	s_branch .LBB179_242
.LBB179_241:
	v_mov_b64_e32 v[20:21], 0
.LBB179_242:
	v_cvt_f32_f64_e32 v20, v[20:21]
	v_max_f32_e32 v21, v106, v106
	v_min_f32_e32 v20, v20, v21
	v_cvt_f64_f32_e32 v[20:21], v20
	v_lshl_add_u64 v[24:25], v[6:7], 3, v[16:17]
	global_store_dwordx2 v[24:25], v[20:21], off
	s_or_b64 exec, exec, s[28:29]
	s_and_b64 s[34:35], s[10:11], s[18:19]
	s_and_saveexec_b64 s[28:29], s[34:35]
	s_cbranch_execz .LBB179_224
.LBB179_243:
	s_and_b64 vcc, exec, s[0:1]
	s_cbranch_vccnz .LBB179_245
; %bb.244:
	v_lshl_add_u64 v[20:21], v[8:9], 3, v[18:19]
	flat_load_dwordx2 v[20:21], v[20:21]
	s_waitcnt vmcnt(0) lgkmcnt(0)
	v_mul_f64 v[20:21], v[20:21], s[22:23]
	s_branch .LBB179_246
.LBB179_245:
	v_mov_b64_e32 v[20:21], 0
.LBB179_246:
	v_cvt_f32_f64_e32 v20, v[20:21]
	v_max_f32_e32 v21, v105, v105
	v_min_f32_e32 v20, v20, v21
	v_cvt_f64_f32_e32 v[20:21], v20
	v_lshl_add_u64 v[24:25], v[8:9], 3, v[16:17]
	global_store_dwordx2 v[24:25], v[20:21], off
	s_or_b64 exec, exec, s[28:29]
	s_and_b64 s[34:35], s[12:13], s[18:19]
	s_and_saveexec_b64 s[28:29], s[34:35]
	s_cbranch_execz .LBB179_225
.LBB179_247:
	s_and_b64 vcc, exec, s[0:1]
	s_cbranch_vccnz .LBB179_249
; %bb.248:
	v_lshl_add_u64 v[20:21], v[10:11], 3, v[18:19]
	flat_load_dwordx2 v[20:21], v[20:21]
	s_waitcnt vmcnt(0) lgkmcnt(0)
	v_mul_f64 v[20:21], v[20:21], s[22:23]
	s_branch .LBB179_250
.LBB179_249:
	v_mov_b64_e32 v[20:21], 0
.LBB179_250:
	v_cvt_f32_f64_e32 v20, v[20:21]
	v_max_f32_e32 v21, v104, v104
	v_min_f32_e32 v20, v20, v21
	v_cvt_f64_f32_e32 v[20:21], v20
	v_lshl_add_u64 v[24:25], v[10:11], 3, v[16:17]
	global_store_dwordx2 v[24:25], v[20:21], off
	s_or_b64 exec, exec, s[28:29]
	s_and_b64 s[34:35], s[14:15], s[18:19]
	s_and_saveexec_b64 s[28:29], s[34:35]
	s_cbranch_execz .LBB179_226
.LBB179_251:
	s_and_b64 vcc, exec, s[0:1]
	s_cbranch_vccnz .LBB179_253
; %bb.252:
	v_lshl_add_u64 v[20:21], v[12:13], 3, v[18:19]
	flat_load_dwordx2 v[20:21], v[20:21]
	s_waitcnt vmcnt(0) lgkmcnt(0)
	v_mul_f64 v[20:21], v[20:21], s[22:23]
	s_branch .LBB179_254
.LBB179_253:
	v_mov_b64_e32 v[20:21], 0
.LBB179_254:
	v_cvt_f32_f64_e32 v20, v[20:21]
	v_max_f32_e32 v21, v103, v103
	v_min_f32_e32 v20, v20, v21
	v_cvt_f64_f32_e32 v[20:21], v20
	v_lshl_add_u64 v[24:25], v[12:13], 3, v[16:17]
	global_store_dwordx2 v[24:25], v[20:21], off
	s_or_b64 exec, exec, s[28:29]
	s_and_b64 s[28:29], s[16:17], s[18:19]
	s_and_saveexec_b64 s[18:19], s[28:29]
	s_cbranch_execz .LBB179_259
.LBB179_255:
	s_and_b64 vcc, exec, s[0:1]
	s_cbranch_vccnz .LBB179_257
; %bb.256:
	v_lshl_add_u64 v[18:19], v[14:15], 3, v[18:19]
	flat_load_dwordx2 v[18:19], v[18:19]
	s_waitcnt vmcnt(0) lgkmcnt(0)
	v_mul_f64 v[18:19], v[18:19], s[22:23]
	s_branch .LBB179_258
.LBB179_257:
	v_mov_b64_e32 v[18:19], 0
.LBB179_258:
	v_cvt_f32_f64_e32 v18, v[18:19]
	v_max_f32_e32 v19, v102, v102
	v_min_f32_e32 v18, v18, v19
	v_cvt_f64_f32_e32 v[18:19], v18
	v_lshl_add_u64 v[16:17], v[14:15], 3, v[16:17]
	global_store_dwordx2 v[16:17], v[18:19], off
.LBB179_259:
	s_or_b64 exec, exec, s[18:19]
	v_add_u32_e32 v20, 0xa0, v22
	v_mad_i64_i32 v[16:17], s[28:29], v20, s33, 0
	v_cmp_gt_i32_e64 s[18:19], s25, v20
	v_lshl_add_u64 v[18:19], v[16:17], 3, s[20:21]
	v_mad_i64_i32 v[16:17], s[28:29], v20, s30, 0
	v_lshl_add_u64 v[16:17], v[16:17], 3, s[26:27]
	s_and_b64 s[34:35], s[2:3], s[18:19]
	s_and_saveexec_b64 s[28:29], s[34:35]
	s_cbranch_execnz .LBB179_267
; %bb.260:
	s_or_b64 exec, exec, s[28:29]
	s_and_b64 s[34:35], s[4:5], s[18:19]
	s_and_saveexec_b64 s[28:29], s[34:35]
	s_cbranch_execnz .LBB179_271
.LBB179_261:
	s_or_b64 exec, exec, s[28:29]
	s_and_b64 s[34:35], s[6:7], s[18:19]
	s_and_saveexec_b64 s[28:29], s[34:35]
	s_cbranch_execnz .LBB179_275
.LBB179_262:
	s_or_b64 exec, exec, s[28:29]
	s_and_b64 s[34:35], s[8:9], s[18:19]
	s_and_saveexec_b64 s[28:29], s[34:35]
	s_cbranch_execnz .LBB179_279
.LBB179_263:
	s_or_b64 exec, exec, s[28:29]
	s_and_b64 s[34:35], s[10:11], s[18:19]
	s_and_saveexec_b64 s[28:29], s[34:35]
	s_cbranch_execnz .LBB179_283
.LBB179_264:
	s_or_b64 exec, exec, s[28:29]
	s_and_b64 s[34:35], s[12:13], s[18:19]
	s_and_saveexec_b64 s[28:29], s[34:35]
	s_cbranch_execnz .LBB179_287
.LBB179_265:
	s_or_b64 exec, exec, s[28:29]
	s_and_b64 s[34:35], s[14:15], s[18:19]
	s_and_saveexec_b64 s[28:29], s[34:35]
	s_cbranch_execnz .LBB179_291
.LBB179_266:
	s_or_b64 exec, exec, s[28:29]
	s_and_b64 s[28:29], s[16:17], s[18:19]
	s_and_saveexec_b64 s[18:19], s[28:29]
	s_cbranch_execnz .LBB179_295
	s_branch .LBB179_299
.LBB179_267:
	s_and_b64 vcc, exec, s[0:1]
	s_cbranch_vccnz .LBB179_269
; %bb.268:
	v_lshl_add_u64 v[20:21], v[0:1], 3, v[18:19]
	flat_load_dwordx2 v[20:21], v[20:21]
	s_waitcnt vmcnt(0) lgkmcnt(0)
	v_mul_f64 v[20:21], v[20:21], s[22:23]
	s_branch .LBB179_270
.LBB179_269:
	v_mov_b64_e32 v[20:21], 0
.LBB179_270:
	v_cvt_f32_f64_e32 v20, v[20:21]
	v_max_f32_e32 v21, v101, v101
	v_min_f32_e32 v20, v20, v21
	v_cvt_f64_f32_e32 v[20:21], v20
	v_lshl_add_u64 v[24:25], v[0:1], 3, v[16:17]
	global_store_dwordx2 v[24:25], v[20:21], off
	s_or_b64 exec, exec, s[28:29]
	s_and_b64 s[34:35], s[4:5], s[18:19]
	s_and_saveexec_b64 s[28:29], s[34:35]
	s_cbranch_execz .LBB179_261
.LBB179_271:
	s_and_b64 vcc, exec, s[0:1]
	s_cbranch_vccnz .LBB179_273
; %bb.272:
	v_lshl_add_u64 v[20:21], v[2:3], 3, v[18:19]
	flat_load_dwordx2 v[20:21], v[20:21]
	s_waitcnt vmcnt(0) lgkmcnt(0)
	v_mul_f64 v[20:21], v[20:21], s[22:23]
	s_branch .LBB179_274
.LBB179_273:
	v_mov_b64_e32 v[20:21], 0
.LBB179_274:
	v_cvt_f32_f64_e32 v20, v[20:21]
	v_max_f32_e32 v21, v100, v100
	v_min_f32_e32 v20, v20, v21
	v_cvt_f64_f32_e32 v[20:21], v20
	v_lshl_add_u64 v[24:25], v[2:3], 3, v[16:17]
	global_store_dwordx2 v[24:25], v[20:21], off
	s_or_b64 exec, exec, s[28:29]
	s_and_b64 s[34:35], s[6:7], s[18:19]
	s_and_saveexec_b64 s[28:29], s[34:35]
	s_cbranch_execz .LBB179_262
.LBB179_275:
	s_and_b64 vcc, exec, s[0:1]
	s_cbranch_vccnz .LBB179_277
; %bb.276:
	v_lshl_add_u64 v[20:21], v[4:5], 3, v[18:19]
	flat_load_dwordx2 v[20:21], v[20:21]
	s_waitcnt vmcnt(0) lgkmcnt(0)
	v_mul_f64 v[20:21], v[20:21], s[22:23]
	s_branch .LBB179_278
.LBB179_277:
	v_mov_b64_e32 v[20:21], 0
.LBB179_278:
	v_cvt_f32_f64_e32 v20, v[20:21]
	v_max_f32_e32 v21, v99, v99
	v_min_f32_e32 v20, v20, v21
	v_cvt_f64_f32_e32 v[20:21], v20
	v_lshl_add_u64 v[24:25], v[4:5], 3, v[16:17]
	global_store_dwordx2 v[24:25], v[20:21], off
	s_or_b64 exec, exec, s[28:29]
	s_and_b64 s[34:35], s[8:9], s[18:19]
	s_and_saveexec_b64 s[28:29], s[34:35]
	s_cbranch_execz .LBB179_263
.LBB179_279:
	s_and_b64 vcc, exec, s[0:1]
	s_cbranch_vccnz .LBB179_281
; %bb.280:
	v_lshl_add_u64 v[20:21], v[6:7], 3, v[18:19]
	flat_load_dwordx2 v[20:21], v[20:21]
	s_waitcnt vmcnt(0) lgkmcnt(0)
	v_mul_f64 v[20:21], v[20:21], s[22:23]
	s_branch .LBB179_282
.LBB179_281:
	v_mov_b64_e32 v[20:21], 0
.LBB179_282:
	v_cvt_f32_f64_e32 v20, v[20:21]
	v_max_f32_e32 v21, v98, v98
	v_min_f32_e32 v20, v20, v21
	v_cvt_f64_f32_e32 v[20:21], v20
	v_lshl_add_u64 v[24:25], v[6:7], 3, v[16:17]
	global_store_dwordx2 v[24:25], v[20:21], off
	s_or_b64 exec, exec, s[28:29]
	s_and_b64 s[34:35], s[10:11], s[18:19]
	s_and_saveexec_b64 s[28:29], s[34:35]
	s_cbranch_execz .LBB179_264
.LBB179_283:
	s_and_b64 vcc, exec, s[0:1]
	s_cbranch_vccnz .LBB179_285
; %bb.284:
	v_lshl_add_u64 v[20:21], v[8:9], 3, v[18:19]
	flat_load_dwordx2 v[20:21], v[20:21]
	s_waitcnt vmcnt(0) lgkmcnt(0)
	v_mul_f64 v[20:21], v[20:21], s[22:23]
	s_branch .LBB179_286
.LBB179_285:
	v_mov_b64_e32 v[20:21], 0
.LBB179_286:
	v_cvt_f32_f64_e32 v20, v[20:21]
	v_max_f32_e32 v21, v97, v97
	v_min_f32_e32 v20, v20, v21
	v_cvt_f64_f32_e32 v[20:21], v20
	v_lshl_add_u64 v[24:25], v[8:9], 3, v[16:17]
	global_store_dwordx2 v[24:25], v[20:21], off
	s_or_b64 exec, exec, s[28:29]
	s_and_b64 s[34:35], s[12:13], s[18:19]
	s_and_saveexec_b64 s[28:29], s[34:35]
	s_cbranch_execz .LBB179_265
.LBB179_287:
	s_and_b64 vcc, exec, s[0:1]
	s_cbranch_vccnz .LBB179_289
; %bb.288:
	v_lshl_add_u64 v[20:21], v[10:11], 3, v[18:19]
	flat_load_dwordx2 v[20:21], v[20:21]
	s_waitcnt vmcnt(0) lgkmcnt(0)
	v_mul_f64 v[20:21], v[20:21], s[22:23]
	s_branch .LBB179_290
.LBB179_289:
	v_mov_b64_e32 v[20:21], 0
.LBB179_290:
	v_cvt_f32_f64_e32 v20, v[20:21]
	v_max_f32_e32 v21, v96, v96
	v_min_f32_e32 v20, v20, v21
	v_cvt_f64_f32_e32 v[20:21], v20
	v_lshl_add_u64 v[24:25], v[10:11], 3, v[16:17]
	global_store_dwordx2 v[24:25], v[20:21], off
	s_or_b64 exec, exec, s[28:29]
	s_and_b64 s[34:35], s[14:15], s[18:19]
	s_and_saveexec_b64 s[28:29], s[34:35]
	s_cbranch_execz .LBB179_266
.LBB179_291:
	s_and_b64 vcc, exec, s[0:1]
	s_cbranch_vccnz .LBB179_293
; %bb.292:
	v_lshl_add_u64 v[20:21], v[12:13], 3, v[18:19]
	flat_load_dwordx2 v[20:21], v[20:21]
	s_waitcnt vmcnt(0) lgkmcnt(0)
	v_mul_f64 v[20:21], v[20:21], s[22:23]
	s_branch .LBB179_294
.LBB179_293:
	v_mov_b64_e32 v[20:21], 0
.LBB179_294:
	v_cvt_f32_f64_e32 v20, v[20:21]
	v_max_f32_e32 v21, v95, v95
	v_min_f32_e32 v20, v20, v21
	v_cvt_f64_f32_e32 v[20:21], v20
	v_lshl_add_u64 v[24:25], v[12:13], 3, v[16:17]
	global_store_dwordx2 v[24:25], v[20:21], off
	s_or_b64 exec, exec, s[28:29]
	s_and_b64 s[28:29], s[16:17], s[18:19]
	s_and_saveexec_b64 s[18:19], s[28:29]
	s_cbranch_execz .LBB179_299
.LBB179_295:
	s_and_b64 vcc, exec, s[0:1]
	s_cbranch_vccnz .LBB179_297
; %bb.296:
	v_lshl_add_u64 v[18:19], v[14:15], 3, v[18:19]
	flat_load_dwordx2 v[18:19], v[18:19]
	s_waitcnt vmcnt(0) lgkmcnt(0)
	v_mul_f64 v[18:19], v[18:19], s[22:23]
	s_branch .LBB179_298
.LBB179_297:
	v_mov_b64_e32 v[18:19], 0
.LBB179_298:
	v_cvt_f32_f64_e32 v18, v[18:19]
	v_max_f32_e32 v19, v94, v94
	v_min_f32_e32 v18, v18, v19
	v_cvt_f64_f32_e32 v[18:19], v18
	v_lshl_add_u64 v[16:17], v[14:15], 3, v[16:17]
	global_store_dwordx2 v[16:17], v[18:19], off
.LBB179_299:
	s_or_b64 exec, exec, s[18:19]
	v_add_u32_e32 v20, 0xc0, v22
	v_mad_i64_i32 v[16:17], s[28:29], v20, s33, 0
	v_cmp_gt_i32_e64 s[18:19], s25, v20
	v_lshl_add_u64 v[18:19], v[16:17], 3, s[20:21]
	v_mad_i64_i32 v[16:17], s[28:29], v20, s30, 0
	v_lshl_add_u64 v[16:17], v[16:17], 3, s[26:27]
	s_and_b64 s[34:35], s[2:3], s[18:19]
	s_and_saveexec_b64 s[28:29], s[34:35]
	s_cbranch_execnz .LBB179_307
; %bb.300:
	s_or_b64 exec, exec, s[28:29]
	s_and_b64 s[34:35], s[4:5], s[18:19]
	s_and_saveexec_b64 s[28:29], s[34:35]
	s_cbranch_execnz .LBB179_311
.LBB179_301:
	s_or_b64 exec, exec, s[28:29]
	s_and_b64 s[34:35], s[6:7], s[18:19]
	s_and_saveexec_b64 s[28:29], s[34:35]
	s_cbranch_execnz .LBB179_315
.LBB179_302:
	s_or_b64 exec, exec, s[28:29]
	s_and_b64 s[34:35], s[8:9], s[18:19]
	s_and_saveexec_b64 s[28:29], s[34:35]
	s_cbranch_execnz .LBB179_319
.LBB179_303:
	s_or_b64 exec, exec, s[28:29]
	s_and_b64 s[34:35], s[10:11], s[18:19]
	s_and_saveexec_b64 s[28:29], s[34:35]
	s_cbranch_execnz .LBB179_323
.LBB179_304:
	s_or_b64 exec, exec, s[28:29]
	s_and_b64 s[34:35], s[12:13], s[18:19]
	s_and_saveexec_b64 s[28:29], s[34:35]
	s_cbranch_execnz .LBB179_327
.LBB179_305:
	s_or_b64 exec, exec, s[28:29]
	s_and_b64 s[34:35], s[14:15], s[18:19]
	s_and_saveexec_b64 s[28:29], s[34:35]
	s_cbranch_execnz .LBB179_331
.LBB179_306:
	s_or_b64 exec, exec, s[28:29]
	s_and_b64 s[28:29], s[16:17], s[18:19]
	s_and_saveexec_b64 s[18:19], s[28:29]
	s_cbranch_execnz .LBB179_335
	s_branch .LBB179_339
.LBB179_307:
	s_and_b64 vcc, exec, s[0:1]
	s_cbranch_vccnz .LBB179_309
; %bb.308:
	v_lshl_add_u64 v[20:21], v[0:1], 3, v[18:19]
	flat_load_dwordx2 v[20:21], v[20:21]
	s_waitcnt vmcnt(0) lgkmcnt(0)
	v_mul_f64 v[20:21], v[20:21], s[22:23]
	s_branch .LBB179_310
.LBB179_309:
	v_mov_b64_e32 v[20:21], 0
.LBB179_310:
	v_cvt_f32_f64_e32 v20, v[20:21]
	v_max_f32_e32 v21, v93, v93
	v_min_f32_e32 v20, v20, v21
	v_cvt_f64_f32_e32 v[20:21], v20
	v_lshl_add_u64 v[24:25], v[0:1], 3, v[16:17]
	global_store_dwordx2 v[24:25], v[20:21], off
	s_or_b64 exec, exec, s[28:29]
	s_and_b64 s[34:35], s[4:5], s[18:19]
	s_and_saveexec_b64 s[28:29], s[34:35]
	s_cbranch_execz .LBB179_301
.LBB179_311:
	s_and_b64 vcc, exec, s[0:1]
	s_cbranch_vccnz .LBB179_313
; %bb.312:
	v_lshl_add_u64 v[20:21], v[2:3], 3, v[18:19]
	flat_load_dwordx2 v[20:21], v[20:21]
	s_waitcnt vmcnt(0) lgkmcnt(0)
	v_mul_f64 v[20:21], v[20:21], s[22:23]
	s_branch .LBB179_314
.LBB179_313:
	v_mov_b64_e32 v[20:21], 0
.LBB179_314:
	v_cvt_f32_f64_e32 v20, v[20:21]
	v_max_f32_e32 v21, v92, v92
	v_min_f32_e32 v20, v20, v21
	v_cvt_f64_f32_e32 v[20:21], v20
	v_lshl_add_u64 v[24:25], v[2:3], 3, v[16:17]
	global_store_dwordx2 v[24:25], v[20:21], off
	s_or_b64 exec, exec, s[28:29]
	s_and_b64 s[34:35], s[6:7], s[18:19]
	s_and_saveexec_b64 s[28:29], s[34:35]
	s_cbranch_execz .LBB179_302
.LBB179_315:
	s_and_b64 vcc, exec, s[0:1]
	s_cbranch_vccnz .LBB179_317
; %bb.316:
	v_lshl_add_u64 v[20:21], v[4:5], 3, v[18:19]
	flat_load_dwordx2 v[20:21], v[20:21]
	s_waitcnt vmcnt(0) lgkmcnt(0)
	v_mul_f64 v[20:21], v[20:21], s[22:23]
	s_branch .LBB179_318
.LBB179_317:
	v_mov_b64_e32 v[20:21], 0
.LBB179_318:
	v_cvt_f32_f64_e32 v20, v[20:21]
	v_max_f32_e32 v21, v91, v91
	v_min_f32_e32 v20, v20, v21
	v_cvt_f64_f32_e32 v[20:21], v20
	v_lshl_add_u64 v[24:25], v[4:5], 3, v[16:17]
	global_store_dwordx2 v[24:25], v[20:21], off
	s_or_b64 exec, exec, s[28:29]
	s_and_b64 s[34:35], s[8:9], s[18:19]
	s_and_saveexec_b64 s[28:29], s[34:35]
	s_cbranch_execz .LBB179_303
.LBB179_319:
	s_and_b64 vcc, exec, s[0:1]
	s_cbranch_vccnz .LBB179_321
; %bb.320:
	v_lshl_add_u64 v[20:21], v[6:7], 3, v[18:19]
	flat_load_dwordx2 v[20:21], v[20:21]
	s_waitcnt vmcnt(0) lgkmcnt(0)
	v_mul_f64 v[20:21], v[20:21], s[22:23]
	s_branch .LBB179_322
.LBB179_321:
	v_mov_b64_e32 v[20:21], 0
.LBB179_322:
	v_cvt_f32_f64_e32 v20, v[20:21]
	v_max_f32_e32 v21, v90, v90
	v_min_f32_e32 v20, v20, v21
	v_cvt_f64_f32_e32 v[20:21], v20
	v_lshl_add_u64 v[24:25], v[6:7], 3, v[16:17]
	global_store_dwordx2 v[24:25], v[20:21], off
	s_or_b64 exec, exec, s[28:29]
	s_and_b64 s[34:35], s[10:11], s[18:19]
	s_and_saveexec_b64 s[28:29], s[34:35]
	s_cbranch_execz .LBB179_304
.LBB179_323:
	s_and_b64 vcc, exec, s[0:1]
	s_cbranch_vccnz .LBB179_325
; %bb.324:
	v_lshl_add_u64 v[20:21], v[8:9], 3, v[18:19]
	flat_load_dwordx2 v[20:21], v[20:21]
	s_waitcnt vmcnt(0) lgkmcnt(0)
	v_mul_f64 v[20:21], v[20:21], s[22:23]
	s_branch .LBB179_326
.LBB179_325:
	v_mov_b64_e32 v[20:21], 0
.LBB179_326:
	v_cvt_f32_f64_e32 v20, v[20:21]
	v_max_f32_e32 v21, v89, v89
	v_min_f32_e32 v20, v20, v21
	v_cvt_f64_f32_e32 v[20:21], v20
	v_lshl_add_u64 v[24:25], v[8:9], 3, v[16:17]
	global_store_dwordx2 v[24:25], v[20:21], off
	s_or_b64 exec, exec, s[28:29]
	s_and_b64 s[34:35], s[12:13], s[18:19]
	s_and_saveexec_b64 s[28:29], s[34:35]
	s_cbranch_execz .LBB179_305
.LBB179_327:
	s_and_b64 vcc, exec, s[0:1]
	s_cbranch_vccnz .LBB179_329
; %bb.328:
	v_lshl_add_u64 v[20:21], v[10:11], 3, v[18:19]
	flat_load_dwordx2 v[20:21], v[20:21]
	s_waitcnt vmcnt(0) lgkmcnt(0)
	v_mul_f64 v[20:21], v[20:21], s[22:23]
	s_branch .LBB179_330
.LBB179_329:
	v_mov_b64_e32 v[20:21], 0
.LBB179_330:
	v_cvt_f32_f64_e32 v20, v[20:21]
	v_max_f32_e32 v21, v88, v88
	v_min_f32_e32 v20, v20, v21
	v_cvt_f64_f32_e32 v[20:21], v20
	v_lshl_add_u64 v[24:25], v[10:11], 3, v[16:17]
	global_store_dwordx2 v[24:25], v[20:21], off
	s_or_b64 exec, exec, s[28:29]
	s_and_b64 s[34:35], s[14:15], s[18:19]
	s_and_saveexec_b64 s[28:29], s[34:35]
	s_cbranch_execz .LBB179_306
.LBB179_331:
	s_and_b64 vcc, exec, s[0:1]
	s_cbranch_vccnz .LBB179_333
; %bb.332:
	v_lshl_add_u64 v[20:21], v[12:13], 3, v[18:19]
	flat_load_dwordx2 v[20:21], v[20:21]
	s_waitcnt vmcnt(0) lgkmcnt(0)
	v_mul_f64 v[20:21], v[20:21], s[22:23]
	s_branch .LBB179_334
.LBB179_333:
	v_mov_b64_e32 v[20:21], 0
.LBB179_334:
	v_cvt_f32_f64_e32 v20, v[20:21]
	v_max_f32_e32 v21, v87, v87
	v_min_f32_e32 v20, v20, v21
	v_cvt_f64_f32_e32 v[20:21], v20
	v_lshl_add_u64 v[24:25], v[12:13], 3, v[16:17]
	global_store_dwordx2 v[24:25], v[20:21], off
	s_or_b64 exec, exec, s[28:29]
	s_and_b64 s[28:29], s[16:17], s[18:19]
	s_and_saveexec_b64 s[18:19], s[28:29]
	s_cbranch_execz .LBB179_339
.LBB179_335:
	s_and_b64 vcc, exec, s[0:1]
	s_cbranch_vccnz .LBB179_337
; %bb.336:
	v_lshl_add_u64 v[18:19], v[14:15], 3, v[18:19]
	flat_load_dwordx2 v[18:19], v[18:19]
	s_waitcnt vmcnt(0) lgkmcnt(0)
	v_mul_f64 v[18:19], v[18:19], s[22:23]
	s_branch .LBB179_338
.LBB179_337:
	v_mov_b64_e32 v[18:19], 0
.LBB179_338:
	v_cvt_f32_f64_e32 v18, v[18:19]
	v_max_f32_e32 v19, v86, v86
	v_min_f32_e32 v18, v18, v19
	v_cvt_f64_f32_e32 v[18:19], v18
	v_lshl_add_u64 v[16:17], v[14:15], 3, v[16:17]
	global_store_dwordx2 v[16:17], v[18:19], off
.LBB179_339:
	s_or_b64 exec, exec, s[18:19]
	v_add_u32_e32 v20, 0xe0, v22
	v_cmp_gt_i32_e64 s[18:19], s25, v20
	v_mad_i64_i32 v[16:17], s[24:25], v20, s33, 0
	v_lshl_add_u64 v[18:19], v[16:17], 3, s[20:21]
	v_mad_i64_i32 v[16:17], s[20:21], v20, s30, 0
	v_lshl_add_u64 v[16:17], v[16:17], 3, s[26:27]
	s_and_b64 s[20:21], s[2:3], s[18:19]
	s_and_saveexec_b64 s[2:3], s[20:21]
	s_cbranch_execnz .LBB179_348
; %bb.340:
	s_or_b64 exec, exec, s[2:3]
	s_and_b64 s[4:5], s[4:5], s[18:19]
	s_and_saveexec_b64 s[2:3], s[4:5]
	s_cbranch_execnz .LBB179_352
.LBB179_341:
	s_or_b64 exec, exec, s[2:3]
	s_and_b64 s[4:5], s[6:7], s[18:19]
	s_and_saveexec_b64 s[2:3], s[4:5]
	s_cbranch_execnz .LBB179_356
.LBB179_342:
	s_or_b64 exec, exec, s[2:3]
	s_and_b64 s[4:5], s[8:9], s[18:19]
	s_and_saveexec_b64 s[2:3], s[4:5]
	s_cbranch_execnz .LBB179_360
.LBB179_343:
	s_or_b64 exec, exec, s[2:3]
	s_and_b64 s[4:5], s[10:11], s[18:19]
	s_and_saveexec_b64 s[2:3], s[4:5]
	s_cbranch_execnz .LBB179_364
.LBB179_344:
	s_or_b64 exec, exec, s[2:3]
	s_and_b64 s[4:5], s[12:13], s[18:19]
	s_and_saveexec_b64 s[2:3], s[4:5]
	s_cbranch_execnz .LBB179_368
.LBB179_345:
	s_or_b64 exec, exec, s[2:3]
	s_and_b64 s[4:5], s[14:15], s[18:19]
	s_and_saveexec_b64 s[2:3], s[4:5]
	s_cbranch_execnz .LBB179_372
.LBB179_346:
	s_or_b64 exec, exec, s[2:3]
	s_and_b64 s[2:3], s[16:17], s[18:19]
	s_and_saveexec_b64 s[4:5], s[2:3]
	s_cbranch_execnz .LBB179_376
.LBB179_347:
	s_endpgm
.LBB179_348:
	s_and_b64 vcc, exec, s[0:1]
	s_cbranch_vccnz .LBB179_350
; %bb.349:
	v_lshl_add_u64 v[20:21], v[0:1], 3, v[18:19]
	flat_load_dwordx2 v[20:21], v[20:21]
	s_waitcnt vmcnt(0) lgkmcnt(0)
	v_mul_f64 v[20:21], v[20:21], s[22:23]
	v_cvt_f32_f64_e32 v20, v[20:21]
	s_branch .LBB179_351
.LBB179_350:
	v_mov_b32_e32 v20, 0
.LBB179_351:
	v_max_f32_e32 v21, v85, v85
	v_max_f32_e32 v20, v20, v20
	v_min_f32_e32 v20, v20, v21
	v_cvt_f64_f32_e32 v[20:21], v20
	v_lshl_add_u64 v[0:1], v[0:1], 3, v[16:17]
	global_store_dwordx2 v[0:1], v[20:21], off
	s_or_b64 exec, exec, s[2:3]
	s_and_b64 s[4:5], s[4:5], s[18:19]
	s_and_saveexec_b64 s[2:3], s[4:5]
	s_cbranch_execz .LBB179_341
.LBB179_352:
	s_and_b64 vcc, exec, s[0:1]
	s_cbranch_vccnz .LBB179_354
; %bb.353:
	v_lshl_add_u64 v[0:1], v[2:3], 3, v[18:19]
	flat_load_dwordx2 v[0:1], v[0:1]
	s_waitcnt vmcnt(0) lgkmcnt(0)
	v_mul_f64 v[0:1], v[0:1], s[22:23]
	v_cvt_f32_f64_e32 v0, v[0:1]
	s_branch .LBB179_355
.LBB179_354:
	v_mov_b32_e32 v0, 0
.LBB179_355:
	v_max_f32_e32 v1, v84, v84
	v_max_f32_e32 v0, v0, v0
	v_min_f32_e32 v0, v0, v1
	v_cvt_f64_f32_e32 v[0:1], v0
	v_lshl_add_u64 v[2:3], v[2:3], 3, v[16:17]
	global_store_dwordx2 v[2:3], v[0:1], off
	s_or_b64 exec, exec, s[2:3]
	s_and_b64 s[4:5], s[6:7], s[18:19]
	s_and_saveexec_b64 s[2:3], s[4:5]
	s_cbranch_execz .LBB179_342
.LBB179_356:
	s_and_b64 vcc, exec, s[0:1]
	s_cbranch_vccnz .LBB179_358
; %bb.357:
	v_lshl_add_u64 v[0:1], v[4:5], 3, v[18:19]
	flat_load_dwordx2 v[0:1], v[0:1]
	s_waitcnt vmcnt(0) lgkmcnt(0)
	v_mul_f64 v[0:1], v[0:1], s[22:23]
	v_cvt_f32_f64_e32 v0, v[0:1]
	s_branch .LBB179_359
.LBB179_358:
	v_mov_b32_e32 v0, 0
.LBB179_359:
	v_max_f32_e32 v1, v83, v83
	v_max_f32_e32 v0, v0, v0
	v_min_f32_e32 v0, v0, v1
	v_cvt_f64_f32_e32 v[0:1], v0
	v_lshl_add_u64 v[2:3], v[4:5], 3, v[16:17]
	global_store_dwordx2 v[2:3], v[0:1], off
	s_or_b64 exec, exec, s[2:3]
	s_and_b64 s[4:5], s[8:9], s[18:19]
	s_and_saveexec_b64 s[2:3], s[4:5]
	s_cbranch_execz .LBB179_343
.LBB179_360:
	s_and_b64 vcc, exec, s[0:1]
	s_cbranch_vccnz .LBB179_362
; %bb.361:
	v_lshl_add_u64 v[0:1], v[6:7], 3, v[18:19]
	flat_load_dwordx2 v[0:1], v[0:1]
	s_waitcnt vmcnt(0) lgkmcnt(0)
	v_mul_f64 v[0:1], v[0:1], s[22:23]
	v_cvt_f32_f64_e32 v0, v[0:1]
	s_branch .LBB179_363
.LBB179_362:
	v_mov_b32_e32 v0, 0
.LBB179_363:
	v_max_f32_e32 v1, v82, v82
	v_max_f32_e32 v0, v0, v0
	v_min_f32_e32 v0, v0, v1
	v_cvt_f64_f32_e32 v[0:1], v0
	v_lshl_add_u64 v[2:3], v[6:7], 3, v[16:17]
	global_store_dwordx2 v[2:3], v[0:1], off
	s_or_b64 exec, exec, s[2:3]
	s_and_b64 s[4:5], s[10:11], s[18:19]
	s_and_saveexec_b64 s[2:3], s[4:5]
	s_cbranch_execz .LBB179_344
.LBB179_364:
	s_and_b64 vcc, exec, s[0:1]
	s_cbranch_vccnz .LBB179_366
; %bb.365:
	v_lshl_add_u64 v[0:1], v[8:9], 3, v[18:19]
	flat_load_dwordx2 v[0:1], v[0:1]
	s_waitcnt vmcnt(0) lgkmcnt(0)
	v_mul_f64 v[0:1], v[0:1], s[22:23]
	v_cvt_f32_f64_e32 v0, v[0:1]
	s_branch .LBB179_367
.LBB179_366:
	v_mov_b32_e32 v0, 0
.LBB179_367:
	v_max_f32_e32 v1, v81, v81
	v_max_f32_e32 v0, v0, v0
	v_min_f32_e32 v0, v0, v1
	v_cvt_f64_f32_e32 v[0:1], v0
	v_lshl_add_u64 v[2:3], v[8:9], 3, v[16:17]
	global_store_dwordx2 v[2:3], v[0:1], off
	s_or_b64 exec, exec, s[2:3]
	s_and_b64 s[4:5], s[12:13], s[18:19]
	s_and_saveexec_b64 s[2:3], s[4:5]
	s_cbranch_execz .LBB179_345
.LBB179_368:
	s_and_b64 vcc, exec, s[0:1]
	s_cbranch_vccnz .LBB179_370
; %bb.369:
	v_lshl_add_u64 v[0:1], v[10:11], 3, v[18:19]
	flat_load_dwordx2 v[0:1], v[0:1]
	s_waitcnt vmcnt(0) lgkmcnt(0)
	v_mul_f64 v[0:1], v[0:1], s[22:23]
	v_cvt_f32_f64_e32 v0, v[0:1]
	s_branch .LBB179_371
.LBB179_370:
	v_mov_b32_e32 v0, 0
.LBB179_371:
	v_max_f32_e32 v1, v80, v80
	v_max_f32_e32 v0, v0, v0
	v_min_f32_e32 v0, v0, v1
	v_cvt_f64_f32_e32 v[0:1], v0
	v_lshl_add_u64 v[2:3], v[10:11], 3, v[16:17]
	global_store_dwordx2 v[2:3], v[0:1], off
	s_or_b64 exec, exec, s[2:3]
	s_and_b64 s[4:5], s[14:15], s[18:19]
	s_and_saveexec_b64 s[2:3], s[4:5]
	s_cbranch_execz .LBB179_346
.LBB179_372:
	s_and_b64 vcc, exec, s[0:1]
	s_cbranch_vccnz .LBB179_374
; %bb.373:
	v_lshl_add_u64 v[0:1], v[12:13], 3, v[18:19]
	flat_load_dwordx2 v[0:1], v[0:1]
	s_waitcnt vmcnt(0) lgkmcnt(0)
	v_mul_f64 v[0:1], v[0:1], s[22:23]
	v_cvt_f32_f64_e32 v0, v[0:1]
	s_branch .LBB179_375
.LBB179_374:
	v_mov_b32_e32 v0, 0
.LBB179_375:
	v_max_f32_e32 v1, v79, v79
	v_max_f32_e32 v0, v0, v0
	v_min_f32_e32 v0, v0, v1
	v_cvt_f64_f32_e32 v[0:1], v0
	v_lshl_add_u64 v[2:3], v[12:13], 3, v[16:17]
	global_store_dwordx2 v[2:3], v[0:1], off
	s_or_b64 exec, exec, s[2:3]
	s_and_b64 s[2:3], s[16:17], s[18:19]
	s_and_saveexec_b64 s[4:5], s[2:3]
	s_cbranch_execz .LBB179_347
.LBB179_376:
	s_and_b64 vcc, exec, s[0:1]
	s_cbranch_vccnz .LBB179_378
; %bb.377:
	v_lshl_add_u64 v[0:1], v[14:15], 3, v[18:19]
	flat_load_dwordx2 v[0:1], v[0:1]
	s_waitcnt vmcnt(0) lgkmcnt(0)
	v_mul_f64 v[0:1], v[0:1], s[22:23]
	v_cvt_f32_f64_e32 v0, v[0:1]
	s_branch .LBB179_379
.LBB179_378:
	v_mov_b32_e32 v0, 0
.LBB179_379:
	v_max_f32_e32 v1, v78, v78
	v_max_f32_e32 v0, v0, v0
	v_min_f32_e32 v0, v0, v1
	v_cvt_f64_f32_e32 v[0:1], v0
	v_lshl_add_u64 v[2:3], v[14:15], 3, v[16:17]
	global_store_dwordx2 v[2:3], v[0:1], off
	s_endpgm
	.section	.rodata,"a",@progbits
	.p2align	6, 0x0
	.amdhsa_kernel _ZN12_GLOBAL__N_120geam_min_plus_kernelId15HIP_vector_typeIdLj2EEdLi8ELi32ELi64ELi256ELi4ELi4ELi64ELi64ELi4ELc84ELc84ELb0ELb1ELb1EdKddEEviiiT16_PT17_ilS6_ilS4_S6_ilPT18_ili26rocblas_geam_ex_operation_
		.amdhsa_group_segment_fixed_size 20480
		.amdhsa_private_segment_fixed_size 0
		.amdhsa_kernarg_size 136
		.amdhsa_user_sgpr_count 2
		.amdhsa_user_sgpr_dispatch_ptr 0
		.amdhsa_user_sgpr_queue_ptr 0
		.amdhsa_user_sgpr_kernarg_segment_ptr 1
		.amdhsa_user_sgpr_dispatch_id 0
		.amdhsa_user_sgpr_kernarg_preload_length 0
		.amdhsa_user_sgpr_kernarg_preload_offset 0
		.amdhsa_user_sgpr_private_segment_size 0
		.amdhsa_uses_dynamic_stack 0
		.amdhsa_enable_private_segment 0
		.amdhsa_system_sgpr_workgroup_id_x 1
		.amdhsa_system_sgpr_workgroup_id_y 0
		.amdhsa_system_sgpr_workgroup_id_z 1
		.amdhsa_system_sgpr_workgroup_info 0
		.amdhsa_system_vgpr_workitem_id 1
		.amdhsa_next_free_vgpr 160
		.amdhsa_next_free_sgpr 46
		.amdhsa_accum_offset 160
		.amdhsa_reserve_vcc 1
		.amdhsa_float_round_mode_32 0
		.amdhsa_float_round_mode_16_64 0
		.amdhsa_float_denorm_mode_32 3
		.amdhsa_float_denorm_mode_16_64 3
		.amdhsa_dx10_clamp 1
		.amdhsa_ieee_mode 1
		.amdhsa_fp16_overflow 0
		.amdhsa_tg_split 0
		.amdhsa_exception_fp_ieee_invalid_op 0
		.amdhsa_exception_fp_denorm_src 0
		.amdhsa_exception_fp_ieee_div_zero 0
		.amdhsa_exception_fp_ieee_overflow 0
		.amdhsa_exception_fp_ieee_underflow 0
		.amdhsa_exception_fp_ieee_inexact 0
		.amdhsa_exception_int_div_zero 0
	.end_amdhsa_kernel
	.section	.text._ZN12_GLOBAL__N_120geam_min_plus_kernelId15HIP_vector_typeIdLj2EEdLi8ELi32ELi64ELi256ELi4ELi4ELi64ELi64ELi4ELc84ELc84ELb0ELb1ELb1EdKddEEviiiT16_PT17_ilS6_ilS4_S6_ilPT18_ili26rocblas_geam_ex_operation_,"axG",@progbits,_ZN12_GLOBAL__N_120geam_min_plus_kernelId15HIP_vector_typeIdLj2EEdLi8ELi32ELi64ELi256ELi4ELi4ELi64ELi64ELi4ELc84ELc84ELb0ELb1ELb1EdKddEEviiiT16_PT17_ilS6_ilS4_S6_ilPT18_ili26rocblas_geam_ex_operation_,comdat
.Lfunc_end179:
	.size	_ZN12_GLOBAL__N_120geam_min_plus_kernelId15HIP_vector_typeIdLj2EEdLi8ELi32ELi64ELi256ELi4ELi4ELi64ELi64ELi4ELc84ELc84ELb0ELb1ELb1EdKddEEviiiT16_PT17_ilS6_ilS4_S6_ilPT18_ili26rocblas_geam_ex_operation_, .Lfunc_end179-_ZN12_GLOBAL__N_120geam_min_plus_kernelId15HIP_vector_typeIdLj2EEdLi8ELi32ELi64ELi256ELi4ELi4ELi64ELi64ELi4ELc84ELc84ELb0ELb1ELb1EdKddEEviiiT16_PT17_ilS6_ilS4_S6_ilPT18_ili26rocblas_geam_ex_operation_
                                        ; -- End function
	.section	.AMDGPU.csdata,"",@progbits
; Kernel info:
; codeLenInByte = 19132
; NumSgprs: 52
; NumVgprs: 160
; NumAgprs: 0
; TotalNumVgprs: 160
; ScratchSize: 0
; MemoryBound: 0
; FloatMode: 240
; IeeeMode: 1
; LDSByteSize: 20480 bytes/workgroup (compile time only)
; SGPRBlocks: 6
; VGPRBlocks: 19
; NumSGPRsForWavesPerEU: 52
; NumVGPRsForWavesPerEU: 160
; AccumOffset: 160
; Occupancy: 3
; WaveLimiterHint : 0
; COMPUTE_PGM_RSRC2:SCRATCH_EN: 0
; COMPUTE_PGM_RSRC2:USER_SGPR: 2
; COMPUTE_PGM_RSRC2:TRAP_HANDLER: 0
; COMPUTE_PGM_RSRC2:TGID_X_EN: 1
; COMPUTE_PGM_RSRC2:TGID_Y_EN: 0
; COMPUTE_PGM_RSRC2:TGID_Z_EN: 1
; COMPUTE_PGM_RSRC2:TIDIG_COMP_CNT: 1
; COMPUTE_PGM_RSRC3_GFX90A:ACCUM_OFFSET: 39
; COMPUTE_PGM_RSRC3_GFX90A:TG_SPLIT: 0
	.section	.text._ZN12_GLOBAL__N_120geam_min_plus_kernelIdddLi4ELi64ELi128ELi128ELi4ELi64ELi4ELi4ELi64ELc78ELc78ELb0ELb0ELb0EPKdS1_dEEviiiT16_PT17_ilS5_ilS3_S5_ilPT18_ili26rocblas_geam_ex_operation_,"axG",@progbits,_ZN12_GLOBAL__N_120geam_min_plus_kernelIdddLi4ELi64ELi128ELi128ELi4ELi64ELi4ELi4ELi64ELc78ELc78ELb0ELb0ELb0EPKdS1_dEEviiiT16_PT17_ilS5_ilS3_S5_ilPT18_ili26rocblas_geam_ex_operation_,comdat
	.globl	_ZN12_GLOBAL__N_120geam_min_plus_kernelIdddLi4ELi64ELi128ELi128ELi4ELi64ELi4ELi4ELi64ELc78ELc78ELb0ELb0ELb0EPKdS1_dEEviiiT16_PT17_ilS5_ilS3_S5_ilPT18_ili26rocblas_geam_ex_operation_ ; -- Begin function _ZN12_GLOBAL__N_120geam_min_plus_kernelIdddLi4ELi64ELi128ELi128ELi4ELi64ELi4ELi4ELi64ELc78ELc78ELb0ELb0ELb0EPKdS1_dEEviiiT16_PT17_ilS5_ilS3_S5_ilPT18_ili26rocblas_geam_ex_operation_
	.p2align	8
	.type	_ZN12_GLOBAL__N_120geam_min_plus_kernelIdddLi4ELi64ELi128ELi128ELi4ELi64ELi4ELi4ELi64ELc78ELc78ELb0ELb0ELb0EPKdS1_dEEviiiT16_PT17_ilS5_ilS3_S5_ilPT18_ili26rocblas_geam_ex_operation_,@function
_ZN12_GLOBAL__N_120geam_min_plus_kernelIdddLi4ELi64ELi128ELi128ELi4ELi64ELi4ELi4ELi64ELc78ELc78ELb0ELb0ELb0EPKdS1_dEEviiiT16_PT17_ilS5_ilS3_S5_ilPT18_ili26rocblas_geam_ex_operation_: ; @_ZN12_GLOBAL__N_120geam_min_plus_kernelIdddLi4ELi64ELi128ELi128ELi4ELi64ELi4ELi4ELi64ELc78ELc78ELb0ELb0ELb0EPKdS1_dEEviiiT16_PT17_ilS5_ilS3_S5_ilPT18_ili26rocblas_geam_ex_operation_
; %bb.0:
	s_load_dwordx4 s[12:15], s[0:1], 0x10
	s_load_dwordx4 s[4:7], s[0:1], 0x28
	s_mov_b32 s16, s3
	s_mov_b32 s17, 0
	s_lshl_b64 s[20:21], s[16:17], 3
	s_waitcnt lgkmcnt(0)
	s_add_u32 s12, s12, s20
	s_load_dwordx4 s[8:11], s[0:1], 0x40
	s_addc_u32 s13, s13, s21
	s_load_dwordx2 s[18:19], s[12:13], 0x0
	s_load_dwordx2 s[24:25], s[0:1], 0x50
	s_mov_b64 s[22:23], 0
	s_waitcnt lgkmcnt(0)
	s_add_u32 s10, s10, s20
	v_cmp_eq_f64_e64 s[12:13], s[18:19], 0
	s_addc_u32 s11, s11, s21
	s_mov_b64 s[20:21], 0
	v_cmp_neq_f64_e64 s[26:27], s[18:19], 0
	s_and_b64 vcc, exec, s[12:13]
	s_cbranch_vccnz .LBB180_2
; %bb.1:
	s_mul_i32 s3, s16, s5
	s_mul_hi_u32 s5, s16, s4
	s_add_i32 s5, s5, s3
	s_mul_i32 s4, s16, s4
	s_lshl_b64 s[4:5], s[4:5], 3
	s_add_u32 s22, s14, s4
	s_addc_u32 s23, s15, s5
.LBB180_2:
	s_load_dwordx2 s[12:13], s[10:11], 0x0
	v_cndmask_b32_e64 v1, 0, 1, s[26:27]
	v_cmp_ne_u32_e64 s[4:5], 1, v1
	s_andn2_b64 vcc, exec, s[26:27]
	s_cbranch_vccnz .LBB180_4
; %bb.3:
	s_mul_i32 s3, s16, s9
	s_mul_hi_u32 s9, s16, s8
	s_add_i32 s9, s9, s3
	s_mul_i32 s8, s16, s8
	s_lshl_b64 s[8:9], s[8:9], 3
	s_add_u32 s20, s6, s8
	s_addc_u32 s21, s7, s9
.LBB180_4:
	s_load_dwordx4 s[8:11], s[0:1], 0x60
	s_waitcnt lgkmcnt(0)
	v_cmp_eq_f64_e64 s[6:7], s[12:13], 0
	s_and_b64 s[6:7], exec, s[6:7]
	s_mov_b64 s[14:15], 0
	s_mov_b64 vcc, s[6:7]
	s_cbranch_vccnz .LBB180_6
; %bb.5:
	s_mul_i32 s3, s16, s9
	s_mul_hi_u32 s9, s16, s8
	s_add_i32 s9, s9, s3
	s_mul_i32 s8, s16, s8
	s_lshl_b64 s[8:9], s[8:9], 3
	s_add_u32 s14, s24, s8
	s_addc_u32 s15, s25, s9
.LBB180_6:
	s_load_dword s3, s[0:1], 0x0
	s_load_dword s17, s[0:1], 0x20
	v_and_b32_e32 v144, 0x3ff, v0
	v_bfe_u32 v145, v0, 10, 10
	v_lshl_add_u32 v4, v145, 2, v144
	s_waitcnt lgkmcnt(0)
	s_add_i32 s3, s3, -1
	s_ashr_i32 s8, s3, 31
	s_lshr_b32 s8, s8, 25
	s_add_i32 s3, s3, s8
	s_ashr_i32 s3, s3, 7
	s_add_i32 s8, s3, 1
	v_cvt_f32_u32_e32 v1, s8
	s_not_b32 s3, s3
	s_ashr_i32 s24, s17, 31
	v_and_b32_e32 v142, 63, v4
	v_rcp_iflag_f32_e32 v1, v1
	v_lshrrev_b32_e32 v146, 6, v4
	v_mul_f32_e32 v0, 0x4f7ffffe, v1
	v_cvt_u32_f32_e32 v0, v0
	s_nop 0
	v_readfirstlane_b32 s9, v0
	s_mul_i32 s3, s3, s9
	s_mul_hi_u32 s3, s9, s3
	s_add_i32 s9, s9, s3
	s_mul_hi_u32 s3, s2, s9
	s_mul_i32 s9, s3, s8
	s_sub_i32 s9, s2, s9
	s_add_i32 s25, s3, 1
	s_sub_i32 s26, s9, s8
	s_cmp_ge_u32 s9, s8
	s_cselect_b32 s3, s25, s3
	s_cselect_b32 s9, s26, s9
	s_add_i32 s25, s3, 1
	s_cmp_ge_u32 s9, s8
	s_cselect_b32 s3, s25, s3
	s_mul_i32 s8, s3, s8
	s_sub_i32 s2, s2, s8
	s_lshl_b32 s8, s2, 7
	v_or_b32_e32 v132, s8, v142
	s_and_b64 vcc, exec, s[4:5]
	v_ashrrev_i32_e32 v133, 31, v132
	s_cbranch_vccnz .LBB180_8
; %bb.7:
	v_mad_i64_i32 v[0:1], s[26:27], s17, v146, 0
	v_lshl_add_u64 v[0:1], v[0:1], 3, s[22:23]
	v_lshl_add_u64 v[0:1], v[132:133], 3, v[0:1]
	flat_load_dwordx2 v[2:3], v[0:1]
	flat_load_dwordx2 v[6:7], v[0:1] offset:512
	s_waitcnt vmcnt(0) lgkmcnt(0)
	v_mul_f64 v[0:1], s[18:19], v[2:3]
	v_mul_f64 v[2:3], s[18:19], v[6:7]
	s_branch .LBB180_9
.LBB180_8:
	v_mov_b64_e32 v[0:1], 0
	v_mov_b64_e32 v[2:3], 0
.LBB180_9:
	s_load_dword s25, s[0:1], 0x38
	v_lshrrev_b32_e32 v10, 2, v4
	s_lshl_b32 s9, s3, 7
	v_and_b32_e32 v147, 3, v144
	v_add_u32_e32 v139, s9, v10
	s_and_b64 vcc, exec, s[4:5]
	v_lshlrev_b32_e32 v4, 3, v147
	v_add_u32_e32 v138, 64, v139
	s_cbranch_vccnz .LBB180_13
; %bb.10:
	v_mov_b32_e32 v5, 0
	v_lshl_add_u64 v[6:7], s[20:21], 0, v[4:5]
	s_waitcnt lgkmcnt(0)
	v_mad_i64_i32 v[8:9], s[2:3], v139, s25, 0
	v_lshl_add_u64 v[8:9], v[8:9], 3, v[6:7]
	v_mad_i64_i32 v[12:13], s[2:3], v138, s25, 0
	v_lshl_add_u64 v[6:7], v[12:13], 3, v[6:7]
	flat_load_dwordx2 v[12:13], v[8:9]
	flat_load_dwordx2 v[14:15], v[6:7]
	s_waitcnt vmcnt(0) lgkmcnt(0)
	v_mul_f64 v[6:7], s[18:19], v[12:13]
	v_mul_f64 v[8:9], s[18:19], v[14:15]
	s_and_b64 vcc, exec, s[4:5]
	v_add_u32_e32 v148, 4, v146
	s_cbranch_vccnz .LBB180_14
.LBB180_11:
	v_mad_i64_i32 v[12:13], s[2:3], s17, v148, 0
	v_lshl_add_u64 v[12:13], v[12:13], 3, s[22:23]
	v_lshl_add_u64 v[12:13], v[132:133], 3, v[12:13]
	flat_load_dwordx2 v[14:15], v[12:13]
	flat_load_dwordx2 v[16:17], v[12:13] offset:512
	s_waitcnt vmcnt(0) lgkmcnt(0)
	v_mul_f64 v[128:129], s[18:19], v[14:15]
	v_mul_f64 v[130:131], s[18:19], v[16:17]
	s_and_b64 vcc, exec, s[4:5]
	s_cbranch_vccnz .LBB180_15
.LBB180_12:
	v_mov_b32_e32 v5, 0
	v_lshl_add_u64 v[12:13], s[20:21], 0, v[4:5]
	s_waitcnt lgkmcnt(0)
	v_mad_i64_i32 v[14:15], s[2:3], v139, s25, 0
	v_lshl_add_u64 v[14:15], v[14:15], 3, v[12:13]
	v_mad_i64_i32 v[16:17], s[2:3], v138, s25, 0
	v_lshl_add_u64 v[12:13], v[16:17], 3, v[12:13]
	flat_load_dwordx2 v[16:17], v[14:15] offset:32
	flat_load_dwordx2 v[18:19], v[12:13] offset:32
	s_waitcnt vmcnt(0) lgkmcnt(0)
	v_mul_f64 v[134:135], s[18:19], v[16:17]
	v_mul_f64 v[136:137], s[18:19], v[18:19]
	s_branch .LBB180_16
.LBB180_13:
	v_mov_b64_e32 v[6:7], 0
	v_mov_b64_e32 v[8:9], 0
	s_and_b64 vcc, exec, s[4:5]
	v_add_u32_e32 v148, 4, v146
	s_cbranch_vccz .LBB180_11
.LBB180_14:
	v_mov_b64_e32 v[128:129], 0
	v_mov_b64_e32 v[130:131], 0
	s_and_b64 vcc, exec, s[4:5]
	s_cbranch_vccz .LBB180_12
.LBB180_15:
	v_mov_b64_e32 v[134:135], 0
	v_mov_b64_e32 v[136:137], 0
.LBB180_16:
	v_lshlrev_b32_e32 v5, 3, v146
	v_lshl_add_u32 v149, v142, 5, v5
	v_lshl_or_b32 v141, v10, 5, v4
	v_lshlrev_b32_e32 v140, 5, v145
	ds_write2st64_b64 v149, v[0:1], v[2:3] offset1:4
	v_add_u32_e32 v150, 0x2000, v141
	ds_write2st64_b64 v141, v[6:7], v[8:9] offset0:16 offset1:20
	v_lshlrev_b32_e32 v151, 5, v144
	v_add_u32_e32 v152, 0x2000, v140
	s_mov_b32 s2, 0
	v_mov_b64_e32 v[126:127], 0
	v_mov_b64_e32 v[124:125], 0
	;; [unrolled: 1-line block ×64, first 2 shown]
	s_waitcnt lgkmcnt(0)
	s_barrier
.LBB180_17:                             ; =>This Inner Loop Header: Depth=1
	v_add_u32_e32 v143, s2, v151
	v_add_u32_e32 v153, s2, v152
	ds_read2_b64 v[154:157], v143 offset1:16
	ds_read2_b64 v[158:161], v143 offset0:32 offset1:48
	ds_read2_b64 v[162:165], v143 offset0:64 offset1:80
	ds_read2_b64 v[166:169], v143 offset0:96 offset1:112
	ds_read2_b64 v[170:173], v143 offset0:128 offset1:144
	ds_read2_b64 v[174:177], v143 offset0:160 offset1:176
	ds_read2_b64 v[178:181], v143 offset0:192 offset1:208
	ds_read2_b64 v[182:185], v143 offset0:224 offset1:240
	ds_read2st64_b64 v[186:189], v153 offset1:4
	v_add_u32_e32 v143, 0x800, v143
	ds_read2_b64 v[190:193], v143 offset1:16
	ds_read2_b64 v[194:197], v143 offset0:32 offset1:48
	ds_read2_b64 v[198:201], v143 offset0:64 offset1:80
	;; [unrolled: 1-line block ×7, first 2 shown]
	s_waitcnt lgkmcnt(14)
	v_max_f64 v[154:155], v[154:155], v[154:155]
	v_max_f64 v[156:157], v[156:157], v[156:157]
	;; [unrolled: 1-line block ×6, first 2 shown]
	s_waitcnt lgkmcnt(13)
	v_max_f64 v[166:167], v[166:167], v[166:167]
	v_max_f64 v[168:169], v[168:169], v[168:169]
	s_waitcnt lgkmcnt(12)
	v_max_f64 v[170:171], v[170:171], v[170:171]
	v_max_f64 v[172:173], v[172:173], v[172:173]
	s_waitcnt lgkmcnt(11)
	v_max_f64 v[174:175], v[174:175], v[174:175]
	v_max_f64 v[176:177], v[176:177], v[176:177]
	s_waitcnt lgkmcnt(10)
	v_max_f64 v[178:179], v[178:179], v[178:179]
	v_max_f64 v[180:181], v[180:181], v[180:181]
	s_waitcnt lgkmcnt(9)
	v_max_f64 v[182:183], v[182:183], v[182:183]
	v_max_f64 v[184:185], v[184:185], v[184:185]
	s_waitcnt lgkmcnt(8)
	v_max_f64 v[186:187], v[186:187], v[186:187]
	v_max_f64 v[188:189], v[188:189], v[188:189]
	s_waitcnt lgkmcnt(7)
	v_max_f64 v[190:191], v[190:191], v[190:191]
	v_max_f64 v[192:193], v[192:193], v[192:193]
	s_waitcnt lgkmcnt(6)
	v_max_f64 v[194:195], v[194:195], v[194:195]
	v_max_f64 v[196:197], v[196:197], v[196:197]
	s_waitcnt lgkmcnt(5)
	v_max_f64 v[198:199], v[198:199], v[198:199]
	v_max_f64 v[200:201], v[200:201], v[200:201]
	s_waitcnt lgkmcnt(4)
	v_max_f64 v[202:203], v[202:203], v[202:203]
	v_max_f64 v[204:205], v[204:205], v[204:205]
	s_waitcnt lgkmcnt(3)
	v_max_f64 v[206:207], v[206:207], v[206:207]
	v_max_f64 v[208:209], v[208:209], v[208:209]
	s_waitcnt lgkmcnt(2)
	v_max_f64 v[210:211], v[210:211], v[210:211]
	v_max_f64 v[212:213], v[212:213], v[212:213]
	s_waitcnt lgkmcnt(1)
	v_max_f64 v[214:215], v[214:215], v[214:215]
	v_max_f64 v[216:217], v[216:217], v[216:217]
	s_waitcnt lgkmcnt(0)
	v_max_f64 v[218:219], v[218:219], v[218:219]
	v_max_f64 v[220:221], v[220:221], v[220:221]
	v_min_f64 v[222:223], v[154:155], v[186:187]
	v_min_f64 v[224:225], v[156:157], v[186:187]
	;; [unrolled: 1-line block ×32, first 2 shown]
	s_add_i32 s2, s2, 8
	v_add_f64 v[62:63], v[154:155], v[62:63]
	v_add_f64 v[60:61], v[156:157], v[60:61]
	;; [unrolled: 1-line block ×16, first 2 shown]
	v_min_f64 v[154:155], v[190:191], v[186:187]
	v_min_f64 v[156:157], v[192:193], v[186:187]
	;; [unrolled: 1-line block ×32, first 2 shown]
	s_cmp_eq_u32 s2, 32
	v_add_f64 v[126:127], v[222:223], v[126:127]
	v_add_f64 v[124:125], v[224:225], v[124:125]
	;; [unrolled: 1-line block ×48, first 2 shown]
	s_cbranch_scc0 .LBB180_17
; %bb.18:
	s_load_dword s26, s[0:1], 0x8
	v_lshlrev_b32_e32 v142, 5, v142
	v_lshl_add_u32 v142, v146, 3, v142
	ds_write2st64_b64 v142, v[128:129], v[130:131] offset0:8 offset1:12
	ds_write2st64_b64 v141, v[134:135], v[136:137] offset0:24 offset1:28
	s_waitcnt lgkmcnt(0)
	s_cmp_gt_i32 s26, 8
	s_barrier
	s_cbranch_scc1 .LBB180_20
; %bb.19:
	v_add_u32_e32 v153, 0x1000, v151
	v_add_u32_e32 v154, 0x3000, v140
	s_cbranch_execz .LBB180_21
	s_branch .LBB180_37
.LBB180_20:
                                        ; implicit-def: $vgpr153
                                        ; implicit-def: $vgpr154
.LBB180_21:
	v_or_b32_e32 v155, 0x1000, v142
	v_add_u32_e32 v156, 0x3000, v141
	s_add_i32 s2, s26, -8
	v_mad_i64_i32 v[128:129], s[26:27], v139, s25, 0
	v_mad_i64_i32 v[130:131], s[26:27], v138, s25, 0
	v_lshl_add_u64 v[132:133], v[132:133], 3, s[22:23]
	v_add_u32_e32 v153, 0x1000, v151
	v_add_u32_e32 v154, 0x3000, v140
	s_mov_b32 s3, 8
	s_mov_b32 s22, 0
	v_mov_b32_e32 v135, 0
.LBB180_22:                             ; =>This Loop Header: Depth=1
                                        ;     Child Loop BB180_28 Depth 2
                                        ;     Child Loop BB180_35 Depth 2
	s_and_b64 vcc, exec, s[4:5]
	s_cbranch_vccnz .LBB180_25
; %bb.23:                               ;   in Loop: Header=BB180_22 Depth=1
	v_add_u32_e32 v138, s3, v146
	v_mad_u64_u32 v[136:137], s[26:27], v138, s17, 0
	v_mov_b32_e32 v134, v137
	v_mad_u64_u32 v[138:139], s[26:27], v138, s24, v[134:135]
	v_mov_b32_e32 v137, v138
	v_lshl_add_u64 v[136:137], v[136:137], 3, v[132:133]
	flat_load_dwordx2 v[138:139], v[136:137]
	flat_load_dwordx2 v[140:141], v[136:137] offset:512
	s_waitcnt vmcnt(0) lgkmcnt(0)
	v_mul_f64 v[136:137], s[18:19], v[138:139]
	v_mul_f64 v[138:139], s[18:19], v[140:141]
	s_and_b64 vcc, exec, s[4:5]
	s_cbranch_vccnz .LBB180_26
.LBB180_24:                             ;   in Loop: Header=BB180_22 Depth=1
	v_or_b32_e32 v134, s3, v147
	v_lshl_add_u64 v[140:141], v[134:135], 3, s[20:21]
	v_lshl_add_u64 v[142:143], v[128:129], 3, v[140:141]
	;; [unrolled: 1-line block ×3, first 2 shown]
	flat_load_dwordx2 v[142:143], v[142:143]
	s_nop 0
	flat_load_dwordx2 v[158:159], v[140:141]
	s_waitcnt vmcnt(0) lgkmcnt(0)
	v_mul_f64 v[140:141], s[18:19], v[142:143]
	v_mul_f64 v[142:143], s[18:19], v[158:159]
	s_branch .LBB180_27
.LBB180_25:                             ;   in Loop: Header=BB180_22 Depth=1
	v_mov_b64_e32 v[136:137], 0
	v_mov_b64_e32 v[138:139], 0
	s_and_b64 vcc, exec, s[4:5]
	s_cbranch_vccz .LBB180_24
.LBB180_26:                             ;   in Loop: Header=BB180_22 Depth=1
	v_mov_b64_e32 v[140:141], 0
	v_mov_b64_e32 v[142:143], 0
.LBB180_27:                             ;   in Loop: Header=BB180_22 Depth=1
	s_mov_b32 s23, 0
.LBB180_28:                             ;   Parent Loop BB180_22 Depth=1
                                        ; =>  This Inner Loop Header: Depth=2
	v_add_u32_e32 v134, s23, v153
	ds_read2_b64 v[158:161], v134 offset1:16
	ds_read2_b64 v[162:165], v134 offset0:32 offset1:48
	ds_read2_b64 v[166:169], v134 offset0:64 offset1:80
	;; [unrolled: 1-line block ×7, first 2 shown]
	v_add_u32_e32 v134, 0x800, v134
	ds_read2_b64 v[190:193], v134 offset1:16
	ds_read2_b64 v[194:197], v134 offset0:32 offset1:48
	ds_read2_b64 v[198:201], v134 offset0:64 offset1:80
	;; [unrolled: 1-line block ×7, first 2 shown]
	v_add_u32_e32 v134, s23, v154
	ds_read2st64_b64 v[222:225], v134 offset1:4
	s_waitcnt lgkmcnt(14)
	v_max_f64 v[158:159], v[158:159], v[158:159]
	v_max_f64 v[160:161], v[160:161], v[160:161]
	;; [unrolled: 1-line block ×4, first 2 shown]
	s_waitcnt lgkmcnt(0)
	v_max_f64 v[222:223], v[222:223], v[222:223]
	v_min_f64 v[226:227], v[158:159], v[222:223]
	v_add_f64 v[126:127], v[226:227], v[126:127]
	v_min_f64 v[226:227], v[160:161], v[222:223]
	v_add_f64 v[124:125], v[226:227], v[124:125]
	;; [unrolled: 2-line block ×3, first 2 shown]
	v_min_f64 v[226:227], v[164:165], v[222:223]
	v_max_f64 v[166:167], v[166:167], v[166:167]
	v_add_f64 v[120:121], v[226:227], v[120:121]
	v_min_f64 v[226:227], v[166:167], v[222:223]
	v_max_f64 v[168:169], v[168:169], v[168:169]
	v_add_f64 v[118:119], v[226:227], v[118:119]
	;; [unrolled: 3-line block ×26, first 2 shown]
	v_min_f64 v[226:227], v[216:217], v[222:223]
	v_max_f64 v[218:219], v[218:219], v[218:219]
	v_max_f64 v[220:221], v[220:221], v[220:221]
	v_add_f64 v[68:69], v[226:227], v[68:69]
	v_min_f64 v[226:227], v[218:219], v[222:223]
	v_min_f64 v[222:223], v[220:221], v[222:223]
	v_add_f64 v[64:65], v[222:223], v[64:65]
	v_max_f64 v[222:223], v[224:225], v[224:225]
	v_min_f64 v[158:159], v[158:159], v[222:223]
	v_add_f64 v[62:63], v[158:159], v[62:63]
	v_min_f64 v[158:159], v[160:161], v[222:223]
	v_add_f64 v[60:61], v[158:159], v[60:61]
	;; [unrolled: 2-line block ×31, first 2 shown]
	v_min_f64 v[158:159], v[220:221], v[222:223]
	s_add_i32 s23, s23, 8
	v_add_f64 v[66:67], v[226:227], v[66:67]
	v_add_f64 v[0:1], v[158:159], v[0:1]
	s_cmp_eq_u32 s23, 32
	s_cbranch_scc0 .LBB180_28
; %bb.29:                               ;   in Loop: Header=BB180_22 Depth=1
	s_and_b64 vcc, exec, s[4:5]
	ds_write2st64_b64 v149, v[136:137], v[138:139] offset1:4
	ds_write2st64_b64 v150, v[140:141], v[142:143] offset1:4
	s_waitcnt lgkmcnt(0)
	s_barrier
	s_cbranch_vccnz .LBB180_32
; %bb.30:                               ;   in Loop: Header=BB180_22 Depth=1
	v_add_u32_e32 v138, s3, v148
	v_mad_u64_u32 v[136:137], s[26:27], v138, s17, 0
	v_mov_b32_e32 v134, v137
	v_mad_u64_u32 v[138:139], s[26:27], v138, s24, v[134:135]
	v_mov_b32_e32 v137, v138
	v_lshl_add_u64 v[136:137], v[136:137], 3, v[132:133]
	flat_load_dwordx2 v[138:139], v[136:137]
	flat_load_dwordx2 v[140:141], v[136:137] offset:512
	s_waitcnt vmcnt(0) lgkmcnt(0)
	v_mul_f64 v[136:137], s[18:19], v[138:139]
	v_mul_f64 v[138:139], s[18:19], v[140:141]
	s_and_b64 vcc, exec, s[4:5]
	s_cbranch_vccnz .LBB180_33
.LBB180_31:                             ;   in Loop: Header=BB180_22 Depth=1
	v_or_b32_e32 v134, s3, v147
	v_lshl_add_u64 v[140:141], v[134:135], 3, s[20:21]
	v_lshl_add_u64 v[142:143], v[128:129], 3, v[140:141]
	;; [unrolled: 1-line block ×3, first 2 shown]
	flat_load_dwordx2 v[142:143], v[142:143] offset:32
	s_nop 0
	flat_load_dwordx2 v[158:159], v[140:141] offset:32
	s_waitcnt vmcnt(0) lgkmcnt(0)
	v_mul_f64 v[140:141], s[18:19], v[142:143]
	v_mul_f64 v[142:143], s[18:19], v[158:159]
	s_branch .LBB180_34
.LBB180_32:                             ;   in Loop: Header=BB180_22 Depth=1
	v_mov_b64_e32 v[136:137], 0
	v_mov_b64_e32 v[138:139], 0
	s_and_b64 vcc, exec, s[4:5]
	s_cbranch_vccz .LBB180_31
.LBB180_33:                             ;   in Loop: Header=BB180_22 Depth=1
	v_mov_b64_e32 v[140:141], 0
	v_mov_b64_e32 v[142:143], 0
.LBB180_34:                             ;   in Loop: Header=BB180_22 Depth=1
	s_mov_b32 s23, 0
.LBB180_35:                             ;   Parent Loop BB180_22 Depth=1
                                        ; =>  This Inner Loop Header: Depth=2
	v_add_u32_e32 v134, s23, v151
	ds_read2_b64 v[158:161], v134 offset1:16
	ds_read2_b64 v[162:165], v134 offset0:32 offset1:48
	ds_read2_b64 v[166:169], v134 offset0:64 offset1:80
	;; [unrolled: 1-line block ×7, first 2 shown]
	v_add_u32_e32 v134, 0x800, v134
	ds_read2_b64 v[190:193], v134 offset1:16
	ds_read2_b64 v[194:197], v134 offset0:32 offset1:48
	ds_read2_b64 v[198:201], v134 offset0:64 offset1:80
	;; [unrolled: 1-line block ×7, first 2 shown]
	v_add_u32_e32 v134, s23, v152
	ds_read2st64_b64 v[222:225], v134 offset1:4
	s_waitcnt lgkmcnt(14)
	v_max_f64 v[158:159], v[158:159], v[158:159]
	v_max_f64 v[160:161], v[160:161], v[160:161]
	;; [unrolled: 1-line block ×4, first 2 shown]
	s_waitcnt lgkmcnt(0)
	v_max_f64 v[222:223], v[222:223], v[222:223]
	v_min_f64 v[226:227], v[158:159], v[222:223]
	v_add_f64 v[126:127], v[226:227], v[126:127]
	v_min_f64 v[226:227], v[160:161], v[222:223]
	v_add_f64 v[124:125], v[226:227], v[124:125]
	;; [unrolled: 2-line block ×3, first 2 shown]
	v_min_f64 v[226:227], v[164:165], v[222:223]
	v_max_f64 v[166:167], v[166:167], v[166:167]
	v_add_f64 v[120:121], v[226:227], v[120:121]
	v_min_f64 v[226:227], v[166:167], v[222:223]
	v_max_f64 v[168:169], v[168:169], v[168:169]
	v_add_f64 v[118:119], v[226:227], v[118:119]
	;; [unrolled: 3-line block ×26, first 2 shown]
	v_min_f64 v[226:227], v[216:217], v[222:223]
	v_max_f64 v[218:219], v[218:219], v[218:219]
	v_max_f64 v[220:221], v[220:221], v[220:221]
	v_add_f64 v[68:69], v[226:227], v[68:69]
	v_min_f64 v[226:227], v[218:219], v[222:223]
	v_min_f64 v[222:223], v[220:221], v[222:223]
	v_add_f64 v[64:65], v[222:223], v[64:65]
	v_max_f64 v[222:223], v[224:225], v[224:225]
	v_min_f64 v[158:159], v[158:159], v[222:223]
	v_add_f64 v[62:63], v[158:159], v[62:63]
	v_min_f64 v[158:159], v[160:161], v[222:223]
	v_add_f64 v[60:61], v[158:159], v[60:61]
	;; [unrolled: 2-line block ×31, first 2 shown]
	v_min_f64 v[158:159], v[220:221], v[222:223]
	s_add_i32 s23, s23, 8
	v_add_f64 v[66:67], v[226:227], v[66:67]
	v_add_f64 v[0:1], v[158:159], v[0:1]
	s_cmp_eq_u32 s23, 32
	s_cbranch_scc0 .LBB180_35
; %bb.36:                               ;   in Loop: Header=BB180_22 Depth=1
	s_add_i32 s3, s3, 8
	s_add_i32 s22, s22, 8
	s_cmp_ge_i32 s22, s2
	ds_write2st64_b64 v155, v[136:137], v[138:139] offset1:4
	ds_write2st64_b64 v156, v[140:141], v[142:143] offset1:4
	s_waitcnt lgkmcnt(0)
	s_barrier
	s_cbranch_scc0 .LBB180_22
.LBB180_37:
	s_mov_b32 s2, 0
.LBB180_38:                             ; =>This Inner Loop Header: Depth=1
	v_add_u32_e32 v150, s2, v153
	v_add_u32_e32 v151, s2, v154
	ds_read2_b64 v[128:131], v150 offset1:16
	ds_read2_b64 v[132:135], v150 offset0:32 offset1:48
	ds_read2_b64 v[136:139], v150 offset0:64 offset1:80
	;; [unrolled: 1-line block ×7, first 2 shown]
	v_add_u32_e32 v150, 0x800, v150
	ds_read2st64_b64 v[168:171], v151 offset1:4
	ds_read2_b64 v[172:175], v150 offset1:16
	ds_read2_b64 v[176:179], v150 offset0:32 offset1:48
	ds_read2_b64 v[180:183], v150 offset0:64 offset1:80
	;; [unrolled: 1-line block ×7, first 2 shown]
	s_waitcnt lgkmcnt(14)
	v_max_f64 v[128:129], v[128:129], v[128:129]
	v_max_f64 v[130:131], v[130:131], v[130:131]
	;; [unrolled: 1-line block ×3, first 2 shown]
	s_waitcnt lgkmcnt(8)
	v_max_f64 v[150:151], v[168:169], v[168:169]
	v_max_f64 v[134:135], v[134:135], v[134:135]
	;; [unrolled: 1-line block ×15, first 2 shown]
	v_min_f64 v[170:171], v[128:129], v[150:151]
	v_min_f64 v[204:205], v[130:131], v[150:151]
	;; [unrolled: 1-line block ×16, first 2 shown]
	s_waitcnt lgkmcnt(7)
	v_max_f64 v[172:173], v[172:173], v[172:173]
	v_max_f64 v[174:175], v[174:175], v[174:175]
	s_waitcnt lgkmcnt(6)
	v_max_f64 v[176:177], v[176:177], v[176:177]
	v_max_f64 v[178:179], v[178:179], v[178:179]
	s_waitcnt lgkmcnt(5)
	v_max_f64 v[180:181], v[180:181], v[180:181]
	v_max_f64 v[182:183], v[182:183], v[182:183]
	s_waitcnt lgkmcnt(4)
	v_max_f64 v[184:185], v[184:185], v[184:185]
	v_max_f64 v[186:187], v[186:187], v[186:187]
	s_waitcnt lgkmcnt(3)
	v_max_f64 v[188:189], v[188:189], v[188:189]
	v_max_f64 v[190:191], v[190:191], v[190:191]
	s_waitcnt lgkmcnt(2)
	v_max_f64 v[192:193], v[192:193], v[192:193]
	v_max_f64 v[194:195], v[194:195], v[194:195]
	s_waitcnt lgkmcnt(1)
	v_max_f64 v[196:197], v[196:197], v[196:197]
	v_max_f64 v[198:199], v[198:199], v[198:199]
	s_waitcnt lgkmcnt(0)
	v_max_f64 v[200:201], v[200:201], v[200:201]
	v_max_f64 v[202:203], v[202:203], v[202:203]
	v_min_f64 v[128:129], v[128:129], v[168:169]
	v_min_f64 v[130:131], v[130:131], v[168:169]
	;; [unrolled: 1-line block ×16, first 2 shown]
	s_add_i32 s2, s2, 8
	v_add_f64 v[126:127], v[170:171], v[126:127]
	v_add_f64 v[124:125], v[204:205], v[124:125]
	v_add_f64 v[122:123], v[206:207], v[122:123]
	v_add_f64 v[120:121], v[208:209], v[120:121]
	v_add_f64 v[118:119], v[210:211], v[118:119]
	v_add_f64 v[116:117], v[212:213], v[116:117]
	v_add_f64 v[114:115], v[214:215], v[114:115]
	v_add_f64 v[112:113], v[216:217], v[112:113]
	v_add_f64 v[110:111], v[218:219], v[110:111]
	v_add_f64 v[108:109], v[220:221], v[108:109]
	v_add_f64 v[106:107], v[222:223], v[106:107]
	v_add_f64 v[104:105], v[224:225], v[104:105]
	v_add_f64 v[102:103], v[226:227], v[102:103]
	v_add_f64 v[100:101], v[228:229], v[100:101]
	v_add_f64 v[98:99], v[230:231], v[98:99]
	v_min_f64 v[170:171], v[172:173], v[150:151]
	v_min_f64 v[204:205], v[174:175], v[150:151]
	;; [unrolled: 1-line block ×16, first 2 shown]
	v_add_f64 v[62:63], v[128:129], v[62:63]
	v_add_f64 v[60:61], v[130:131], v[60:61]
	;; [unrolled: 1-line block ×16, first 2 shown]
	v_min_f64 v[128:129], v[172:173], v[168:169]
	v_min_f64 v[130:131], v[174:175], v[168:169]
	;; [unrolled: 1-line block ×16, first 2 shown]
	s_cmp_eq_u32 s2, 32
	v_add_f64 v[96:97], v[232:233], v[96:97]
	v_add_f64 v[94:95], v[170:171], v[94:95]
	;; [unrolled: 1-line block ×33, first 2 shown]
	s_cbranch_scc0 .LBB180_38
; %bb.39:
	s_load_dwordx2 s[2:3], s[0:1], 0x78
	s_load_dword s4, s[0:1], 0x58
	s_load_dword s5, s[0:1], 0x70
	v_add_u32_e32 v130, s8, v144
	v_add_u32_e32 v170, s9, v145
	s_waitcnt lgkmcnt(0)
	s_mul_i32 s1, s16, s3
	s_mul_hi_u32 s3, s16, s2
	s_mul_i32 s0, s16, s2
	s_add_i32 s1, s3, s1
	s_lshl_b64 s[0:1], s[0:1], 3
	s_add_u32 s0, s10, s0
	s_addc_u32 s1, s11, s1
	v_add_u32_e32 v128, 4, v130
	v_mad_i64_i32 v[132:133], s[2:3], v170, s5, 0
	v_ashrrev_i32_e32 v131, 31, v130
	v_ashrrev_i32_e32 v129, 31, v128
	v_lshl_add_u64 v[138:139], v[132:133], 3, s[0:1]
	v_mad_i64_i32 v[132:133], s[2:3], v170, s4, 0
	s_mov_b64 vcc, s[6:7]
	s_cbranch_vccz .LBB180_42
; %bb.40:
	v_add_f64 v[134:135], v[126:127], 0
	v_lshl_add_u64 v[136:137], v[130:131], 3, v[138:139]
	s_mov_b64 s[2:3], 0
	global_store_dwordx2 v[136:137], v[134:135], off
	v_lshl_add_u64 v[146:147], v[132:133], 3, s[14:15]
	v_lshlrev_b64 v[134:135], 3, v[130:131]
	s_cbranch_execz .LBB180_43
; %bb.41:
	v_mov_b64_e32 v[136:137], s[2:3]
	s_branch .LBB180_44
.LBB180_42:
	s_mov_b64 s[2:3], -1
	v_lshl_add_u64 v[146:147], v[132:133], 3, s[14:15]
	v_lshlrev_b64 v[134:135], 3, v[130:131]
.LBB180_43:
	v_lshl_add_u64 v[132:133], v[146:147], 0, v[134:135]
	flat_load_dwordx2 v[132:133], v[132:133]
	v_lshl_add_u64 v[136:137], v[138:139], 0, v[134:135]
	s_waitcnt vmcnt(0) lgkmcnt(0)
	v_fmac_f64_e32 v[126:127], s[12:13], v[132:133]
	global_store_dwordx2 v[136:137], v[126:127], off
	v_lshl_add_u64 v[126:127], v[128:129], 3, v[146:147]
	flat_load_dwordx2 v[126:127], v[126:127]
	s_waitcnt vmcnt(0) lgkmcnt(0)
	v_mul_f64 v[136:137], s[12:13], v[126:127]
.LBB180_44:
	v_add_u32_e32 v132, 8, v130
	v_add_u32_e32 v126, 12, v130
	v_ashrrev_i32_e32 v133, 31, v132
	v_ashrrev_i32_e32 v127, 31, v126
	v_add_f64 v[124:125], v[124:125], v[136:137]
	v_lshl_add_u64 v[136:137], v[128:129], 3, v[138:139]
	s_mov_b64 vcc, s[6:7]
	global_store_dwordx2 v[136:137], v[124:125], off
	s_cbranch_vccz .LBB180_47
; %bb.45:
	v_add_f64 v[124:125], v[122:123], 0
	v_lshl_add_u64 v[136:137], v[132:133], 3, v[138:139]
	s_mov_b64 s[2:3], 0
	global_store_dwordx2 v[136:137], v[124:125], off
	v_lshlrev_b64 v[136:137], 3, v[132:133]
	s_cbranch_execz .LBB180_48
; %bb.46:
	v_mov_b64_e32 v[140:141], s[2:3]
	s_branch .LBB180_49
.LBB180_47:
	s_mov_b64 s[2:3], -1
	v_lshlrev_b64 v[136:137], 3, v[132:133]
.LBB180_48:
	v_lshl_add_u64 v[124:125], v[146:147], 0, v[136:137]
	flat_load_dwordx2 v[124:125], v[124:125]
	v_lshl_add_u64 v[140:141], v[138:139], 0, v[136:137]
	s_waitcnt vmcnt(0) lgkmcnt(0)
	v_fmac_f64_e32 v[122:123], s[12:13], v[124:125]
	global_store_dwordx2 v[140:141], v[122:123], off
	v_lshl_add_u64 v[122:123], v[126:127], 3, v[146:147]
	flat_load_dwordx2 v[122:123], v[122:123]
	s_waitcnt vmcnt(0) lgkmcnt(0)
	v_mul_f64 v[140:141], s[12:13], v[122:123]
.LBB180_49:
	v_add_u32_e32 v124, 16, v130
	v_add_u32_e32 v122, 20, v130
	v_ashrrev_i32_e32 v125, 31, v124
	v_ashrrev_i32_e32 v123, 31, v122
	v_add_f64 v[120:121], v[120:121], v[140:141]
	v_lshl_add_u64 v[140:141], v[126:127], 3, v[138:139]
	s_mov_b64 vcc, s[6:7]
	global_store_dwordx2 v[140:141], v[120:121], off
	s_cbranch_vccz .LBB180_52
; %bb.50:
	v_add_f64 v[120:121], v[118:119], 0
	v_lshl_add_u64 v[140:141], v[124:125], 3, v[138:139]
	s_mov_b64 s[2:3], 0
	global_store_dwordx2 v[140:141], v[120:121], off
	v_lshlrev_b64 v[140:141], 3, v[124:125]
	s_cbranch_execz .LBB180_53
; %bb.51:
	v_mov_b64_e32 v[142:143], s[2:3]
	s_branch .LBB180_54
.LBB180_52:
	s_mov_b64 s[2:3], -1
	v_lshlrev_b64 v[140:141], 3, v[124:125]
.LBB180_53:
	v_lshl_add_u64 v[120:121], v[146:147], 0, v[140:141]
	flat_load_dwordx2 v[120:121], v[120:121]
	v_lshl_add_u64 v[142:143], v[138:139], 0, v[140:141]
	s_waitcnt vmcnt(0) lgkmcnt(0)
	v_fmac_f64_e32 v[118:119], s[12:13], v[120:121]
	global_store_dwordx2 v[142:143], v[118:119], off
	v_lshl_add_u64 v[118:119], v[122:123], 3, v[146:147]
	flat_load_dwordx2 v[118:119], v[118:119]
	s_waitcnt vmcnt(0) lgkmcnt(0)
	v_mul_f64 v[142:143], s[12:13], v[118:119]
.LBB180_54:
	;; [unrolled: 34-line block ×15, first 2 shown]
	v_add_f64 v[64:65], v[64:65], v[66:67]
	v_lshl_add_u64 v[66:67], v[70:71], 3, v[138:139]
	global_store_dwordx2 v[66:67], v[64:65], off
	v_add_u32_e32 v66, 64, v170
	v_mad_i64_i32 v[64:65], s[2:3], v66, s5, 0
	v_lshl_add_u64 v[64:65], v[64:65], 3, s[0:1]
	v_mad_i64_i32 v[66:67], s[0:1], v66, s4, 0
	s_mov_b64 vcc, s[6:7]
	s_cbranch_vccz .LBB180_122
; %bb.120:
	v_add_f64 v[138:139], v[62:63], 0
	v_lshl_add_u64 v[130:131], v[130:131], 3, v[64:65]
	s_mov_b64 s[0:1], 0
	global_store_dwordx2 v[130:131], v[138:139], off
	v_lshl_add_u64 v[66:67], v[66:67], 3, s[14:15]
	s_cbranch_execz .LBB180_123
; %bb.121:
	v_mov_b64_e32 v[62:63], s[0:1]
	s_branch .LBB180_124
.LBB180_122:
	s_mov_b64 s[0:1], -1
	v_lshl_add_u64 v[66:67], v[66:67], 3, s[14:15]
.LBB180_123:
	v_lshl_add_u64 v[130:131], v[66:67], 0, v[134:135]
	flat_load_dwordx2 v[130:131], v[130:131]
	v_lshl_add_u64 v[134:135], v[64:65], 0, v[134:135]
	s_waitcnt vmcnt(0) lgkmcnt(0)
	v_fmac_f64_e32 v[62:63], s[12:13], v[130:131]
	global_store_dwordx2 v[134:135], v[62:63], off
	v_lshl_add_u64 v[62:63], v[128:129], 3, v[66:67]
	flat_load_dwordx2 v[62:63], v[62:63]
	s_waitcnt vmcnt(0) lgkmcnt(0)
	v_mul_f64 v[62:63], s[12:13], v[62:63]
.LBB180_124:
	v_add_f64 v[60:61], v[60:61], v[62:63]
	v_lshl_add_u64 v[62:63], v[128:129], 3, v[64:65]
	s_mov_b64 vcc, s[6:7]
	global_store_dwordx2 v[62:63], v[60:61], off
	s_cbranch_vccz .LBB180_127
; %bb.125:
	v_add_f64 v[60:61], v[58:59], 0
	v_lshl_add_u64 v[62:63], v[132:133], 3, v[64:65]
	s_mov_b64 s[0:1], 0
	global_store_dwordx2 v[62:63], v[60:61], off
	s_cbranch_execz .LBB180_128
; %bb.126:
	v_mov_b64_e32 v[58:59], s[0:1]
	s_branch .LBB180_129
.LBB180_127:
	s_mov_b64 s[0:1], -1
.LBB180_128:
	v_lshl_add_u64 v[60:61], v[66:67], 0, v[136:137]
	flat_load_dwordx2 v[60:61], v[60:61]
	v_lshl_add_u64 v[62:63], v[64:65], 0, v[136:137]
	s_waitcnt vmcnt(0) lgkmcnt(0)
	v_fmac_f64_e32 v[58:59], s[12:13], v[60:61]
	global_store_dwordx2 v[62:63], v[58:59], off
	v_lshl_add_u64 v[58:59], v[126:127], 3, v[66:67]
	flat_load_dwordx2 v[58:59], v[58:59]
	s_waitcnt vmcnt(0) lgkmcnt(0)
	v_mul_f64 v[58:59], s[12:13], v[58:59]
.LBB180_129:
	v_add_f64 v[56:57], v[56:57], v[58:59]
	v_lshl_add_u64 v[58:59], v[126:127], 3, v[64:65]
	s_mov_b64 vcc, s[6:7]
	global_store_dwordx2 v[58:59], v[56:57], off
	s_cbranch_vccz .LBB180_132
; %bb.130:
	v_add_f64 v[56:57], v[54:55], 0
	v_lshl_add_u64 v[58:59], v[124:125], 3, v[64:65]
	s_mov_b64 s[0:1], 0
	global_store_dwordx2 v[58:59], v[56:57], off
	s_cbranch_execz .LBB180_133
; %bb.131:
	v_mov_b64_e32 v[54:55], s[0:1]
	s_branch .LBB180_134
.LBB180_132:
	s_mov_b64 s[0:1], -1
.LBB180_133:
	v_lshl_add_u64 v[56:57], v[66:67], 0, v[140:141]
	flat_load_dwordx2 v[56:57], v[56:57]
	v_lshl_add_u64 v[58:59], v[64:65], 0, v[140:141]
	s_waitcnt vmcnt(0) lgkmcnt(0)
	v_fmac_f64_e32 v[54:55], s[12:13], v[56:57]
	global_store_dwordx2 v[58:59], v[54:55], off
	v_lshl_add_u64 v[54:55], v[122:123], 3, v[66:67]
	flat_load_dwordx2 v[54:55], v[54:55]
	s_waitcnt vmcnt(0) lgkmcnt(0)
	v_mul_f64 v[54:55], s[12:13], v[54:55]
.LBB180_134:
	;; [unrolled: 28-line block ×14, first 2 shown]
	v_add_f64 v[4:5], v[4:5], v[6:7]
	v_lshl_add_u64 v[6:7], v[74:75], 3, v[64:65]
	s_mov_b64 vcc, s[6:7]
	global_store_dwordx2 v[6:7], v[4:5], off
	s_cbranch_vccz .LBB180_197
; %bb.195:
	v_add_f64 v[4:5], v[2:3], 0
	v_lshl_add_u64 v[6:7], v[72:73], 3, v[64:65]
	s_mov_b64 s[0:1], 0
	global_store_dwordx2 v[6:7], v[4:5], off
	s_cbranch_execz .LBB180_198
; %bb.196:
	v_mov_b64_e32 v[2:3], s[0:1]
	v_add_f64 v[0:1], v[0:1], v[2:3]
	v_lshl_add_u64 v[2:3], v[70:71], 3, v[64:65]
	global_store_dwordx2 v[2:3], v[0:1], off
	s_endpgm
.LBB180_197:
	s_mov_b64 s[0:1], -1
.LBB180_198:
	v_lshl_add_u64 v[4:5], v[66:67], 0, v[68:69]
	flat_load_dwordx2 v[4:5], v[4:5]
	v_lshl_add_u64 v[6:7], v[64:65], 0, v[68:69]
	s_waitcnt vmcnt(0) lgkmcnt(0)
	v_fmac_f64_e32 v[2:3], s[12:13], v[4:5]
	global_store_dwordx2 v[6:7], v[2:3], off
	v_lshl_add_u64 v[2:3], v[70:71], 3, v[66:67]
	flat_load_dwordx2 v[2:3], v[2:3]
	s_waitcnt vmcnt(0) lgkmcnt(0)
	v_mul_f64 v[2:3], s[12:13], v[2:3]
	v_add_f64 v[0:1], v[0:1], v[2:3]
	v_lshl_add_u64 v[2:3], v[70:71], 3, v[64:65]
	global_store_dwordx2 v[2:3], v[0:1], off
	s_endpgm
	.section	.rodata,"a",@progbits
	.p2align	6, 0x0
	.amdhsa_kernel _ZN12_GLOBAL__N_120geam_min_plus_kernelIdddLi4ELi64ELi128ELi128ELi4ELi64ELi4ELi4ELi64ELc78ELc78ELb0ELb0ELb0EPKdS1_dEEviiiT16_PT17_ilS5_ilS3_S5_ilPT18_ili26rocblas_geam_ex_operation_
		.amdhsa_group_segment_fixed_size 16384
		.amdhsa_private_segment_fixed_size 0
		.amdhsa_kernarg_size 136
		.amdhsa_user_sgpr_count 2
		.amdhsa_user_sgpr_dispatch_ptr 0
		.amdhsa_user_sgpr_queue_ptr 0
		.amdhsa_user_sgpr_kernarg_segment_ptr 1
		.amdhsa_user_sgpr_dispatch_id 0
		.amdhsa_user_sgpr_kernarg_preload_length 0
		.amdhsa_user_sgpr_kernarg_preload_offset 0
		.amdhsa_user_sgpr_private_segment_size 0
		.amdhsa_uses_dynamic_stack 0
		.amdhsa_enable_private_segment 0
		.amdhsa_system_sgpr_workgroup_id_x 1
		.amdhsa_system_sgpr_workgroup_id_y 0
		.amdhsa_system_sgpr_workgroup_id_z 1
		.amdhsa_system_sgpr_workgroup_info 0
		.amdhsa_system_vgpr_workitem_id 1
		.amdhsa_next_free_vgpr 254
		.amdhsa_next_free_sgpr 28
		.amdhsa_accum_offset 256
		.amdhsa_reserve_vcc 1
		.amdhsa_float_round_mode_32 0
		.amdhsa_float_round_mode_16_64 0
		.amdhsa_float_denorm_mode_32 3
		.amdhsa_float_denorm_mode_16_64 3
		.amdhsa_dx10_clamp 1
		.amdhsa_ieee_mode 1
		.amdhsa_fp16_overflow 0
		.amdhsa_tg_split 0
		.amdhsa_exception_fp_ieee_invalid_op 0
		.amdhsa_exception_fp_denorm_src 0
		.amdhsa_exception_fp_ieee_div_zero 0
		.amdhsa_exception_fp_ieee_overflow 0
		.amdhsa_exception_fp_ieee_underflow 0
		.amdhsa_exception_fp_ieee_inexact 0
		.amdhsa_exception_int_div_zero 0
	.end_amdhsa_kernel
	.section	.text._ZN12_GLOBAL__N_120geam_min_plus_kernelIdddLi4ELi64ELi128ELi128ELi4ELi64ELi4ELi4ELi64ELc78ELc78ELb0ELb0ELb0EPKdS1_dEEviiiT16_PT17_ilS5_ilS3_S5_ilPT18_ili26rocblas_geam_ex_operation_,"axG",@progbits,_ZN12_GLOBAL__N_120geam_min_plus_kernelIdddLi4ELi64ELi128ELi128ELi4ELi64ELi4ELi4ELi64ELc78ELc78ELb0ELb0ELb0EPKdS1_dEEviiiT16_PT17_ilS5_ilS3_S5_ilPT18_ili26rocblas_geam_ex_operation_,comdat
.Lfunc_end180:
	.size	_ZN12_GLOBAL__N_120geam_min_plus_kernelIdddLi4ELi64ELi128ELi128ELi4ELi64ELi4ELi4ELi64ELc78ELc78ELb0ELb0ELb0EPKdS1_dEEviiiT16_PT17_ilS5_ilS3_S5_ilPT18_ili26rocblas_geam_ex_operation_, .Lfunc_end180-_ZN12_GLOBAL__N_120geam_min_plus_kernelIdddLi4ELi64ELi128ELi128ELi4ELi64ELi4ELi4ELi64ELc78ELc78ELb0ELb0ELb0EPKdS1_dEEviiiT16_PT17_ilS5_ilS3_S5_ilPT18_ili26rocblas_geam_ex_operation_
                                        ; -- End function
	.section	.AMDGPU.csdata,"",@progbits
; Kernel info:
; codeLenInByte = 13092
; NumSgprs: 34
; NumVgprs: 254
; NumAgprs: 0
; TotalNumVgprs: 254
; ScratchSize: 0
; MemoryBound: 0
; FloatMode: 240
; IeeeMode: 1
; LDSByteSize: 16384 bytes/workgroup (compile time only)
; SGPRBlocks: 4
; VGPRBlocks: 31
; NumSGPRsForWavesPerEU: 34
; NumVGPRsForWavesPerEU: 254
; AccumOffset: 256
; Occupancy: 2
; WaveLimiterHint : 1
; COMPUTE_PGM_RSRC2:SCRATCH_EN: 0
; COMPUTE_PGM_RSRC2:USER_SGPR: 2
; COMPUTE_PGM_RSRC2:TRAP_HANDLER: 0
; COMPUTE_PGM_RSRC2:TGID_X_EN: 1
; COMPUTE_PGM_RSRC2:TGID_Y_EN: 0
; COMPUTE_PGM_RSRC2:TGID_Z_EN: 1
; COMPUTE_PGM_RSRC2:TIDIG_COMP_CNT: 1
; COMPUTE_PGM_RSRC3_GFX90A:ACCUM_OFFSET: 63
; COMPUTE_PGM_RSRC3_GFX90A:TG_SPLIT: 0
	.section	.text._ZN12_GLOBAL__N_120geam_min_plus_kernelIdddLi4ELi64ELi128ELi128ELi4ELi64ELi4ELi4ELi64ELc78ELc78ELb1ELb0ELb0EdKddEEviiiT16_PT17_ilS4_ilS2_S4_ilPT18_ili26rocblas_geam_ex_operation_,"axG",@progbits,_ZN12_GLOBAL__N_120geam_min_plus_kernelIdddLi4ELi64ELi128ELi128ELi4ELi64ELi4ELi4ELi64ELc78ELc78ELb1ELb0ELb0EdKddEEviiiT16_PT17_ilS4_ilS2_S4_ilPT18_ili26rocblas_geam_ex_operation_,comdat
	.globl	_ZN12_GLOBAL__N_120geam_min_plus_kernelIdddLi4ELi64ELi128ELi128ELi4ELi64ELi4ELi4ELi64ELc78ELc78ELb1ELb0ELb0EdKddEEviiiT16_PT17_ilS4_ilS2_S4_ilPT18_ili26rocblas_geam_ex_operation_ ; -- Begin function _ZN12_GLOBAL__N_120geam_min_plus_kernelIdddLi4ELi64ELi128ELi128ELi4ELi64ELi4ELi4ELi64ELc78ELc78ELb1ELb0ELb0EdKddEEviiiT16_PT17_ilS4_ilS2_S4_ilPT18_ili26rocblas_geam_ex_operation_
	.p2align	8
	.type	_ZN12_GLOBAL__N_120geam_min_plus_kernelIdddLi4ELi64ELi128ELi128ELi4ELi64ELi4ELi4ELi64ELc78ELc78ELb1ELb0ELb0EdKddEEviiiT16_PT17_ilS4_ilS2_S4_ilPT18_ili26rocblas_geam_ex_operation_,@function
_ZN12_GLOBAL__N_120geam_min_plus_kernelIdddLi4ELi64ELi128ELi128ELi4ELi64ELi4ELi4ELi64ELc78ELc78ELb1ELb0ELb0EdKddEEviiiT16_PT17_ilS4_ilS2_S4_ilPT18_ili26rocblas_geam_ex_operation_: ; @_ZN12_GLOBAL__N_120geam_min_plus_kernelIdddLi4ELi64ELi128ELi128ELi4ELi64ELi4ELi4ELi64ELc78ELc78ELb1ELb0ELb0EdKddEEviiiT16_PT17_ilS4_ilS2_S4_ilPT18_ili26rocblas_geam_ex_operation_
; %bb.0:
	s_load_dwordx4 s[4:7], s[0:1], 0x10
	s_load_dwordx4 s[8:11], s[0:1], 0x28
	s_mov_b64 s[18:19], 0
	s_waitcnt lgkmcnt(0)
	v_cmp_eq_f64_e64 s[12:13], s[4:5], 0
	s_and_b64 vcc, exec, s[12:13]
	s_cbranch_vccnz .LBB181_2
; %bb.1:
	s_mul_i32 s4, s3, s9
	s_mul_hi_u32 s5, s3, s8
	s_add_i32 s5, s5, s4
	s_mul_i32 s4, s3, s8
	s_lshl_b64 s[4:5], s[4:5], 3
	s_add_u32 s18, s6, s4
	s_addc_u32 s19, s7, s5
.LBB181_2:
	s_load_dwordx4 s[4:7], s[0:1], 0x40
	s_load_dwordx2 s[20:21], s[0:1], 0x50
	s_andn2_b64 vcc, exec, s[12:13]
	s_cbranch_vccnz .LBB181_4
; %bb.3:
	s_mov_b32 s15, 0
	s_mov_b64 s[16:17], 0
	s_cbranch_execz .LBB181_5
	s_branch .LBB181_6
.LBB181_4:
                                        ; implicit-def: $sgpr16_sgpr17
                                        ; implicit-def: $sgpr14_sgpr15
.LBB181_5:
	s_waitcnt lgkmcnt(0)
	s_mul_i32 s5, s3, s5
	s_mul_hi_u32 s8, s3, s4
	s_add_i32 s5, s8, s5
	s_mul_i32 s4, s3, s4
	s_lshl_b64 s[4:5], s[4:5], 3
	s_add_u32 s16, s10, s4
	s_mov_b32 s15, 0
	s_addc_u32 s17, s11, s5
.LBB181_6:
	s_load_dwordx4 s[8:11], s[0:1], 0x60
	s_waitcnt lgkmcnt(0)
	v_cmp_eq_f64_e64 s[4:5], s[6:7], 0
	s_and_b64 s[4:5], exec, s[4:5]
	s_mov_b64 s[12:13], 0
	s_mov_b64 vcc, s[4:5]
	s_cbranch_vccnz .LBB181_8
; %bb.7:
	s_mul_i32 s9, s3, s9
	s_mul_hi_u32 s12, s3, s8
	s_add_i32 s9, s12, s9
	s_mul_i32 s12, s15, s8
	s_add_i32 s9, s9, s12
	s_mul_i32 s8, s3, s8
	s_lshl_b64 s[8:9], s[8:9], 3
	s_add_u32 s12, s20, s8
	s_addc_u32 s13, s21, s9
.LBB181_8:
	s_load_dword s8, s[0:1], 0x0
	s_load_dword s20, s[0:1], 0x20
	;; [unrolled: 1-line block ×3, first 2 shown]
	v_and_b32_e32 v148, 0x3ff, v0
	v_bfe_u32 v149, v0, 10, 10
	s_waitcnt lgkmcnt(0)
	s_add_i32 s8, s8, -1
	s_ashr_i32 s9, s8, 31
	s_lshr_b32 s9, s9, 25
	s_add_i32 s8, s8, s9
	s_ashr_i32 s8, s8, 7
	s_add_i32 s9, s8, 1
	v_cvt_f32_u32_e32 v1, s9
	s_not_b32 s8, s8
	s_ashr_i32 s21, s20, 31
	v_lshl_add_u32 v0, v149, 2, v148
	v_rcp_iflag_f32_e32 v1, v1
	v_and_b32_e32 v150, 3, v148
	v_and_b32_e32 v144, 63, v0
	v_lshrrev_b32_e32 v18, 2, v0
	v_mul_f32_e32 v1, 0x4f7ffffe, v1
	v_cvt_u32_f32_e32 v1, v1
	v_lshrrev_b32_e32 v151, 6, v0
	v_lshlrev_b32_e32 v4, 3, v150
	v_mov_b32_e32 v5, 0
	v_readfirstlane_b32 s14, v1
	s_mul_i32 s8, s8, s14
	s_mul_hi_u32 s8, s14, s8
	s_add_i32 s14, s14, s8
	s_mul_hi_u32 s8, s2, s14
	s_mul_i32 s14, s8, s9
	s_sub_i32 s14, s2, s14
	s_add_i32 s23, s8, 1
	s_sub_i32 s24, s14, s9
	s_cmp_ge_u32 s14, s9
	s_cselect_b32 s8, s23, s8
	s_cselect_b32 s14, s24, s14
	s_add_i32 s23, s8, 1
	s_cmp_ge_u32 s14, s9
	s_cselect_b32 s8, s23, s8
	s_mul_i32 s9, s8, s9
	s_sub_i32 s2, s2, s9
	s_lshl_b32 s2, s2, 7
	s_lshl_b32 s14, s8, 7
	v_or_b32_e32 v132, s2, v144
	v_add_u32_e32 v12, s14, v18
	v_mad_i64_i32 v[0:1], s[8:9], s20, v151, 0
	v_ashrrev_i32_e32 v133, 31, v132
	v_lshl_add_u64 v[6:7], s[16:17], 0, v[4:5]
	v_add_u32_e32 v5, 64, v12
	v_lshl_add_u64 v[0:1], v[0:1], 3, s[18:19]
	v_lshlrev_b64 v[2:3], 3, v[132:133]
	v_mad_i64_i32 v[128:129], s[8:9], v12, s22, 0
	v_mad_i64_i32 v[130:131], s[8:9], v5, s22, 0
	v_lshl_add_u64 v[0:1], v[0:1], 0, v[2:3]
	v_lshl_add_u64 v[8:9], v[128:129], 3, v[6:7]
	;; [unrolled: 1-line block ×3, first 2 shown]
	v_add_u32_e32 v152, 4, v151
	flat_load_dwordx2 v[10:11], v[8:9]
	flat_load_dwordx2 v[12:13], v[6:7]
	flat_load_dwordx2 v[14:15], v[0:1]
	flat_load_dwordx2 v[16:17], v[0:1] offset:512
	v_mad_i64_i32 v[0:1], s[8:9], s20, v152, 0
	v_lshl_add_u64 v[0:1], v[0:1], 3, s[18:19]
	v_lshl_add_u64 v[0:1], v[0:1], 0, v[2:3]
	flat_load_dwordx2 v[134:135], v[6:7] offset:32
	flat_load_dwordx2 v[136:137], v[8:9] offset:32
	flat_load_dwordx2 v[138:139], v[0:1]
	flat_load_dwordx2 v[140:141], v[0:1] offset:512
	v_lshlrev_b32_e32 v142, 5, v149
	v_lshlrev_b32_e32 v0, 3, v151
	v_lshl_or_b32 v143, v18, 5, v4
	s_mov_b32 s8, 0
	v_mov_b64_e32 v[126:127], 0
	v_mov_b64_e32 v[124:125], 0
	;; [unrolled: 1-line block ×40, first 2 shown]
	v_lshlrev_b32_e32 v153, 5, v148
	v_add_u32_e32 v154, 0x2000, v142
	v_lshl_add_u32 v155, v144, 5, v0
	v_add_u32_e32 v156, 0x2000, v143
	v_mov_b64_e32 v[46:47], 0
	v_mov_b64_e32 v[44:45], 0
	;; [unrolled: 1-line block ×7, first 2 shown]
	s_waitcnt vmcnt(0) lgkmcnt(0)
	ds_write2st64_b64 v143, v[10:11], v[12:13] offset0:16 offset1:20
	ds_write2st64_b64 v155, v[14:15], v[16:17] offset1:4
	v_mov_b64_e32 v[32:33], 0
	v_mov_b64_e32 v[30:31], 0
	;; [unrolled: 1-line block ×17, first 2 shown]
	s_waitcnt lgkmcnt(0)
	s_barrier
.LBB181_9:                              ; =>This Inner Loop Header: Depth=1
	v_add_u32_e32 v145, s8, v153
	v_add_u32_e32 v146, s8, v154
	ds_read2_b64 v[158:161], v145 offset1:16
	ds_read2_b64 v[162:165], v145 offset0:32 offset1:48
	ds_read2_b64 v[166:169], v145 offset0:64 offset1:80
	;; [unrolled: 1-line block ×7, first 2 shown]
	ds_read2st64_b64 v[190:193], v146 offset1:4
	v_add_u32_e32 v145, 0x800, v145
	ds_read2_b64 v[194:197], v145 offset1:16
	ds_read2_b64 v[198:201], v145 offset0:32 offset1:48
	ds_read2_b64 v[202:205], v145 offset0:64 offset1:80
	;; [unrolled: 1-line block ×7, first 2 shown]
	s_waitcnt lgkmcnt(14)
	v_max_f64 v[146:147], v[158:159], v[158:159]
	v_max_f64 v[158:159], v[160:161], v[160:161]
	;; [unrolled: 1-line block ×6, first 2 shown]
	s_waitcnt lgkmcnt(13)
	v_max_f64 v[168:169], v[170:171], v[170:171]
	v_max_f64 v[170:171], v[172:173], v[172:173]
	s_waitcnt lgkmcnt(12)
	v_max_f64 v[172:173], v[174:175], v[174:175]
	v_max_f64 v[174:175], v[176:177], v[176:177]
	;; [unrolled: 3-line block ×14, first 2 shown]
	v_min_f64 v[224:225], v[146:147], v[188:189]
	v_min_f64 v[226:227], v[158:159], v[188:189]
	;; [unrolled: 1-line block ×32, first 2 shown]
	s_add_i32 s8, s8, 8
	v_add_f64 v[62:63], v[146:147], v[62:63]
	v_add_f64 v[60:61], v[158:159], v[60:61]
	;; [unrolled: 1-line block ×16, first 2 shown]
	v_min_f64 v[146:147], v[192:193], v[188:189]
	v_min_f64 v[158:159], v[194:195], v[188:189]
	;; [unrolled: 1-line block ×32, first 2 shown]
	s_cmp_eq_u32 s8, 32
	v_add_f64 v[126:127], v[224:225], v[126:127]
	v_add_f64 v[124:125], v[226:227], v[124:125]
	;; [unrolled: 1-line block ×48, first 2 shown]
	s_cbranch_scc0 .LBB181_9
; %bb.10:
	s_load_dword s22, s[0:1], 0x8
	v_lshlrev_b32_e32 v144, 5, v144
	v_lshl_add_u32 v144, v151, 3, v144
	ds_write2st64_b64 v144, v[138:139], v[140:141] offset0:8 offset1:12
	ds_write2st64_b64 v143, v[136:137], v[134:135] offset0:24 offset1:28
	s_waitcnt lgkmcnt(0)
	s_cmp_gt_i32 s22, 8
	s_barrier
	s_cbranch_scc1 .LBB181_12
; %bb.11:
	v_add_u32_e32 v157, 0x1000, v153
	v_add_u32_e32 v158, 0x3000, v142
	s_cbranch_execz .LBB181_13
	s_branch .LBB181_19
.LBB181_12:
                                        ; implicit-def: $vgpr157
                                        ; implicit-def: $vgpr158
.LBB181_13:
	v_or_b32_e32 v159, 0x1000, v144
	v_add_u32_e32 v160, 0x3000, v143
	s_add_i32 s8, s22, -8
	v_lshl_add_u64 v[132:133], v[132:133], 3, s[18:19]
	v_add_u32_e32 v157, 0x1000, v153
	v_add_u32_e32 v158, 0x3000, v142
	s_mov_b32 s9, 8
	s_mov_b32 s18, 0
	v_mov_b32_e32 v135, 0
.LBB181_14:                             ; =>This Loop Header: Depth=1
                                        ;     Child Loop BB181_15 Depth 2
                                        ;     Child Loop BB181_17 Depth 2
	v_add_u32_e32 v138, s9, v151
	v_mad_u64_u32 v[136:137], s[22:23], v138, s20, 0
	v_mov_b32_e32 v134, v137
	v_mad_u64_u32 v[138:139], s[22:23], v138, s21, v[134:135]
	v_mov_b32_e32 v137, v138
	v_or_b32_e32 v134, s9, v150
	v_lshl_add_u64 v[136:137], v[136:137], 3, v[132:133]
	v_lshl_add_u64 v[138:139], v[134:135], 3, s[16:17]
	flat_load_dwordx2 v[140:141], v[136:137]
	flat_load_dwordx2 v[142:143], v[136:137] offset:512
	v_lshl_add_u64 v[136:137], v[128:129], 3, v[138:139]
	v_lshl_add_u64 v[138:139], v[130:131], 3, v[138:139]
	flat_load_dwordx2 v[144:145], v[136:137]
	flat_load_dwordx2 v[146:147], v[138:139]
	s_mov_b32 s19, 0
.LBB181_15:                             ;   Parent Loop BB181_14 Depth=1
                                        ; =>  This Inner Loop Header: Depth=2
	v_add_u32_e32 v134, s19, v157
	ds_read2_b64 v[162:165], v134 offset1:16
	ds_read2_b64 v[166:169], v134 offset0:32 offset1:48
	ds_read2_b64 v[170:173], v134 offset0:64 offset1:80
	;; [unrolled: 1-line block ×7, first 2 shown]
	v_add_u32_e32 v134, 0x800, v134
	ds_read2_b64 v[194:197], v134 offset1:16
	ds_read2_b64 v[198:201], v134 offset0:32 offset1:48
	ds_read2_b64 v[202:205], v134 offset0:64 offset1:80
	;; [unrolled: 1-line block ×7, first 2 shown]
	v_add_u32_e32 v134, s19, v158
	ds_read2st64_b64 v[226:229], v134 offset1:4
	s_waitcnt lgkmcnt(0)
	v_max_f64 v[162:163], v[162:163], v[162:163]
	v_max_f64 v[164:165], v[164:165], v[164:165]
	;; [unrolled: 1-line block ×5, first 2 shown]
	v_min_f64 v[230:231], v[162:163], v[226:227]
	v_add_f64 v[126:127], v[230:231], v[126:127]
	v_min_f64 v[230:231], v[164:165], v[226:227]
	v_add_f64 v[124:125], v[230:231], v[124:125]
	;; [unrolled: 2-line block ×3, first 2 shown]
	v_min_f64 v[230:231], v[168:169], v[226:227]
	v_max_f64 v[170:171], v[170:171], v[170:171]
	v_add_f64 v[120:121], v[230:231], v[120:121]
	v_min_f64 v[230:231], v[170:171], v[226:227]
	v_max_f64 v[172:173], v[172:173], v[172:173]
	v_add_f64 v[118:119], v[230:231], v[118:119]
	;; [unrolled: 3-line block ×26, first 2 shown]
	v_min_f64 v[230:231], v[220:221], v[226:227]
	v_max_f64 v[222:223], v[222:223], v[222:223]
	v_max_f64 v[224:225], v[224:225], v[224:225]
	v_add_f64 v[68:69], v[230:231], v[68:69]
	v_min_f64 v[230:231], v[222:223], v[226:227]
	v_min_f64 v[226:227], v[224:225], v[226:227]
	v_add_f64 v[64:65], v[226:227], v[64:65]
	v_max_f64 v[226:227], v[228:229], v[228:229]
	v_min_f64 v[162:163], v[162:163], v[226:227]
	v_add_f64 v[62:63], v[162:163], v[62:63]
	v_min_f64 v[162:163], v[164:165], v[226:227]
	v_add_f64 v[60:61], v[162:163], v[60:61]
	;; [unrolled: 2-line block ×31, first 2 shown]
	v_min_f64 v[162:163], v[224:225], v[226:227]
	s_add_i32 s19, s19, 8
	v_add_f64 v[66:67], v[230:231], v[66:67]
	v_add_f64 v[0:1], v[162:163], v[0:1]
	s_cmp_eq_u32 s19, 32
	s_cbranch_scc0 .LBB181_15
; %bb.16:                               ;   in Loop: Header=BB181_14 Depth=1
	s_waitcnt vmcnt(0)
	ds_write2st64_b64 v155, v[140:141], v[142:143] offset1:4
	ds_write2st64_b64 v156, v[144:145], v[146:147] offset1:4
	v_add_u32_e32 v142, s9, v152
	v_mad_u64_u32 v[140:141], s[22:23], v142, s20, 0
	v_mov_b32_e32 v134, v141
	v_mad_u64_u32 v[142:143], s[22:23], v142, s21, v[134:135]
	v_mov_b32_e32 v141, v142
	v_lshl_add_u64 v[142:143], v[140:141], 3, v[132:133]
	s_waitcnt lgkmcnt(0)
	s_barrier
	flat_load_dwordx2 v[140:141], v[142:143]
	s_nop 0
	flat_load_dwordx2 v[142:143], v[142:143] offset:512
	s_nop 0
	flat_load_dwordx2 v[136:137], v[136:137] offset:32
	;; [unrolled: 2-line block ×3, first 2 shown]
	s_mov_b32 s19, 0
.LBB181_17:                             ;   Parent Loop BB181_14 Depth=1
                                        ; =>  This Inner Loop Header: Depth=2
	v_add_u32_e32 v134, s19, v153
	ds_read2_b64 v[144:147], v134 offset1:16
	ds_read2_b64 v[162:165], v134 offset0:32 offset1:48
	ds_read2_b64 v[166:169], v134 offset0:64 offset1:80
	;; [unrolled: 1-line block ×7, first 2 shown]
	v_add_u32_e32 v134, 0x800, v134
	ds_read2_b64 v[190:193], v134 offset1:16
	ds_read2_b64 v[194:197], v134 offset0:32 offset1:48
	ds_read2_b64 v[198:201], v134 offset0:64 offset1:80
	;; [unrolled: 1-line block ×7, first 2 shown]
	v_add_u32_e32 v134, s19, v154
	ds_read2st64_b64 v[222:225], v134 offset1:4
	s_waitcnt lgkmcnt(0)
	v_max_f64 v[144:145], v[144:145], v[144:145]
	v_max_f64 v[146:147], v[146:147], v[146:147]
	;; [unrolled: 1-line block ×5, first 2 shown]
	v_min_f64 v[226:227], v[144:145], v[222:223]
	v_add_f64 v[126:127], v[226:227], v[126:127]
	v_min_f64 v[226:227], v[146:147], v[222:223]
	v_add_f64 v[124:125], v[226:227], v[124:125]
	;; [unrolled: 2-line block ×3, first 2 shown]
	v_min_f64 v[226:227], v[164:165], v[222:223]
	v_max_f64 v[166:167], v[166:167], v[166:167]
	v_add_f64 v[120:121], v[226:227], v[120:121]
	v_min_f64 v[226:227], v[166:167], v[222:223]
	v_max_f64 v[168:169], v[168:169], v[168:169]
	v_add_f64 v[118:119], v[226:227], v[118:119]
	;; [unrolled: 3-line block ×26, first 2 shown]
	v_min_f64 v[226:227], v[216:217], v[222:223]
	v_max_f64 v[218:219], v[218:219], v[218:219]
	v_max_f64 v[220:221], v[220:221], v[220:221]
	v_add_f64 v[68:69], v[226:227], v[68:69]
	v_min_f64 v[226:227], v[218:219], v[222:223]
	v_min_f64 v[222:223], v[220:221], v[222:223]
	v_add_f64 v[64:65], v[222:223], v[64:65]
	v_max_f64 v[222:223], v[224:225], v[224:225]
	v_min_f64 v[144:145], v[144:145], v[222:223]
	v_add_f64 v[62:63], v[144:145], v[62:63]
	v_min_f64 v[144:145], v[146:147], v[222:223]
	v_add_f64 v[60:61], v[144:145], v[60:61]
	;; [unrolled: 2-line block ×31, first 2 shown]
	v_min_f64 v[144:145], v[220:221], v[222:223]
	s_add_i32 s19, s19, 8
	v_add_f64 v[66:67], v[226:227], v[66:67]
	v_add_f64 v[0:1], v[144:145], v[0:1]
	s_cmp_eq_u32 s19, 32
	s_cbranch_scc0 .LBB181_17
; %bb.18:                               ;   in Loop: Header=BB181_14 Depth=1
	s_add_i32 s9, s9, 8
	s_add_i32 s18, s18, 8
	s_cmp_ge_i32 s18, s8
	s_waitcnt vmcnt(0)
	ds_write2st64_b64 v159, v[140:141], v[142:143] offset1:4
	ds_write2st64_b64 v160, v[136:137], v[138:139] offset1:4
	s_waitcnt lgkmcnt(0)
	s_barrier
	s_cbranch_scc0 .LBB181_14
.LBB181_19:
	s_mov_b32 s8, 0
.LBB181_20:                             ; =>This Inner Loop Header: Depth=1
	v_add_u32_e32 v154, s8, v157
	v_add_u32_e32 v155, s8, v158
	ds_read2_b64 v[128:131], v154 offset1:16
	ds_read2_b64 v[132:135], v154 offset0:32 offset1:48
	ds_read2_b64 v[136:139], v154 offset0:64 offset1:80
	ds_read2_b64 v[140:143], v154 offset0:96 offset1:112
	ds_read2_b64 v[144:147], v154 offset0:128 offset1:144
	ds_read2_b64 v[150:153], v154 offset0:160 offset1:176
	ds_read2_b64 v[160:163], v154 offset0:192 offset1:208
	ds_read2_b64 v[164:167], v154 offset0:224 offset1:240
	v_add_u32_e32 v154, 0x800, v154
	ds_read2st64_b64 v[168:171], v155 offset1:4
	ds_read2_b64 v[172:175], v154 offset1:16
	ds_read2_b64 v[176:179], v154 offset0:32 offset1:48
	ds_read2_b64 v[180:183], v154 offset0:64 offset1:80
	;; [unrolled: 1-line block ×7, first 2 shown]
	s_waitcnt lgkmcnt(14)
	v_max_f64 v[128:129], v[128:129], v[128:129]
	v_max_f64 v[130:131], v[130:131], v[130:131]
	;; [unrolled: 1-line block ×3, first 2 shown]
	s_waitcnt lgkmcnt(8)
	v_max_f64 v[154:155], v[168:169], v[168:169]
	v_max_f64 v[134:135], v[134:135], v[134:135]
	;; [unrolled: 1-line block ×15, first 2 shown]
	v_min_f64 v[170:171], v[128:129], v[154:155]
	v_min_f64 v[204:205], v[130:131], v[154:155]
	;; [unrolled: 1-line block ×16, first 2 shown]
	s_waitcnt lgkmcnt(7)
	v_max_f64 v[172:173], v[172:173], v[172:173]
	v_max_f64 v[174:175], v[174:175], v[174:175]
	s_waitcnt lgkmcnt(6)
	v_max_f64 v[176:177], v[176:177], v[176:177]
	v_max_f64 v[178:179], v[178:179], v[178:179]
	;; [unrolled: 3-line block ×8, first 2 shown]
	v_min_f64 v[128:129], v[128:129], v[168:169]
	v_min_f64 v[130:131], v[130:131], v[168:169]
	;; [unrolled: 1-line block ×16, first 2 shown]
	s_add_i32 s8, s8, 8
	v_add_f64 v[126:127], v[170:171], v[126:127]
	v_add_f64 v[124:125], v[204:205], v[124:125]
	;; [unrolled: 1-line block ×15, first 2 shown]
	v_min_f64 v[170:171], v[172:173], v[154:155]
	v_min_f64 v[204:205], v[174:175], v[154:155]
	;; [unrolled: 1-line block ×16, first 2 shown]
	v_add_f64 v[62:63], v[128:129], v[62:63]
	v_add_f64 v[60:61], v[130:131], v[60:61]
	;; [unrolled: 1-line block ×16, first 2 shown]
	v_min_f64 v[128:129], v[172:173], v[168:169]
	v_min_f64 v[130:131], v[174:175], v[168:169]
	;; [unrolled: 1-line block ×16, first 2 shown]
	s_cmp_eq_u32 s8, 32
	v_add_f64 v[96:97], v[232:233], v[96:97]
	v_add_f64 v[94:95], v[170:171], v[94:95]
	;; [unrolled: 1-line block ×33, first 2 shown]
	s_cbranch_scc0 .LBB181_20
; %bb.21:
	s_load_dwordx2 s[16:17], s[0:1], 0x78
	s_load_dword s8, s[0:1], 0x58
	s_load_dword s9, s[0:1], 0x70
	v_add_u32_e32 v130, s2, v148
	v_add_u32_e32 v170, s14, v149
	s_waitcnt lgkmcnt(0)
	s_mul_i32 s0, s3, s17
	s_mul_hi_u32 s1, s3, s16
	s_mul_i32 s15, s15, s16
	s_add_i32 s0, s1, s0
	s_add_i32 s1, s0, s15
	s_mul_i32 s0, s3, s16
	s_lshl_b64 s[0:1], s[0:1], 3
	s_add_u32 s0, s10, s0
	s_addc_u32 s1, s11, s1
	v_add_u32_e32 v128, 4, v130
	v_mad_i64_i32 v[132:133], s[2:3], v170, s9, 0
	v_ashrrev_i32_e32 v131, 31, v130
	v_ashrrev_i32_e32 v129, 31, v128
	v_lshl_add_u64 v[138:139], v[132:133], 3, s[0:1]
	v_mad_i64_i32 v[132:133], s[2:3], v170, s8, 0
	s_mov_b64 vcc, s[4:5]
	s_cbranch_vccz .LBB181_24
; %bb.22:
	v_add_f64 v[134:135], v[126:127], 0
	v_lshl_add_u64 v[136:137], v[130:131], 3, v[138:139]
	s_mov_b64 s[2:3], 0
	global_store_dwordx2 v[136:137], v[134:135], off
	v_lshl_add_u64 v[146:147], v[132:133], 3, s[12:13]
	v_lshlrev_b64 v[134:135], 3, v[130:131]
	s_cbranch_execz .LBB181_25
; %bb.23:
	v_mov_b64_e32 v[136:137], s[2:3]
	s_branch .LBB181_26
.LBB181_24:
	s_mov_b64 s[2:3], -1
	v_lshl_add_u64 v[146:147], v[132:133], 3, s[12:13]
	v_lshlrev_b64 v[134:135], 3, v[130:131]
.LBB181_25:
	v_lshl_add_u64 v[132:133], v[146:147], 0, v[134:135]
	flat_load_dwordx2 v[132:133], v[132:133]
	v_lshl_add_u64 v[136:137], v[138:139], 0, v[134:135]
	s_waitcnt vmcnt(0) lgkmcnt(0)
	v_fmac_f64_e32 v[126:127], s[6:7], v[132:133]
	global_store_dwordx2 v[136:137], v[126:127], off
	v_lshl_add_u64 v[126:127], v[128:129], 3, v[146:147]
	flat_load_dwordx2 v[126:127], v[126:127]
	s_waitcnt vmcnt(0) lgkmcnt(0)
	v_mul_f64 v[136:137], v[126:127], s[6:7]
.LBB181_26:
	v_add_u32_e32 v132, 8, v130
	v_add_u32_e32 v126, 12, v130
	v_ashrrev_i32_e32 v133, 31, v132
	v_ashrrev_i32_e32 v127, 31, v126
	v_add_f64 v[124:125], v[124:125], v[136:137]
	v_lshl_add_u64 v[136:137], v[128:129], 3, v[138:139]
	s_mov_b64 vcc, s[4:5]
	global_store_dwordx2 v[136:137], v[124:125], off
	s_cbranch_vccz .LBB181_29
; %bb.27:
	v_add_f64 v[124:125], v[122:123], 0
	v_lshl_add_u64 v[136:137], v[132:133], 3, v[138:139]
	s_mov_b64 s[2:3], 0
	global_store_dwordx2 v[136:137], v[124:125], off
	v_lshlrev_b64 v[136:137], 3, v[132:133]
	s_cbranch_execz .LBB181_30
; %bb.28:
	v_mov_b64_e32 v[140:141], s[2:3]
	s_branch .LBB181_31
.LBB181_29:
	s_mov_b64 s[2:3], -1
	v_lshlrev_b64 v[136:137], 3, v[132:133]
.LBB181_30:
	v_lshl_add_u64 v[124:125], v[146:147], 0, v[136:137]
	flat_load_dwordx2 v[124:125], v[124:125]
	v_lshl_add_u64 v[140:141], v[138:139], 0, v[136:137]
	s_waitcnt vmcnt(0) lgkmcnt(0)
	v_fmac_f64_e32 v[122:123], s[6:7], v[124:125]
	global_store_dwordx2 v[140:141], v[122:123], off
	v_lshl_add_u64 v[122:123], v[126:127], 3, v[146:147]
	flat_load_dwordx2 v[122:123], v[122:123]
	s_waitcnt vmcnt(0) lgkmcnt(0)
	v_mul_f64 v[140:141], v[122:123], s[6:7]
.LBB181_31:
	v_add_u32_e32 v124, 16, v130
	v_add_u32_e32 v122, 20, v130
	v_ashrrev_i32_e32 v125, 31, v124
	v_ashrrev_i32_e32 v123, 31, v122
	v_add_f64 v[120:121], v[120:121], v[140:141]
	v_lshl_add_u64 v[140:141], v[126:127], 3, v[138:139]
	s_mov_b64 vcc, s[4:5]
	global_store_dwordx2 v[140:141], v[120:121], off
	s_cbranch_vccz .LBB181_34
; %bb.32:
	v_add_f64 v[120:121], v[118:119], 0
	v_lshl_add_u64 v[140:141], v[124:125], 3, v[138:139]
	s_mov_b64 s[2:3], 0
	global_store_dwordx2 v[140:141], v[120:121], off
	v_lshlrev_b64 v[140:141], 3, v[124:125]
	s_cbranch_execz .LBB181_35
; %bb.33:
	v_mov_b64_e32 v[142:143], s[2:3]
	s_branch .LBB181_36
.LBB181_34:
	s_mov_b64 s[2:3], -1
	v_lshlrev_b64 v[140:141], 3, v[124:125]
.LBB181_35:
	v_lshl_add_u64 v[120:121], v[146:147], 0, v[140:141]
	flat_load_dwordx2 v[120:121], v[120:121]
	v_lshl_add_u64 v[142:143], v[138:139], 0, v[140:141]
	s_waitcnt vmcnt(0) lgkmcnt(0)
	v_fmac_f64_e32 v[118:119], s[6:7], v[120:121]
	global_store_dwordx2 v[142:143], v[118:119], off
	v_lshl_add_u64 v[118:119], v[122:123], 3, v[146:147]
	flat_load_dwordx2 v[118:119], v[118:119]
	s_waitcnt vmcnt(0) lgkmcnt(0)
	v_mul_f64 v[142:143], v[118:119], s[6:7]
.LBB181_36:
	v_add_u32_e32 v120, 24, v130
	v_add_u32_e32 v118, 28, v130
	v_ashrrev_i32_e32 v121, 31, v120
	v_ashrrev_i32_e32 v119, 31, v118
	v_add_f64 v[116:117], v[116:117], v[142:143]
	v_lshl_add_u64 v[142:143], v[122:123], 3, v[138:139]
	s_mov_b64 vcc, s[4:5]
	global_store_dwordx2 v[142:143], v[116:117], off
	s_cbranch_vccz .LBB181_39
; %bb.37:
	v_add_f64 v[116:117], v[114:115], 0
	v_lshl_add_u64 v[142:143], v[120:121], 3, v[138:139]
	s_mov_b64 s[2:3], 0
	global_store_dwordx2 v[142:143], v[116:117], off
	v_lshlrev_b64 v[142:143], 3, v[120:121]
	s_cbranch_execz .LBB181_40
; %bb.38:
	v_mov_b64_e32 v[144:145], s[2:3]
	s_branch .LBB181_41
.LBB181_39:
	s_mov_b64 s[2:3], -1
	v_lshlrev_b64 v[142:143], 3, v[120:121]
.LBB181_40:
	v_lshl_add_u64 v[116:117], v[146:147], 0, v[142:143]
	flat_load_dwordx2 v[116:117], v[116:117]
	v_lshl_add_u64 v[144:145], v[138:139], 0, v[142:143]
	s_waitcnt vmcnt(0) lgkmcnt(0)
	v_fmac_f64_e32 v[114:115], s[6:7], v[116:117]
	global_store_dwordx2 v[144:145], v[114:115], off
	v_lshl_add_u64 v[114:115], v[118:119], 3, v[146:147]
	flat_load_dwordx2 v[114:115], v[114:115]
	s_waitcnt vmcnt(0) lgkmcnt(0)
	v_mul_f64 v[144:145], v[114:115], s[6:7]
.LBB181_41:
	v_add_u32_e32 v116, 32, v130
	v_add_u32_e32 v114, 36, v130
	v_ashrrev_i32_e32 v117, 31, v116
	v_ashrrev_i32_e32 v115, 31, v114
	v_add_f64 v[112:113], v[112:113], v[144:145]
	v_lshl_add_u64 v[144:145], v[118:119], 3, v[138:139]
	s_mov_b64 vcc, s[4:5]
	global_store_dwordx2 v[144:145], v[112:113], off
	s_cbranch_vccz .LBB181_44
; %bb.42:
	v_add_f64 v[112:113], v[110:111], 0
	v_lshl_add_u64 v[144:145], v[116:117], 3, v[138:139]
	s_mov_b64 s[2:3], 0
	global_store_dwordx2 v[144:145], v[112:113], off
	v_lshlrev_b64 v[144:145], 3, v[116:117]
	s_cbranch_execz .LBB181_45
; %bb.43:
	v_mov_b64_e32 v[148:149], s[2:3]
	s_branch .LBB181_46
.LBB181_44:
	s_mov_b64 s[2:3], -1
	v_lshlrev_b64 v[144:145], 3, v[116:117]
.LBB181_45:
	v_lshl_add_u64 v[112:113], v[146:147], 0, v[144:145]
	flat_load_dwordx2 v[112:113], v[112:113]
	v_lshl_add_u64 v[148:149], v[138:139], 0, v[144:145]
	s_waitcnt vmcnt(0) lgkmcnt(0)
	v_fmac_f64_e32 v[110:111], s[6:7], v[112:113]
	global_store_dwordx2 v[148:149], v[110:111], off
	v_lshl_add_u64 v[110:111], v[114:115], 3, v[146:147]
	flat_load_dwordx2 v[110:111], v[110:111]
	s_waitcnt vmcnt(0) lgkmcnt(0)
	v_mul_f64 v[148:149], v[110:111], s[6:7]
.LBB181_46:
	v_add_u32_e32 v112, 40, v130
	v_add_u32_e32 v110, 44, v130
	v_ashrrev_i32_e32 v113, 31, v112
	v_ashrrev_i32_e32 v111, 31, v110
	v_add_f64 v[108:109], v[108:109], v[148:149]
	v_lshl_add_u64 v[148:149], v[114:115], 3, v[138:139]
	s_mov_b64 vcc, s[4:5]
	global_store_dwordx2 v[148:149], v[108:109], off
	s_cbranch_vccz .LBB181_49
; %bb.47:
	v_add_f64 v[108:109], v[106:107], 0
	v_lshl_add_u64 v[148:149], v[112:113], 3, v[138:139]
	s_mov_b64 s[2:3], 0
	global_store_dwordx2 v[148:149], v[108:109], off
	v_lshlrev_b64 v[148:149], 3, v[112:113]
	s_cbranch_execz .LBB181_50
; %bb.48:
	v_mov_b64_e32 v[150:151], s[2:3]
	s_branch .LBB181_51
.LBB181_49:
	s_mov_b64 s[2:3], -1
	v_lshlrev_b64 v[148:149], 3, v[112:113]
.LBB181_50:
	v_lshl_add_u64 v[108:109], v[146:147], 0, v[148:149]
	flat_load_dwordx2 v[108:109], v[108:109]
	v_lshl_add_u64 v[150:151], v[138:139], 0, v[148:149]
	s_waitcnt vmcnt(0) lgkmcnt(0)
	v_fmac_f64_e32 v[106:107], s[6:7], v[108:109]
	global_store_dwordx2 v[150:151], v[106:107], off
	v_lshl_add_u64 v[106:107], v[110:111], 3, v[146:147]
	flat_load_dwordx2 v[106:107], v[106:107]
	s_waitcnt vmcnt(0) lgkmcnt(0)
	v_mul_f64 v[150:151], v[106:107], s[6:7]
.LBB181_51:
	v_add_u32_e32 v108, 48, v130
	v_add_u32_e32 v106, 52, v130
	v_ashrrev_i32_e32 v109, 31, v108
	v_ashrrev_i32_e32 v107, 31, v106
	v_add_f64 v[104:105], v[104:105], v[150:151]
	v_lshl_add_u64 v[150:151], v[110:111], 3, v[138:139]
	s_mov_b64 vcc, s[4:5]
	global_store_dwordx2 v[150:151], v[104:105], off
	s_cbranch_vccz .LBB181_54
; %bb.52:
	v_add_f64 v[104:105], v[102:103], 0
	v_lshl_add_u64 v[150:151], v[108:109], 3, v[138:139]
	s_mov_b64 s[2:3], 0
	global_store_dwordx2 v[150:151], v[104:105], off
	v_lshlrev_b64 v[150:151], 3, v[108:109]
	s_cbranch_execz .LBB181_55
; %bb.53:
	v_mov_b64_e32 v[152:153], s[2:3]
	s_branch .LBB181_56
.LBB181_54:
	s_mov_b64 s[2:3], -1
	v_lshlrev_b64 v[150:151], 3, v[108:109]
.LBB181_55:
	v_lshl_add_u64 v[104:105], v[146:147], 0, v[150:151]
	flat_load_dwordx2 v[104:105], v[104:105]
	v_lshl_add_u64 v[152:153], v[138:139], 0, v[150:151]
	s_waitcnt vmcnt(0) lgkmcnt(0)
	v_fmac_f64_e32 v[102:103], s[6:7], v[104:105]
	global_store_dwordx2 v[152:153], v[102:103], off
	v_lshl_add_u64 v[102:103], v[106:107], 3, v[146:147]
	flat_load_dwordx2 v[102:103], v[102:103]
	s_waitcnt vmcnt(0) lgkmcnt(0)
	v_mul_f64 v[152:153], v[102:103], s[6:7]
.LBB181_56:
	v_add_u32_e32 v104, 56, v130
	v_add_u32_e32 v102, 60, v130
	v_ashrrev_i32_e32 v105, 31, v104
	v_ashrrev_i32_e32 v103, 31, v102
	v_add_f64 v[100:101], v[100:101], v[152:153]
	v_lshl_add_u64 v[152:153], v[106:107], 3, v[138:139]
	s_mov_b64 vcc, s[4:5]
	global_store_dwordx2 v[152:153], v[100:101], off
	s_cbranch_vccz .LBB181_59
; %bb.57:
	v_add_f64 v[100:101], v[98:99], 0
	v_lshl_add_u64 v[152:153], v[104:105], 3, v[138:139]
	s_mov_b64 s[2:3], 0
	global_store_dwordx2 v[152:153], v[100:101], off
	v_lshlrev_b64 v[152:153], 3, v[104:105]
	s_cbranch_execz .LBB181_60
; %bb.58:
	v_mov_b64_e32 v[154:155], s[2:3]
	s_branch .LBB181_61
.LBB181_59:
	s_mov_b64 s[2:3], -1
	v_lshlrev_b64 v[152:153], 3, v[104:105]
.LBB181_60:
	v_lshl_add_u64 v[100:101], v[146:147], 0, v[152:153]
	flat_load_dwordx2 v[100:101], v[100:101]
	v_lshl_add_u64 v[154:155], v[138:139], 0, v[152:153]
	s_waitcnt vmcnt(0) lgkmcnt(0)
	v_fmac_f64_e32 v[98:99], s[6:7], v[100:101]
	global_store_dwordx2 v[154:155], v[98:99], off
	v_lshl_add_u64 v[98:99], v[102:103], 3, v[146:147]
	flat_load_dwordx2 v[98:99], v[98:99]
	s_waitcnt vmcnt(0) lgkmcnt(0)
	v_mul_f64 v[154:155], v[98:99], s[6:7]
.LBB181_61:
	v_add_u32_e32 v100, 64, v130
	v_add_u32_e32 v98, 0x44, v130
	v_ashrrev_i32_e32 v101, 31, v100
	v_ashrrev_i32_e32 v99, 31, v98
	v_add_f64 v[96:97], v[96:97], v[154:155]
	v_lshl_add_u64 v[154:155], v[102:103], 3, v[138:139]
	s_mov_b64 vcc, s[4:5]
	global_store_dwordx2 v[154:155], v[96:97], off
	s_cbranch_vccz .LBB181_64
; %bb.62:
	v_add_f64 v[96:97], v[94:95], 0
	v_lshl_add_u64 v[154:155], v[100:101], 3, v[138:139]
	s_mov_b64 s[2:3], 0
	global_store_dwordx2 v[154:155], v[96:97], off
	v_lshlrev_b64 v[154:155], 3, v[100:101]
	s_cbranch_execz .LBB181_65
; %bb.63:
	v_mov_b64_e32 v[156:157], s[2:3]
	s_branch .LBB181_66
.LBB181_64:
	s_mov_b64 s[2:3], -1
	v_lshlrev_b64 v[154:155], 3, v[100:101]
.LBB181_65:
	v_lshl_add_u64 v[96:97], v[146:147], 0, v[154:155]
	flat_load_dwordx2 v[96:97], v[96:97]
	v_lshl_add_u64 v[156:157], v[138:139], 0, v[154:155]
	s_waitcnt vmcnt(0) lgkmcnt(0)
	v_fmac_f64_e32 v[94:95], s[6:7], v[96:97]
	global_store_dwordx2 v[156:157], v[94:95], off
	v_lshl_add_u64 v[94:95], v[98:99], 3, v[146:147]
	flat_load_dwordx2 v[94:95], v[94:95]
	s_waitcnt vmcnt(0) lgkmcnt(0)
	v_mul_f64 v[156:157], v[94:95], s[6:7]
.LBB181_66:
	v_add_u32_e32 v96, 0x48, v130
	v_add_u32_e32 v94, 0x4c, v130
	v_ashrrev_i32_e32 v97, 31, v96
	v_ashrrev_i32_e32 v95, 31, v94
	v_add_f64 v[92:93], v[92:93], v[156:157]
	v_lshl_add_u64 v[156:157], v[98:99], 3, v[138:139]
	s_mov_b64 vcc, s[4:5]
	global_store_dwordx2 v[156:157], v[92:93], off
	s_cbranch_vccz .LBB181_69
; %bb.67:
	v_add_f64 v[92:93], v[90:91], 0
	v_lshl_add_u64 v[156:157], v[96:97], 3, v[138:139]
	s_mov_b64 s[2:3], 0
	global_store_dwordx2 v[156:157], v[92:93], off
	v_lshlrev_b64 v[156:157], 3, v[96:97]
	s_cbranch_execz .LBB181_70
; %bb.68:
	v_mov_b64_e32 v[158:159], s[2:3]
	s_branch .LBB181_71
.LBB181_69:
	s_mov_b64 s[2:3], -1
	v_lshlrev_b64 v[156:157], 3, v[96:97]
.LBB181_70:
	v_lshl_add_u64 v[92:93], v[146:147], 0, v[156:157]
	flat_load_dwordx2 v[92:93], v[92:93]
	v_lshl_add_u64 v[158:159], v[138:139], 0, v[156:157]
	s_waitcnt vmcnt(0) lgkmcnt(0)
	v_fmac_f64_e32 v[90:91], s[6:7], v[92:93]
	global_store_dwordx2 v[158:159], v[90:91], off
	v_lshl_add_u64 v[90:91], v[94:95], 3, v[146:147]
	flat_load_dwordx2 v[90:91], v[90:91]
	s_waitcnt vmcnt(0) lgkmcnt(0)
	v_mul_f64 v[158:159], v[90:91], s[6:7]
.LBB181_71:
	v_add_u32_e32 v92, 0x50, v130
	v_add_u32_e32 v90, 0x54, v130
	v_ashrrev_i32_e32 v93, 31, v92
	v_ashrrev_i32_e32 v91, 31, v90
	v_add_f64 v[88:89], v[88:89], v[158:159]
	v_lshl_add_u64 v[158:159], v[94:95], 3, v[138:139]
	s_mov_b64 vcc, s[4:5]
	global_store_dwordx2 v[158:159], v[88:89], off
	s_cbranch_vccz .LBB181_74
; %bb.72:
	v_add_f64 v[88:89], v[86:87], 0
	v_lshl_add_u64 v[158:159], v[92:93], 3, v[138:139]
	s_mov_b64 s[2:3], 0
	global_store_dwordx2 v[158:159], v[88:89], off
	v_lshlrev_b64 v[158:159], 3, v[92:93]
	s_cbranch_execz .LBB181_75
; %bb.73:
	v_mov_b64_e32 v[160:161], s[2:3]
	s_branch .LBB181_76
.LBB181_74:
	s_mov_b64 s[2:3], -1
	v_lshlrev_b64 v[158:159], 3, v[92:93]
.LBB181_75:
	v_lshl_add_u64 v[88:89], v[146:147], 0, v[158:159]
	flat_load_dwordx2 v[88:89], v[88:89]
	v_lshl_add_u64 v[160:161], v[138:139], 0, v[158:159]
	s_waitcnt vmcnt(0) lgkmcnt(0)
	v_fmac_f64_e32 v[86:87], s[6:7], v[88:89]
	global_store_dwordx2 v[160:161], v[86:87], off
	v_lshl_add_u64 v[86:87], v[90:91], 3, v[146:147]
	flat_load_dwordx2 v[86:87], v[86:87]
	s_waitcnt vmcnt(0) lgkmcnt(0)
	v_mul_f64 v[160:161], v[86:87], s[6:7]
.LBB181_76:
	v_add_u32_e32 v88, 0x58, v130
	v_add_u32_e32 v86, 0x5c, v130
	v_ashrrev_i32_e32 v89, 31, v88
	v_ashrrev_i32_e32 v87, 31, v86
	v_add_f64 v[84:85], v[84:85], v[160:161]
	v_lshl_add_u64 v[160:161], v[90:91], 3, v[138:139]
	s_mov_b64 vcc, s[4:5]
	global_store_dwordx2 v[160:161], v[84:85], off
	s_cbranch_vccz .LBB181_79
; %bb.77:
	v_add_f64 v[84:85], v[82:83], 0
	v_lshl_add_u64 v[160:161], v[88:89], 3, v[138:139]
	s_mov_b64 s[2:3], 0
	global_store_dwordx2 v[160:161], v[84:85], off
	v_lshlrev_b64 v[160:161], 3, v[88:89]
	s_cbranch_execz .LBB181_80
; %bb.78:
	v_mov_b64_e32 v[162:163], s[2:3]
	s_branch .LBB181_81
.LBB181_79:
	s_mov_b64 s[2:3], -1
	v_lshlrev_b64 v[160:161], 3, v[88:89]
.LBB181_80:
	v_lshl_add_u64 v[84:85], v[146:147], 0, v[160:161]
	flat_load_dwordx2 v[84:85], v[84:85]
	v_lshl_add_u64 v[162:163], v[138:139], 0, v[160:161]
	s_waitcnt vmcnt(0) lgkmcnt(0)
	v_fmac_f64_e32 v[82:83], s[6:7], v[84:85]
	global_store_dwordx2 v[162:163], v[82:83], off
	v_lshl_add_u64 v[82:83], v[86:87], 3, v[146:147]
	flat_load_dwordx2 v[82:83], v[82:83]
	s_waitcnt vmcnt(0) lgkmcnt(0)
	v_mul_f64 v[162:163], v[82:83], s[6:7]
.LBB181_81:
	v_add_u32_e32 v84, 0x60, v130
	v_add_u32_e32 v82, 0x64, v130
	v_ashrrev_i32_e32 v85, 31, v84
	v_ashrrev_i32_e32 v83, 31, v82
	v_add_f64 v[80:81], v[80:81], v[162:163]
	v_lshl_add_u64 v[162:163], v[86:87], 3, v[138:139]
	s_mov_b64 vcc, s[4:5]
	global_store_dwordx2 v[162:163], v[80:81], off
	s_cbranch_vccz .LBB181_84
; %bb.82:
	v_add_f64 v[80:81], v[78:79], 0
	v_lshl_add_u64 v[162:163], v[84:85], 3, v[138:139]
	s_mov_b64 s[2:3], 0
	global_store_dwordx2 v[162:163], v[80:81], off
	v_lshlrev_b64 v[162:163], 3, v[84:85]
	s_cbranch_execz .LBB181_85
; %bb.83:
	v_mov_b64_e32 v[164:165], s[2:3]
	s_branch .LBB181_86
.LBB181_84:
	s_mov_b64 s[2:3], -1
	v_lshlrev_b64 v[162:163], 3, v[84:85]
.LBB181_85:
	v_lshl_add_u64 v[80:81], v[146:147], 0, v[162:163]
	flat_load_dwordx2 v[80:81], v[80:81]
	v_lshl_add_u64 v[164:165], v[138:139], 0, v[162:163]
	s_waitcnt vmcnt(0) lgkmcnt(0)
	v_fmac_f64_e32 v[78:79], s[6:7], v[80:81]
	global_store_dwordx2 v[164:165], v[78:79], off
	v_lshl_add_u64 v[78:79], v[82:83], 3, v[146:147]
	flat_load_dwordx2 v[78:79], v[78:79]
	s_waitcnt vmcnt(0) lgkmcnt(0)
	v_mul_f64 v[164:165], v[78:79], s[6:7]
.LBB181_86:
	v_add_u32_e32 v80, 0x68, v130
	v_add_u32_e32 v78, 0x6c, v130
	v_ashrrev_i32_e32 v81, 31, v80
	v_ashrrev_i32_e32 v79, 31, v78
	v_add_f64 v[76:77], v[76:77], v[164:165]
	v_lshl_add_u64 v[164:165], v[82:83], 3, v[138:139]
	s_mov_b64 vcc, s[4:5]
	global_store_dwordx2 v[164:165], v[76:77], off
	s_cbranch_vccz .LBB181_89
; %bb.87:
	v_add_f64 v[76:77], v[74:75], 0
	v_lshl_add_u64 v[164:165], v[80:81], 3, v[138:139]
	s_mov_b64 s[2:3], 0
	global_store_dwordx2 v[164:165], v[76:77], off
	v_lshlrev_b64 v[164:165], 3, v[80:81]
	s_cbranch_execz .LBB181_90
; %bb.88:
	v_mov_b64_e32 v[166:167], s[2:3]
	s_branch .LBB181_91
.LBB181_89:
	s_mov_b64 s[2:3], -1
	v_lshlrev_b64 v[164:165], 3, v[80:81]
.LBB181_90:
	v_lshl_add_u64 v[76:77], v[146:147], 0, v[164:165]
	flat_load_dwordx2 v[76:77], v[76:77]
	v_lshl_add_u64 v[166:167], v[138:139], 0, v[164:165]
	s_waitcnt vmcnt(0) lgkmcnt(0)
	v_fmac_f64_e32 v[74:75], s[6:7], v[76:77]
	global_store_dwordx2 v[166:167], v[74:75], off
	v_lshl_add_u64 v[74:75], v[78:79], 3, v[146:147]
	flat_load_dwordx2 v[74:75], v[74:75]
	s_waitcnt vmcnt(0) lgkmcnt(0)
	v_mul_f64 v[166:167], v[74:75], s[6:7]
.LBB181_91:
	v_add_u32_e32 v76, 0x70, v130
	v_add_u32_e32 v74, 0x74, v130
	v_ashrrev_i32_e32 v77, 31, v76
	v_ashrrev_i32_e32 v75, 31, v74
	v_add_f64 v[72:73], v[72:73], v[166:167]
	v_lshl_add_u64 v[166:167], v[78:79], 3, v[138:139]
	s_mov_b64 vcc, s[4:5]
	global_store_dwordx2 v[166:167], v[72:73], off
	s_cbranch_vccz .LBB181_94
; %bb.92:
	v_add_f64 v[72:73], v[70:71], 0
	v_lshl_add_u64 v[166:167], v[76:77], 3, v[138:139]
	s_mov_b64 s[2:3], 0
	global_store_dwordx2 v[166:167], v[72:73], off
	v_lshlrev_b64 v[166:167], 3, v[76:77]
	s_cbranch_execz .LBB181_95
; %bb.93:
	v_mov_b64_e32 v[168:169], s[2:3]
	s_branch .LBB181_96
.LBB181_94:
	s_mov_b64 s[2:3], -1
	v_lshlrev_b64 v[166:167], 3, v[76:77]
.LBB181_95:
	v_lshl_add_u64 v[72:73], v[146:147], 0, v[166:167]
	flat_load_dwordx2 v[72:73], v[72:73]
	v_lshl_add_u64 v[168:169], v[138:139], 0, v[166:167]
	s_waitcnt vmcnt(0) lgkmcnt(0)
	v_fmac_f64_e32 v[70:71], s[6:7], v[72:73]
	global_store_dwordx2 v[168:169], v[70:71], off
	v_lshl_add_u64 v[70:71], v[74:75], 3, v[146:147]
	flat_load_dwordx2 v[70:71], v[70:71]
	s_waitcnt vmcnt(0) lgkmcnt(0)
	v_mul_f64 v[168:169], v[70:71], s[6:7]
.LBB181_96:
	v_add_u32_e32 v72, 0x78, v130
	v_add_u32_e32 v70, 0x7c, v130
	v_ashrrev_i32_e32 v73, 31, v72
	v_ashrrev_i32_e32 v71, 31, v70
	v_add_f64 v[68:69], v[68:69], v[168:169]
	v_lshl_add_u64 v[168:169], v[74:75], 3, v[138:139]
	s_mov_b64 vcc, s[4:5]
	global_store_dwordx2 v[168:169], v[68:69], off
	s_cbranch_vccz .LBB181_99
; %bb.97:
	v_add_f64 v[68:69], v[66:67], 0
	v_lshl_add_u64 v[168:169], v[72:73], 3, v[138:139]
	s_mov_b64 s[2:3], 0
	global_store_dwordx2 v[168:169], v[68:69], off
	v_lshlrev_b64 v[68:69], 3, v[72:73]
	s_cbranch_execz .LBB181_100
; %bb.98:
	v_mov_b64_e32 v[66:67], s[2:3]
	s_branch .LBB181_101
.LBB181_99:
	s_mov_b64 s[2:3], -1
	v_lshlrev_b64 v[68:69], 3, v[72:73]
.LBB181_100:
	v_lshl_add_u64 v[168:169], v[146:147], 0, v[68:69]
	flat_load_dwordx2 v[168:169], v[168:169]
	v_lshl_add_u64 v[172:173], v[138:139], 0, v[68:69]
	s_waitcnt vmcnt(0) lgkmcnt(0)
	v_fmac_f64_e32 v[66:67], s[6:7], v[168:169]
	global_store_dwordx2 v[172:173], v[66:67], off
	v_lshl_add_u64 v[66:67], v[70:71], 3, v[146:147]
	flat_load_dwordx2 v[66:67], v[66:67]
	s_waitcnt vmcnt(0) lgkmcnt(0)
	v_mul_f64 v[66:67], v[66:67], s[6:7]
.LBB181_101:
	v_add_f64 v[64:65], v[64:65], v[66:67]
	v_lshl_add_u64 v[66:67], v[70:71], 3, v[138:139]
	global_store_dwordx2 v[66:67], v[64:65], off
	v_add_u32_e32 v66, 64, v170
	v_mad_i64_i32 v[64:65], s[2:3], v66, s9, 0
	v_lshl_add_u64 v[64:65], v[64:65], 3, s[0:1]
	v_mad_i64_i32 v[66:67], s[0:1], v66, s8, 0
	s_mov_b64 vcc, s[4:5]
	s_cbranch_vccz .LBB181_104
; %bb.102:
	v_add_f64 v[138:139], v[62:63], 0
	v_lshl_add_u64 v[130:131], v[130:131], 3, v[64:65]
	s_mov_b64 s[0:1], 0
	global_store_dwordx2 v[130:131], v[138:139], off
	v_lshl_add_u64 v[66:67], v[66:67], 3, s[12:13]
	s_cbranch_execz .LBB181_105
; %bb.103:
	v_mov_b64_e32 v[62:63], s[0:1]
	s_branch .LBB181_106
.LBB181_104:
	s_mov_b64 s[0:1], -1
	v_lshl_add_u64 v[66:67], v[66:67], 3, s[12:13]
.LBB181_105:
	v_lshl_add_u64 v[130:131], v[66:67], 0, v[134:135]
	flat_load_dwordx2 v[130:131], v[130:131]
	v_lshl_add_u64 v[134:135], v[64:65], 0, v[134:135]
	s_waitcnt vmcnt(0) lgkmcnt(0)
	v_fmac_f64_e32 v[62:63], s[6:7], v[130:131]
	global_store_dwordx2 v[134:135], v[62:63], off
	v_lshl_add_u64 v[62:63], v[128:129], 3, v[66:67]
	flat_load_dwordx2 v[62:63], v[62:63]
	s_waitcnt vmcnt(0) lgkmcnt(0)
	v_mul_f64 v[62:63], v[62:63], s[6:7]
.LBB181_106:
	v_add_f64 v[60:61], v[60:61], v[62:63]
	v_lshl_add_u64 v[62:63], v[128:129], 3, v[64:65]
	s_mov_b64 vcc, s[4:5]
	global_store_dwordx2 v[62:63], v[60:61], off
	s_cbranch_vccz .LBB181_109
; %bb.107:
	v_add_f64 v[60:61], v[58:59], 0
	v_lshl_add_u64 v[62:63], v[132:133], 3, v[64:65]
	s_mov_b64 s[0:1], 0
	global_store_dwordx2 v[62:63], v[60:61], off
	s_cbranch_execz .LBB181_110
; %bb.108:
	v_mov_b64_e32 v[58:59], s[0:1]
	s_branch .LBB181_111
.LBB181_109:
	s_mov_b64 s[0:1], -1
.LBB181_110:
	v_lshl_add_u64 v[60:61], v[66:67], 0, v[136:137]
	flat_load_dwordx2 v[60:61], v[60:61]
	v_lshl_add_u64 v[62:63], v[64:65], 0, v[136:137]
	s_waitcnt vmcnt(0) lgkmcnt(0)
	v_fmac_f64_e32 v[58:59], s[6:7], v[60:61]
	global_store_dwordx2 v[62:63], v[58:59], off
	v_lshl_add_u64 v[58:59], v[126:127], 3, v[66:67]
	flat_load_dwordx2 v[58:59], v[58:59]
	s_waitcnt vmcnt(0) lgkmcnt(0)
	v_mul_f64 v[58:59], v[58:59], s[6:7]
.LBB181_111:
	v_add_f64 v[56:57], v[56:57], v[58:59]
	v_lshl_add_u64 v[58:59], v[126:127], 3, v[64:65]
	s_mov_b64 vcc, s[4:5]
	global_store_dwordx2 v[58:59], v[56:57], off
	s_cbranch_vccz .LBB181_114
; %bb.112:
	v_add_f64 v[56:57], v[54:55], 0
	v_lshl_add_u64 v[58:59], v[124:125], 3, v[64:65]
	s_mov_b64 s[0:1], 0
	global_store_dwordx2 v[58:59], v[56:57], off
	s_cbranch_execz .LBB181_115
; %bb.113:
	v_mov_b64_e32 v[54:55], s[0:1]
	s_branch .LBB181_116
.LBB181_114:
	s_mov_b64 s[0:1], -1
.LBB181_115:
	v_lshl_add_u64 v[56:57], v[66:67], 0, v[140:141]
	flat_load_dwordx2 v[56:57], v[56:57]
	v_lshl_add_u64 v[58:59], v[64:65], 0, v[140:141]
	s_waitcnt vmcnt(0) lgkmcnt(0)
	v_fmac_f64_e32 v[54:55], s[6:7], v[56:57]
	global_store_dwordx2 v[58:59], v[54:55], off
	v_lshl_add_u64 v[54:55], v[122:123], 3, v[66:67]
	flat_load_dwordx2 v[54:55], v[54:55]
	s_waitcnt vmcnt(0) lgkmcnt(0)
	v_mul_f64 v[54:55], v[54:55], s[6:7]
.LBB181_116:
	;; [unrolled: 28-line block ×14, first 2 shown]
	v_add_f64 v[4:5], v[4:5], v[6:7]
	v_lshl_add_u64 v[6:7], v[74:75], 3, v[64:65]
	s_mov_b64 vcc, s[4:5]
	global_store_dwordx2 v[6:7], v[4:5], off
	s_cbranch_vccz .LBB181_179
; %bb.177:
	v_add_f64 v[4:5], v[2:3], 0
	v_lshl_add_u64 v[6:7], v[72:73], 3, v[64:65]
	s_mov_b64 s[0:1], 0
	global_store_dwordx2 v[6:7], v[4:5], off
	s_cbranch_execz .LBB181_180
; %bb.178:
	v_mov_b64_e32 v[2:3], s[0:1]
	v_add_f64 v[0:1], v[0:1], v[2:3]
	v_lshl_add_u64 v[2:3], v[70:71], 3, v[64:65]
	global_store_dwordx2 v[2:3], v[0:1], off
	s_endpgm
.LBB181_179:
	s_mov_b64 s[0:1], -1
.LBB181_180:
	v_lshl_add_u64 v[4:5], v[66:67], 0, v[68:69]
	flat_load_dwordx2 v[4:5], v[4:5]
	v_lshl_add_u64 v[6:7], v[64:65], 0, v[68:69]
	s_waitcnt vmcnt(0) lgkmcnt(0)
	v_fmac_f64_e32 v[2:3], s[6:7], v[4:5]
	global_store_dwordx2 v[6:7], v[2:3], off
	v_lshl_add_u64 v[2:3], v[70:71], 3, v[66:67]
	flat_load_dwordx2 v[2:3], v[2:3]
	s_waitcnt vmcnt(0) lgkmcnt(0)
	v_mul_f64 v[2:3], v[2:3], s[6:7]
	v_add_f64 v[0:1], v[0:1], v[2:3]
	v_lshl_add_u64 v[2:3], v[70:71], 3, v[64:65]
	global_store_dwordx2 v[2:3], v[0:1], off
	s_endpgm
	.section	.rodata,"a",@progbits
	.p2align	6, 0x0
	.amdhsa_kernel _ZN12_GLOBAL__N_120geam_min_plus_kernelIdddLi4ELi64ELi128ELi128ELi4ELi64ELi4ELi4ELi64ELc78ELc78ELb1ELb0ELb0EdKddEEviiiT16_PT17_ilS4_ilS2_S4_ilPT18_ili26rocblas_geam_ex_operation_
		.amdhsa_group_segment_fixed_size 16384
		.amdhsa_private_segment_fixed_size 0
		.amdhsa_kernarg_size 136
		.amdhsa_user_sgpr_count 2
		.amdhsa_user_sgpr_dispatch_ptr 0
		.amdhsa_user_sgpr_queue_ptr 0
		.amdhsa_user_sgpr_kernarg_segment_ptr 1
		.amdhsa_user_sgpr_dispatch_id 0
		.amdhsa_user_sgpr_kernarg_preload_length 0
		.amdhsa_user_sgpr_kernarg_preload_offset 0
		.amdhsa_user_sgpr_private_segment_size 0
		.amdhsa_uses_dynamic_stack 0
		.amdhsa_enable_private_segment 0
		.amdhsa_system_sgpr_workgroup_id_x 1
		.amdhsa_system_sgpr_workgroup_id_y 0
		.amdhsa_system_sgpr_workgroup_id_z 1
		.amdhsa_system_sgpr_workgroup_info 0
		.amdhsa_system_vgpr_workitem_id 1
		.amdhsa_next_free_vgpr 256
		.amdhsa_next_free_sgpr 25
		.amdhsa_accum_offset 256
		.amdhsa_reserve_vcc 1
		.amdhsa_float_round_mode_32 0
		.amdhsa_float_round_mode_16_64 0
		.amdhsa_float_denorm_mode_32 3
		.amdhsa_float_denorm_mode_16_64 3
		.amdhsa_dx10_clamp 1
		.amdhsa_ieee_mode 1
		.amdhsa_fp16_overflow 0
		.amdhsa_tg_split 0
		.amdhsa_exception_fp_ieee_invalid_op 0
		.amdhsa_exception_fp_denorm_src 0
		.amdhsa_exception_fp_ieee_div_zero 0
		.amdhsa_exception_fp_ieee_overflow 0
		.amdhsa_exception_fp_ieee_underflow 0
		.amdhsa_exception_fp_ieee_inexact 0
		.amdhsa_exception_int_div_zero 0
	.end_amdhsa_kernel
	.section	.text._ZN12_GLOBAL__N_120geam_min_plus_kernelIdddLi4ELi64ELi128ELi128ELi4ELi64ELi4ELi4ELi64ELc78ELc78ELb1ELb0ELb0EdKddEEviiiT16_PT17_ilS4_ilS2_S4_ilPT18_ili26rocblas_geam_ex_operation_,"axG",@progbits,_ZN12_GLOBAL__N_120geam_min_plus_kernelIdddLi4ELi64ELi128ELi128ELi4ELi64ELi4ELi4ELi64ELc78ELc78ELb1ELb0ELb0EdKddEEviiiT16_PT17_ilS4_ilS2_S4_ilPT18_ili26rocblas_geam_ex_operation_,comdat
.Lfunc_end181:
	.size	_ZN12_GLOBAL__N_120geam_min_plus_kernelIdddLi4ELi64ELi128ELi128ELi4ELi64ELi4ELi4ELi64ELc78ELc78ELb1ELb0ELb0EdKddEEviiiT16_PT17_ilS4_ilS2_S4_ilPT18_ili26rocblas_geam_ex_operation_, .Lfunc_end181-_ZN12_GLOBAL__N_120geam_min_plus_kernelIdddLi4ELi64ELi128ELi128ELi4ELi64ELi4ELi4ELi64ELc78ELc78ELb1ELb0ELb0EdKddEEviiiT16_PT17_ilS4_ilS2_S4_ilPT18_ili26rocblas_geam_ex_operation_
                                        ; -- End function
	.section	.AMDGPU.csdata,"",@progbits
; Kernel info:
; codeLenInByte = 12632
; NumSgprs: 31
; NumVgprs: 256
; NumAgprs: 0
; TotalNumVgprs: 256
; ScratchSize: 0
; MemoryBound: 0
; FloatMode: 240
; IeeeMode: 1
; LDSByteSize: 16384 bytes/workgroup (compile time only)
; SGPRBlocks: 3
; VGPRBlocks: 31
; NumSGPRsForWavesPerEU: 31
; NumVGPRsForWavesPerEU: 256
; AccumOffset: 256
; Occupancy: 2
; WaveLimiterHint : 1
; COMPUTE_PGM_RSRC2:SCRATCH_EN: 0
; COMPUTE_PGM_RSRC2:USER_SGPR: 2
; COMPUTE_PGM_RSRC2:TRAP_HANDLER: 0
; COMPUTE_PGM_RSRC2:TGID_X_EN: 1
; COMPUTE_PGM_RSRC2:TGID_Y_EN: 0
; COMPUTE_PGM_RSRC2:TGID_Z_EN: 1
; COMPUTE_PGM_RSRC2:TIDIG_COMP_CNT: 1
; COMPUTE_PGM_RSRC3_GFX90A:ACCUM_OFFSET: 63
; COMPUTE_PGM_RSRC3_GFX90A:TG_SPLIT: 0
	.section	.text._ZN12_GLOBAL__N_120geam_min_plus_kernelIdddLi4ELi64ELi128ELi128ELi4ELi64ELi4ELi4ELi64ELc78ELc78ELb0ELb0ELb0EdKddEEviiiT16_PT17_ilS4_ilS2_S4_ilPT18_ili26rocblas_geam_ex_operation_,"axG",@progbits,_ZN12_GLOBAL__N_120geam_min_plus_kernelIdddLi4ELi64ELi128ELi128ELi4ELi64ELi4ELi4ELi64ELc78ELc78ELb0ELb0ELb0EdKddEEviiiT16_PT17_ilS4_ilS2_S4_ilPT18_ili26rocblas_geam_ex_operation_,comdat
	.globl	_ZN12_GLOBAL__N_120geam_min_plus_kernelIdddLi4ELi64ELi128ELi128ELi4ELi64ELi4ELi4ELi64ELc78ELc78ELb0ELb0ELb0EdKddEEviiiT16_PT17_ilS4_ilS2_S4_ilPT18_ili26rocblas_geam_ex_operation_ ; -- Begin function _ZN12_GLOBAL__N_120geam_min_plus_kernelIdddLi4ELi64ELi128ELi128ELi4ELi64ELi4ELi4ELi64ELc78ELc78ELb0ELb0ELb0EdKddEEviiiT16_PT17_ilS4_ilS2_S4_ilPT18_ili26rocblas_geam_ex_operation_
	.p2align	8
	.type	_ZN12_GLOBAL__N_120geam_min_plus_kernelIdddLi4ELi64ELi128ELi128ELi4ELi64ELi4ELi4ELi64ELc78ELc78ELb0ELb0ELb0EdKddEEviiiT16_PT17_ilS4_ilS2_S4_ilPT18_ili26rocblas_geam_ex_operation_,@function
_ZN12_GLOBAL__N_120geam_min_plus_kernelIdddLi4ELi64ELi128ELi128ELi4ELi64ELi4ELi4ELi64ELc78ELc78ELb0ELb0ELb0EdKddEEviiiT16_PT17_ilS4_ilS2_S4_ilPT18_ili26rocblas_geam_ex_operation_: ; @_ZN12_GLOBAL__N_120geam_min_plus_kernelIdddLi4ELi64ELi128ELi128ELi4ELi64ELi4ELi4ELi64ELc78ELc78ELb0ELb0ELb0EdKddEEviiiT16_PT17_ilS4_ilS2_S4_ilPT18_ili26rocblas_geam_ex_operation_
; %bb.0:
	s_load_dwordx4 s[16:19], s[0:1], 0x10
	s_load_dwordx4 s[4:7], s[0:1], 0x28
	s_mov_b64 s[22:23], 0
	s_waitcnt lgkmcnt(0)
	v_cmp_eq_f64_e64 s[12:13], s[16:17], 0
	s_and_b64 vcc, exec, s[12:13]
	s_cbranch_vccnz .LBB182_2
; %bb.1:
	s_mul_i32 s5, s3, s5
	s_mul_hi_u32 s8, s3, s4
	s_add_i32 s5, s8, s5
	s_mul_i32 s4, s3, s4
	s_lshl_b64 s[4:5], s[4:5], 3
	s_add_u32 s22, s18, s4
	s_addc_u32 s23, s19, s5
.LBB182_2:
	s_load_dwordx4 s[8:11], s[0:1], 0x40
	s_load_dwordx2 s[4:5], s[0:1], 0x50
	s_andn2_b64 vcc, exec, s[12:13]
	s_cbranch_vccnz .LBB182_4
; %bb.3:
	s_mov_b32 s19, 0
	s_mov_b64 s[20:21], 0
	s_cbranch_execz .LBB182_5
	s_branch .LBB182_6
.LBB182_4:
                                        ; implicit-def: $sgpr20_sgpr21
                                        ; implicit-def: $sgpr18_sgpr19
.LBB182_5:
	s_waitcnt lgkmcnt(0)
	s_mul_i32 s9, s3, s9
	s_mul_hi_u32 s12, s3, s8
	s_add_i32 s9, s12, s9
	s_mul_i32 s8, s3, s8
	s_lshl_b64 s[8:9], s[8:9], 3
	s_add_u32 s20, s6, s8
	s_mov_b32 s19, 0
	s_addc_u32 s21, s7, s9
.LBB182_6:
	s_load_dwordx4 s[12:15], s[0:1], 0x60
	s_waitcnt lgkmcnt(0)
	v_cmp_eq_f64_e64 s[6:7], s[10:11], 0
	s_and_b64 s[6:7], exec, s[6:7]
	v_cmp_neq_f64_e64 s[24:25], s[16:17], 0
	s_mov_b64 s[8:9], 0
	s_mov_b64 vcc, s[6:7]
	s_cbranch_vccnz .LBB182_8
; %bb.7:
	s_mul_i32 s8, s3, s13
	s_mul_hi_u32 s9, s3, s12
	s_add_i32 s8, s9, s8
	s_mul_i32 s9, s19, s12
	s_add_i32 s9, s8, s9
	s_mul_i32 s8, s3, s12
	s_lshl_b64 s[8:9], s[8:9], 3
	s_add_u32 s8, s4, s8
	s_addc_u32 s9, s5, s9
.LBB182_8:
	s_load_dword s4, s[0:1], 0x0
	s_load_dword s26, s[0:1], 0x20
	v_and_b32_e32 v144, 0x3ff, v0
	v_bfe_u32 v145, v0, 10, 10
	v_cndmask_b32_e64 v0, 0, 1, s[24:25]
	s_waitcnt lgkmcnt(0)
	s_add_i32 s4, s4, -1
	s_ashr_i32 s5, s4, 31
	s_lshr_b32 s5, s5, 25
	s_add_i32 s4, s4, s5
	s_ashr_i32 s12, s4, 7
	s_add_i32 s13, s12, 1
	v_cvt_f32_u32_e32 v1, s13
	v_cmp_ne_u32_e64 s[4:5], 1, v0
	s_not_b32 s12, s12
	s_ashr_i32 s27, s26, 31
	v_rcp_iflag_f32_e32 v1, v1
	v_lshl_add_u32 v4, v145, 2, v144
	v_and_b32_e32 v142, 63, v4
	v_lshrrev_b32_e32 v146, 6, v4
	v_mul_f32_e32 v0, 0x4f7ffffe, v1
	v_cvt_u32_f32_e32 v0, v0
	s_nop 0
	v_readfirstlane_b32 s18, v0
	s_mul_i32 s12, s12, s18
	s_mul_hi_u32 s12, s18, s12
	s_add_i32 s18, s18, s12
	s_mul_hi_u32 s12, s2, s18
	s_mul_i32 s18, s12, s13
	s_sub_i32 s18, s2, s18
	s_add_i32 s28, s12, 1
	s_sub_i32 s29, s18, s13
	s_cmp_ge_u32 s18, s13
	s_cselect_b32 s12, s28, s12
	s_cselect_b32 s18, s29, s18
	s_add_i32 s28, s12, 1
	s_cmp_ge_u32 s18, s13
	s_cselect_b32 s12, s28, s12
	s_mul_i32 s13, s12, s13
	s_sub_i32 s2, s2, s13
	s_lshl_b32 s2, s2, 7
	v_or_b32_e32 v132, s2, v142
	s_andn2_b64 vcc, exec, s[24:25]
	v_ashrrev_i32_e32 v133, 31, v132
	s_cbranch_vccnz .LBB182_10
; %bb.9:
	v_mad_i64_i32 v[0:1], s[24:25], s26, v146, 0
	v_lshl_add_u64 v[0:1], v[0:1], 3, s[22:23]
	v_lshl_add_u64 v[0:1], v[132:133], 3, v[0:1]
	flat_load_dwordx2 v[2:3], v[0:1]
	flat_load_dwordx2 v[6:7], v[0:1] offset:512
	s_waitcnt vmcnt(0) lgkmcnt(0)
	v_mul_f64 v[0:1], v[2:3], s[16:17]
	v_mul_f64 v[2:3], v[6:7], s[16:17]
	s_branch .LBB182_11
.LBB182_10:
	v_mov_b64_e32 v[0:1], 0
	v_mov_b64_e32 v[2:3], 0
.LBB182_11:
	s_load_dword s24, s[0:1], 0x38
	v_lshrrev_b32_e32 v10, 2, v4
	s_lshl_b32 s18, s12, 7
	v_and_b32_e32 v147, 3, v144
	v_add_u32_e32 v139, s18, v10
	s_and_b64 vcc, exec, s[4:5]
	v_lshlrev_b32_e32 v4, 3, v147
	v_add_u32_e32 v138, 64, v139
	s_cbranch_vccnz .LBB182_15
; %bb.12:
	v_mov_b32_e32 v5, 0
	v_lshl_add_u64 v[6:7], s[20:21], 0, v[4:5]
	s_waitcnt lgkmcnt(0)
	v_mad_i64_i32 v[8:9], s[12:13], v139, s24, 0
	v_lshl_add_u64 v[8:9], v[8:9], 3, v[6:7]
	v_mad_i64_i32 v[12:13], s[12:13], v138, s24, 0
	v_lshl_add_u64 v[6:7], v[12:13], 3, v[6:7]
	flat_load_dwordx2 v[12:13], v[8:9]
	flat_load_dwordx2 v[14:15], v[6:7]
	s_waitcnt vmcnt(0) lgkmcnt(0)
	v_mul_f64 v[6:7], v[12:13], s[16:17]
	v_mul_f64 v[8:9], v[14:15], s[16:17]
	s_and_b64 vcc, exec, s[4:5]
	v_add_u32_e32 v148, 4, v146
	s_cbranch_vccnz .LBB182_16
.LBB182_13:
	v_mad_i64_i32 v[12:13], s[12:13], s26, v148, 0
	v_lshl_add_u64 v[12:13], v[12:13], 3, s[22:23]
	v_lshl_add_u64 v[12:13], v[132:133], 3, v[12:13]
	flat_load_dwordx2 v[14:15], v[12:13]
	flat_load_dwordx2 v[16:17], v[12:13] offset:512
	s_waitcnt vmcnt(0) lgkmcnt(0)
	v_mul_f64 v[128:129], v[14:15], s[16:17]
	v_mul_f64 v[130:131], v[16:17], s[16:17]
	s_and_b64 vcc, exec, s[4:5]
	s_cbranch_vccnz .LBB182_17
.LBB182_14:
	v_mov_b32_e32 v5, 0
	v_lshl_add_u64 v[12:13], s[20:21], 0, v[4:5]
	s_waitcnt lgkmcnt(0)
	v_mad_i64_i32 v[14:15], s[12:13], v139, s24, 0
	v_lshl_add_u64 v[14:15], v[14:15], 3, v[12:13]
	v_mad_i64_i32 v[16:17], s[12:13], v138, s24, 0
	v_lshl_add_u64 v[12:13], v[16:17], 3, v[12:13]
	flat_load_dwordx2 v[16:17], v[14:15] offset:32
	flat_load_dwordx2 v[18:19], v[12:13] offset:32
	s_waitcnt vmcnt(0) lgkmcnt(0)
	v_mul_f64 v[134:135], v[16:17], s[16:17]
	v_mul_f64 v[136:137], v[18:19], s[16:17]
	s_branch .LBB182_18
.LBB182_15:
	v_mov_b64_e32 v[6:7], 0
	v_mov_b64_e32 v[8:9], 0
	s_and_b64 vcc, exec, s[4:5]
	v_add_u32_e32 v148, 4, v146
	s_cbranch_vccz .LBB182_13
.LBB182_16:
	v_mov_b64_e32 v[128:129], 0
	v_mov_b64_e32 v[130:131], 0
	s_and_b64 vcc, exec, s[4:5]
	s_cbranch_vccz .LBB182_14
.LBB182_17:
	v_mov_b64_e32 v[134:135], 0
	v_mov_b64_e32 v[136:137], 0
.LBB182_18:
	v_lshlrev_b32_e32 v5, 3, v146
	v_lshl_add_u32 v149, v142, 5, v5
	v_lshl_or_b32 v141, v10, 5, v4
	v_lshlrev_b32_e32 v140, 5, v145
	ds_write2st64_b64 v149, v[0:1], v[2:3] offset1:4
	v_add_u32_e32 v150, 0x2000, v141
	ds_write2st64_b64 v141, v[6:7], v[8:9] offset0:16 offset1:20
	v_lshlrev_b32_e32 v151, 5, v144
	v_add_u32_e32 v152, 0x2000, v140
	s_mov_b32 s12, 0
	v_mov_b64_e32 v[126:127], 0
	v_mov_b64_e32 v[124:125], 0
	;; [unrolled: 1-line block ×64, first 2 shown]
	s_waitcnt lgkmcnt(0)
	s_barrier
.LBB182_19:                             ; =>This Inner Loop Header: Depth=1
	v_add_u32_e32 v143, s12, v151
	v_add_u32_e32 v153, s12, v152
	ds_read2_b64 v[154:157], v143 offset1:16
	ds_read2_b64 v[158:161], v143 offset0:32 offset1:48
	ds_read2_b64 v[162:165], v143 offset0:64 offset1:80
	;; [unrolled: 1-line block ×7, first 2 shown]
	ds_read2st64_b64 v[186:189], v153 offset1:4
	v_add_u32_e32 v143, 0x800, v143
	ds_read2_b64 v[190:193], v143 offset1:16
	ds_read2_b64 v[194:197], v143 offset0:32 offset1:48
	ds_read2_b64 v[198:201], v143 offset0:64 offset1:80
	;; [unrolled: 1-line block ×7, first 2 shown]
	s_waitcnt lgkmcnt(14)
	v_max_f64 v[154:155], v[154:155], v[154:155]
	v_max_f64 v[156:157], v[156:157], v[156:157]
	;; [unrolled: 1-line block ×6, first 2 shown]
	s_waitcnt lgkmcnt(13)
	v_max_f64 v[166:167], v[166:167], v[166:167]
	v_max_f64 v[168:169], v[168:169], v[168:169]
	s_waitcnt lgkmcnt(12)
	v_max_f64 v[170:171], v[170:171], v[170:171]
	v_max_f64 v[172:173], v[172:173], v[172:173]
	;; [unrolled: 3-line block ×14, first 2 shown]
	v_min_f64 v[222:223], v[154:155], v[186:187]
	v_min_f64 v[224:225], v[156:157], v[186:187]
	;; [unrolled: 1-line block ×32, first 2 shown]
	s_add_i32 s12, s12, 8
	v_add_f64 v[62:63], v[154:155], v[62:63]
	v_add_f64 v[60:61], v[156:157], v[60:61]
	;; [unrolled: 1-line block ×16, first 2 shown]
	v_min_f64 v[154:155], v[190:191], v[186:187]
	v_min_f64 v[156:157], v[192:193], v[186:187]
	;; [unrolled: 1-line block ×32, first 2 shown]
	s_cmp_eq_u32 s12, 32
	v_add_f64 v[126:127], v[222:223], v[126:127]
	v_add_f64 v[124:125], v[224:225], v[124:125]
	;; [unrolled: 1-line block ×48, first 2 shown]
	s_cbranch_scc0 .LBB182_19
; %bb.20:
	s_load_dword s25, s[0:1], 0x8
	v_lshlrev_b32_e32 v142, 5, v142
	v_lshl_add_u32 v142, v146, 3, v142
	ds_write2st64_b64 v142, v[128:129], v[130:131] offset0:8 offset1:12
	ds_write2st64_b64 v141, v[134:135], v[136:137] offset0:24 offset1:28
	s_waitcnt lgkmcnt(0)
	s_cmp_gt_i32 s25, 8
	s_barrier
	s_cbranch_scc1 .LBB182_22
; %bb.21:
	v_add_u32_e32 v153, 0x1000, v151
	v_add_u32_e32 v154, 0x3000, v140
	s_cbranch_execz .LBB182_23
	s_branch .LBB182_39
.LBB182_22:
                                        ; implicit-def: $vgpr153
                                        ; implicit-def: $vgpr154
.LBB182_23:
	v_or_b32_e32 v155, 0x1000, v142
	v_add_u32_e32 v156, 0x3000, v141
	s_add_i32 s12, s25, -8
	v_mad_i64_i32 v[128:129], s[28:29], v139, s24, 0
	v_mad_i64_i32 v[130:131], s[24:25], v138, s24, 0
	v_lshl_add_u64 v[132:133], v[132:133], 3, s[22:23]
	v_add_u32_e32 v153, 0x1000, v151
	v_add_u32_e32 v154, 0x3000, v140
	s_mov_b32 s13, 8
	s_mov_b32 s22, 0
	v_mov_b32_e32 v135, 0
.LBB182_24:                             ; =>This Loop Header: Depth=1
                                        ;     Child Loop BB182_30 Depth 2
                                        ;     Child Loop BB182_37 Depth 2
	s_and_b64 vcc, exec, s[4:5]
	s_cbranch_vccnz .LBB182_27
; %bb.25:                               ;   in Loop: Header=BB182_24 Depth=1
	v_add_u32_e32 v138, s13, v146
	v_mad_u64_u32 v[136:137], s[24:25], v138, s26, 0
	v_mov_b32_e32 v134, v137
	v_mad_u64_u32 v[138:139], s[24:25], v138, s27, v[134:135]
	v_mov_b32_e32 v137, v138
	v_lshl_add_u64 v[136:137], v[136:137], 3, v[132:133]
	flat_load_dwordx2 v[138:139], v[136:137]
	flat_load_dwordx2 v[140:141], v[136:137] offset:512
	s_waitcnt vmcnt(0) lgkmcnt(0)
	v_mul_f64 v[136:137], v[138:139], s[16:17]
	v_mul_f64 v[138:139], v[140:141], s[16:17]
	s_and_b64 vcc, exec, s[4:5]
	s_cbranch_vccnz .LBB182_28
.LBB182_26:                             ;   in Loop: Header=BB182_24 Depth=1
	v_or_b32_e32 v134, s13, v147
	v_lshl_add_u64 v[140:141], v[134:135], 3, s[20:21]
	v_lshl_add_u64 v[142:143], v[128:129], 3, v[140:141]
	;; [unrolled: 1-line block ×3, first 2 shown]
	flat_load_dwordx2 v[142:143], v[142:143]
	s_nop 0
	flat_load_dwordx2 v[158:159], v[140:141]
	s_waitcnt vmcnt(0) lgkmcnt(0)
	v_mul_f64 v[140:141], v[142:143], s[16:17]
	v_mul_f64 v[142:143], v[158:159], s[16:17]
	s_branch .LBB182_29
.LBB182_27:                             ;   in Loop: Header=BB182_24 Depth=1
	v_mov_b64_e32 v[136:137], 0
	v_mov_b64_e32 v[138:139], 0
	s_and_b64 vcc, exec, s[4:5]
	s_cbranch_vccz .LBB182_26
.LBB182_28:                             ;   in Loop: Header=BB182_24 Depth=1
	v_mov_b64_e32 v[140:141], 0
	v_mov_b64_e32 v[142:143], 0
.LBB182_29:                             ;   in Loop: Header=BB182_24 Depth=1
	s_mov_b32 s23, 0
.LBB182_30:                             ;   Parent Loop BB182_24 Depth=1
                                        ; =>  This Inner Loop Header: Depth=2
	v_add_u32_e32 v134, s23, v153
	ds_read2_b64 v[158:161], v134 offset1:16
	ds_read2_b64 v[162:165], v134 offset0:32 offset1:48
	ds_read2_b64 v[166:169], v134 offset0:64 offset1:80
	;; [unrolled: 1-line block ×7, first 2 shown]
	v_add_u32_e32 v134, 0x800, v134
	ds_read2_b64 v[190:193], v134 offset1:16
	ds_read2_b64 v[194:197], v134 offset0:32 offset1:48
	ds_read2_b64 v[198:201], v134 offset0:64 offset1:80
	;; [unrolled: 1-line block ×7, first 2 shown]
	v_add_u32_e32 v134, s23, v154
	ds_read2st64_b64 v[222:225], v134 offset1:4
	s_waitcnt lgkmcnt(14)
	v_max_f64 v[158:159], v[158:159], v[158:159]
	v_max_f64 v[160:161], v[160:161], v[160:161]
	;; [unrolled: 1-line block ×4, first 2 shown]
	s_waitcnt lgkmcnt(0)
	v_max_f64 v[222:223], v[222:223], v[222:223]
	v_min_f64 v[226:227], v[158:159], v[222:223]
	v_add_f64 v[126:127], v[226:227], v[126:127]
	v_min_f64 v[226:227], v[160:161], v[222:223]
	v_add_f64 v[124:125], v[226:227], v[124:125]
	;; [unrolled: 2-line block ×3, first 2 shown]
	v_min_f64 v[226:227], v[164:165], v[222:223]
	v_max_f64 v[166:167], v[166:167], v[166:167]
	v_add_f64 v[120:121], v[226:227], v[120:121]
	v_min_f64 v[226:227], v[166:167], v[222:223]
	v_max_f64 v[168:169], v[168:169], v[168:169]
	v_add_f64 v[118:119], v[226:227], v[118:119]
	;; [unrolled: 3-line block ×26, first 2 shown]
	v_min_f64 v[226:227], v[216:217], v[222:223]
	v_max_f64 v[218:219], v[218:219], v[218:219]
	v_max_f64 v[220:221], v[220:221], v[220:221]
	v_add_f64 v[68:69], v[226:227], v[68:69]
	v_min_f64 v[226:227], v[218:219], v[222:223]
	v_min_f64 v[222:223], v[220:221], v[222:223]
	v_add_f64 v[64:65], v[222:223], v[64:65]
	v_max_f64 v[222:223], v[224:225], v[224:225]
	v_min_f64 v[158:159], v[158:159], v[222:223]
	v_add_f64 v[62:63], v[158:159], v[62:63]
	v_min_f64 v[158:159], v[160:161], v[222:223]
	v_add_f64 v[60:61], v[158:159], v[60:61]
	;; [unrolled: 2-line block ×31, first 2 shown]
	v_min_f64 v[158:159], v[220:221], v[222:223]
	s_add_i32 s23, s23, 8
	v_add_f64 v[66:67], v[226:227], v[66:67]
	v_add_f64 v[0:1], v[158:159], v[0:1]
	s_cmp_eq_u32 s23, 32
	s_cbranch_scc0 .LBB182_30
; %bb.31:                               ;   in Loop: Header=BB182_24 Depth=1
	s_and_b64 vcc, exec, s[4:5]
	ds_write2st64_b64 v149, v[136:137], v[138:139] offset1:4
	ds_write2st64_b64 v150, v[140:141], v[142:143] offset1:4
	s_waitcnt lgkmcnt(0)
	s_barrier
	s_cbranch_vccnz .LBB182_34
; %bb.32:                               ;   in Loop: Header=BB182_24 Depth=1
	v_add_u32_e32 v138, s13, v148
	v_mad_u64_u32 v[136:137], s[24:25], v138, s26, 0
	v_mov_b32_e32 v134, v137
	v_mad_u64_u32 v[138:139], s[24:25], v138, s27, v[134:135]
	v_mov_b32_e32 v137, v138
	v_lshl_add_u64 v[136:137], v[136:137], 3, v[132:133]
	flat_load_dwordx2 v[138:139], v[136:137]
	flat_load_dwordx2 v[140:141], v[136:137] offset:512
	s_waitcnt vmcnt(0) lgkmcnt(0)
	v_mul_f64 v[136:137], v[138:139], s[16:17]
	v_mul_f64 v[138:139], v[140:141], s[16:17]
	s_and_b64 vcc, exec, s[4:5]
	s_cbranch_vccnz .LBB182_35
.LBB182_33:                             ;   in Loop: Header=BB182_24 Depth=1
	v_or_b32_e32 v134, s13, v147
	v_lshl_add_u64 v[140:141], v[134:135], 3, s[20:21]
	v_lshl_add_u64 v[142:143], v[128:129], 3, v[140:141]
	;; [unrolled: 1-line block ×3, first 2 shown]
	flat_load_dwordx2 v[142:143], v[142:143] offset:32
	s_nop 0
	flat_load_dwordx2 v[158:159], v[140:141] offset:32
	s_waitcnt vmcnt(0) lgkmcnt(0)
	v_mul_f64 v[140:141], v[142:143], s[16:17]
	v_mul_f64 v[142:143], v[158:159], s[16:17]
	s_branch .LBB182_36
.LBB182_34:                             ;   in Loop: Header=BB182_24 Depth=1
	v_mov_b64_e32 v[136:137], 0
	v_mov_b64_e32 v[138:139], 0
	s_and_b64 vcc, exec, s[4:5]
	s_cbranch_vccz .LBB182_33
.LBB182_35:                             ;   in Loop: Header=BB182_24 Depth=1
	v_mov_b64_e32 v[140:141], 0
	v_mov_b64_e32 v[142:143], 0
.LBB182_36:                             ;   in Loop: Header=BB182_24 Depth=1
	s_mov_b32 s23, 0
.LBB182_37:                             ;   Parent Loop BB182_24 Depth=1
                                        ; =>  This Inner Loop Header: Depth=2
	v_add_u32_e32 v134, s23, v151
	ds_read2_b64 v[158:161], v134 offset1:16
	ds_read2_b64 v[162:165], v134 offset0:32 offset1:48
	ds_read2_b64 v[166:169], v134 offset0:64 offset1:80
	;; [unrolled: 1-line block ×7, first 2 shown]
	v_add_u32_e32 v134, 0x800, v134
	ds_read2_b64 v[190:193], v134 offset1:16
	ds_read2_b64 v[194:197], v134 offset0:32 offset1:48
	ds_read2_b64 v[198:201], v134 offset0:64 offset1:80
	;; [unrolled: 1-line block ×7, first 2 shown]
	v_add_u32_e32 v134, s23, v152
	ds_read2st64_b64 v[222:225], v134 offset1:4
	s_waitcnt lgkmcnt(14)
	v_max_f64 v[158:159], v[158:159], v[158:159]
	v_max_f64 v[160:161], v[160:161], v[160:161]
	;; [unrolled: 1-line block ×4, first 2 shown]
	s_waitcnt lgkmcnt(0)
	v_max_f64 v[222:223], v[222:223], v[222:223]
	v_min_f64 v[226:227], v[158:159], v[222:223]
	v_add_f64 v[126:127], v[226:227], v[126:127]
	v_min_f64 v[226:227], v[160:161], v[222:223]
	v_add_f64 v[124:125], v[226:227], v[124:125]
	v_min_f64 v[226:227], v[162:163], v[222:223]
	v_add_f64 v[122:123], v[226:227], v[122:123]
	v_min_f64 v[226:227], v[164:165], v[222:223]
	v_max_f64 v[166:167], v[166:167], v[166:167]
	v_add_f64 v[120:121], v[226:227], v[120:121]
	v_min_f64 v[226:227], v[166:167], v[222:223]
	v_max_f64 v[168:169], v[168:169], v[168:169]
	v_add_f64 v[118:119], v[226:227], v[118:119]
	;; [unrolled: 3-line block ×26, first 2 shown]
	v_min_f64 v[226:227], v[216:217], v[222:223]
	v_max_f64 v[218:219], v[218:219], v[218:219]
	v_max_f64 v[220:221], v[220:221], v[220:221]
	v_add_f64 v[68:69], v[226:227], v[68:69]
	v_min_f64 v[226:227], v[218:219], v[222:223]
	v_min_f64 v[222:223], v[220:221], v[222:223]
	v_add_f64 v[64:65], v[222:223], v[64:65]
	v_max_f64 v[222:223], v[224:225], v[224:225]
	v_min_f64 v[158:159], v[158:159], v[222:223]
	v_add_f64 v[62:63], v[158:159], v[62:63]
	v_min_f64 v[158:159], v[160:161], v[222:223]
	v_add_f64 v[60:61], v[158:159], v[60:61]
	;; [unrolled: 2-line block ×31, first 2 shown]
	v_min_f64 v[158:159], v[220:221], v[222:223]
	s_add_i32 s23, s23, 8
	v_add_f64 v[66:67], v[226:227], v[66:67]
	v_add_f64 v[0:1], v[158:159], v[0:1]
	s_cmp_eq_u32 s23, 32
	s_cbranch_scc0 .LBB182_37
; %bb.38:                               ;   in Loop: Header=BB182_24 Depth=1
	s_add_i32 s13, s13, 8
	s_add_i32 s22, s22, 8
	s_cmp_ge_i32 s22, s12
	ds_write2st64_b64 v155, v[136:137], v[138:139] offset1:4
	ds_write2st64_b64 v156, v[140:141], v[142:143] offset1:4
	s_waitcnt lgkmcnt(0)
	s_barrier
	s_cbranch_scc0 .LBB182_24
.LBB182_39:
	s_mov_b32 s4, 0
.LBB182_40:                             ; =>This Inner Loop Header: Depth=1
	v_add_u32_e32 v150, s4, v153
	v_add_u32_e32 v151, s4, v154
	ds_read2_b64 v[128:131], v150 offset1:16
	ds_read2_b64 v[132:135], v150 offset0:32 offset1:48
	ds_read2_b64 v[136:139], v150 offset0:64 offset1:80
	;; [unrolled: 1-line block ×7, first 2 shown]
	v_add_u32_e32 v150, 0x800, v150
	ds_read2st64_b64 v[168:171], v151 offset1:4
	ds_read2_b64 v[172:175], v150 offset1:16
	ds_read2_b64 v[176:179], v150 offset0:32 offset1:48
	ds_read2_b64 v[180:183], v150 offset0:64 offset1:80
	;; [unrolled: 1-line block ×7, first 2 shown]
	s_waitcnt lgkmcnt(14)
	v_max_f64 v[128:129], v[128:129], v[128:129]
	v_max_f64 v[130:131], v[130:131], v[130:131]
	;; [unrolled: 1-line block ×3, first 2 shown]
	s_waitcnt lgkmcnt(8)
	v_max_f64 v[150:151], v[168:169], v[168:169]
	v_max_f64 v[134:135], v[134:135], v[134:135]
	;; [unrolled: 1-line block ×15, first 2 shown]
	v_min_f64 v[170:171], v[128:129], v[150:151]
	v_min_f64 v[204:205], v[130:131], v[150:151]
	;; [unrolled: 1-line block ×16, first 2 shown]
	s_waitcnt lgkmcnt(7)
	v_max_f64 v[172:173], v[172:173], v[172:173]
	v_max_f64 v[174:175], v[174:175], v[174:175]
	s_waitcnt lgkmcnt(6)
	v_max_f64 v[176:177], v[176:177], v[176:177]
	v_max_f64 v[178:179], v[178:179], v[178:179]
	;; [unrolled: 3-line block ×8, first 2 shown]
	v_min_f64 v[128:129], v[128:129], v[168:169]
	v_min_f64 v[130:131], v[130:131], v[168:169]
	;; [unrolled: 1-line block ×16, first 2 shown]
	s_add_i32 s4, s4, 8
	v_add_f64 v[126:127], v[170:171], v[126:127]
	v_add_f64 v[124:125], v[204:205], v[124:125]
	;; [unrolled: 1-line block ×15, first 2 shown]
	v_min_f64 v[170:171], v[172:173], v[150:151]
	v_min_f64 v[204:205], v[174:175], v[150:151]
	;; [unrolled: 1-line block ×16, first 2 shown]
	v_add_f64 v[62:63], v[128:129], v[62:63]
	v_add_f64 v[60:61], v[130:131], v[60:61]
	;; [unrolled: 1-line block ×16, first 2 shown]
	v_min_f64 v[128:129], v[172:173], v[168:169]
	v_min_f64 v[130:131], v[174:175], v[168:169]
	;; [unrolled: 1-line block ×16, first 2 shown]
	s_cmp_eq_u32 s4, 32
	v_add_f64 v[96:97], v[232:233], v[96:97]
	v_add_f64 v[94:95], v[170:171], v[94:95]
	;; [unrolled: 1-line block ×33, first 2 shown]
	s_cbranch_scc0 .LBB182_40
; %bb.41:
	s_load_dwordx2 s[12:13], s[0:1], 0x78
	s_load_dword s4, s[0:1], 0x58
	s_load_dword s5, s[0:1], 0x70
	v_add_u32_e32 v130, s2, v144
	v_add_u32_e32 v170, s18, v145
	s_waitcnt lgkmcnt(0)
	s_mul_i32 s0, s3, s13
	s_mul_hi_u32 s1, s3, s12
	s_mul_i32 s13, s19, s12
	s_add_i32 s0, s1, s0
	s_add_i32 s1, s0, s13
	s_mul_i32 s0, s3, s12
	s_lshl_b64 s[0:1], s[0:1], 3
	s_add_u32 s0, s14, s0
	s_addc_u32 s1, s15, s1
	v_add_u32_e32 v128, 4, v130
	v_mad_i64_i32 v[132:133], s[2:3], v170, s5, 0
	v_ashrrev_i32_e32 v131, 31, v130
	v_ashrrev_i32_e32 v129, 31, v128
	v_lshl_add_u64 v[138:139], v[132:133], 3, s[0:1]
	v_mad_i64_i32 v[132:133], s[2:3], v170, s4, 0
	s_mov_b64 vcc, s[6:7]
	s_cbranch_vccz .LBB182_44
; %bb.42:
	v_add_f64 v[134:135], v[126:127], 0
	v_lshl_add_u64 v[136:137], v[130:131], 3, v[138:139]
	s_mov_b64 s[2:3], 0
	global_store_dwordx2 v[136:137], v[134:135], off
	v_lshl_add_u64 v[146:147], v[132:133], 3, s[8:9]
	v_lshlrev_b64 v[134:135], 3, v[130:131]
	s_cbranch_execz .LBB182_45
; %bb.43:
	v_mov_b64_e32 v[136:137], s[2:3]
	s_branch .LBB182_46
.LBB182_44:
	s_mov_b64 s[2:3], -1
	v_lshl_add_u64 v[146:147], v[132:133], 3, s[8:9]
	v_lshlrev_b64 v[134:135], 3, v[130:131]
.LBB182_45:
	v_lshl_add_u64 v[132:133], v[146:147], 0, v[134:135]
	flat_load_dwordx2 v[132:133], v[132:133]
	v_lshl_add_u64 v[136:137], v[138:139], 0, v[134:135]
	s_waitcnt vmcnt(0) lgkmcnt(0)
	v_fmac_f64_e32 v[126:127], s[10:11], v[132:133]
	global_store_dwordx2 v[136:137], v[126:127], off
	v_lshl_add_u64 v[126:127], v[128:129], 3, v[146:147]
	flat_load_dwordx2 v[126:127], v[126:127]
	s_waitcnt vmcnt(0) lgkmcnt(0)
	v_mul_f64 v[136:137], v[126:127], s[10:11]
.LBB182_46:
	v_add_u32_e32 v132, 8, v130
	v_add_u32_e32 v126, 12, v130
	v_ashrrev_i32_e32 v133, 31, v132
	v_ashrrev_i32_e32 v127, 31, v126
	v_add_f64 v[124:125], v[124:125], v[136:137]
	v_lshl_add_u64 v[136:137], v[128:129], 3, v[138:139]
	s_mov_b64 vcc, s[6:7]
	global_store_dwordx2 v[136:137], v[124:125], off
	s_cbranch_vccz .LBB182_49
; %bb.47:
	v_add_f64 v[124:125], v[122:123], 0
	v_lshl_add_u64 v[136:137], v[132:133], 3, v[138:139]
	s_mov_b64 s[2:3], 0
	global_store_dwordx2 v[136:137], v[124:125], off
	v_lshlrev_b64 v[136:137], 3, v[132:133]
	s_cbranch_execz .LBB182_50
; %bb.48:
	v_mov_b64_e32 v[140:141], s[2:3]
	s_branch .LBB182_51
.LBB182_49:
	s_mov_b64 s[2:3], -1
	v_lshlrev_b64 v[136:137], 3, v[132:133]
.LBB182_50:
	v_lshl_add_u64 v[124:125], v[146:147], 0, v[136:137]
	flat_load_dwordx2 v[124:125], v[124:125]
	v_lshl_add_u64 v[140:141], v[138:139], 0, v[136:137]
	s_waitcnt vmcnt(0) lgkmcnt(0)
	v_fmac_f64_e32 v[122:123], s[10:11], v[124:125]
	global_store_dwordx2 v[140:141], v[122:123], off
	v_lshl_add_u64 v[122:123], v[126:127], 3, v[146:147]
	flat_load_dwordx2 v[122:123], v[122:123]
	s_waitcnt vmcnt(0) lgkmcnt(0)
	v_mul_f64 v[140:141], v[122:123], s[10:11]
.LBB182_51:
	v_add_u32_e32 v124, 16, v130
	v_add_u32_e32 v122, 20, v130
	v_ashrrev_i32_e32 v125, 31, v124
	v_ashrrev_i32_e32 v123, 31, v122
	v_add_f64 v[120:121], v[120:121], v[140:141]
	v_lshl_add_u64 v[140:141], v[126:127], 3, v[138:139]
	s_mov_b64 vcc, s[6:7]
	global_store_dwordx2 v[140:141], v[120:121], off
	s_cbranch_vccz .LBB182_54
; %bb.52:
	v_add_f64 v[120:121], v[118:119], 0
	v_lshl_add_u64 v[140:141], v[124:125], 3, v[138:139]
	s_mov_b64 s[2:3], 0
	global_store_dwordx2 v[140:141], v[120:121], off
	v_lshlrev_b64 v[140:141], 3, v[124:125]
	s_cbranch_execz .LBB182_55
; %bb.53:
	v_mov_b64_e32 v[142:143], s[2:3]
	s_branch .LBB182_56
.LBB182_54:
	s_mov_b64 s[2:3], -1
	v_lshlrev_b64 v[140:141], 3, v[124:125]
.LBB182_55:
	v_lshl_add_u64 v[120:121], v[146:147], 0, v[140:141]
	flat_load_dwordx2 v[120:121], v[120:121]
	v_lshl_add_u64 v[142:143], v[138:139], 0, v[140:141]
	s_waitcnt vmcnt(0) lgkmcnt(0)
	v_fmac_f64_e32 v[118:119], s[10:11], v[120:121]
	global_store_dwordx2 v[142:143], v[118:119], off
	v_lshl_add_u64 v[118:119], v[122:123], 3, v[146:147]
	flat_load_dwordx2 v[118:119], v[118:119]
	s_waitcnt vmcnt(0) lgkmcnt(0)
	v_mul_f64 v[142:143], v[118:119], s[10:11]
.LBB182_56:
	;; [unrolled: 34-line block ×15, first 2 shown]
	v_add_f64 v[64:65], v[64:65], v[66:67]
	v_lshl_add_u64 v[66:67], v[70:71], 3, v[138:139]
	global_store_dwordx2 v[66:67], v[64:65], off
	v_add_u32_e32 v66, 64, v170
	v_mad_i64_i32 v[64:65], s[2:3], v66, s5, 0
	v_lshl_add_u64 v[64:65], v[64:65], 3, s[0:1]
	v_mad_i64_i32 v[66:67], s[0:1], v66, s4, 0
	s_mov_b64 vcc, s[6:7]
	s_cbranch_vccz .LBB182_124
; %bb.122:
	v_add_f64 v[138:139], v[62:63], 0
	v_lshl_add_u64 v[130:131], v[130:131], 3, v[64:65]
	s_mov_b64 s[0:1], 0
	global_store_dwordx2 v[130:131], v[138:139], off
	v_lshl_add_u64 v[66:67], v[66:67], 3, s[8:9]
	s_cbranch_execz .LBB182_125
; %bb.123:
	v_mov_b64_e32 v[62:63], s[0:1]
	s_branch .LBB182_126
.LBB182_124:
	s_mov_b64 s[0:1], -1
	v_lshl_add_u64 v[66:67], v[66:67], 3, s[8:9]
.LBB182_125:
	v_lshl_add_u64 v[130:131], v[66:67], 0, v[134:135]
	flat_load_dwordx2 v[130:131], v[130:131]
	v_lshl_add_u64 v[134:135], v[64:65], 0, v[134:135]
	s_waitcnt vmcnt(0) lgkmcnt(0)
	v_fmac_f64_e32 v[62:63], s[10:11], v[130:131]
	global_store_dwordx2 v[134:135], v[62:63], off
	v_lshl_add_u64 v[62:63], v[128:129], 3, v[66:67]
	flat_load_dwordx2 v[62:63], v[62:63]
	s_waitcnt vmcnt(0) lgkmcnt(0)
	v_mul_f64 v[62:63], v[62:63], s[10:11]
.LBB182_126:
	v_add_f64 v[60:61], v[60:61], v[62:63]
	v_lshl_add_u64 v[62:63], v[128:129], 3, v[64:65]
	s_mov_b64 vcc, s[6:7]
	global_store_dwordx2 v[62:63], v[60:61], off
	s_cbranch_vccz .LBB182_129
; %bb.127:
	v_add_f64 v[60:61], v[58:59], 0
	v_lshl_add_u64 v[62:63], v[132:133], 3, v[64:65]
	s_mov_b64 s[0:1], 0
	global_store_dwordx2 v[62:63], v[60:61], off
	s_cbranch_execz .LBB182_130
; %bb.128:
	v_mov_b64_e32 v[58:59], s[0:1]
	s_branch .LBB182_131
.LBB182_129:
	s_mov_b64 s[0:1], -1
.LBB182_130:
	v_lshl_add_u64 v[60:61], v[66:67], 0, v[136:137]
	flat_load_dwordx2 v[60:61], v[60:61]
	v_lshl_add_u64 v[62:63], v[64:65], 0, v[136:137]
	s_waitcnt vmcnt(0) lgkmcnt(0)
	v_fmac_f64_e32 v[58:59], s[10:11], v[60:61]
	global_store_dwordx2 v[62:63], v[58:59], off
	v_lshl_add_u64 v[58:59], v[126:127], 3, v[66:67]
	flat_load_dwordx2 v[58:59], v[58:59]
	s_waitcnt vmcnt(0) lgkmcnt(0)
	v_mul_f64 v[58:59], v[58:59], s[10:11]
.LBB182_131:
	v_add_f64 v[56:57], v[56:57], v[58:59]
	v_lshl_add_u64 v[58:59], v[126:127], 3, v[64:65]
	s_mov_b64 vcc, s[6:7]
	global_store_dwordx2 v[58:59], v[56:57], off
	s_cbranch_vccz .LBB182_134
; %bb.132:
	v_add_f64 v[56:57], v[54:55], 0
	v_lshl_add_u64 v[58:59], v[124:125], 3, v[64:65]
	s_mov_b64 s[0:1], 0
	global_store_dwordx2 v[58:59], v[56:57], off
	s_cbranch_execz .LBB182_135
; %bb.133:
	v_mov_b64_e32 v[54:55], s[0:1]
	s_branch .LBB182_136
.LBB182_134:
	s_mov_b64 s[0:1], -1
.LBB182_135:
	v_lshl_add_u64 v[56:57], v[66:67], 0, v[140:141]
	flat_load_dwordx2 v[56:57], v[56:57]
	v_lshl_add_u64 v[58:59], v[64:65], 0, v[140:141]
	s_waitcnt vmcnt(0) lgkmcnt(0)
	v_fmac_f64_e32 v[54:55], s[10:11], v[56:57]
	global_store_dwordx2 v[58:59], v[54:55], off
	v_lshl_add_u64 v[54:55], v[122:123], 3, v[66:67]
	flat_load_dwordx2 v[54:55], v[54:55]
	s_waitcnt vmcnt(0) lgkmcnt(0)
	v_mul_f64 v[54:55], v[54:55], s[10:11]
.LBB182_136:
	;; [unrolled: 28-line block ×14, first 2 shown]
	v_add_f64 v[4:5], v[4:5], v[6:7]
	v_lshl_add_u64 v[6:7], v[74:75], 3, v[64:65]
	s_mov_b64 vcc, s[6:7]
	global_store_dwordx2 v[6:7], v[4:5], off
	s_cbranch_vccz .LBB182_199
; %bb.197:
	v_add_f64 v[4:5], v[2:3], 0
	v_lshl_add_u64 v[6:7], v[72:73], 3, v[64:65]
	s_mov_b64 s[0:1], 0
	global_store_dwordx2 v[6:7], v[4:5], off
	s_cbranch_execz .LBB182_200
; %bb.198:
	v_mov_b64_e32 v[2:3], s[0:1]
	v_add_f64 v[0:1], v[0:1], v[2:3]
	v_lshl_add_u64 v[2:3], v[70:71], 3, v[64:65]
	global_store_dwordx2 v[2:3], v[0:1], off
	s_endpgm
.LBB182_199:
	s_mov_b64 s[0:1], -1
.LBB182_200:
	v_lshl_add_u64 v[4:5], v[66:67], 0, v[68:69]
	flat_load_dwordx2 v[4:5], v[4:5]
	v_lshl_add_u64 v[6:7], v[64:65], 0, v[68:69]
	s_waitcnt vmcnt(0) lgkmcnt(0)
	v_fmac_f64_e32 v[2:3], s[10:11], v[4:5]
	global_store_dwordx2 v[6:7], v[2:3], off
	v_lshl_add_u64 v[2:3], v[70:71], 3, v[66:67]
	flat_load_dwordx2 v[2:3], v[2:3]
	s_waitcnt vmcnt(0) lgkmcnt(0)
	v_mul_f64 v[2:3], v[2:3], s[10:11]
	v_add_f64 v[0:1], v[0:1], v[2:3]
	v_lshl_add_u64 v[2:3], v[70:71], 3, v[64:65]
	global_store_dwordx2 v[2:3], v[0:1], off
	s_endpgm
	.section	.rodata,"a",@progbits
	.p2align	6, 0x0
	.amdhsa_kernel _ZN12_GLOBAL__N_120geam_min_plus_kernelIdddLi4ELi64ELi128ELi128ELi4ELi64ELi4ELi4ELi64ELc78ELc78ELb0ELb0ELb0EdKddEEviiiT16_PT17_ilS4_ilS2_S4_ilPT18_ili26rocblas_geam_ex_operation_
		.amdhsa_group_segment_fixed_size 16384
		.amdhsa_private_segment_fixed_size 0
		.amdhsa_kernarg_size 136
		.amdhsa_user_sgpr_count 2
		.amdhsa_user_sgpr_dispatch_ptr 0
		.amdhsa_user_sgpr_queue_ptr 0
		.amdhsa_user_sgpr_kernarg_segment_ptr 1
		.amdhsa_user_sgpr_dispatch_id 0
		.amdhsa_user_sgpr_kernarg_preload_length 0
		.amdhsa_user_sgpr_kernarg_preload_offset 0
		.amdhsa_user_sgpr_private_segment_size 0
		.amdhsa_uses_dynamic_stack 0
		.amdhsa_enable_private_segment 0
		.amdhsa_system_sgpr_workgroup_id_x 1
		.amdhsa_system_sgpr_workgroup_id_y 0
		.amdhsa_system_sgpr_workgroup_id_z 1
		.amdhsa_system_sgpr_workgroup_info 0
		.amdhsa_system_vgpr_workitem_id 1
		.amdhsa_next_free_vgpr 254
		.amdhsa_next_free_sgpr 30
		.amdhsa_accum_offset 256
		.amdhsa_reserve_vcc 1
		.amdhsa_float_round_mode_32 0
		.amdhsa_float_round_mode_16_64 0
		.amdhsa_float_denorm_mode_32 3
		.amdhsa_float_denorm_mode_16_64 3
		.amdhsa_dx10_clamp 1
		.amdhsa_ieee_mode 1
		.amdhsa_fp16_overflow 0
		.amdhsa_tg_split 0
		.amdhsa_exception_fp_ieee_invalid_op 0
		.amdhsa_exception_fp_denorm_src 0
		.amdhsa_exception_fp_ieee_div_zero 0
		.amdhsa_exception_fp_ieee_overflow 0
		.amdhsa_exception_fp_ieee_underflow 0
		.amdhsa_exception_fp_ieee_inexact 0
		.amdhsa_exception_int_div_zero 0
	.end_amdhsa_kernel
	.section	.text._ZN12_GLOBAL__N_120geam_min_plus_kernelIdddLi4ELi64ELi128ELi128ELi4ELi64ELi4ELi4ELi64ELc78ELc78ELb0ELb0ELb0EdKddEEviiiT16_PT17_ilS4_ilS2_S4_ilPT18_ili26rocblas_geam_ex_operation_,"axG",@progbits,_ZN12_GLOBAL__N_120geam_min_plus_kernelIdddLi4ELi64ELi128ELi128ELi4ELi64ELi4ELi4ELi64ELc78ELc78ELb0ELb0ELb0EdKddEEviiiT16_PT17_ilS4_ilS2_S4_ilPT18_ili26rocblas_geam_ex_operation_,comdat
.Lfunc_end182:
	.size	_ZN12_GLOBAL__N_120geam_min_plus_kernelIdddLi4ELi64ELi128ELi128ELi4ELi64ELi4ELi4ELi64ELc78ELc78ELb0ELb0ELb0EdKddEEviiiT16_PT17_ilS4_ilS2_S4_ilPT18_ili26rocblas_geam_ex_operation_, .Lfunc_end182-_ZN12_GLOBAL__N_120geam_min_plus_kernelIdddLi4ELi64ELi128ELi128ELi4ELi64ELi4ELi4ELi64ELc78ELc78ELb0ELb0ELb0EdKddEEviiiT16_PT17_ilS4_ilS2_S4_ilPT18_ili26rocblas_geam_ex_operation_
                                        ; -- End function
	.section	.AMDGPU.csdata,"",@progbits
; Kernel info:
; codeLenInByte = 13080
; NumSgprs: 36
; NumVgprs: 254
; NumAgprs: 0
; TotalNumVgprs: 254
; ScratchSize: 0
; MemoryBound: 0
; FloatMode: 240
; IeeeMode: 1
; LDSByteSize: 16384 bytes/workgroup (compile time only)
; SGPRBlocks: 4
; VGPRBlocks: 31
; NumSGPRsForWavesPerEU: 36
; NumVGPRsForWavesPerEU: 254
; AccumOffset: 256
; Occupancy: 2
; WaveLimiterHint : 1
; COMPUTE_PGM_RSRC2:SCRATCH_EN: 0
; COMPUTE_PGM_RSRC2:USER_SGPR: 2
; COMPUTE_PGM_RSRC2:TRAP_HANDLER: 0
; COMPUTE_PGM_RSRC2:TGID_X_EN: 1
; COMPUTE_PGM_RSRC2:TGID_Y_EN: 0
; COMPUTE_PGM_RSRC2:TGID_Z_EN: 1
; COMPUTE_PGM_RSRC2:TIDIG_COMP_CNT: 1
; COMPUTE_PGM_RSRC3_GFX90A:ACCUM_OFFSET: 63
; COMPUTE_PGM_RSRC3_GFX90A:TG_SPLIT: 0
	.section	.text._ZN12_GLOBAL__N_120geam_min_plus_kernelIdddLi4ELi64ELi128ELi128ELi4ELi64ELi4ELi4ELi64ELc78ELc78ELb0ELb1ELb0EPKdS1_dEEviiiT16_PT17_ilS5_ilS3_S5_ilPT18_ili26rocblas_geam_ex_operation_,"axG",@progbits,_ZN12_GLOBAL__N_120geam_min_plus_kernelIdddLi4ELi64ELi128ELi128ELi4ELi64ELi4ELi4ELi64ELc78ELc78ELb0ELb1ELb0EPKdS1_dEEviiiT16_PT17_ilS5_ilS3_S5_ilPT18_ili26rocblas_geam_ex_operation_,comdat
	.globl	_ZN12_GLOBAL__N_120geam_min_plus_kernelIdddLi4ELi64ELi128ELi128ELi4ELi64ELi4ELi4ELi64ELc78ELc78ELb0ELb1ELb0EPKdS1_dEEviiiT16_PT17_ilS5_ilS3_S5_ilPT18_ili26rocblas_geam_ex_operation_ ; -- Begin function _ZN12_GLOBAL__N_120geam_min_plus_kernelIdddLi4ELi64ELi128ELi128ELi4ELi64ELi4ELi4ELi64ELc78ELc78ELb0ELb1ELb0EPKdS1_dEEviiiT16_PT17_ilS5_ilS3_S5_ilPT18_ili26rocblas_geam_ex_operation_
	.p2align	8
	.type	_ZN12_GLOBAL__N_120geam_min_plus_kernelIdddLi4ELi64ELi128ELi128ELi4ELi64ELi4ELi4ELi64ELc78ELc78ELb0ELb1ELb0EPKdS1_dEEviiiT16_PT17_ilS5_ilS3_S5_ilPT18_ili26rocblas_geam_ex_operation_,@function
_ZN12_GLOBAL__N_120geam_min_plus_kernelIdddLi4ELi64ELi128ELi128ELi4ELi64ELi4ELi4ELi64ELc78ELc78ELb0ELb1ELb0EPKdS1_dEEviiiT16_PT17_ilS5_ilS3_S5_ilPT18_ili26rocblas_geam_ex_operation_: ; @_ZN12_GLOBAL__N_120geam_min_plus_kernelIdddLi4ELi64ELi128ELi128ELi4ELi64ELi4ELi4ELi64ELc78ELc78ELb0ELb1ELb0EPKdS1_dEEviiiT16_PT17_ilS5_ilS3_S5_ilPT18_ili26rocblas_geam_ex_operation_
; %bb.0:
	s_load_dwordx4 s[12:15], s[0:1], 0x10
	s_load_dwordx4 s[4:7], s[0:1], 0x28
	s_mov_b32 s16, s3
	s_mov_b32 s17, 0
	s_lshl_b64 s[20:21], s[16:17], 3
	s_waitcnt lgkmcnt(0)
	s_add_u32 s12, s12, s20
	s_load_dwordx4 s[8:11], s[0:1], 0x40
	s_addc_u32 s13, s13, s21
	s_load_dwordx2 s[18:19], s[12:13], 0x0
	s_load_dwordx2 s[24:25], s[0:1], 0x50
	s_waitcnt lgkmcnt(0)
	s_add_u32 s10, s10, s20
	v_cmp_eq_f64_e64 s[22:23], s[18:19], 0
	s_addc_u32 s11, s11, s21
	s_mov_b64 s[20:21], 0
	v_cmp_neq_f64_e64 s[12:13], s[18:19], 0
	s_and_b64 vcc, exec, s[22:23]
	s_mov_b64 s[22:23], 0
	s_cbranch_vccnz .LBB183_2
; %bb.1:
	s_mul_i32 s3, s16, s5
	s_mul_hi_u32 s5, s16, s4
	s_add_i32 s5, s5, s3
	s_mul_i32 s4, s16, s4
	s_lshl_b64 s[4:5], s[4:5], 3
	s_add_u32 s22, s14, s4
	s_addc_u32 s23, s15, s5
.LBB183_2:
	s_load_dwordx2 s[70:71], s[10:11], 0x0
	s_andn2_b64 vcc, exec, s[12:13]
	s_cbranch_vccnz .LBB183_4
; %bb.3:
	s_mul_i32 s3, s16, s9
	s_mul_hi_u32 s4, s16, s8
	s_add_i32 s5, s4, s3
	s_mul_i32 s4, s16, s8
	s_lshl_b64 s[4:5], s[4:5], 3
	s_add_u32 s20, s6, s4
	s_addc_u32 s21, s7, s5
.LBB183_4:
	s_load_dwordx4 s[8:11], s[0:1], 0x60
	s_waitcnt lgkmcnt(0)
	v_cmp_eq_f64_e64 s[4:5], s[70:71], 0
	s_mov_b64 s[76:77], 0
	v_cmp_neq_f64_e64 s[12:13], s[70:71], 0
	s_and_b64 vcc, exec, s[4:5]
	s_cbranch_vccnz .LBB183_6
; %bb.5:
	s_mul_i32 s3, s16, s9
	s_mul_hi_u32 s4, s16, s8
	s_add_i32 s5, s4, s3
	s_mul_i32 s4, s16, s8
	s_lshl_b64 s[4:5], s[4:5], 3
	s_add_u32 s76, s24, s4
	s_addc_u32 s77, s25, s5
.LBB183_6:
	s_load_dwordx4 s[72:75], s[0:1], 0x0
	s_load_dword s27, s[0:1], 0x20
	v_and_b32_e32 v144, 0x3ff, v0
	v_bfe_u32 v145, v0, 10, 10
	v_lshl_add_u32 v8, v145, 2, v144
	s_waitcnt lgkmcnt(0)
	s_add_i32 s3, s72, -1
	s_ashr_i32 s4, s3, 31
	s_lshr_b32 s4, s4, 25
	s_add_i32 s3, s3, s4
	s_ashr_i32 s3, s3, 7
	s_add_i32 s4, s3, 1
	v_cvt_f32_u32_e32 v1, s4
	s_not_b32 s3, s3
	v_lshrrev_b32_e32 v146, 6, v8
	v_and_b32_e32 v142, 63, v8
	v_rcp_iflag_f32_e32 v2, v1
	v_cmp_le_i32_e32 vcc, s74, v146
	v_cmp_eq_f64_e64 s[14:15], s[18:19], 0
	v_mov_b64_e32 v[0:1], 0
	v_mul_f32_e32 v2, 0x4f7ffffe, v2
	v_cvt_u32_f32_e32 v2, v2
	s_nop 0
	v_readfirstlane_b32 s5, v2
	s_mul_i32 s3, s3, s5
	s_mul_hi_u32 s3, s5, s3
	s_add_i32 s5, s5, s3
	s_mul_hi_u32 s3, s2, s5
	s_mul_i32 s5, s3, s4
	s_sub_i32 s5, s2, s5
	s_add_i32 s6, s3, 1
	s_sub_i32 s7, s5, s4
	s_cmp_ge_u32 s5, s4
	s_cselect_b32 s3, s6, s3
	s_cselect_b32 s5, s7, s5
	s_add_i32 s6, s3, 1
	s_cmp_ge_u32 s5, s4
	s_cselect_b32 s8, s6, s3
	s_mul_i32 s3, s8, s4
	s_add_i32 s28, s74, -1
	s_sub_i32 s2, s2, s3
	v_min_i32_e32 v2, s28, v146
	s_lshl_b32 s17, s2, 7
	v_or_b32_e32 v128, s17, v142
	v_mad_i64_i32 v[2:3], s[2:3], s27, v2, 0
	v_cmp_le_i32_e64 s[2:3], s72, v128
	s_or_b64 s[4:5], s[2:3], vcc
	s_or_b64 s[4:5], s[14:15], s[4:5]
	v_lshl_add_u64 v[6:7], v[2:3], 3, s[22:23]
	s_xor_b64 s[6:7], s[4:5], -1
	v_ashrrev_i32_e32 v129, 31, v128
	v_mov_b64_e32 v[2:3], v[0:1]
	s_and_saveexec_b64 s[4:5], s[6:7]
	s_cbranch_execz .LBB183_8
; %bb.7:
	v_lshl_add_u64 v[2:3], v[128:129], 3, v[6:7]
	flat_load_dwordx2 v[2:3], v[2:3]
	s_waitcnt vmcnt(0) lgkmcnt(0)
	v_mul_f64 v[2:3], s[18:19], v[2:3]
.LBB183_8:
	s_or_b64 exec, exec, s[4:5]
	v_or_b32_e32 v4, 64, v128
	v_cmp_le_i32_e64 s[4:5], s72, v4
	s_or_b64 s[6:7], s[4:5], vcc
	s_or_b64 s[6:7], s[14:15], s[6:7]
	s_xor_b64 s[24:25], s[6:7], -1
	v_mov_b64_e32 v[4:5], v[0:1]
	s_and_saveexec_b64 s[6:7], s[24:25]
	s_cbranch_execz .LBB183_10
; %bb.9:
	v_lshl_add_u64 v[4:5], v[128:129], 3, v[6:7]
	flat_load_dwordx2 v[4:5], v[4:5] offset:512
	s_waitcnt vmcnt(0) lgkmcnt(0)
	v_mul_f64 v[4:5], s[18:19], v[4:5]
.LBB183_10:
	s_or_b64 exec, exec, s[6:7]
	v_lshrrev_b32_e32 v10, 2, v8
	s_lshl_b32 s26, s8, 7
	s_load_dword s30, s[0:1], 0x38
	v_and_b32_e32 v147, 3, v144
	v_add_u32_e32 v138, s26, v10
	v_cmp_le_i32_e32 vcc, s74, v147
	v_cmp_le_i32_e64 s[6:7], s73, v138
	v_min_i32_e32 v6, s28, v147
	s_or_b64 s[8:9], vcc, s[6:7]
	v_ashrrev_i32_e32 v7, 31, v6
	s_or_b64 s[8:9], s[14:15], s[8:9]
	v_lshl_add_u64 v[8:9], v[6:7], 3, s[20:21]
	s_xor_b64 s[24:25], s[8:9], -1
	s_and_saveexec_b64 s[8:9], s[24:25]
	s_cbranch_execz .LBB183_12
; %bb.11:
	s_waitcnt lgkmcnt(0)
	v_mad_i64_i32 v[0:1], s[24:25], v138, s30, 0
	v_lshl_add_u64 v[0:1], v[0:1], 3, v[8:9]
	flat_load_dwordx2 v[0:1], v[0:1]
	s_waitcnt vmcnt(0) lgkmcnt(0)
	v_mul_f64 v[0:1], s[18:19], v[0:1]
.LBB183_12:
	s_or_b64 exec, exec, s[8:9]
	v_add_u32_e32 v139, 64, v138
	v_cmp_le_i32_e64 s[8:9], s73, v139
	s_or_b64 s[24:25], vcc, s[8:9]
	s_or_b64 s[24:25], s[14:15], s[24:25]
	v_mov_b64_e32 v[130:131], 0
	s_xor_b64 s[34:35], s[24:25], -1
	v_mov_b64_e32 v[6:7], v[130:131]
	s_and_saveexec_b64 s[24:25], s[34:35]
	s_cbranch_execz .LBB183_14
; %bb.13:
	s_waitcnt lgkmcnt(0)
	v_mad_i64_i32 v[6:7], s[34:35], v139, s30, 0
	v_lshl_add_u64 v[6:7], v[6:7], 3, v[8:9]
	flat_load_dwordx2 v[6:7], v[6:7]
	s_waitcnt vmcnt(0) lgkmcnt(0)
	v_mul_f64 v[6:7], s[18:19], v[6:7]
.LBB183_14:
	s_or_b64 exec, exec, s[24:25]
	v_add_u32_e32 v8, 4, v146
	v_cmp_le_i32_e32 vcc, s74, v8
	v_min_i32_e32 v8, s28, v8
	v_mad_i64_i32 v[8:9], s[24:25], s27, v8, 0
	s_or_b64 s[24:25], s[2:3], vcc
	s_or_b64 s[24:25], s[14:15], s[24:25]
	v_lshl_add_u64 v[8:9], v[8:9], 3, s[22:23]
	s_xor_b64 s[34:35], s[24:25], -1
	s_and_saveexec_b64 s[24:25], s[34:35]
	s_cbranch_execz .LBB183_16
; %bb.15:
	v_lshl_add_u64 v[12:13], v[128:129], 3, v[8:9]
	flat_load_dwordx2 v[12:13], v[12:13]
	s_waitcnt vmcnt(0) lgkmcnt(0)
	v_mul_f64 v[130:131], s[18:19], v[12:13]
.LBB183_16:
	s_or_b64 exec, exec, s[24:25]
	s_or_b64 s[24:25], s[4:5], vcc
	s_or_b64 s[24:25], s[14:15], s[24:25]
	v_mov_b64_e32 v[132:133], 0
	s_xor_b64 s[34:35], s[24:25], -1
	v_mov_b64_e32 v[134:135], v[132:133]
	s_and_saveexec_b64 s[24:25], s[34:35]
	s_cbranch_execz .LBB183_18
; %bb.17:
	v_lshl_add_u64 v[8:9], v[128:129], 3, v[8:9]
	flat_load_dwordx2 v[8:9], v[8:9] offset:512
	s_waitcnt vmcnt(0) lgkmcnt(0)
	v_mul_f64 v[134:135], s[18:19], v[8:9]
.LBB183_18:
	s_or_b64 exec, exec, s[24:25]
	v_or_b32_e32 v8, 4, v147
	v_cmp_le_i32_e32 vcc, s74, v8
	v_min_i32_e32 v8, s28, v8
	s_or_b64 s[24:25], vcc, s[6:7]
	v_ashrrev_i32_e32 v9, 31, v8
	s_or_b64 s[24:25], s[14:15], s[24:25]
	v_lshl_add_u64 v[8:9], v[8:9], 3, s[20:21]
	s_xor_b64 s[34:35], s[24:25], -1
	s_and_saveexec_b64 s[24:25], s[34:35]
	s_cbranch_execz .LBB183_20
; %bb.19:
	s_waitcnt lgkmcnt(0)
	v_mad_i64_i32 v[12:13], s[34:35], v138, s30, 0
	v_lshl_add_u64 v[12:13], v[12:13], 3, v[8:9]
	flat_load_dwordx2 v[12:13], v[12:13]
	s_waitcnt vmcnt(0) lgkmcnt(0)
	v_mul_f64 v[132:133], s[18:19], v[12:13]
.LBB183_20:
	s_or_b64 exec, exec, s[24:25]
	s_or_b64 s[24:25], vcc, s[8:9]
	s_or_b64 s[24:25], s[14:15], s[24:25]
	v_mov_b64_e32 v[124:125], 0
	s_xor_b64 s[34:35], s[24:25], -1
	v_mov_b64_e32 v[136:137], v[124:125]
	s_and_saveexec_b64 s[24:25], s[34:35]
	s_cbranch_execz .LBB183_22
; %bb.21:
	s_waitcnt lgkmcnt(0)
	v_mad_i64_i32 v[12:13], s[34:35], v139, s30, 0
	v_lshl_add_u64 v[8:9], v[12:13], 3, v[8:9]
	flat_load_dwordx2 v[8:9], v[8:9]
	s_waitcnt vmcnt(0) lgkmcnt(0)
	v_mul_f64 v[136:137], s[18:19], v[8:9]
.LBB183_22:
	s_or_b64 exec, exec, s[24:25]
	v_lshlrev_b32_e32 v8, 3, v146
	v_lshl_add_u32 v148, v142, 5, v8
	ds_write2st64_b64 v148, v[2:3], v[4:5] offset1:4
	v_lshlrev_b32_e32 v2, 3, v147
	v_lshl_or_b32 v141, v10, 5, v2
	v_lshlrev_b32_e32 v140, 5, v145
	v_add_u32_e32 v149, 0x2000, v141
	ds_write2st64_b64 v141, v[0:1], v[6:7] offset0:16 offset1:20
	v_lshlrev_b32_e32 v150, 5, v144
	v_add_u32_e32 v151, 0x2000, v140
	s_mov_b32 s24, 0
	v_mov_b64_e32 v[126:127], v[124:125]
	v_mov_b64_e32 v[122:123], v[124:125]
	;; [unrolled: 1-line block ×63, first 2 shown]
	s_waitcnt lgkmcnt(0)
	s_barrier
.LBB183_23:                             ; =>This Inner Loop Header: Depth=1
	v_add_u32_e32 v143, s24, v150
	v_add_u32_e32 v184, s24, v151
	ds_read2_b64 v[152:155], v143 offset1:16
	ds_read2_b64 v[156:159], v143 offset0:32 offset1:48
	ds_read2_b64 v[160:163], v143 offset0:64 offset1:80
	;; [unrolled: 1-line block ×7, first 2 shown]
	ds_read2st64_b64 v[184:187], v184 offset1:4
	v_add_u32_e32 v143, 0x800, v143
	ds_read2_b64 v[188:191], v143 offset1:16
	ds_read2_b64 v[192:195], v143 offset0:32 offset1:48
	ds_read2_b64 v[196:199], v143 offset0:64 offset1:80
	;; [unrolled: 1-line block ×7, first 2 shown]
	s_waitcnt lgkmcnt(14)
	v_max_f64 v[152:153], v[152:153], v[152:153]
	v_max_f64 v[154:155], v[154:155], v[154:155]
	;; [unrolled: 1-line block ×6, first 2 shown]
	s_waitcnt lgkmcnt(13)
	v_max_f64 v[164:165], v[164:165], v[164:165]
	v_max_f64 v[166:167], v[166:167], v[166:167]
	s_waitcnt lgkmcnt(12)
	v_max_f64 v[168:169], v[168:169], v[168:169]
	v_max_f64 v[170:171], v[170:171], v[170:171]
	;; [unrolled: 3-line block ×14, first 2 shown]
	v_min_f64 v[220:221], v[152:153], v[184:185]
	v_min_f64 v[222:223], v[154:155], v[184:185]
	;; [unrolled: 1-line block ×32, first 2 shown]
	s_add_i32 s24, s24, 8
	v_add_f64 v[62:63], v[152:153], v[62:63]
	v_add_f64 v[60:61], v[154:155], v[60:61]
	;; [unrolled: 1-line block ×16, first 2 shown]
	v_min_f64 v[152:153], v[188:189], v[184:185]
	v_min_f64 v[154:155], v[190:191], v[184:185]
	;; [unrolled: 1-line block ×32, first 2 shown]
	s_cmp_eq_u32 s24, 32
	v_add_f64 v[124:125], v[220:221], v[124:125]
	v_add_f64 v[126:127], v[222:223], v[126:127]
	;; [unrolled: 1-line block ×48, first 2 shown]
	s_cbranch_scc0 .LBB183_23
; %bb.24:
	v_lshlrev_b32_e32 v142, 5, v142
	v_lshl_add_u32 v142, v146, 3, v142
	s_cmp_gt_i32 s74, 8
	ds_write2st64_b64 v142, v[130:131], v[134:135] offset0:8 offset1:12
	ds_write2st64_b64 v141, v[132:133], v[136:137] offset0:24 offset1:28
	s_waitcnt lgkmcnt(0)
	s_barrier
	s_cbranch_scc1 .LBB183_26
; %bb.25:
	v_add_u32_e32 v152, 0x1000, v150
	v_add_u32_e32 v153, 0x3000, v140
	s_cbranch_execz .LBB183_27
	s_branch .LBB183_49
.LBB183_26:
                                        ; implicit-def: $vgpr152
                                        ; implicit-def: $vgpr153
.LBB183_27:
	v_or_b32_e32 v154, 0x1000, v142
	v_add_u32_e32 v155, 0x3000, v141
	s_add_i32 s29, s74, -8
	v_mad_i64_i32 v[130:131], s[24:25], v138, s30, 0
	v_mad_i64_i32 v[132:133], s[24:25], v139, s30, 0
	v_add_u32_e32 v152, 0x1000, v150
	v_add_u32_e32 v153, 0x3000, v140
	s_mov_b32 s30, 8
	s_mov_b32 s31, 0
.LBB183_28:                             ; =>This Loop Header: Depth=1
                                        ;     Child Loop BB183_37 Depth 2
                                        ;     Child Loop BB183_47 Depth 2
	v_add_u32_e32 v134, s30, v146
	v_cmp_le_i32_e32 vcc, s74, v134
	v_min_i32_e32 v134, s28, v134
	v_mad_i64_i32 v[134:135], s[24:25], v134, s27, 0
	s_or_b64 s[24:25], s[2:3], vcc
	v_lshl_add_u64 v[136:137], v[134:135], 3, s[22:23]
	s_or_b64 s[24:25], s[14:15], s[24:25]
	v_mov_b64_e32 v[134:135], 0
	s_xor_b64 s[34:35], s[24:25], -1
	v_lshl_add_u64 v[138:139], v[128:129], 3, v[136:137]
	v_mov_b64_e32 v[136:137], v[134:135]
	s_and_saveexec_b64 s[24:25], s[34:35]
	s_cbranch_execz .LBB183_30
; %bb.29:                               ;   in Loop: Header=BB183_28 Depth=1
	flat_load_dwordx2 v[136:137], v[138:139]
	s_waitcnt vmcnt(0) lgkmcnt(0)
	v_mul_f64 v[136:137], s[18:19], v[136:137]
.LBB183_30:                             ;   in Loop: Header=BB183_28 Depth=1
	s_or_b64 exec, exec, s[24:25]
	s_or_b64 s[24:25], s[4:5], vcc
	s_or_b64 s[24:25], s[14:15], s[24:25]
	s_xor_b64 s[34:35], s[24:25], -1
	s_and_saveexec_b64 s[24:25], s[34:35]
	s_cbranch_execz .LBB183_32
; %bb.31:                               ;   in Loop: Header=BB183_28 Depth=1
	flat_load_dwordx2 v[134:135], v[138:139] offset:512
	s_waitcnt vmcnt(0) lgkmcnt(0)
	v_mul_f64 v[134:135], s[18:19], v[134:135]
.LBB183_32:                             ;   in Loop: Header=BB183_28 Depth=1
	s_or_b64 exec, exec, s[24:25]
	v_or_b32_e32 v156, s30, v147
	v_cmp_le_i32_e32 vcc, s74, v156
	v_min_i32_e32 v138, s28, v156
	v_ashrrev_i32_e32 v139, 31, v138
	s_or_b64 s[24:25], s[6:7], vcc
	v_lshl_add_u64 v[142:143], v[138:139], 3, s[20:21]
	s_or_b64 s[24:25], s[14:15], s[24:25]
	v_mov_b64_e32 v[138:139], 0
	s_xor_b64 s[34:35], s[24:25], -1
	v_mov_b64_e32 v[140:141], v[138:139]
	s_and_saveexec_b64 s[24:25], s[34:35]
	s_cbranch_execz .LBB183_34
; %bb.33:                               ;   in Loop: Header=BB183_28 Depth=1
	v_lshl_add_u64 v[140:141], v[130:131], 3, v[142:143]
	flat_load_dwordx2 v[140:141], v[140:141]
	s_waitcnt vmcnt(0) lgkmcnt(0)
	v_mul_f64 v[140:141], s[18:19], v[140:141]
.LBB183_34:                             ;   in Loop: Header=BB183_28 Depth=1
	s_or_b64 exec, exec, s[24:25]
	s_or_b64 s[24:25], s[8:9], vcc
	s_or_b64 s[24:25], s[14:15], s[24:25]
	s_xor_b64 s[34:35], s[24:25], -1
	s_and_saveexec_b64 s[24:25], s[34:35]
	s_cbranch_execz .LBB183_36
; %bb.35:                               ;   in Loop: Header=BB183_28 Depth=1
	v_lshl_add_u64 v[138:139], v[132:133], 3, v[142:143]
	flat_load_dwordx2 v[138:139], v[138:139]
	s_waitcnt vmcnt(0) lgkmcnt(0)
	v_mul_f64 v[138:139], s[18:19], v[138:139]
.LBB183_36:                             ;   in Loop: Header=BB183_28 Depth=1
	s_or_b64 exec, exec, s[24:25]
	s_mov_b32 s24, 0
.LBB183_37:                             ;   Parent Loop BB183_28 Depth=1
                                        ; =>  This Inner Loop Header: Depth=2
	v_add_u32_e32 v142, s24, v152
	ds_read2_b64 v[158:161], v142 offset1:16
	ds_read2_b64 v[162:165], v142 offset0:32 offset1:48
	ds_read2_b64 v[166:169], v142 offset0:64 offset1:80
	;; [unrolled: 1-line block ×7, first 2 shown]
	v_add_u32_e32 v142, 0x800, v142
	ds_read2_b64 v[190:193], v142 offset1:16
	ds_read2_b64 v[194:197], v142 offset0:32 offset1:48
	ds_read2_b64 v[198:201], v142 offset0:64 offset1:80
	;; [unrolled: 1-line block ×7, first 2 shown]
	v_add_u32_e32 v142, s24, v153
	ds_read2st64_b64 v[222:225], v142 offset1:4
	s_waitcnt lgkmcnt(14)
	v_max_f64 v[158:159], v[158:159], v[158:159]
	v_max_f64 v[160:161], v[160:161], v[160:161]
	;; [unrolled: 1-line block ×4, first 2 shown]
	s_waitcnt lgkmcnt(0)
	v_max_f64 v[142:143], v[222:223], v[222:223]
	v_min_f64 v[222:223], v[158:159], v[142:143]
	v_add_f64 v[124:125], v[222:223], v[124:125]
	v_min_f64 v[222:223], v[160:161], v[142:143]
	v_add_f64 v[126:127], v[222:223], v[126:127]
	v_min_f64 v[222:223], v[162:163], v[142:143]
	v_add_f64 v[122:123], v[222:223], v[122:123]
	v_min_f64 v[222:223], v[164:165], v[142:143]
	v_max_f64 v[166:167], v[166:167], v[166:167]
	v_add_f64 v[120:121], v[222:223], v[120:121]
	v_min_f64 v[222:223], v[166:167], v[142:143]
	v_max_f64 v[168:169], v[168:169], v[168:169]
	v_add_f64 v[118:119], v[222:223], v[118:119]
	;; [unrolled: 3-line block ×26, first 2 shown]
	v_min_f64 v[222:223], v[216:217], v[142:143]
	v_max_f64 v[218:219], v[218:219], v[218:219]
	v_max_f64 v[220:221], v[220:221], v[220:221]
	v_add_f64 v[68:69], v[222:223], v[68:69]
	v_min_f64 v[222:223], v[218:219], v[142:143]
	v_min_f64 v[142:143], v[220:221], v[142:143]
	v_add_f64 v[64:65], v[142:143], v[64:65]
	v_max_f64 v[142:143], v[224:225], v[224:225]
	v_min_f64 v[158:159], v[158:159], v[142:143]
	v_add_f64 v[62:63], v[158:159], v[62:63]
	v_min_f64 v[158:159], v[160:161], v[142:143]
	v_add_f64 v[60:61], v[158:159], v[60:61]
	;; [unrolled: 2-line block ×30, first 2 shown]
	v_min_f64 v[158:159], v[218:219], v[142:143]
	v_min_f64 v[142:143], v[220:221], v[142:143]
	s_add_i32 s24, s24, 8
	v_add_f64 v[66:67], v[222:223], v[66:67]
	v_add_f64 v[2:3], v[158:159], v[2:3]
	;; [unrolled: 1-line block ×3, first 2 shown]
	s_cmp_eq_u32 s24, 32
	s_cbranch_scc0 .LBB183_37
; %bb.38:                               ;   in Loop: Header=BB183_28 Depth=1
	ds_write2st64_b64 v148, v[136:137], v[134:135] offset1:4
	ds_write2st64_b64 v149, v[140:141], v[138:139] offset1:4
	v_add3_u32 v134, v146, s30, 4
	v_cmp_le_i32_e32 vcc, s74, v134
	v_min_i32_e32 v134, s28, v134
	v_mad_i64_i32 v[134:135], s[24:25], v134, s27, 0
	s_or_b64 s[24:25], s[2:3], vcc
	v_lshl_add_u64 v[136:137], v[134:135], 3, s[22:23]
	s_or_b64 s[24:25], s[14:15], s[24:25]
	v_mov_b64_e32 v[134:135], 0
	s_xor_b64 s[34:35], s[24:25], -1
	v_lshl_add_u64 v[138:139], v[128:129], 3, v[136:137]
	v_mov_b64_e32 v[136:137], v[134:135]
	s_waitcnt lgkmcnt(0)
	s_barrier
	s_and_saveexec_b64 s[24:25], s[34:35]
	s_cbranch_execz .LBB183_40
; %bb.39:                               ;   in Loop: Header=BB183_28 Depth=1
	flat_load_dwordx2 v[136:137], v[138:139]
	s_waitcnt vmcnt(0) lgkmcnt(0)
	v_mul_f64 v[136:137], s[18:19], v[136:137]
.LBB183_40:                             ;   in Loop: Header=BB183_28 Depth=1
	s_or_b64 exec, exec, s[24:25]
	s_or_b64 s[24:25], s[4:5], vcc
	s_or_b64 s[24:25], s[14:15], s[24:25]
	s_xor_b64 s[34:35], s[24:25], -1
	s_and_saveexec_b64 s[24:25], s[34:35]
	s_cbranch_execz .LBB183_42
; %bb.41:                               ;   in Loop: Header=BB183_28 Depth=1
	flat_load_dwordx2 v[134:135], v[138:139] offset:512
	s_waitcnt vmcnt(0) lgkmcnt(0)
	v_mul_f64 v[134:135], s[18:19], v[134:135]
.LBB183_42:                             ;   in Loop: Header=BB183_28 Depth=1
	s_or_b64 exec, exec, s[24:25]
	v_or_b32_e32 v138, 4, v156
	v_cmp_le_i32_e32 vcc, s74, v138
	v_min_i32_e32 v138, s28, v138
	v_ashrrev_i32_e32 v139, 31, v138
	s_or_b64 s[24:25], s[6:7], vcc
	v_lshl_add_u64 v[142:143], v[138:139], 3, s[20:21]
	s_or_b64 s[24:25], s[14:15], s[24:25]
	v_mov_b64_e32 v[138:139], 0
	s_xor_b64 s[34:35], s[24:25], -1
	v_mov_b64_e32 v[140:141], v[138:139]
	s_and_saveexec_b64 s[24:25], s[34:35]
	s_cbranch_execz .LBB183_44
; %bb.43:                               ;   in Loop: Header=BB183_28 Depth=1
	v_lshl_add_u64 v[140:141], v[130:131], 3, v[142:143]
	flat_load_dwordx2 v[140:141], v[140:141]
	s_waitcnt vmcnt(0) lgkmcnt(0)
	v_mul_f64 v[140:141], s[18:19], v[140:141]
.LBB183_44:                             ;   in Loop: Header=BB183_28 Depth=1
	s_or_b64 exec, exec, s[24:25]
	s_or_b64 s[24:25], s[8:9], vcc
	s_or_b64 s[24:25], s[14:15], s[24:25]
	s_xor_b64 s[34:35], s[24:25], -1
	s_and_saveexec_b64 s[24:25], s[34:35]
	s_cbranch_execz .LBB183_46
; %bb.45:                               ;   in Loop: Header=BB183_28 Depth=1
	v_lshl_add_u64 v[138:139], v[132:133], 3, v[142:143]
	flat_load_dwordx2 v[138:139], v[138:139]
	s_waitcnt vmcnt(0) lgkmcnt(0)
	v_mul_f64 v[138:139], s[18:19], v[138:139]
.LBB183_46:                             ;   in Loop: Header=BB183_28 Depth=1
	s_or_b64 exec, exec, s[24:25]
	s_mov_b32 s24, 0
.LBB183_47:                             ;   Parent Loop BB183_28 Depth=1
                                        ; =>  This Inner Loop Header: Depth=2
	v_add_u32_e32 v142, s24, v150
	v_add_u32_e32 v143, s24, v151
	ds_read2_b64 v[156:159], v142 offset1:16
	ds_read2_b64 v[160:163], v142 offset0:32 offset1:48
	ds_read2_b64 v[164:167], v142 offset0:64 offset1:80
	;; [unrolled: 1-line block ×7, first 2 shown]
	v_add_u32_e32 v142, 0x800, v142
	ds_read2st64_b64 v[188:191], v143 offset1:4
	ds_read2_b64 v[192:195], v142 offset1:16
	ds_read2_b64 v[196:199], v142 offset0:32 offset1:48
	ds_read2_b64 v[200:203], v142 offset0:64 offset1:80
	;; [unrolled: 1-line block ×7, first 2 shown]
	s_waitcnt lgkmcnt(14)
	v_max_f64 v[156:157], v[156:157], v[156:157]
	v_max_f64 v[158:159], v[158:159], v[158:159]
	;; [unrolled: 1-line block ×3, first 2 shown]
	s_waitcnt lgkmcnt(8)
	v_max_f64 v[142:143], v[188:189], v[188:189]
	v_max_f64 v[162:163], v[162:163], v[162:163]
	;; [unrolled: 1-line block ×15, first 2 shown]
	v_min_f64 v[190:191], v[156:157], v[142:143]
	v_min_f64 v[224:225], v[158:159], v[142:143]
	;; [unrolled: 1-line block ×16, first 2 shown]
	s_waitcnt lgkmcnt(7)
	v_max_f64 v[192:193], v[192:193], v[192:193]
	v_max_f64 v[194:195], v[194:195], v[194:195]
	s_waitcnt lgkmcnt(6)
	v_max_f64 v[196:197], v[196:197], v[196:197]
	v_max_f64 v[198:199], v[198:199], v[198:199]
	;; [unrolled: 3-line block ×8, first 2 shown]
	v_min_f64 v[156:157], v[156:157], v[188:189]
	v_min_f64 v[158:159], v[158:159], v[188:189]
	;; [unrolled: 1-line block ×16, first 2 shown]
	s_add_i32 s24, s24, 8
	v_add_f64 v[124:125], v[190:191], v[124:125]
	v_add_f64 v[126:127], v[224:225], v[126:127]
	v_add_f64 v[122:123], v[226:227], v[122:123]
	v_add_f64 v[120:121], v[228:229], v[120:121]
	v_add_f64 v[118:119], v[230:231], v[118:119]
	v_add_f64 v[116:117], v[232:233], v[116:117]
	v_add_f64 v[114:115], v[234:235], v[114:115]
	v_add_f64 v[112:113], v[236:237], v[112:113]
	v_add_f64 v[110:111], v[238:239], v[110:111]
	v_add_f64 v[108:109], v[240:241], v[108:109]
	v_add_f64 v[106:107], v[242:243], v[106:107]
	v_add_f64 v[104:105], v[244:245], v[104:105]
	v_add_f64 v[102:103], v[246:247], v[102:103]
	v_add_f64 v[100:101], v[248:249], v[100:101]
	v_add_f64 v[98:99], v[250:251], v[98:99]
	v_min_f64 v[190:191], v[192:193], v[142:143]
	v_min_f64 v[224:225], v[194:195], v[142:143]
	;; [unrolled: 1-line block ×16, first 2 shown]
	v_add_f64 v[62:63], v[156:157], v[62:63]
	v_add_f64 v[60:61], v[158:159], v[60:61]
	;; [unrolled: 1-line block ×16, first 2 shown]
	v_min_f64 v[156:157], v[192:193], v[188:189]
	v_min_f64 v[158:159], v[194:195], v[188:189]
	;; [unrolled: 1-line block ×16, first 2 shown]
	s_cmp_eq_u32 s24, 32
	v_add_f64 v[96:97], v[252:253], v[96:97]
	v_add_f64 v[94:95], v[190:191], v[94:95]
	;; [unrolled: 1-line block ×33, first 2 shown]
	s_cbranch_scc0 .LBB183_47
; %bb.48:                               ;   in Loop: Header=BB183_28 Depth=1
	s_add_i32 s30, s30, 8
	s_add_i32 s31, s31, 8
	s_cmp_ge_i32 s31, s29
	ds_write2st64_b64 v154, v[136:137], v[134:135] offset1:4
	ds_write2st64_b64 v155, v[140:141], v[138:139] offset1:4
	s_waitcnt lgkmcnt(0)
	s_barrier
	s_cbranch_scc0 .LBB183_28
.LBB183_49:
	s_mov_b32 s2, 0
.LBB183_50:                             ; =>This Inner Loop Header: Depth=1
	v_add_u32_e32 v150, s2, v152
	v_add_u32_e32 v151, s2, v153
	ds_read2_b64 v[128:131], v150 offset1:16
	ds_read2_b64 v[132:135], v150 offset0:32 offset1:48
	ds_read2_b64 v[136:139], v150 offset0:64 offset1:80
	;; [unrolled: 1-line block ×7, first 2 shown]
	v_add_u32_e32 v150, 0x800, v150
	ds_read2st64_b64 v[166:169], v151 offset1:4
	ds_read2_b64 v[170:173], v150 offset1:16
	ds_read2_b64 v[174:177], v150 offset0:32 offset1:48
	ds_read2_b64 v[178:181], v150 offset0:64 offset1:80
	;; [unrolled: 1-line block ×7, first 2 shown]
	s_waitcnt lgkmcnt(14)
	v_max_f64 v[128:129], v[128:129], v[128:129]
	v_max_f64 v[130:131], v[130:131], v[130:131]
	;; [unrolled: 1-line block ×3, first 2 shown]
	s_waitcnt lgkmcnt(8)
	v_max_f64 v[150:151], v[166:167], v[166:167]
	v_max_f64 v[134:135], v[134:135], v[134:135]
	;; [unrolled: 1-line block ×15, first 2 shown]
	v_min_f64 v[168:169], v[128:129], v[150:151]
	v_min_f64 v[202:203], v[130:131], v[150:151]
	;; [unrolled: 1-line block ×16, first 2 shown]
	s_waitcnt lgkmcnt(7)
	v_max_f64 v[170:171], v[170:171], v[170:171]
	v_max_f64 v[172:173], v[172:173], v[172:173]
	s_waitcnt lgkmcnt(6)
	v_max_f64 v[174:175], v[174:175], v[174:175]
	v_max_f64 v[176:177], v[176:177], v[176:177]
	;; [unrolled: 3-line block ×8, first 2 shown]
	v_min_f64 v[128:129], v[128:129], v[166:167]
	v_min_f64 v[130:131], v[130:131], v[166:167]
	;; [unrolled: 1-line block ×16, first 2 shown]
	s_add_i32 s2, s2, 8
	v_add_f64 v[124:125], v[168:169], v[124:125]
	v_add_f64 v[126:127], v[202:203], v[126:127]
	;; [unrolled: 1-line block ×15, first 2 shown]
	v_min_f64 v[168:169], v[170:171], v[150:151]
	v_min_f64 v[202:203], v[172:173], v[150:151]
	;; [unrolled: 1-line block ×16, first 2 shown]
	v_add_f64 v[62:63], v[128:129], v[62:63]
	v_add_f64 v[60:61], v[130:131], v[60:61]
	v_add_f64 v[58:59], v[132:133], v[58:59]
	v_add_f64 v[56:57], v[134:135], v[56:57]
	v_add_f64 v[54:55], v[136:137], v[54:55]
	v_add_f64 v[52:53], v[138:139], v[52:53]
	v_add_f64 v[50:51], v[140:141], v[50:51]
	v_add_f64 v[48:49], v[142:143], v[48:49]
	v_add_f64 v[46:47], v[146:147], v[46:47]
	v_add_f64 v[44:45], v[148:149], v[44:45]
	v_add_f64 v[42:43], v[154:155], v[42:43]
	v_add_f64 v[40:41], v[156:157], v[40:41]
	v_add_f64 v[38:39], v[158:159], v[38:39]
	v_add_f64 v[36:37], v[160:161], v[36:37]
	v_add_f64 v[34:35], v[162:163], v[34:35]
	v_add_f64 v[32:33], v[164:165], v[32:33]
	v_min_f64 v[128:129], v[170:171], v[166:167]
	v_min_f64 v[130:131], v[172:173], v[166:167]
	;; [unrolled: 1-line block ×16, first 2 shown]
	s_cmp_eq_u32 s2, 32
	v_add_f64 v[96:97], v[230:231], v[96:97]
	v_add_f64 v[94:95], v[168:169], v[94:95]
	;; [unrolled: 1-line block ×33, first 2 shown]
	s_cbranch_scc0 .LBB183_50
; %bb.51:
	s_load_dwordx2 s[2:3], s[0:1], 0x78
	s_load_dword s78, s[0:1], 0x58
	s_load_dword s33, s[0:1], 0x70
	v_add_u32_e32 v136, s26, v145
	v_add_u32_e32 v128, s17, v144
	s_waitcnt lgkmcnt(0)
	s_mul_i32 s1, s16, s3
	s_mul_hi_u32 s3, s16, s2
	s_mul_i32 s0, s16, s2
	s_add_i32 s1, s3, s1
	s_lshl_b64 s[0:1], s[0:1], 3
	s_add_u32 s74, s10, s0
	s_addc_u32 s75, s11, s1
	v_mad_i64_i32 v[130:131], s[0:1], v136, s78, 0
	v_cmp_gt_i32_e64 s[24:25], s73, v136
	v_lshl_add_u64 v[132:133], v[130:131], 3, s[76:77]
	v_mad_i64_i32 v[130:131], s[0:1], v136, s33, 0
	v_cmp_gt_i32_e64 s[2:3], s72, v128
	v_cndmask_b32_e64 v134, 0, 1, s[12:13]
	v_lshl_add_u64 v[130:131], v[130:131], 3, s[74:75]
	s_and_b64 s[6:7], s[24:25], s[2:3]
	v_ashrrev_i32_e32 v129, 31, v128
	v_cmp_ne_u32_e64 s[0:1], 1, v134
	s_and_saveexec_b64 s[4:5], s[6:7]
	s_cbranch_execz .LBB183_56
; %bb.52:
	s_and_b64 vcc, exec, s[0:1]
	s_cbranch_vccnz .LBB183_54
; %bb.53:
	v_lshl_add_u64 v[134:135], v[128:129], 3, v[132:133]
	flat_load_dwordx2 v[134:135], v[134:135]
	s_waitcnt vmcnt(0) lgkmcnt(0)
	v_mul_f64 v[134:135], s[70:71], v[134:135]
	s_branch .LBB183_55
.LBB183_54:
	v_mov_b64_e32 v[134:135], 0
.LBB183_55:
	v_add_f64 v[124:125], v[124:125], v[134:135]
	v_lshl_add_u64 v[134:135], v[128:129], 3, v[130:131]
	global_store_dwordx2 v[134:135], v[124:125], off
.LBB183_56:
	s_or_b64 exec, exec, s[4:5]
	v_add_u32_e32 v124, 4, v128
	v_cmp_gt_i32_e64 s[4:5], s72, v124
	s_and_b64 s[8:9], s[24:25], s[4:5]
	v_ashrrev_i32_e32 v125, 31, v124
	s_and_saveexec_b64 s[6:7], s[8:9]
	s_cbranch_execz .LBB183_61
; %bb.57:
	s_and_b64 vcc, exec, s[0:1]
	s_cbranch_vccnz .LBB183_59
; %bb.58:
	v_lshl_add_u64 v[134:135], v[124:125], 3, v[132:133]
	flat_load_dwordx2 v[134:135], v[134:135]
	s_waitcnt vmcnt(0) lgkmcnt(0)
	v_mul_f64 v[134:135], s[70:71], v[134:135]
	s_branch .LBB183_60
.LBB183_59:
	v_mov_b64_e32 v[134:135], 0
.LBB183_60:
	v_add_f64 v[126:127], v[126:127], v[134:135]
	v_lshl_add_u64 v[134:135], v[124:125], 3, v[130:131]
	global_store_dwordx2 v[134:135], v[126:127], off
.LBB183_61:
	s_or_b64 exec, exec, s[6:7]
	v_add_u32_e32 v126, 8, v128
	v_cmp_gt_i32_e64 s[6:7], s72, v126
	s_and_b64 s[10:11], s[24:25], s[6:7]
	v_ashrrev_i32_e32 v127, 31, v126
	;; [unrolled: 23-line block ×31, first 2 shown]
	s_and_saveexec_b64 s[24:25], s[80:81]
	s_cbranch_execz .LBB183_211
; %bb.207:
	s_and_b64 vcc, exec, s[0:1]
	s_cbranch_vccnz .LBB183_209
; %bb.208:
	v_lshl_add_u64 v[132:133], v[66:67], 3, v[132:133]
	flat_load_dwordx2 v[132:133], v[132:133]
	s_waitcnt vmcnt(0) lgkmcnt(0)
	v_mul_f64 v[132:133], s[70:71], v[132:133]
	s_branch .LBB183_210
.LBB183_209:
	v_mov_b64_e32 v[132:133], 0
.LBB183_210:
	v_add_f64 v[64:65], v[64:65], v[132:133]
	v_lshl_add_u64 v[130:131], v[66:67], 3, v[130:131]
	global_store_dwordx2 v[130:131], v[64:65], off
.LBB183_211:
	s_or_b64 exec, exec, s[24:25]
	v_add_u32_e32 v132, 64, v136
	v_cmp_gt_i32_e64 s[24:25], s73, v132
	v_mad_i64_i32 v[64:65], s[72:73], v132, s78, 0
	v_lshl_add_u64 v[130:131], v[64:65], 3, s[76:77]
	v_mad_i64_i32 v[64:65], s[72:73], v132, s33, 0
	v_lshl_add_u64 v[64:65], v[64:65], 3, s[74:75]
	s_and_b64 s[2:3], s[24:25], s[2:3]
	s_and_saveexec_b64 s[72:73], s[2:3]
	s_xor_b64 s[2:3], exec, s[72:73]
	s_cbranch_execnz .LBB183_244
; %bb.212:
	s_or_b64 exec, exec, s[2:3]
	s_and_b64 s[4:5], s[24:25], s[4:5]
	s_and_saveexec_b64 s[2:3], s[4:5]
	s_cbranch_execnz .LBB183_248
.LBB183_213:
	s_or_b64 exec, exec, s[2:3]
	s_and_b64 s[4:5], s[24:25], s[6:7]
	s_and_saveexec_b64 s[2:3], s[4:5]
	s_cbranch_execnz .LBB183_252
.LBB183_214:
	s_or_b64 exec, exec, s[2:3]
	s_and_b64 s[4:5], s[24:25], s[8:9]
	s_and_saveexec_b64 s[2:3], s[4:5]
	s_cbranch_execnz .LBB183_256
.LBB183_215:
	s_or_b64 exec, exec, s[2:3]
	s_and_b64 s[4:5], s[24:25], s[10:11]
	s_and_saveexec_b64 s[2:3], s[4:5]
	s_cbranch_execnz .LBB183_260
.LBB183_216:
	s_or_b64 exec, exec, s[2:3]
	s_and_b64 s[4:5], s[24:25], s[12:13]
	s_and_saveexec_b64 s[2:3], s[4:5]
	s_cbranch_execnz .LBB183_264
.LBB183_217:
	s_or_b64 exec, exec, s[2:3]
	s_and_b64 s[4:5], s[24:25], s[14:15]
	s_and_saveexec_b64 s[2:3], s[4:5]
	s_cbranch_execnz .LBB183_268
.LBB183_218:
	s_or_b64 exec, exec, s[2:3]
	s_and_b64 s[4:5], s[24:25], s[16:17]
	s_and_saveexec_b64 s[2:3], s[4:5]
	s_cbranch_execnz .LBB183_272
.LBB183_219:
	s_or_b64 exec, exec, s[2:3]
	s_and_b64 s[4:5], s[24:25], s[18:19]
	s_and_saveexec_b64 s[2:3], s[4:5]
	s_cbranch_execnz .LBB183_276
.LBB183_220:
	s_or_b64 exec, exec, s[2:3]
	s_and_b64 s[4:5], s[24:25], s[20:21]
	s_and_saveexec_b64 s[2:3], s[4:5]
	s_cbranch_execnz .LBB183_280
.LBB183_221:
	s_or_b64 exec, exec, s[2:3]
	s_and_b64 s[4:5], s[24:25], s[22:23]
	s_and_saveexec_b64 s[2:3], s[4:5]
	s_cbranch_execnz .LBB183_284
.LBB183_222:
	s_or_b64 exec, exec, s[2:3]
	s_and_b64 s[4:5], s[24:25], s[26:27]
	s_and_saveexec_b64 s[2:3], s[4:5]
	s_cbranch_execnz .LBB183_288
.LBB183_223:
	s_or_b64 exec, exec, s[2:3]
	s_and_b64 s[4:5], s[24:25], s[28:29]
	s_and_saveexec_b64 s[2:3], s[4:5]
	s_cbranch_execnz .LBB183_292
.LBB183_224:
	s_or_b64 exec, exec, s[2:3]
	s_and_b64 s[4:5], s[24:25], s[30:31]
	s_and_saveexec_b64 s[2:3], s[4:5]
	s_cbranch_execnz .LBB183_296
.LBB183_225:
	s_or_b64 exec, exec, s[2:3]
	s_and_b64 s[4:5], s[24:25], s[34:35]
	s_and_saveexec_b64 s[2:3], s[4:5]
	s_cbranch_execnz .LBB183_300
.LBB183_226:
	s_or_b64 exec, exec, s[2:3]
	s_and_b64 s[4:5], s[24:25], s[36:37]
	s_and_saveexec_b64 s[2:3], s[4:5]
	s_cbranch_execnz .LBB183_304
.LBB183_227:
	s_or_b64 exec, exec, s[2:3]
	s_and_b64 s[4:5], s[24:25], s[38:39]
	s_and_saveexec_b64 s[2:3], s[4:5]
	s_cbranch_execnz .LBB183_308
.LBB183_228:
	s_or_b64 exec, exec, s[2:3]
	s_and_b64 s[4:5], s[24:25], s[40:41]
	s_and_saveexec_b64 s[2:3], s[4:5]
	s_cbranch_execnz .LBB183_312
.LBB183_229:
	s_or_b64 exec, exec, s[2:3]
	s_and_b64 s[4:5], s[24:25], s[42:43]
	s_and_saveexec_b64 s[2:3], s[4:5]
	s_cbranch_execnz .LBB183_316
.LBB183_230:
	s_or_b64 exec, exec, s[2:3]
	s_and_b64 s[4:5], s[24:25], s[44:45]
	s_and_saveexec_b64 s[2:3], s[4:5]
	s_cbranch_execnz .LBB183_320
.LBB183_231:
	s_or_b64 exec, exec, s[2:3]
	s_and_b64 s[4:5], s[24:25], s[46:47]
	s_and_saveexec_b64 s[2:3], s[4:5]
	s_cbranch_execnz .LBB183_324
.LBB183_232:
	s_or_b64 exec, exec, s[2:3]
	s_and_b64 s[4:5], s[24:25], s[48:49]
	s_and_saveexec_b64 s[2:3], s[4:5]
	s_cbranch_execnz .LBB183_328
.LBB183_233:
	s_or_b64 exec, exec, s[2:3]
	s_and_b64 s[4:5], s[24:25], s[50:51]
	s_and_saveexec_b64 s[2:3], s[4:5]
	s_cbranch_execnz .LBB183_332
.LBB183_234:
	s_or_b64 exec, exec, s[2:3]
	s_and_b64 s[4:5], s[24:25], s[52:53]
	s_and_saveexec_b64 s[2:3], s[4:5]
	s_cbranch_execnz .LBB183_336
.LBB183_235:
	s_or_b64 exec, exec, s[2:3]
	s_and_b64 s[4:5], s[24:25], s[54:55]
	s_and_saveexec_b64 s[2:3], s[4:5]
	s_cbranch_execnz .LBB183_340
.LBB183_236:
	s_or_b64 exec, exec, s[2:3]
	s_and_b64 s[4:5], s[24:25], s[56:57]
	s_and_saveexec_b64 s[2:3], s[4:5]
	s_cbranch_execnz .LBB183_344
.LBB183_237:
	s_or_b64 exec, exec, s[2:3]
	s_and_b64 s[4:5], s[24:25], s[58:59]
	s_and_saveexec_b64 s[2:3], s[4:5]
	s_cbranch_execnz .LBB183_348
.LBB183_238:
	s_or_b64 exec, exec, s[2:3]
	s_and_b64 s[4:5], s[24:25], s[60:61]
	s_and_saveexec_b64 s[2:3], s[4:5]
	s_cbranch_execnz .LBB183_352
.LBB183_239:
	s_or_b64 exec, exec, s[2:3]
	s_and_b64 s[4:5], s[24:25], s[62:63]
	s_and_saveexec_b64 s[2:3], s[4:5]
	s_cbranch_execnz .LBB183_356
.LBB183_240:
	s_or_b64 exec, exec, s[2:3]
	s_and_b64 s[4:5], s[24:25], s[64:65]
	s_and_saveexec_b64 s[2:3], s[4:5]
	s_cbranch_execnz .LBB183_360
.LBB183_241:
	s_or_b64 exec, exec, s[2:3]
	s_and_b64 s[4:5], s[24:25], s[66:67]
	s_and_saveexec_b64 s[2:3], s[4:5]
	s_cbranch_execnz .LBB183_364
.LBB183_242:
	s_or_b64 exec, exec, s[2:3]
	s_and_b64 s[2:3], s[24:25], s[68:69]
	s_and_saveexec_b64 s[4:5], s[2:3]
	s_cbranch_execnz .LBB183_368
.LBB183_243:
	s_endpgm
.LBB183_244:
	s_and_b64 vcc, exec, s[0:1]
	s_cbranch_vccnz .LBB183_246
; %bb.245:
	v_lshl_add_u64 v[132:133], v[128:129], 3, v[130:131]
	flat_load_dwordx2 v[132:133], v[132:133]
	s_waitcnt vmcnt(0) lgkmcnt(0)
	v_mul_f64 v[132:133], s[70:71], v[132:133]
	s_branch .LBB183_247
.LBB183_246:
	v_mov_b64_e32 v[132:133], 0
.LBB183_247:
	v_add_f64 v[62:63], v[62:63], v[132:133]
	v_lshl_add_u64 v[128:129], v[128:129], 3, v[64:65]
	global_store_dwordx2 v[128:129], v[62:63], off
	s_or_b64 exec, exec, s[2:3]
	s_and_b64 s[4:5], s[24:25], s[4:5]
	s_and_saveexec_b64 s[2:3], s[4:5]
	s_cbranch_execz .LBB183_213
.LBB183_248:
	s_and_b64 vcc, exec, s[0:1]
	s_cbranch_vccnz .LBB183_250
; %bb.249:
	v_lshl_add_u64 v[62:63], v[124:125], 3, v[130:131]
	flat_load_dwordx2 v[62:63], v[62:63]
	s_waitcnt vmcnt(0) lgkmcnt(0)
	v_mul_f64 v[62:63], s[70:71], v[62:63]
	s_branch .LBB183_251
.LBB183_250:
	v_mov_b64_e32 v[62:63], 0
.LBB183_251:
	v_add_f64 v[60:61], v[60:61], v[62:63]
	v_lshl_add_u64 v[62:63], v[124:125], 3, v[64:65]
	global_store_dwordx2 v[62:63], v[60:61], off
	s_or_b64 exec, exec, s[2:3]
	s_and_b64 s[4:5], s[24:25], s[6:7]
	s_and_saveexec_b64 s[2:3], s[4:5]
	s_cbranch_execz .LBB183_214
.LBB183_252:
	s_and_b64 vcc, exec, s[0:1]
	s_cbranch_vccnz .LBB183_254
; %bb.253:
	v_lshl_add_u64 v[60:61], v[126:127], 3, v[130:131]
	flat_load_dwordx2 v[60:61], v[60:61]
	s_waitcnt vmcnt(0) lgkmcnt(0)
	v_mul_f64 v[60:61], s[70:71], v[60:61]
	s_branch .LBB183_255
.LBB183_254:
	v_mov_b64_e32 v[60:61], 0
.LBB183_255:
	v_add_f64 v[58:59], v[58:59], v[60:61]
	v_lshl_add_u64 v[60:61], v[126:127], 3, v[64:65]
	global_store_dwordx2 v[60:61], v[58:59], off
	s_or_b64 exec, exec, s[2:3]
	s_and_b64 s[4:5], s[24:25], s[8:9]
	s_and_saveexec_b64 s[2:3], s[4:5]
	s_cbranch_execz .LBB183_215
.LBB183_256:
	s_and_b64 vcc, exec, s[0:1]
	s_cbranch_vccnz .LBB183_258
; %bb.257:
	v_lshl_add_u64 v[58:59], v[122:123], 3, v[130:131]
	flat_load_dwordx2 v[58:59], v[58:59]
	s_waitcnt vmcnt(0) lgkmcnt(0)
	v_mul_f64 v[58:59], s[70:71], v[58:59]
	s_branch .LBB183_259
.LBB183_258:
	v_mov_b64_e32 v[58:59], 0
.LBB183_259:
	v_add_f64 v[56:57], v[56:57], v[58:59]
	v_lshl_add_u64 v[58:59], v[122:123], 3, v[64:65]
	global_store_dwordx2 v[58:59], v[56:57], off
	s_or_b64 exec, exec, s[2:3]
	s_and_b64 s[4:5], s[24:25], s[10:11]
	s_and_saveexec_b64 s[2:3], s[4:5]
	s_cbranch_execz .LBB183_216
.LBB183_260:
	s_and_b64 vcc, exec, s[0:1]
	s_cbranch_vccnz .LBB183_262
; %bb.261:
	v_lshl_add_u64 v[56:57], v[120:121], 3, v[130:131]
	flat_load_dwordx2 v[56:57], v[56:57]
	s_waitcnt vmcnt(0) lgkmcnt(0)
	v_mul_f64 v[56:57], s[70:71], v[56:57]
	s_branch .LBB183_263
.LBB183_262:
	v_mov_b64_e32 v[56:57], 0
.LBB183_263:
	v_add_f64 v[54:55], v[54:55], v[56:57]
	v_lshl_add_u64 v[56:57], v[120:121], 3, v[64:65]
	global_store_dwordx2 v[56:57], v[54:55], off
	s_or_b64 exec, exec, s[2:3]
	s_and_b64 s[4:5], s[24:25], s[12:13]
	s_and_saveexec_b64 s[2:3], s[4:5]
	s_cbranch_execz .LBB183_217
.LBB183_264:
	s_and_b64 vcc, exec, s[0:1]
	s_cbranch_vccnz .LBB183_266
; %bb.265:
	v_lshl_add_u64 v[54:55], v[118:119], 3, v[130:131]
	flat_load_dwordx2 v[54:55], v[54:55]
	s_waitcnt vmcnt(0) lgkmcnt(0)
	v_mul_f64 v[54:55], s[70:71], v[54:55]
	s_branch .LBB183_267
.LBB183_266:
	v_mov_b64_e32 v[54:55], 0
.LBB183_267:
	v_add_f64 v[52:53], v[52:53], v[54:55]
	v_lshl_add_u64 v[54:55], v[118:119], 3, v[64:65]
	global_store_dwordx2 v[54:55], v[52:53], off
	s_or_b64 exec, exec, s[2:3]
	s_and_b64 s[4:5], s[24:25], s[14:15]
	s_and_saveexec_b64 s[2:3], s[4:5]
	s_cbranch_execz .LBB183_218
.LBB183_268:
	s_and_b64 vcc, exec, s[0:1]
	s_cbranch_vccnz .LBB183_270
; %bb.269:
	v_lshl_add_u64 v[52:53], v[116:117], 3, v[130:131]
	flat_load_dwordx2 v[52:53], v[52:53]
	s_waitcnt vmcnt(0) lgkmcnt(0)
	v_mul_f64 v[52:53], s[70:71], v[52:53]
	s_branch .LBB183_271
.LBB183_270:
	v_mov_b64_e32 v[52:53], 0
.LBB183_271:
	v_add_f64 v[50:51], v[50:51], v[52:53]
	v_lshl_add_u64 v[52:53], v[116:117], 3, v[64:65]
	global_store_dwordx2 v[52:53], v[50:51], off
	s_or_b64 exec, exec, s[2:3]
	s_and_b64 s[4:5], s[24:25], s[16:17]
	s_and_saveexec_b64 s[2:3], s[4:5]
	s_cbranch_execz .LBB183_219
.LBB183_272:
	s_and_b64 vcc, exec, s[0:1]
	s_cbranch_vccnz .LBB183_274
; %bb.273:
	v_lshl_add_u64 v[50:51], v[114:115], 3, v[130:131]
	flat_load_dwordx2 v[50:51], v[50:51]
	s_waitcnt vmcnt(0) lgkmcnt(0)
	v_mul_f64 v[50:51], s[70:71], v[50:51]
	s_branch .LBB183_275
.LBB183_274:
	v_mov_b64_e32 v[50:51], 0
.LBB183_275:
	v_add_f64 v[48:49], v[48:49], v[50:51]
	v_lshl_add_u64 v[50:51], v[114:115], 3, v[64:65]
	global_store_dwordx2 v[50:51], v[48:49], off
	s_or_b64 exec, exec, s[2:3]
	s_and_b64 s[4:5], s[24:25], s[18:19]
	s_and_saveexec_b64 s[2:3], s[4:5]
	s_cbranch_execz .LBB183_220
.LBB183_276:
	s_and_b64 vcc, exec, s[0:1]
	s_cbranch_vccnz .LBB183_278
; %bb.277:
	v_lshl_add_u64 v[48:49], v[112:113], 3, v[130:131]
	flat_load_dwordx2 v[48:49], v[48:49]
	s_waitcnt vmcnt(0) lgkmcnt(0)
	v_mul_f64 v[48:49], s[70:71], v[48:49]
	s_branch .LBB183_279
.LBB183_278:
	v_mov_b64_e32 v[48:49], 0
.LBB183_279:
	v_add_f64 v[46:47], v[46:47], v[48:49]
	v_lshl_add_u64 v[48:49], v[112:113], 3, v[64:65]
	global_store_dwordx2 v[48:49], v[46:47], off
	s_or_b64 exec, exec, s[2:3]
	s_and_b64 s[4:5], s[24:25], s[20:21]
	s_and_saveexec_b64 s[2:3], s[4:5]
	s_cbranch_execz .LBB183_221
.LBB183_280:
	s_and_b64 vcc, exec, s[0:1]
	s_cbranch_vccnz .LBB183_282
; %bb.281:
	v_lshl_add_u64 v[46:47], v[110:111], 3, v[130:131]
	flat_load_dwordx2 v[46:47], v[46:47]
	s_waitcnt vmcnt(0) lgkmcnt(0)
	v_mul_f64 v[46:47], s[70:71], v[46:47]
	s_branch .LBB183_283
.LBB183_282:
	v_mov_b64_e32 v[46:47], 0
.LBB183_283:
	v_add_f64 v[44:45], v[44:45], v[46:47]
	v_lshl_add_u64 v[46:47], v[110:111], 3, v[64:65]
	global_store_dwordx2 v[46:47], v[44:45], off
	s_or_b64 exec, exec, s[2:3]
	s_and_b64 s[4:5], s[24:25], s[22:23]
	s_and_saveexec_b64 s[2:3], s[4:5]
	s_cbranch_execz .LBB183_222
.LBB183_284:
	s_and_b64 vcc, exec, s[0:1]
	s_cbranch_vccnz .LBB183_286
; %bb.285:
	v_lshl_add_u64 v[44:45], v[108:109], 3, v[130:131]
	flat_load_dwordx2 v[44:45], v[44:45]
	s_waitcnt vmcnt(0) lgkmcnt(0)
	v_mul_f64 v[44:45], s[70:71], v[44:45]
	s_branch .LBB183_287
.LBB183_286:
	v_mov_b64_e32 v[44:45], 0
.LBB183_287:
	v_add_f64 v[42:43], v[42:43], v[44:45]
	v_lshl_add_u64 v[44:45], v[108:109], 3, v[64:65]
	global_store_dwordx2 v[44:45], v[42:43], off
	s_or_b64 exec, exec, s[2:3]
	s_and_b64 s[4:5], s[24:25], s[26:27]
	s_and_saveexec_b64 s[2:3], s[4:5]
	s_cbranch_execz .LBB183_223
.LBB183_288:
	s_and_b64 vcc, exec, s[0:1]
	s_cbranch_vccnz .LBB183_290
; %bb.289:
	v_lshl_add_u64 v[42:43], v[106:107], 3, v[130:131]
	flat_load_dwordx2 v[42:43], v[42:43]
	s_waitcnt vmcnt(0) lgkmcnt(0)
	v_mul_f64 v[42:43], s[70:71], v[42:43]
	s_branch .LBB183_291
.LBB183_290:
	v_mov_b64_e32 v[42:43], 0
.LBB183_291:
	v_add_f64 v[40:41], v[40:41], v[42:43]
	v_lshl_add_u64 v[42:43], v[106:107], 3, v[64:65]
	global_store_dwordx2 v[42:43], v[40:41], off
	s_or_b64 exec, exec, s[2:3]
	s_and_b64 s[4:5], s[24:25], s[28:29]
	s_and_saveexec_b64 s[2:3], s[4:5]
	s_cbranch_execz .LBB183_224
.LBB183_292:
	s_and_b64 vcc, exec, s[0:1]
	s_cbranch_vccnz .LBB183_294
; %bb.293:
	v_lshl_add_u64 v[40:41], v[104:105], 3, v[130:131]
	flat_load_dwordx2 v[40:41], v[40:41]
	s_waitcnt vmcnt(0) lgkmcnt(0)
	v_mul_f64 v[40:41], s[70:71], v[40:41]
	s_branch .LBB183_295
.LBB183_294:
	v_mov_b64_e32 v[40:41], 0
.LBB183_295:
	v_add_f64 v[38:39], v[38:39], v[40:41]
	v_lshl_add_u64 v[40:41], v[104:105], 3, v[64:65]
	global_store_dwordx2 v[40:41], v[38:39], off
	s_or_b64 exec, exec, s[2:3]
	s_and_b64 s[4:5], s[24:25], s[30:31]
	s_and_saveexec_b64 s[2:3], s[4:5]
	s_cbranch_execz .LBB183_225
.LBB183_296:
	s_and_b64 vcc, exec, s[0:1]
	s_cbranch_vccnz .LBB183_298
; %bb.297:
	v_lshl_add_u64 v[38:39], v[102:103], 3, v[130:131]
	flat_load_dwordx2 v[38:39], v[38:39]
	s_waitcnt vmcnt(0) lgkmcnt(0)
	v_mul_f64 v[38:39], s[70:71], v[38:39]
	s_branch .LBB183_299
.LBB183_298:
	v_mov_b64_e32 v[38:39], 0
.LBB183_299:
	v_add_f64 v[36:37], v[36:37], v[38:39]
	v_lshl_add_u64 v[38:39], v[102:103], 3, v[64:65]
	global_store_dwordx2 v[38:39], v[36:37], off
	s_or_b64 exec, exec, s[2:3]
	s_and_b64 s[4:5], s[24:25], s[34:35]
	s_and_saveexec_b64 s[2:3], s[4:5]
	s_cbranch_execz .LBB183_226
.LBB183_300:
	s_and_b64 vcc, exec, s[0:1]
	s_cbranch_vccnz .LBB183_302
; %bb.301:
	v_lshl_add_u64 v[36:37], v[100:101], 3, v[130:131]
	flat_load_dwordx2 v[36:37], v[36:37]
	s_waitcnt vmcnt(0) lgkmcnt(0)
	v_mul_f64 v[36:37], s[70:71], v[36:37]
	s_branch .LBB183_303
.LBB183_302:
	v_mov_b64_e32 v[36:37], 0
.LBB183_303:
	v_add_f64 v[34:35], v[34:35], v[36:37]
	v_lshl_add_u64 v[36:37], v[100:101], 3, v[64:65]
	global_store_dwordx2 v[36:37], v[34:35], off
	s_or_b64 exec, exec, s[2:3]
	s_and_b64 s[4:5], s[24:25], s[36:37]
	s_and_saveexec_b64 s[2:3], s[4:5]
	s_cbranch_execz .LBB183_227
.LBB183_304:
	s_and_b64 vcc, exec, s[0:1]
	s_cbranch_vccnz .LBB183_306
; %bb.305:
	v_lshl_add_u64 v[34:35], v[98:99], 3, v[130:131]
	flat_load_dwordx2 v[34:35], v[34:35]
	s_waitcnt vmcnt(0) lgkmcnt(0)
	v_mul_f64 v[34:35], s[70:71], v[34:35]
	s_branch .LBB183_307
.LBB183_306:
	v_mov_b64_e32 v[34:35], 0
.LBB183_307:
	v_add_f64 v[32:33], v[32:33], v[34:35]
	v_lshl_add_u64 v[34:35], v[98:99], 3, v[64:65]
	global_store_dwordx2 v[34:35], v[32:33], off
	s_or_b64 exec, exec, s[2:3]
	s_and_b64 s[4:5], s[24:25], s[38:39]
	s_and_saveexec_b64 s[2:3], s[4:5]
	s_cbranch_execz .LBB183_228
.LBB183_308:
	s_and_b64 vcc, exec, s[0:1]
	s_cbranch_vccnz .LBB183_310
; %bb.309:
	v_lshl_add_u64 v[32:33], v[96:97], 3, v[130:131]
	flat_load_dwordx2 v[32:33], v[32:33]
	s_waitcnt vmcnt(0) lgkmcnt(0)
	v_mul_f64 v[32:33], s[70:71], v[32:33]
	s_branch .LBB183_311
.LBB183_310:
	v_mov_b64_e32 v[32:33], 0
.LBB183_311:
	v_add_f64 v[30:31], v[30:31], v[32:33]
	v_lshl_add_u64 v[32:33], v[96:97], 3, v[64:65]
	global_store_dwordx2 v[32:33], v[30:31], off
	s_or_b64 exec, exec, s[2:3]
	s_and_b64 s[4:5], s[24:25], s[40:41]
	s_and_saveexec_b64 s[2:3], s[4:5]
	s_cbranch_execz .LBB183_229
.LBB183_312:
	s_and_b64 vcc, exec, s[0:1]
	s_cbranch_vccnz .LBB183_314
; %bb.313:
	v_lshl_add_u64 v[30:31], v[94:95], 3, v[130:131]
	flat_load_dwordx2 v[30:31], v[30:31]
	s_waitcnt vmcnt(0) lgkmcnt(0)
	v_mul_f64 v[30:31], s[70:71], v[30:31]
	s_branch .LBB183_315
.LBB183_314:
	v_mov_b64_e32 v[30:31], 0
.LBB183_315:
	v_add_f64 v[28:29], v[28:29], v[30:31]
	v_lshl_add_u64 v[30:31], v[94:95], 3, v[64:65]
	global_store_dwordx2 v[30:31], v[28:29], off
	s_or_b64 exec, exec, s[2:3]
	s_and_b64 s[4:5], s[24:25], s[42:43]
	s_and_saveexec_b64 s[2:3], s[4:5]
	s_cbranch_execz .LBB183_230
.LBB183_316:
	s_and_b64 vcc, exec, s[0:1]
	s_cbranch_vccnz .LBB183_318
; %bb.317:
	v_lshl_add_u64 v[28:29], v[92:93], 3, v[130:131]
	flat_load_dwordx2 v[28:29], v[28:29]
	s_waitcnt vmcnt(0) lgkmcnt(0)
	v_mul_f64 v[28:29], s[70:71], v[28:29]
	s_branch .LBB183_319
.LBB183_318:
	v_mov_b64_e32 v[28:29], 0
.LBB183_319:
	v_add_f64 v[26:27], v[26:27], v[28:29]
	v_lshl_add_u64 v[28:29], v[92:93], 3, v[64:65]
	global_store_dwordx2 v[28:29], v[26:27], off
	s_or_b64 exec, exec, s[2:3]
	s_and_b64 s[4:5], s[24:25], s[44:45]
	s_and_saveexec_b64 s[2:3], s[4:5]
	s_cbranch_execz .LBB183_231
.LBB183_320:
	s_and_b64 vcc, exec, s[0:1]
	s_cbranch_vccnz .LBB183_322
; %bb.321:
	v_lshl_add_u64 v[26:27], v[90:91], 3, v[130:131]
	flat_load_dwordx2 v[26:27], v[26:27]
	s_waitcnt vmcnt(0) lgkmcnt(0)
	v_mul_f64 v[26:27], s[70:71], v[26:27]
	s_branch .LBB183_323
.LBB183_322:
	v_mov_b64_e32 v[26:27], 0
.LBB183_323:
	v_add_f64 v[24:25], v[24:25], v[26:27]
	v_lshl_add_u64 v[26:27], v[90:91], 3, v[64:65]
	global_store_dwordx2 v[26:27], v[24:25], off
	s_or_b64 exec, exec, s[2:3]
	s_and_b64 s[4:5], s[24:25], s[46:47]
	s_and_saveexec_b64 s[2:3], s[4:5]
	s_cbranch_execz .LBB183_232
.LBB183_324:
	s_and_b64 vcc, exec, s[0:1]
	s_cbranch_vccnz .LBB183_326
; %bb.325:
	v_lshl_add_u64 v[24:25], v[88:89], 3, v[130:131]
	flat_load_dwordx2 v[24:25], v[24:25]
	s_waitcnt vmcnt(0) lgkmcnt(0)
	v_mul_f64 v[24:25], s[70:71], v[24:25]
	s_branch .LBB183_327
.LBB183_326:
	v_mov_b64_e32 v[24:25], 0
.LBB183_327:
	v_add_f64 v[22:23], v[22:23], v[24:25]
	v_lshl_add_u64 v[24:25], v[88:89], 3, v[64:65]
	global_store_dwordx2 v[24:25], v[22:23], off
	s_or_b64 exec, exec, s[2:3]
	s_and_b64 s[4:5], s[24:25], s[48:49]
	s_and_saveexec_b64 s[2:3], s[4:5]
	s_cbranch_execz .LBB183_233
.LBB183_328:
	s_and_b64 vcc, exec, s[0:1]
	s_cbranch_vccnz .LBB183_330
; %bb.329:
	v_lshl_add_u64 v[22:23], v[86:87], 3, v[130:131]
	flat_load_dwordx2 v[22:23], v[22:23]
	s_waitcnt vmcnt(0) lgkmcnt(0)
	v_mul_f64 v[22:23], s[70:71], v[22:23]
	s_branch .LBB183_331
.LBB183_330:
	v_mov_b64_e32 v[22:23], 0
.LBB183_331:
	v_add_f64 v[20:21], v[20:21], v[22:23]
	v_lshl_add_u64 v[22:23], v[86:87], 3, v[64:65]
	global_store_dwordx2 v[22:23], v[20:21], off
	s_or_b64 exec, exec, s[2:3]
	s_and_b64 s[4:5], s[24:25], s[50:51]
	s_and_saveexec_b64 s[2:3], s[4:5]
	s_cbranch_execz .LBB183_234
.LBB183_332:
	s_and_b64 vcc, exec, s[0:1]
	s_cbranch_vccnz .LBB183_334
; %bb.333:
	v_lshl_add_u64 v[20:21], v[84:85], 3, v[130:131]
	flat_load_dwordx2 v[20:21], v[20:21]
	s_waitcnt vmcnt(0) lgkmcnt(0)
	v_mul_f64 v[20:21], s[70:71], v[20:21]
	s_branch .LBB183_335
.LBB183_334:
	v_mov_b64_e32 v[20:21], 0
.LBB183_335:
	v_add_f64 v[18:19], v[18:19], v[20:21]
	v_lshl_add_u64 v[20:21], v[84:85], 3, v[64:65]
	global_store_dwordx2 v[20:21], v[18:19], off
	s_or_b64 exec, exec, s[2:3]
	s_and_b64 s[4:5], s[24:25], s[52:53]
	s_and_saveexec_b64 s[2:3], s[4:5]
	s_cbranch_execz .LBB183_235
.LBB183_336:
	s_and_b64 vcc, exec, s[0:1]
	s_cbranch_vccnz .LBB183_338
; %bb.337:
	v_lshl_add_u64 v[18:19], v[82:83], 3, v[130:131]
	flat_load_dwordx2 v[18:19], v[18:19]
	s_waitcnt vmcnt(0) lgkmcnt(0)
	v_mul_f64 v[18:19], s[70:71], v[18:19]
	s_branch .LBB183_339
.LBB183_338:
	v_mov_b64_e32 v[18:19], 0
.LBB183_339:
	v_add_f64 v[16:17], v[16:17], v[18:19]
	v_lshl_add_u64 v[18:19], v[82:83], 3, v[64:65]
	global_store_dwordx2 v[18:19], v[16:17], off
	s_or_b64 exec, exec, s[2:3]
	s_and_b64 s[4:5], s[24:25], s[54:55]
	s_and_saveexec_b64 s[2:3], s[4:5]
	s_cbranch_execz .LBB183_236
.LBB183_340:
	s_and_b64 vcc, exec, s[0:1]
	s_cbranch_vccnz .LBB183_342
; %bb.341:
	v_lshl_add_u64 v[16:17], v[80:81], 3, v[130:131]
	flat_load_dwordx2 v[16:17], v[16:17]
	s_waitcnt vmcnt(0) lgkmcnt(0)
	v_mul_f64 v[16:17], s[70:71], v[16:17]
	s_branch .LBB183_343
.LBB183_342:
	v_mov_b64_e32 v[16:17], 0
.LBB183_343:
	v_add_f64 v[14:15], v[14:15], v[16:17]
	v_lshl_add_u64 v[16:17], v[80:81], 3, v[64:65]
	global_store_dwordx2 v[16:17], v[14:15], off
	s_or_b64 exec, exec, s[2:3]
	s_and_b64 s[4:5], s[24:25], s[56:57]
	s_and_saveexec_b64 s[2:3], s[4:5]
	s_cbranch_execz .LBB183_237
.LBB183_344:
	s_and_b64 vcc, exec, s[0:1]
	s_cbranch_vccnz .LBB183_346
; %bb.345:
	v_lshl_add_u64 v[14:15], v[78:79], 3, v[130:131]
	flat_load_dwordx2 v[14:15], v[14:15]
	s_waitcnt vmcnt(0) lgkmcnt(0)
	v_mul_f64 v[14:15], s[70:71], v[14:15]
	s_branch .LBB183_347
.LBB183_346:
	v_mov_b64_e32 v[14:15], 0
.LBB183_347:
	v_add_f64 v[12:13], v[12:13], v[14:15]
	v_lshl_add_u64 v[14:15], v[78:79], 3, v[64:65]
	global_store_dwordx2 v[14:15], v[12:13], off
	s_or_b64 exec, exec, s[2:3]
	s_and_b64 s[4:5], s[24:25], s[58:59]
	s_and_saveexec_b64 s[2:3], s[4:5]
	s_cbranch_execz .LBB183_238
.LBB183_348:
	s_and_b64 vcc, exec, s[0:1]
	s_cbranch_vccnz .LBB183_350
; %bb.349:
	v_lshl_add_u64 v[12:13], v[76:77], 3, v[130:131]
	flat_load_dwordx2 v[12:13], v[12:13]
	s_waitcnt vmcnt(0) lgkmcnt(0)
	v_mul_f64 v[12:13], s[70:71], v[12:13]
	s_branch .LBB183_351
.LBB183_350:
	v_mov_b64_e32 v[12:13], 0
.LBB183_351:
	v_add_f64 v[10:11], v[10:11], v[12:13]
	v_lshl_add_u64 v[12:13], v[76:77], 3, v[64:65]
	global_store_dwordx2 v[12:13], v[10:11], off
	s_or_b64 exec, exec, s[2:3]
	s_and_b64 s[4:5], s[24:25], s[60:61]
	s_and_saveexec_b64 s[2:3], s[4:5]
	s_cbranch_execz .LBB183_239
.LBB183_352:
	s_and_b64 vcc, exec, s[0:1]
	s_cbranch_vccnz .LBB183_354
; %bb.353:
	v_lshl_add_u64 v[10:11], v[74:75], 3, v[130:131]
	flat_load_dwordx2 v[10:11], v[10:11]
	s_waitcnt vmcnt(0) lgkmcnt(0)
	v_mul_f64 v[10:11], s[70:71], v[10:11]
	s_branch .LBB183_355
.LBB183_354:
	v_mov_b64_e32 v[10:11], 0
.LBB183_355:
	v_add_f64 v[8:9], v[8:9], v[10:11]
	v_lshl_add_u64 v[10:11], v[74:75], 3, v[64:65]
	global_store_dwordx2 v[10:11], v[8:9], off
	s_or_b64 exec, exec, s[2:3]
	s_and_b64 s[4:5], s[24:25], s[62:63]
	s_and_saveexec_b64 s[2:3], s[4:5]
	s_cbranch_execz .LBB183_240
.LBB183_356:
	s_and_b64 vcc, exec, s[0:1]
	s_cbranch_vccnz .LBB183_358
; %bb.357:
	v_lshl_add_u64 v[8:9], v[72:73], 3, v[130:131]
	flat_load_dwordx2 v[8:9], v[8:9]
	s_waitcnt vmcnt(0) lgkmcnt(0)
	v_mul_f64 v[8:9], s[70:71], v[8:9]
	s_branch .LBB183_359
.LBB183_358:
	v_mov_b64_e32 v[8:9], 0
.LBB183_359:
	v_add_f64 v[6:7], v[6:7], v[8:9]
	v_lshl_add_u64 v[8:9], v[72:73], 3, v[64:65]
	global_store_dwordx2 v[8:9], v[6:7], off
	s_or_b64 exec, exec, s[2:3]
	s_and_b64 s[4:5], s[24:25], s[64:65]
	s_and_saveexec_b64 s[2:3], s[4:5]
	s_cbranch_execz .LBB183_241
.LBB183_360:
	s_and_b64 vcc, exec, s[0:1]
	s_cbranch_vccnz .LBB183_362
; %bb.361:
	v_lshl_add_u64 v[6:7], v[70:71], 3, v[130:131]
	flat_load_dwordx2 v[6:7], v[6:7]
	s_waitcnt vmcnt(0) lgkmcnt(0)
	v_mul_f64 v[6:7], s[70:71], v[6:7]
	s_branch .LBB183_363
.LBB183_362:
	v_mov_b64_e32 v[6:7], 0
.LBB183_363:
	v_add_f64 v[4:5], v[4:5], v[6:7]
	v_lshl_add_u64 v[6:7], v[70:71], 3, v[64:65]
	global_store_dwordx2 v[6:7], v[4:5], off
	s_or_b64 exec, exec, s[2:3]
	s_and_b64 s[4:5], s[24:25], s[66:67]
	s_and_saveexec_b64 s[2:3], s[4:5]
	s_cbranch_execz .LBB183_242
.LBB183_364:
	s_and_b64 vcc, exec, s[0:1]
	s_cbranch_vccnz .LBB183_366
; %bb.365:
	v_lshl_add_u64 v[4:5], v[68:69], 3, v[130:131]
	flat_load_dwordx2 v[4:5], v[4:5]
	s_waitcnt vmcnt(0) lgkmcnt(0)
	v_mul_f64 v[4:5], s[70:71], v[4:5]
	s_branch .LBB183_367
.LBB183_366:
	v_mov_b64_e32 v[4:5], 0
.LBB183_367:
	v_add_f64 v[2:3], v[2:3], v[4:5]
	v_lshl_add_u64 v[4:5], v[68:69], 3, v[64:65]
	global_store_dwordx2 v[4:5], v[2:3], off
	s_or_b64 exec, exec, s[2:3]
	s_and_b64 s[2:3], s[24:25], s[68:69]
	s_and_saveexec_b64 s[4:5], s[2:3]
	s_cbranch_execz .LBB183_243
.LBB183_368:
	s_and_b64 vcc, exec, s[0:1]
	s_cbranch_vccnz .LBB183_370
; %bb.369:
	v_lshl_add_u64 v[2:3], v[66:67], 3, v[130:131]
	flat_load_dwordx2 v[2:3], v[2:3]
	s_waitcnt vmcnt(0) lgkmcnt(0)
	v_mul_f64 v[2:3], s[70:71], v[2:3]
	v_add_f64 v[0:1], v[0:1], v[2:3]
	v_lshl_add_u64 v[2:3], v[66:67], 3, v[64:65]
	global_store_dwordx2 v[2:3], v[0:1], off
	s_endpgm
.LBB183_370:
	v_mov_b64_e32 v[2:3], 0
	v_add_f64 v[0:1], v[0:1], v[2:3]
	v_lshl_add_u64 v[2:3], v[66:67], 3, v[64:65]
	global_store_dwordx2 v[2:3], v[0:1], off
	s_endpgm
	.section	.rodata,"a",@progbits
	.p2align	6, 0x0
	.amdhsa_kernel _ZN12_GLOBAL__N_120geam_min_plus_kernelIdddLi4ELi64ELi128ELi128ELi4ELi64ELi4ELi4ELi64ELc78ELc78ELb0ELb1ELb0EPKdS1_dEEviiiT16_PT17_ilS5_ilS3_S5_ilPT18_ili26rocblas_geam_ex_operation_
		.amdhsa_group_segment_fixed_size 16384
		.amdhsa_private_segment_fixed_size 0
		.amdhsa_kernarg_size 136
		.amdhsa_user_sgpr_count 2
		.amdhsa_user_sgpr_dispatch_ptr 0
		.amdhsa_user_sgpr_queue_ptr 0
		.amdhsa_user_sgpr_kernarg_segment_ptr 1
		.amdhsa_user_sgpr_dispatch_id 0
		.amdhsa_user_sgpr_kernarg_preload_length 0
		.amdhsa_user_sgpr_kernarg_preload_offset 0
		.amdhsa_user_sgpr_private_segment_size 0
		.amdhsa_uses_dynamic_stack 0
		.amdhsa_enable_private_segment 0
		.amdhsa_system_sgpr_workgroup_id_x 1
		.amdhsa_system_sgpr_workgroup_id_y 0
		.amdhsa_system_sgpr_workgroup_id_z 1
		.amdhsa_system_sgpr_workgroup_info 0
		.amdhsa_system_vgpr_workitem_id 1
		.amdhsa_next_free_vgpr 254
		.amdhsa_next_free_sgpr 82
		.amdhsa_accum_offset 256
		.amdhsa_reserve_vcc 1
		.amdhsa_float_round_mode_32 0
		.amdhsa_float_round_mode_16_64 0
		.amdhsa_float_denorm_mode_32 3
		.amdhsa_float_denorm_mode_16_64 3
		.amdhsa_dx10_clamp 1
		.amdhsa_ieee_mode 1
		.amdhsa_fp16_overflow 0
		.amdhsa_tg_split 0
		.amdhsa_exception_fp_ieee_invalid_op 0
		.amdhsa_exception_fp_denorm_src 0
		.amdhsa_exception_fp_ieee_div_zero 0
		.amdhsa_exception_fp_ieee_overflow 0
		.amdhsa_exception_fp_ieee_underflow 0
		.amdhsa_exception_fp_ieee_inexact 0
		.amdhsa_exception_int_div_zero 0
	.end_amdhsa_kernel
	.section	.text._ZN12_GLOBAL__N_120geam_min_plus_kernelIdddLi4ELi64ELi128ELi128ELi4ELi64ELi4ELi4ELi64ELc78ELc78ELb0ELb1ELb0EPKdS1_dEEviiiT16_PT17_ilS5_ilS3_S5_ilPT18_ili26rocblas_geam_ex_operation_,"axG",@progbits,_ZN12_GLOBAL__N_120geam_min_plus_kernelIdddLi4ELi64ELi128ELi128ELi4ELi64ELi4ELi4ELi64ELc78ELc78ELb0ELb1ELb0EPKdS1_dEEviiiT16_PT17_ilS5_ilS3_S5_ilPT18_ili26rocblas_geam_ex_operation_,comdat
.Lfunc_end183:
	.size	_ZN12_GLOBAL__N_120geam_min_plus_kernelIdddLi4ELi64ELi128ELi128ELi4ELi64ELi4ELi4ELi64ELc78ELc78ELb0ELb1ELb0EPKdS1_dEEviiiT16_PT17_ilS5_ilS3_S5_ilPT18_ili26rocblas_geam_ex_operation_, .Lfunc_end183-_ZN12_GLOBAL__N_120geam_min_plus_kernelIdddLi4ELi64ELi128ELi128ELi4ELi64ELi4ELi4ELi64ELc78ELc78ELb0ELb1ELb0EPKdS1_dEEviiiT16_PT17_ilS5_ilS3_S5_ilPT18_ili26rocblas_geam_ex_operation_
                                        ; -- End function
	.section	.AMDGPU.csdata,"",@progbits
; Kernel info:
; codeLenInByte = 14800
; NumSgprs: 88
; NumVgprs: 254
; NumAgprs: 0
; TotalNumVgprs: 254
; ScratchSize: 0
; MemoryBound: 0
; FloatMode: 240
; IeeeMode: 1
; LDSByteSize: 16384 bytes/workgroup (compile time only)
; SGPRBlocks: 10
; VGPRBlocks: 31
; NumSGPRsForWavesPerEU: 88
; NumVGPRsForWavesPerEU: 254
; AccumOffset: 256
; Occupancy: 2
; WaveLimiterHint : 0
; COMPUTE_PGM_RSRC2:SCRATCH_EN: 0
; COMPUTE_PGM_RSRC2:USER_SGPR: 2
; COMPUTE_PGM_RSRC2:TRAP_HANDLER: 0
; COMPUTE_PGM_RSRC2:TGID_X_EN: 1
; COMPUTE_PGM_RSRC2:TGID_Y_EN: 0
; COMPUTE_PGM_RSRC2:TGID_Z_EN: 1
; COMPUTE_PGM_RSRC2:TIDIG_COMP_CNT: 1
; COMPUTE_PGM_RSRC3_GFX90A:ACCUM_OFFSET: 63
; COMPUTE_PGM_RSRC3_GFX90A:TG_SPLIT: 0
	.section	.text._ZN12_GLOBAL__N_120geam_min_plus_kernelIdddLi4ELi64ELi128ELi128ELi4ELi64ELi4ELi4ELi64ELc78ELc78ELb1ELb1ELb0EdKddEEviiiT16_PT17_ilS4_ilS2_S4_ilPT18_ili26rocblas_geam_ex_operation_,"axG",@progbits,_ZN12_GLOBAL__N_120geam_min_plus_kernelIdddLi4ELi64ELi128ELi128ELi4ELi64ELi4ELi4ELi64ELc78ELc78ELb1ELb1ELb0EdKddEEviiiT16_PT17_ilS4_ilS2_S4_ilPT18_ili26rocblas_geam_ex_operation_,comdat
	.globl	_ZN12_GLOBAL__N_120geam_min_plus_kernelIdddLi4ELi64ELi128ELi128ELi4ELi64ELi4ELi4ELi64ELc78ELc78ELb1ELb1ELb0EdKddEEviiiT16_PT17_ilS4_ilS2_S4_ilPT18_ili26rocblas_geam_ex_operation_ ; -- Begin function _ZN12_GLOBAL__N_120geam_min_plus_kernelIdddLi4ELi64ELi128ELi128ELi4ELi64ELi4ELi4ELi64ELc78ELc78ELb1ELb1ELb0EdKddEEviiiT16_PT17_ilS4_ilS2_S4_ilPT18_ili26rocblas_geam_ex_operation_
	.p2align	8
	.type	_ZN12_GLOBAL__N_120geam_min_plus_kernelIdddLi4ELi64ELi128ELi128ELi4ELi64ELi4ELi4ELi64ELc78ELc78ELb1ELb1ELb0EdKddEEviiiT16_PT17_ilS4_ilS2_S4_ilPT18_ili26rocblas_geam_ex_operation_,@function
_ZN12_GLOBAL__N_120geam_min_plus_kernelIdddLi4ELi64ELi128ELi128ELi4ELi64ELi4ELi4ELi64ELc78ELc78ELb1ELb1ELb0EdKddEEviiiT16_PT17_ilS4_ilS2_S4_ilPT18_ili26rocblas_geam_ex_operation_: ; @_ZN12_GLOBAL__N_120geam_min_plus_kernelIdddLi4ELi64ELi128ELi128ELi4ELi64ELi4ELi4ELi64ELc78ELc78ELb1ELb1ELb0EdKddEEviiiT16_PT17_ilS4_ilS2_S4_ilPT18_ili26rocblas_geam_ex_operation_
; %bb.0:
	s_load_dwordx4 s[8:11], s[0:1], 0x10
	s_load_dwordx4 s[4:7], s[0:1], 0x28
	s_mov_b64 s[20:21], 0
	s_waitcnt lgkmcnt(0)
	v_cmp_eq_f64_e64 s[8:9], s[8:9], 0
	s_and_b64 vcc, exec, s[8:9]
	s_cbranch_vccnz .LBB184_2
; %bb.1:
	s_mul_i32 s5, s3, s5
	s_mul_hi_u32 s12, s3, s4
	s_add_i32 s5, s12, s5
	s_mul_i32 s4, s3, s4
	s_lshl_b64 s[4:5], s[4:5], 3
	s_add_u32 s20, s10, s4
	s_addc_u32 s21, s11, s5
.LBB184_2:
	s_load_dwordx4 s[68:71], s[0:1], 0x40
	s_load_dwordx2 s[4:5], s[0:1], 0x50
	s_andn2_b64 vcc, exec, s[8:9]
	s_cbranch_vccnz .LBB184_4
; %bb.3:
	s_mov_b32 s17, 0
	s_mov_b64 s[22:23], 0
	s_cbranch_execz .LBB184_5
	s_branch .LBB184_6
.LBB184_4:
                                        ; implicit-def: $sgpr22_sgpr23
                                        ; implicit-def: $sgpr16_sgpr17
.LBB184_5:
	s_waitcnt lgkmcnt(0)
	s_mul_i32 s8, s3, s69
	s_mul_hi_u32 s9, s3, s68
	s_add_i32 s9, s9, s8
	s_mul_i32 s8, s3, s68
	s_lshl_b64 s[8:9], s[8:9], 3
	s_add_u32 s22, s6, s8
	s_mov_b32 s17, 0
	s_addc_u32 s23, s7, s9
.LBB184_6:
	s_load_dwordx4 s[12:15], s[0:1], 0x60
	s_waitcnt lgkmcnt(0)
	v_cmp_eq_f64_e64 s[6:7], s[70:71], 0
	s_mov_b64 s[76:77], 0
	v_cmp_neq_f64_e64 s[18:19], s[70:71], 0
	s_and_b64 vcc, exec, s[6:7]
	s_cbranch_vccnz .LBB184_8
; %bb.7:
	s_mul_i32 s6, s3, s13
	s_mul_hi_u32 s7, s3, s12
	s_add_i32 s6, s7, s6
	s_mul_i32 s7, s17, s12
	s_add_i32 s7, s6, s7
	s_mul_i32 s6, s3, s12
	s_lshl_b64 s[6:7], s[6:7], 3
	s_add_u32 s76, s4, s6
	s_addc_u32 s77, s5, s7
.LBB184_8:
	s_load_dwordx4 s[72:75], s[0:1], 0x0
	s_load_dword s24, s[0:1], 0x20
	v_and_b32_e32 v148, 0x3ff, v0
	v_bfe_u32 v149, v0, 10, 10
	v_lshl_add_u32 v6, v149, 2, v148
	s_waitcnt lgkmcnt(0)
	s_add_i32 s4, s72, -1
	s_ashr_i32 s5, s4, 31
	s_lshr_b32 s5, s5, 25
	s_add_i32 s4, s4, s5
	s_ashr_i32 s6, s4, 7
	s_add_i32 s7, s6, 1
	v_cvt_f32_u32_e32 v1, s7
	v_lshrrev_b32_e32 v150, 6, v6
	v_and_b32_e32 v142, 63, v6
	v_cmp_le_i32_e32 vcc, s74, v150
	v_rcp_iflag_f32_e32 v0, v1
	s_nop 0
	v_mul_f32_e32 v0, 0x4f7ffffe, v0
	v_cvt_u32_f32_e32 v2, v0
	v_mad_i64_i32 v[0:1], s[4:5], s24, v150, 0
	s_not_b32 s4, s6
	v_readfirstlane_b32 s5, v2
	s_mul_i32 s4, s4, s5
	s_mul_hi_u32 s4, s5, s4
	s_add_i32 s5, s5, s4
	s_mul_hi_u32 s4, s2, s5
	s_mul_i32 s5, s4, s7
	s_sub_i32 s5, s2, s5
	s_add_i32 s6, s4, 1
	s_sub_i32 s8, s5, s7
	s_cmp_ge_u32 s5, s7
	s_cselect_b32 s4, s6, s4
	s_cselect_b32 s5, s8, s5
	s_add_i32 s6, s4, 1
	s_cmp_ge_u32 s5, s7
	s_cselect_b32 s8, s6, s4
	s_mul_i32 s4, s8, s7
	s_sub_i32 s2, s2, s4
	s_lshl_b32 s2, s2, 7
	v_or_b32_e32 v128, s2, v142
	v_cmp_le_i32_e64 s[10:11], s72, v128
	v_lshl_add_u64 v[4:5], v[0:1], 3, s[20:21]
	s_or_b64 s[4:5], s[10:11], vcc
	v_mov_b64_e32 v[0:1], 0
	s_xor_b64 s[6:7], s[4:5], -1
	v_ashrrev_i32_e32 v129, 31, v128
	v_mov_b64_e32 v[2:3], v[0:1]
	s_and_saveexec_b64 s[4:5], s[6:7]
	s_cbranch_execz .LBB184_10
; %bb.9:
	v_lshl_add_u64 v[2:3], v[128:129], 3, v[4:5]
	flat_load_dwordx2 v[2:3], v[2:3]
.LBB184_10:
	s_or_b64 exec, exec, s[4:5]
	v_or_b32_e32 v7, 64, v128
	v_cmp_le_i32_e64 s[4:5], s72, v7
	s_or_b64 s[6:7], s[4:5], vcc
	s_ashr_i32 s25, s24, 31
	s_xor_b64 s[12:13], s[6:7], -1
	s_and_saveexec_b64 s[6:7], s[12:13]
	s_cbranch_execz .LBB184_12
; %bb.11:
	v_lshl_add_u64 v[0:1], v[128:129], 3, v[4:5]
	flat_load_dwordx2 v[0:1], v[0:1] offset:512
.LBB184_12:
	s_or_b64 exec, exec, s[6:7]
	s_load_dword s27, s[0:1], 0x38
	v_lshrrev_b32_e32 v14, 2, v6
	s_lshl_b32 s16, s8, 7
	v_and_b32_e32 v151, 3, v148
	v_add_u32_e32 v138, s16, v14
	v_cmp_le_i32_e32 vcc, s74, v151
	v_cmp_le_i32_e64 s[6:7], s73, v138
	v_lshlrev_b32_e32 v4, 3, v151
	v_mov_b32_e32 v5, 0
	s_or_b64 s[8:9], vcc, s[6:7]
	v_mov_b64_e32 v[6:7], 0
	v_lshl_add_u64 v[10:11], s[22:23], 0, v[4:5]
	s_xor_b64 s[12:13], s[8:9], -1
	v_mov_b64_e32 v[8:9], v[6:7]
	s_and_saveexec_b64 s[8:9], s[12:13]
	s_cbranch_execz .LBB184_14
; %bb.13:
	s_waitcnt lgkmcnt(0)
	v_mad_i64_i32 v[8:9], s[12:13], v138, s27, 0
	v_lshl_add_u64 v[8:9], v[8:9], 3, v[10:11]
	flat_load_dwordx2 v[8:9], v[8:9]
.LBB184_14:
	s_or_b64 exec, exec, s[8:9]
	v_add_u32_e32 v139, 64, v138
	v_cmp_le_i32_e64 s[8:9], s73, v139
	s_or_b64 s[12:13], vcc, s[8:9]
	s_xor_b64 s[28:29], s[12:13], -1
	s_and_saveexec_b64 s[12:13], s[28:29]
	s_cbranch_execz .LBB184_16
; %bb.15:
	s_waitcnt lgkmcnt(0)
	v_mad_i64_i32 v[6:7], s[28:29], v139, s27, 0
	v_lshl_add_u64 v[6:7], v[6:7], 3, v[10:11]
	flat_load_dwordx2 v[6:7], v[6:7]
.LBB184_16:
	s_or_b64 exec, exec, s[12:13]
	v_add_u32_e32 v5, 4, v150
	v_cmp_le_i32_e32 vcc, s74, v5
	v_mad_i64_i32 v[12:13], s[12:13], s24, v5, 0
	s_or_b64 s[12:13], s[10:11], vcc
	v_mov_b64_e32 v[130:131], 0
	v_lshl_add_u64 v[12:13], v[12:13], 3, s[20:21]
	s_xor_b64 s[28:29], s[12:13], -1
	v_mov_b64_e32 v[132:133], v[130:131]
	s_and_saveexec_b64 s[12:13], s[28:29]
	s_cbranch_execz .LBB184_18
; %bb.17:
	v_lshl_add_u64 v[16:17], v[128:129], 3, v[12:13]
	flat_load_dwordx2 v[132:133], v[16:17]
.LBB184_18:
	s_or_b64 exec, exec, s[12:13]
	s_or_b64 s[12:13], s[4:5], vcc
	s_xor_b64 s[28:29], s[12:13], -1
	s_and_saveexec_b64 s[12:13], s[28:29]
	s_cbranch_execz .LBB184_20
; %bb.19:
	v_lshl_add_u64 v[12:13], v[128:129], 3, v[12:13]
	flat_load_dwordx2 v[130:131], v[12:13] offset:512
.LBB184_20:
	s_or_b64 exec, exec, s[12:13]
	v_or_b32_e32 v5, 4, v151
	v_cmp_le_i32_e32 vcc, s74, v5
	s_or_b64 s[12:13], vcc, s[6:7]
	v_mov_b64_e32 v[134:135], 0
	s_xor_b64 s[28:29], s[12:13], -1
	v_mov_b64_e32 v[136:137], v[134:135]
	s_and_saveexec_b64 s[12:13], s[28:29]
	s_cbranch_execz .LBB184_22
; %bb.21:
	s_waitcnt lgkmcnt(0)
	v_mad_i64_i32 v[12:13], s[28:29], v138, s27, 0
	v_lshl_add_u64 v[12:13], v[12:13], 3, v[10:11]
	flat_load_dwordx2 v[136:137], v[12:13] offset:32
.LBB184_22:
	s_or_b64 exec, exec, s[12:13]
	s_or_b64 s[12:13], vcc, s[8:9]
	s_xor_b64 s[28:29], s[12:13], -1
	s_and_saveexec_b64 s[12:13], s[28:29]
	s_cbranch_execz .LBB184_24
; %bb.23:
	s_waitcnt lgkmcnt(0)
	v_mad_i64_i32 v[12:13], s[28:29], v139, s27, 0
	v_lshl_add_u64 v[10:11], v[12:13], 3, v[10:11]
	flat_load_dwordx2 v[134:135], v[10:11] offset:32
.LBB184_24:
	s_or_b64 exec, exec, s[12:13]
	v_lshlrev_b32_e32 v5, 3, v150
	v_lshl_add_u32 v152, v142, 5, v5
	v_lshl_or_b32 v141, v14, 5, v4
	v_lshlrev_b32_e32 v140, 5, v149
	v_mov_b64_e32 v[126:127], 0
	s_waitcnt vmcnt(0) lgkmcnt(0)
	ds_write2st64_b64 v152, v[2:3], v[0:1] offset1:4
	v_add_u32_e32 v153, 0x2000, v141
	ds_write2st64_b64 v141, v[8:9], v[6:7] offset0:16 offset1:20
	v_lshlrev_b32_e32 v154, 5, v148
	v_add_u32_e32 v155, 0x2000, v140
	s_mov_b32 s12, 0
	v_mov_b64_e32 v[124:125], v[126:127]
	v_mov_b64_e32 v[122:123], v[126:127]
	;; [unrolled: 1-line block ×63, first 2 shown]
	s_waitcnt lgkmcnt(0)
	s_barrier
.LBB184_25:                             ; =>This Inner Loop Header: Depth=1
	v_add_u32_e32 v143, s12, v154
	v_add_u32_e32 v184, s12, v155
	ds_read2_b64 v[144:147], v143 offset1:16
	ds_read2_b64 v[156:159], v143 offset0:32 offset1:48
	ds_read2_b64 v[160:163], v143 offset0:64 offset1:80
	ds_read2_b64 v[164:167], v143 offset0:96 offset1:112
	ds_read2_b64 v[168:171], v143 offset0:128 offset1:144
	ds_read2_b64 v[172:175], v143 offset0:160 offset1:176
	ds_read2_b64 v[176:179], v143 offset0:192 offset1:208
	ds_read2_b64 v[180:183], v143 offset0:224 offset1:240
	ds_read2st64_b64 v[184:187], v184 offset1:4
	v_add_u32_e32 v143, 0x800, v143
	ds_read2_b64 v[188:191], v143 offset1:16
	ds_read2_b64 v[192:195], v143 offset0:32 offset1:48
	ds_read2_b64 v[196:199], v143 offset0:64 offset1:80
	ds_read2_b64 v[200:203], v143 offset0:96 offset1:112
	ds_read2_b64 v[204:207], v143 offset0:128 offset1:144
	ds_read2_b64 v[208:211], v143 offset0:160 offset1:176
	ds_read2_b64 v[212:215], v143 offset0:192 offset1:208
	ds_read2_b64 v[216:219], v143 offset0:224 offset1:240
	s_waitcnt lgkmcnt(14)
	v_max_f64 v[144:145], v[144:145], v[144:145]
	v_max_f64 v[146:147], v[146:147], v[146:147]
	;; [unrolled: 1-line block ×6, first 2 shown]
	s_waitcnt lgkmcnt(13)
	v_max_f64 v[164:165], v[164:165], v[164:165]
	v_max_f64 v[166:167], v[166:167], v[166:167]
	s_waitcnt lgkmcnt(12)
	v_max_f64 v[168:169], v[168:169], v[168:169]
	v_max_f64 v[170:171], v[170:171], v[170:171]
	;; [unrolled: 3-line block ×14, first 2 shown]
	v_min_f64 v[220:221], v[144:145], v[184:185]
	v_min_f64 v[222:223], v[146:147], v[184:185]
	;; [unrolled: 1-line block ×32, first 2 shown]
	s_add_i32 s12, s12, 8
	v_add_f64 v[62:63], v[144:145], v[62:63]
	v_add_f64 v[60:61], v[146:147], v[60:61]
	;; [unrolled: 1-line block ×16, first 2 shown]
	v_min_f64 v[144:145], v[188:189], v[184:185]
	v_min_f64 v[146:147], v[190:191], v[184:185]
	;; [unrolled: 1-line block ×32, first 2 shown]
	s_cmp_eq_u32 s12, 32
	v_add_f64 v[126:127], v[220:221], v[126:127]
	v_add_f64 v[124:125], v[222:223], v[124:125]
	;; [unrolled: 1-line block ×48, first 2 shown]
	s_cbranch_scc0 .LBB184_25
; %bb.26:
	v_lshlrev_b32_e32 v142, 5, v142
	v_lshl_add_u32 v142, v150, 3, v142
	s_cmp_gt_i32 s74, 8
	ds_write2st64_b64 v142, v[132:133], v[130:131] offset0:8 offset1:12
	ds_write2st64_b64 v141, v[136:137], v[134:135] offset0:24 offset1:28
	s_waitcnt lgkmcnt(0)
	s_barrier
	s_cbranch_scc1 .LBB184_28
; %bb.27:
	v_add_u32_e32 v156, 0x1000, v154
	v_add_u32_e32 v157, 0x3000, v140
	s_cbranch_execz .LBB184_29
	s_branch .LBB184_51
.LBB184_28:
                                        ; implicit-def: $vgpr156
                                        ; implicit-def: $vgpr157
.LBB184_29:
	v_or_b32_e32 v158, 0x1000, v142
	v_add_u32_e32 v159, 0x3000, v141
	s_add_i32 s26, s74, -8
	v_mad_i64_i32 v[130:131], s[12:13], v138, s27, 0
	v_mad_i64_i32 v[132:133], s[12:13], v139, s27, 0
	v_add_u32_e32 v156, 0x1000, v154
	v_add_u32_e32 v157, 0x3000, v140
	s_mov_b32 s27, 8
	s_mov_b32 s28, 0
	v_mov_b32_e32 v135, 0
.LBB184_30:                             ; =>This Loop Header: Depth=1
                                        ;     Child Loop BB184_39 Depth 2
                                        ;     Child Loop BB184_49 Depth 2
	v_add_u32_e32 v138, s27, v150
	v_mad_u64_u32 v[136:137], s[12:13], v138, s24, 0
	v_mov_b32_e32 v134, v137
	v_cmp_le_i32_e32 vcc, s74, v138
	v_mad_u64_u32 v[138:139], s[12:13], v138, s25, v[134:135]
	v_mov_b32_e32 v137, v138
	v_lshl_add_u64 v[136:137], v[136:137], 3, s[20:21]
	s_or_b64 s[12:13], s[10:11], vcc
	v_mov_b64_e32 v[140:141], 0
	s_xor_b64 s[30:31], s[12:13], -1
	v_lshl_add_u64 v[136:137], v[128:129], 3, v[136:137]
	v_mov_b64_e32 v[142:143], v[140:141]
	s_and_saveexec_b64 s[12:13], s[30:31]
	s_cbranch_execz .LBB184_32
; %bb.31:                               ;   in Loop: Header=BB184_30 Depth=1
	flat_load_dwordx2 v[142:143], v[136:137]
.LBB184_32:                             ;   in Loop: Header=BB184_30 Depth=1
	s_or_b64 exec, exec, s[12:13]
	s_or_b64 s[12:13], s[4:5], vcc
	s_xor_b64 s[30:31], s[12:13], -1
	s_and_saveexec_b64 s[12:13], s[30:31]
	s_cbranch_execz .LBB184_34
; %bb.33:                               ;   in Loop: Header=BB184_30 Depth=1
	flat_load_dwordx2 v[140:141], v[136:137] offset:512
.LBB184_34:                             ;   in Loop: Header=BB184_30 Depth=1
	s_or_b64 exec, exec, s[12:13]
	v_or_b32_e32 v134, s27, v151
	v_cmp_le_i32_e32 vcc, s74, v134
	v_lshl_add_u64 v[138:139], v[134:135], 3, s[22:23]
	s_or_b64 s[12:13], s[6:7], vcc
	v_mov_b64_e32 v[144:145], 0
	s_xor_b64 s[30:31], s[12:13], -1
	v_lshl_add_u64 v[136:137], v[130:131], 3, v[138:139]
	v_mov_b64_e32 v[146:147], v[144:145]
	s_and_saveexec_b64 s[12:13], s[30:31]
	s_cbranch_execz .LBB184_36
; %bb.35:                               ;   in Loop: Header=BB184_30 Depth=1
	flat_load_dwordx2 v[146:147], v[136:137]
.LBB184_36:                             ;   in Loop: Header=BB184_30 Depth=1
	s_or_b64 exec, exec, s[12:13]
	s_or_b64 s[12:13], s[8:9], vcc
	s_xor_b64 s[30:31], s[12:13], -1
	v_lshl_add_u64 v[138:139], v[132:133], 3, v[138:139]
	s_and_saveexec_b64 s[12:13], s[30:31]
	s_cbranch_execz .LBB184_38
; %bb.37:                               ;   in Loop: Header=BB184_30 Depth=1
	flat_load_dwordx2 v[144:145], v[138:139]
.LBB184_38:                             ;   in Loop: Header=BB184_30 Depth=1
	s_or_b64 exec, exec, s[12:13]
	s_mov_b32 s12, 0
.LBB184_39:                             ;   Parent Loop BB184_30 Depth=1
                                        ; =>  This Inner Loop Header: Depth=2
	v_add_u32_e32 v192, s12, v156
	v_add_u32_e32 v220, 0x800, v192
	;; [unrolled: 1-line block ×3, first 2 shown]
	ds_read2_b64 v[160:163], v192 offset1:16
	ds_read2_b64 v[164:167], v192 offset0:32 offset1:48
	ds_read2_b64 v[168:171], v192 offset0:64 offset1:80
	;; [unrolled: 1-line block ×7, first 2 shown]
	ds_read2_b64 v[192:195], v220 offset1:16
	ds_read2_b64 v[196:199], v220 offset0:32 offset1:48
	ds_read2_b64 v[200:203], v220 offset0:64 offset1:80
	;; [unrolled: 1-line block ×7, first 2 shown]
	ds_read2st64_b64 v[224:227], v224 offset1:4
	s_waitcnt lgkmcnt(0)
	v_max_f64 v[160:161], v[160:161], v[160:161]
	v_max_f64 v[162:163], v[162:163], v[162:163]
	;; [unrolled: 1-line block ×5, first 2 shown]
	v_min_f64 v[228:229], v[160:161], v[224:225]
	v_add_f64 v[126:127], v[228:229], v[126:127]
	v_min_f64 v[228:229], v[162:163], v[224:225]
	v_add_f64 v[124:125], v[228:229], v[124:125]
	;; [unrolled: 2-line block ×3, first 2 shown]
	v_min_f64 v[228:229], v[166:167], v[224:225]
	v_max_f64 v[168:169], v[168:169], v[168:169]
	v_add_f64 v[120:121], v[228:229], v[120:121]
	v_min_f64 v[228:229], v[168:169], v[224:225]
	v_max_f64 v[170:171], v[170:171], v[170:171]
	v_add_f64 v[118:119], v[228:229], v[118:119]
	;; [unrolled: 3-line block ×26, first 2 shown]
	v_min_f64 v[228:229], v[218:219], v[224:225]
	v_max_f64 v[220:221], v[220:221], v[220:221]
	v_max_f64 v[222:223], v[222:223], v[222:223]
	v_add_f64 v[68:69], v[228:229], v[68:69]
	v_min_f64 v[228:229], v[220:221], v[224:225]
	v_min_f64 v[224:225], v[222:223], v[224:225]
	v_add_f64 v[64:65], v[224:225], v[64:65]
	v_max_f64 v[224:225], v[226:227], v[226:227]
	v_min_f64 v[160:161], v[160:161], v[224:225]
	v_add_f64 v[62:63], v[160:161], v[62:63]
	v_min_f64 v[160:161], v[162:163], v[224:225]
	v_add_f64 v[60:61], v[160:161], v[60:61]
	;; [unrolled: 2-line block ×31, first 2 shown]
	v_min_f64 v[160:161], v[222:223], v[224:225]
	s_add_i32 s12, s12, 8
	v_add_f64 v[66:67], v[228:229], v[66:67]
	v_add_f64 v[0:1], v[160:161], v[0:1]
	s_cmp_eq_u32 s12, 32
	s_cbranch_scc0 .LBB184_39
; %bb.40:                               ;   in Loop: Header=BB184_30 Depth=1
	s_waitcnt vmcnt(0)
	ds_write2st64_b64 v152, v[142:143], v[140:141] offset1:4
	ds_write2st64_b64 v153, v[146:147], v[144:145] offset1:4
	v_add3_u32 v143, v150, s27, 4
	v_mad_u64_u32 v[140:141], s[12:13], v143, s24, 0
	v_mov_b32_e32 v142, v141
	v_cmp_le_i32_e32 vcc, s74, v143
	v_mad_u64_u32 v[142:143], s[12:13], v143, s25, v[142:143]
	v_mov_b32_e32 v141, v142
	v_lshl_add_u64 v[142:143], v[140:141], 3, s[20:21]
	s_or_b64 s[12:13], s[10:11], vcc
	v_mov_b64_e32 v[140:141], 0
	s_xor_b64 s[30:31], s[12:13], -1
	v_lshl_add_u64 v[144:145], v[128:129], 3, v[142:143]
	v_mov_b64_e32 v[142:143], v[140:141]
	s_waitcnt lgkmcnt(0)
	s_barrier
	s_and_saveexec_b64 s[12:13], s[30:31]
	s_cbranch_execz .LBB184_42
; %bb.41:                               ;   in Loop: Header=BB184_30 Depth=1
	flat_load_dwordx2 v[142:143], v[144:145]
.LBB184_42:                             ;   in Loop: Header=BB184_30 Depth=1
	s_or_b64 exec, exec, s[12:13]
	s_or_b64 s[12:13], s[4:5], vcc
	s_xor_b64 s[30:31], s[12:13], -1
	s_and_saveexec_b64 s[12:13], s[30:31]
	s_cbranch_execz .LBB184_44
; %bb.43:                               ;   in Loop: Header=BB184_30 Depth=1
	flat_load_dwordx2 v[140:141], v[144:145] offset:512
.LBB184_44:                             ;   in Loop: Header=BB184_30 Depth=1
	s_or_b64 exec, exec, s[12:13]
	v_or_b32_e32 v134, 4, v134
	v_cmp_le_i32_e32 vcc, s74, v134
	s_or_b64 s[12:13], s[6:7], vcc
	v_mov_b64_e32 v[144:145], 0
	s_xor_b64 s[30:31], s[12:13], -1
	v_mov_b64_e32 v[146:147], v[144:145]
	s_and_saveexec_b64 s[12:13], s[30:31]
	s_cbranch_execz .LBB184_46
; %bb.45:                               ;   in Loop: Header=BB184_30 Depth=1
	flat_load_dwordx2 v[146:147], v[136:137] offset:32
.LBB184_46:                             ;   in Loop: Header=BB184_30 Depth=1
	s_or_b64 exec, exec, s[12:13]
	s_or_b64 s[12:13], s[8:9], vcc
	s_xor_b64 s[30:31], s[12:13], -1
	s_and_saveexec_b64 s[12:13], s[30:31]
	s_cbranch_execz .LBB184_48
; %bb.47:                               ;   in Loop: Header=BB184_30 Depth=1
	flat_load_dwordx2 v[144:145], v[138:139] offset:32
.LBB184_48:                             ;   in Loop: Header=BB184_30 Depth=1
	s_or_b64 exec, exec, s[12:13]
	s_mov_b32 s12, 0
.LBB184_49:                             ;   Parent Loop BB184_30 Depth=1
                                        ; =>  This Inner Loop Header: Depth=2
	v_add_u32_e32 v134, s12, v154
	ds_read2_b64 v[136:139], v134 offset1:16
	ds_read2_b64 v[160:163], v134 offset0:32 offset1:48
	ds_read2_b64 v[164:167], v134 offset0:64 offset1:80
	;; [unrolled: 1-line block ×7, first 2 shown]
	v_add_u32_e32 v134, 0x800, v134
	ds_read2_b64 v[188:191], v134 offset1:16
	ds_read2_b64 v[192:195], v134 offset0:32 offset1:48
	ds_read2_b64 v[196:199], v134 offset0:64 offset1:80
	;; [unrolled: 1-line block ×7, first 2 shown]
	v_add_u32_e32 v134, s12, v155
	ds_read2st64_b64 v[220:223], v134 offset1:4
	s_waitcnt lgkmcnt(0)
	v_max_f64 v[136:137], v[136:137], v[136:137]
	v_max_f64 v[138:139], v[138:139], v[138:139]
	v_max_f64 v[160:161], v[160:161], v[160:161]
	v_max_f64 v[162:163], v[162:163], v[162:163]
	v_max_f64 v[220:221], v[220:221], v[220:221]
	v_min_f64 v[224:225], v[136:137], v[220:221]
	v_add_f64 v[126:127], v[224:225], v[126:127]
	v_min_f64 v[224:225], v[138:139], v[220:221]
	v_add_f64 v[124:125], v[224:225], v[124:125]
	;; [unrolled: 2-line block ×3, first 2 shown]
	v_min_f64 v[224:225], v[162:163], v[220:221]
	v_max_f64 v[164:165], v[164:165], v[164:165]
	v_add_f64 v[120:121], v[224:225], v[120:121]
	v_min_f64 v[224:225], v[164:165], v[220:221]
	v_max_f64 v[166:167], v[166:167], v[166:167]
	v_add_f64 v[118:119], v[224:225], v[118:119]
	;; [unrolled: 3-line block ×26, first 2 shown]
	v_min_f64 v[224:225], v[214:215], v[220:221]
	v_max_f64 v[216:217], v[216:217], v[216:217]
	v_max_f64 v[218:219], v[218:219], v[218:219]
	v_add_f64 v[68:69], v[224:225], v[68:69]
	v_min_f64 v[224:225], v[216:217], v[220:221]
	v_min_f64 v[220:221], v[218:219], v[220:221]
	v_add_f64 v[64:65], v[220:221], v[64:65]
	v_max_f64 v[220:221], v[222:223], v[222:223]
	v_min_f64 v[136:137], v[136:137], v[220:221]
	v_add_f64 v[62:63], v[136:137], v[62:63]
	v_min_f64 v[136:137], v[138:139], v[220:221]
	v_add_f64 v[60:61], v[136:137], v[60:61]
	;; [unrolled: 2-line block ×31, first 2 shown]
	v_min_f64 v[136:137], v[218:219], v[220:221]
	s_add_i32 s12, s12, 8
	v_add_f64 v[66:67], v[224:225], v[66:67]
	v_add_f64 v[0:1], v[136:137], v[0:1]
	s_cmp_eq_u32 s12, 32
	s_cbranch_scc0 .LBB184_49
; %bb.50:                               ;   in Loop: Header=BB184_30 Depth=1
	s_add_i32 s27, s27, 8
	s_add_i32 s28, s28, 8
	s_cmp_ge_i32 s28, s26
	s_waitcnt vmcnt(0)
	ds_write2st64_b64 v158, v[142:143], v[140:141] offset1:4
	ds_write2st64_b64 v159, v[146:147], v[144:145] offset1:4
	s_waitcnt lgkmcnt(0)
	s_barrier
	s_cbranch_scc0 .LBB184_30
.LBB184_51:
	s_mov_b32 s4, 0
.LBB184_52:                             ; =>This Inner Loop Header: Depth=1
	v_add_u32_e32 v154, s4, v156
	v_add_u32_e32 v155, s4, v157
	ds_read2_b64 v[128:131], v154 offset1:16
	ds_read2_b64 v[132:135], v154 offset0:32 offset1:48
	ds_read2_b64 v[136:139], v154 offset0:64 offset1:80
	;; [unrolled: 1-line block ×7, first 2 shown]
	v_add_u32_e32 v154, 0x800, v154
	ds_read2st64_b64 v[166:169], v155 offset1:4
	ds_read2_b64 v[170:173], v154 offset1:16
	ds_read2_b64 v[174:177], v154 offset0:32 offset1:48
	ds_read2_b64 v[178:181], v154 offset0:64 offset1:80
	;; [unrolled: 1-line block ×7, first 2 shown]
	s_waitcnt lgkmcnt(14)
	v_max_f64 v[128:129], v[128:129], v[128:129]
	v_max_f64 v[130:131], v[130:131], v[130:131]
	;; [unrolled: 1-line block ×3, first 2 shown]
	s_waitcnt lgkmcnt(8)
	v_max_f64 v[154:155], v[166:167], v[166:167]
	v_max_f64 v[134:135], v[134:135], v[134:135]
	;; [unrolled: 1-line block ×15, first 2 shown]
	v_min_f64 v[168:169], v[128:129], v[154:155]
	v_min_f64 v[202:203], v[130:131], v[154:155]
	;; [unrolled: 1-line block ×16, first 2 shown]
	s_waitcnt lgkmcnt(7)
	v_max_f64 v[170:171], v[170:171], v[170:171]
	v_max_f64 v[172:173], v[172:173], v[172:173]
	s_waitcnt lgkmcnt(6)
	v_max_f64 v[174:175], v[174:175], v[174:175]
	v_max_f64 v[176:177], v[176:177], v[176:177]
	;; [unrolled: 3-line block ×8, first 2 shown]
	v_min_f64 v[128:129], v[128:129], v[166:167]
	v_min_f64 v[130:131], v[130:131], v[166:167]
	;; [unrolled: 1-line block ×16, first 2 shown]
	s_add_i32 s4, s4, 8
	v_add_f64 v[126:127], v[168:169], v[126:127]
	v_add_f64 v[124:125], v[202:203], v[124:125]
	;; [unrolled: 1-line block ×15, first 2 shown]
	v_min_f64 v[168:169], v[170:171], v[154:155]
	v_min_f64 v[202:203], v[172:173], v[154:155]
	;; [unrolled: 1-line block ×16, first 2 shown]
	v_add_f64 v[62:63], v[128:129], v[62:63]
	v_add_f64 v[60:61], v[130:131], v[60:61]
	;; [unrolled: 1-line block ×16, first 2 shown]
	v_min_f64 v[128:129], v[170:171], v[166:167]
	v_min_f64 v[130:131], v[172:173], v[166:167]
	;; [unrolled: 1-line block ×16, first 2 shown]
	s_cmp_eq_u32 s4, 32
	v_add_f64 v[96:97], v[230:231], v[96:97]
	v_add_f64 v[94:95], v[168:169], v[94:95]
	;; [unrolled: 1-line block ×33, first 2 shown]
	s_cbranch_scc0 .LBB184_52
; %bb.53:
	s_load_dwordx2 s[4:5], s[0:1], 0x78
	s_load_dword s78, s[0:1], 0x58
	s_load_dword s33, s[0:1], 0x70
	v_add_u32_e32 v136, s16, v149
	v_add_u32_e32 v128, s2, v148
	s_waitcnt lgkmcnt(0)
	s_mul_i32 s0, s3, s5
	s_mul_hi_u32 s1, s3, s4
	s_mul_i32 s5, s17, s4
	s_add_i32 s0, s1, s0
	s_add_i32 s1, s0, s5
	s_mul_i32 s0, s3, s4
	s_lshl_b64 s[0:1], s[0:1], 3
	s_add_u32 s74, s14, s0
	s_addc_u32 s75, s15, s1
	v_mad_i64_i32 v[130:131], s[0:1], v136, s78, 0
	v_cmp_gt_i32_e64 s[24:25], s73, v136
	v_lshl_add_u64 v[132:133], v[130:131], 3, s[76:77]
	v_mad_i64_i32 v[130:131], s[0:1], v136, s33, 0
	v_cmp_gt_i32_e64 s[2:3], s72, v128
	v_cndmask_b32_e64 v134, 0, 1, s[18:19]
	v_lshl_add_u64 v[130:131], v[130:131], 3, s[74:75]
	s_and_b64 s[6:7], s[24:25], s[2:3]
	v_ashrrev_i32_e32 v129, 31, v128
	v_cmp_ne_u32_e64 s[0:1], 1, v134
	s_and_saveexec_b64 s[4:5], s[6:7]
	s_cbranch_execz .LBB184_58
; %bb.54:
	s_and_b64 vcc, exec, s[0:1]
	s_cbranch_vccnz .LBB184_56
; %bb.55:
	v_lshl_add_u64 v[134:135], v[128:129], 3, v[132:133]
	flat_load_dwordx2 v[134:135], v[134:135]
	s_waitcnt vmcnt(0) lgkmcnt(0)
	v_mul_f64 v[134:135], v[134:135], s[70:71]
	s_branch .LBB184_57
.LBB184_56:
	v_mov_b64_e32 v[134:135], 0
.LBB184_57:
	v_add_f64 v[126:127], v[126:127], v[134:135]
	v_lshl_add_u64 v[134:135], v[128:129], 3, v[130:131]
	global_store_dwordx2 v[134:135], v[126:127], off
.LBB184_58:
	s_or_b64 exec, exec, s[4:5]
	v_add_u32_e32 v126, 4, v128
	v_cmp_gt_i32_e64 s[4:5], s72, v126
	s_and_b64 s[8:9], s[24:25], s[4:5]
	v_ashrrev_i32_e32 v127, 31, v126
	s_and_saveexec_b64 s[6:7], s[8:9]
	s_cbranch_execz .LBB184_63
; %bb.59:
	s_and_b64 vcc, exec, s[0:1]
	s_cbranch_vccnz .LBB184_61
; %bb.60:
	v_lshl_add_u64 v[134:135], v[126:127], 3, v[132:133]
	flat_load_dwordx2 v[134:135], v[134:135]
	s_waitcnt vmcnt(0) lgkmcnt(0)
	v_mul_f64 v[134:135], v[134:135], s[70:71]
	s_branch .LBB184_62
.LBB184_61:
	v_mov_b64_e32 v[134:135], 0
.LBB184_62:
	v_add_f64 v[124:125], v[124:125], v[134:135]
	v_lshl_add_u64 v[134:135], v[126:127], 3, v[130:131]
	global_store_dwordx2 v[134:135], v[124:125], off
.LBB184_63:
	s_or_b64 exec, exec, s[6:7]
	v_add_u32_e32 v124, 8, v128
	v_cmp_gt_i32_e64 s[6:7], s72, v124
	s_and_b64 s[10:11], s[24:25], s[6:7]
	v_ashrrev_i32_e32 v125, 31, v124
	;; [unrolled: 23-line block ×31, first 2 shown]
	s_and_saveexec_b64 s[24:25], s[80:81]
	s_cbranch_execz .LBB184_213
; %bb.209:
	s_and_b64 vcc, exec, s[0:1]
	s_cbranch_vccnz .LBB184_211
; %bb.210:
	v_lshl_add_u64 v[132:133], v[66:67], 3, v[132:133]
	flat_load_dwordx2 v[132:133], v[132:133]
	s_waitcnt vmcnt(0) lgkmcnt(0)
	v_mul_f64 v[132:133], v[132:133], s[70:71]
	s_branch .LBB184_212
.LBB184_211:
	v_mov_b64_e32 v[132:133], 0
.LBB184_212:
	v_add_f64 v[64:65], v[64:65], v[132:133]
	v_lshl_add_u64 v[130:131], v[66:67], 3, v[130:131]
	global_store_dwordx2 v[130:131], v[64:65], off
.LBB184_213:
	s_or_b64 exec, exec, s[24:25]
	v_add_u32_e32 v132, 64, v136
	v_cmp_gt_i32_e64 s[24:25], s73, v132
	v_mad_i64_i32 v[64:65], s[72:73], v132, s78, 0
	v_lshl_add_u64 v[130:131], v[64:65], 3, s[76:77]
	v_mad_i64_i32 v[64:65], s[72:73], v132, s33, 0
	v_lshl_add_u64 v[64:65], v[64:65], 3, s[74:75]
	s_and_b64 s[2:3], s[24:25], s[2:3]
	s_and_saveexec_b64 s[72:73], s[2:3]
	s_xor_b64 s[2:3], exec, s[72:73]
	s_cbranch_execnz .LBB184_246
; %bb.214:
	s_or_b64 exec, exec, s[2:3]
	s_and_b64 s[4:5], s[24:25], s[4:5]
	s_and_saveexec_b64 s[2:3], s[4:5]
	s_cbranch_execnz .LBB184_250
.LBB184_215:
	s_or_b64 exec, exec, s[2:3]
	s_and_b64 s[4:5], s[24:25], s[6:7]
	s_and_saveexec_b64 s[2:3], s[4:5]
	s_cbranch_execnz .LBB184_254
.LBB184_216:
	s_or_b64 exec, exec, s[2:3]
	s_and_b64 s[4:5], s[24:25], s[8:9]
	s_and_saveexec_b64 s[2:3], s[4:5]
	s_cbranch_execnz .LBB184_258
.LBB184_217:
	s_or_b64 exec, exec, s[2:3]
	s_and_b64 s[4:5], s[24:25], s[10:11]
	s_and_saveexec_b64 s[2:3], s[4:5]
	s_cbranch_execnz .LBB184_262
.LBB184_218:
	s_or_b64 exec, exec, s[2:3]
	s_and_b64 s[4:5], s[24:25], s[12:13]
	s_and_saveexec_b64 s[2:3], s[4:5]
	s_cbranch_execnz .LBB184_266
.LBB184_219:
	s_or_b64 exec, exec, s[2:3]
	s_and_b64 s[4:5], s[24:25], s[14:15]
	s_and_saveexec_b64 s[2:3], s[4:5]
	s_cbranch_execnz .LBB184_270
.LBB184_220:
	s_or_b64 exec, exec, s[2:3]
	s_and_b64 s[4:5], s[24:25], s[16:17]
	s_and_saveexec_b64 s[2:3], s[4:5]
	s_cbranch_execnz .LBB184_274
.LBB184_221:
	s_or_b64 exec, exec, s[2:3]
	s_and_b64 s[4:5], s[24:25], s[18:19]
	s_and_saveexec_b64 s[2:3], s[4:5]
	s_cbranch_execnz .LBB184_278
.LBB184_222:
	s_or_b64 exec, exec, s[2:3]
	s_and_b64 s[4:5], s[24:25], s[20:21]
	s_and_saveexec_b64 s[2:3], s[4:5]
	s_cbranch_execnz .LBB184_282
.LBB184_223:
	s_or_b64 exec, exec, s[2:3]
	s_and_b64 s[4:5], s[24:25], s[22:23]
	s_and_saveexec_b64 s[2:3], s[4:5]
	s_cbranch_execnz .LBB184_286
.LBB184_224:
	s_or_b64 exec, exec, s[2:3]
	s_and_b64 s[4:5], s[24:25], s[26:27]
	s_and_saveexec_b64 s[2:3], s[4:5]
	s_cbranch_execnz .LBB184_290
.LBB184_225:
	s_or_b64 exec, exec, s[2:3]
	s_and_b64 s[4:5], s[24:25], s[28:29]
	s_and_saveexec_b64 s[2:3], s[4:5]
	s_cbranch_execnz .LBB184_294
.LBB184_226:
	s_or_b64 exec, exec, s[2:3]
	s_and_b64 s[4:5], s[24:25], s[30:31]
	s_and_saveexec_b64 s[2:3], s[4:5]
	s_cbranch_execnz .LBB184_298
.LBB184_227:
	s_or_b64 exec, exec, s[2:3]
	s_and_b64 s[4:5], s[24:25], s[34:35]
	s_and_saveexec_b64 s[2:3], s[4:5]
	s_cbranch_execnz .LBB184_302
.LBB184_228:
	s_or_b64 exec, exec, s[2:3]
	s_and_b64 s[4:5], s[24:25], s[36:37]
	s_and_saveexec_b64 s[2:3], s[4:5]
	s_cbranch_execnz .LBB184_306
.LBB184_229:
	s_or_b64 exec, exec, s[2:3]
	s_and_b64 s[4:5], s[24:25], s[38:39]
	s_and_saveexec_b64 s[2:3], s[4:5]
	s_cbranch_execnz .LBB184_310
.LBB184_230:
	s_or_b64 exec, exec, s[2:3]
	s_and_b64 s[4:5], s[24:25], s[40:41]
	s_and_saveexec_b64 s[2:3], s[4:5]
	s_cbranch_execnz .LBB184_314
.LBB184_231:
	s_or_b64 exec, exec, s[2:3]
	s_and_b64 s[4:5], s[24:25], s[42:43]
	s_and_saveexec_b64 s[2:3], s[4:5]
	s_cbranch_execnz .LBB184_318
.LBB184_232:
	s_or_b64 exec, exec, s[2:3]
	s_and_b64 s[4:5], s[24:25], s[44:45]
	s_and_saveexec_b64 s[2:3], s[4:5]
	s_cbranch_execnz .LBB184_322
.LBB184_233:
	s_or_b64 exec, exec, s[2:3]
	s_and_b64 s[4:5], s[24:25], s[46:47]
	s_and_saveexec_b64 s[2:3], s[4:5]
	s_cbranch_execnz .LBB184_326
.LBB184_234:
	s_or_b64 exec, exec, s[2:3]
	s_and_b64 s[4:5], s[24:25], s[48:49]
	s_and_saveexec_b64 s[2:3], s[4:5]
	s_cbranch_execnz .LBB184_330
.LBB184_235:
	s_or_b64 exec, exec, s[2:3]
	s_and_b64 s[4:5], s[24:25], s[50:51]
	s_and_saveexec_b64 s[2:3], s[4:5]
	s_cbranch_execnz .LBB184_334
.LBB184_236:
	s_or_b64 exec, exec, s[2:3]
	s_and_b64 s[4:5], s[24:25], s[52:53]
	s_and_saveexec_b64 s[2:3], s[4:5]
	s_cbranch_execnz .LBB184_338
.LBB184_237:
	s_or_b64 exec, exec, s[2:3]
	s_and_b64 s[4:5], s[24:25], s[54:55]
	s_and_saveexec_b64 s[2:3], s[4:5]
	s_cbranch_execnz .LBB184_342
.LBB184_238:
	s_or_b64 exec, exec, s[2:3]
	s_and_b64 s[4:5], s[24:25], s[56:57]
	s_and_saveexec_b64 s[2:3], s[4:5]
	s_cbranch_execnz .LBB184_346
.LBB184_239:
	s_or_b64 exec, exec, s[2:3]
	s_and_b64 s[4:5], s[24:25], s[58:59]
	s_and_saveexec_b64 s[2:3], s[4:5]
	s_cbranch_execnz .LBB184_350
.LBB184_240:
	s_or_b64 exec, exec, s[2:3]
	s_and_b64 s[4:5], s[24:25], s[60:61]
	s_and_saveexec_b64 s[2:3], s[4:5]
	s_cbranch_execnz .LBB184_354
.LBB184_241:
	s_or_b64 exec, exec, s[2:3]
	s_and_b64 s[4:5], s[24:25], s[62:63]
	s_and_saveexec_b64 s[2:3], s[4:5]
	s_cbranch_execnz .LBB184_358
.LBB184_242:
	s_or_b64 exec, exec, s[2:3]
	s_and_b64 s[4:5], s[24:25], s[64:65]
	s_and_saveexec_b64 s[2:3], s[4:5]
	s_cbranch_execnz .LBB184_362
.LBB184_243:
	s_or_b64 exec, exec, s[2:3]
	s_and_b64 s[4:5], s[24:25], s[66:67]
	s_and_saveexec_b64 s[2:3], s[4:5]
	s_cbranch_execnz .LBB184_366
.LBB184_244:
	s_or_b64 exec, exec, s[2:3]
	s_and_b64 s[2:3], s[24:25], s[68:69]
	s_and_saveexec_b64 s[4:5], s[2:3]
	s_cbranch_execnz .LBB184_370
.LBB184_245:
	s_endpgm
.LBB184_246:
	s_and_b64 vcc, exec, s[0:1]
	s_cbranch_vccnz .LBB184_248
; %bb.247:
	v_lshl_add_u64 v[132:133], v[128:129], 3, v[130:131]
	flat_load_dwordx2 v[132:133], v[132:133]
	s_waitcnt vmcnt(0) lgkmcnt(0)
	v_mul_f64 v[132:133], v[132:133], s[70:71]
	s_branch .LBB184_249
.LBB184_248:
	v_mov_b64_e32 v[132:133], 0
.LBB184_249:
	v_add_f64 v[62:63], v[62:63], v[132:133]
	v_lshl_add_u64 v[128:129], v[128:129], 3, v[64:65]
	global_store_dwordx2 v[128:129], v[62:63], off
	s_or_b64 exec, exec, s[2:3]
	s_and_b64 s[4:5], s[24:25], s[4:5]
	s_and_saveexec_b64 s[2:3], s[4:5]
	s_cbranch_execz .LBB184_215
.LBB184_250:
	s_and_b64 vcc, exec, s[0:1]
	s_cbranch_vccnz .LBB184_252
; %bb.251:
	v_lshl_add_u64 v[62:63], v[126:127], 3, v[130:131]
	flat_load_dwordx2 v[62:63], v[62:63]
	s_waitcnt vmcnt(0) lgkmcnt(0)
	v_mul_f64 v[62:63], v[62:63], s[70:71]
	s_branch .LBB184_253
.LBB184_252:
	v_mov_b64_e32 v[62:63], 0
.LBB184_253:
	v_add_f64 v[60:61], v[60:61], v[62:63]
	v_lshl_add_u64 v[62:63], v[126:127], 3, v[64:65]
	global_store_dwordx2 v[62:63], v[60:61], off
	s_or_b64 exec, exec, s[2:3]
	s_and_b64 s[4:5], s[24:25], s[6:7]
	s_and_saveexec_b64 s[2:3], s[4:5]
	s_cbranch_execz .LBB184_216
.LBB184_254:
	s_and_b64 vcc, exec, s[0:1]
	s_cbranch_vccnz .LBB184_256
; %bb.255:
	v_lshl_add_u64 v[60:61], v[124:125], 3, v[130:131]
	flat_load_dwordx2 v[60:61], v[60:61]
	s_waitcnt vmcnt(0) lgkmcnt(0)
	v_mul_f64 v[60:61], v[60:61], s[70:71]
	s_branch .LBB184_257
.LBB184_256:
	v_mov_b64_e32 v[60:61], 0
.LBB184_257:
	v_add_f64 v[58:59], v[58:59], v[60:61]
	v_lshl_add_u64 v[60:61], v[124:125], 3, v[64:65]
	global_store_dwordx2 v[60:61], v[58:59], off
	s_or_b64 exec, exec, s[2:3]
	s_and_b64 s[4:5], s[24:25], s[8:9]
	s_and_saveexec_b64 s[2:3], s[4:5]
	s_cbranch_execz .LBB184_217
.LBB184_258:
	s_and_b64 vcc, exec, s[0:1]
	s_cbranch_vccnz .LBB184_260
; %bb.259:
	v_lshl_add_u64 v[58:59], v[122:123], 3, v[130:131]
	flat_load_dwordx2 v[58:59], v[58:59]
	s_waitcnt vmcnt(0) lgkmcnt(0)
	v_mul_f64 v[58:59], v[58:59], s[70:71]
	s_branch .LBB184_261
.LBB184_260:
	v_mov_b64_e32 v[58:59], 0
.LBB184_261:
	v_add_f64 v[56:57], v[56:57], v[58:59]
	v_lshl_add_u64 v[58:59], v[122:123], 3, v[64:65]
	global_store_dwordx2 v[58:59], v[56:57], off
	s_or_b64 exec, exec, s[2:3]
	s_and_b64 s[4:5], s[24:25], s[10:11]
	s_and_saveexec_b64 s[2:3], s[4:5]
	s_cbranch_execz .LBB184_218
.LBB184_262:
	s_and_b64 vcc, exec, s[0:1]
	s_cbranch_vccnz .LBB184_264
; %bb.263:
	v_lshl_add_u64 v[56:57], v[120:121], 3, v[130:131]
	flat_load_dwordx2 v[56:57], v[56:57]
	s_waitcnt vmcnt(0) lgkmcnt(0)
	v_mul_f64 v[56:57], v[56:57], s[70:71]
	s_branch .LBB184_265
.LBB184_264:
	v_mov_b64_e32 v[56:57], 0
.LBB184_265:
	v_add_f64 v[54:55], v[54:55], v[56:57]
	v_lshl_add_u64 v[56:57], v[120:121], 3, v[64:65]
	global_store_dwordx2 v[56:57], v[54:55], off
	s_or_b64 exec, exec, s[2:3]
	s_and_b64 s[4:5], s[24:25], s[12:13]
	s_and_saveexec_b64 s[2:3], s[4:5]
	s_cbranch_execz .LBB184_219
.LBB184_266:
	s_and_b64 vcc, exec, s[0:1]
	s_cbranch_vccnz .LBB184_268
; %bb.267:
	v_lshl_add_u64 v[54:55], v[118:119], 3, v[130:131]
	flat_load_dwordx2 v[54:55], v[54:55]
	s_waitcnt vmcnt(0) lgkmcnt(0)
	v_mul_f64 v[54:55], v[54:55], s[70:71]
	s_branch .LBB184_269
.LBB184_268:
	v_mov_b64_e32 v[54:55], 0
.LBB184_269:
	v_add_f64 v[52:53], v[52:53], v[54:55]
	v_lshl_add_u64 v[54:55], v[118:119], 3, v[64:65]
	global_store_dwordx2 v[54:55], v[52:53], off
	s_or_b64 exec, exec, s[2:3]
	s_and_b64 s[4:5], s[24:25], s[14:15]
	s_and_saveexec_b64 s[2:3], s[4:5]
	s_cbranch_execz .LBB184_220
.LBB184_270:
	s_and_b64 vcc, exec, s[0:1]
	s_cbranch_vccnz .LBB184_272
; %bb.271:
	v_lshl_add_u64 v[52:53], v[116:117], 3, v[130:131]
	flat_load_dwordx2 v[52:53], v[52:53]
	s_waitcnt vmcnt(0) lgkmcnt(0)
	v_mul_f64 v[52:53], v[52:53], s[70:71]
	s_branch .LBB184_273
.LBB184_272:
	v_mov_b64_e32 v[52:53], 0
.LBB184_273:
	v_add_f64 v[50:51], v[50:51], v[52:53]
	v_lshl_add_u64 v[52:53], v[116:117], 3, v[64:65]
	global_store_dwordx2 v[52:53], v[50:51], off
	s_or_b64 exec, exec, s[2:3]
	s_and_b64 s[4:5], s[24:25], s[16:17]
	s_and_saveexec_b64 s[2:3], s[4:5]
	s_cbranch_execz .LBB184_221
.LBB184_274:
	s_and_b64 vcc, exec, s[0:1]
	s_cbranch_vccnz .LBB184_276
; %bb.275:
	v_lshl_add_u64 v[50:51], v[114:115], 3, v[130:131]
	flat_load_dwordx2 v[50:51], v[50:51]
	s_waitcnt vmcnt(0) lgkmcnt(0)
	v_mul_f64 v[50:51], v[50:51], s[70:71]
	s_branch .LBB184_277
.LBB184_276:
	v_mov_b64_e32 v[50:51], 0
.LBB184_277:
	v_add_f64 v[48:49], v[48:49], v[50:51]
	v_lshl_add_u64 v[50:51], v[114:115], 3, v[64:65]
	global_store_dwordx2 v[50:51], v[48:49], off
	s_or_b64 exec, exec, s[2:3]
	s_and_b64 s[4:5], s[24:25], s[18:19]
	s_and_saveexec_b64 s[2:3], s[4:5]
	s_cbranch_execz .LBB184_222
.LBB184_278:
	s_and_b64 vcc, exec, s[0:1]
	s_cbranch_vccnz .LBB184_280
; %bb.279:
	v_lshl_add_u64 v[48:49], v[112:113], 3, v[130:131]
	flat_load_dwordx2 v[48:49], v[48:49]
	s_waitcnt vmcnt(0) lgkmcnt(0)
	v_mul_f64 v[48:49], v[48:49], s[70:71]
	s_branch .LBB184_281
.LBB184_280:
	v_mov_b64_e32 v[48:49], 0
.LBB184_281:
	v_add_f64 v[46:47], v[46:47], v[48:49]
	v_lshl_add_u64 v[48:49], v[112:113], 3, v[64:65]
	global_store_dwordx2 v[48:49], v[46:47], off
	s_or_b64 exec, exec, s[2:3]
	s_and_b64 s[4:5], s[24:25], s[20:21]
	s_and_saveexec_b64 s[2:3], s[4:5]
	s_cbranch_execz .LBB184_223
.LBB184_282:
	s_and_b64 vcc, exec, s[0:1]
	s_cbranch_vccnz .LBB184_284
; %bb.283:
	v_lshl_add_u64 v[46:47], v[110:111], 3, v[130:131]
	flat_load_dwordx2 v[46:47], v[46:47]
	s_waitcnt vmcnt(0) lgkmcnt(0)
	v_mul_f64 v[46:47], v[46:47], s[70:71]
	s_branch .LBB184_285
.LBB184_284:
	v_mov_b64_e32 v[46:47], 0
.LBB184_285:
	v_add_f64 v[44:45], v[44:45], v[46:47]
	v_lshl_add_u64 v[46:47], v[110:111], 3, v[64:65]
	global_store_dwordx2 v[46:47], v[44:45], off
	s_or_b64 exec, exec, s[2:3]
	s_and_b64 s[4:5], s[24:25], s[22:23]
	s_and_saveexec_b64 s[2:3], s[4:5]
	s_cbranch_execz .LBB184_224
.LBB184_286:
	s_and_b64 vcc, exec, s[0:1]
	s_cbranch_vccnz .LBB184_288
; %bb.287:
	v_lshl_add_u64 v[44:45], v[108:109], 3, v[130:131]
	flat_load_dwordx2 v[44:45], v[44:45]
	s_waitcnt vmcnt(0) lgkmcnt(0)
	v_mul_f64 v[44:45], v[44:45], s[70:71]
	s_branch .LBB184_289
.LBB184_288:
	v_mov_b64_e32 v[44:45], 0
.LBB184_289:
	v_add_f64 v[42:43], v[42:43], v[44:45]
	v_lshl_add_u64 v[44:45], v[108:109], 3, v[64:65]
	global_store_dwordx2 v[44:45], v[42:43], off
	s_or_b64 exec, exec, s[2:3]
	s_and_b64 s[4:5], s[24:25], s[26:27]
	s_and_saveexec_b64 s[2:3], s[4:5]
	s_cbranch_execz .LBB184_225
.LBB184_290:
	s_and_b64 vcc, exec, s[0:1]
	s_cbranch_vccnz .LBB184_292
; %bb.291:
	v_lshl_add_u64 v[42:43], v[106:107], 3, v[130:131]
	flat_load_dwordx2 v[42:43], v[42:43]
	s_waitcnt vmcnt(0) lgkmcnt(0)
	v_mul_f64 v[42:43], v[42:43], s[70:71]
	s_branch .LBB184_293
.LBB184_292:
	v_mov_b64_e32 v[42:43], 0
.LBB184_293:
	v_add_f64 v[40:41], v[40:41], v[42:43]
	v_lshl_add_u64 v[42:43], v[106:107], 3, v[64:65]
	global_store_dwordx2 v[42:43], v[40:41], off
	s_or_b64 exec, exec, s[2:3]
	s_and_b64 s[4:5], s[24:25], s[28:29]
	s_and_saveexec_b64 s[2:3], s[4:5]
	s_cbranch_execz .LBB184_226
.LBB184_294:
	s_and_b64 vcc, exec, s[0:1]
	s_cbranch_vccnz .LBB184_296
; %bb.295:
	v_lshl_add_u64 v[40:41], v[104:105], 3, v[130:131]
	flat_load_dwordx2 v[40:41], v[40:41]
	s_waitcnt vmcnt(0) lgkmcnt(0)
	v_mul_f64 v[40:41], v[40:41], s[70:71]
	s_branch .LBB184_297
.LBB184_296:
	v_mov_b64_e32 v[40:41], 0
.LBB184_297:
	v_add_f64 v[38:39], v[38:39], v[40:41]
	v_lshl_add_u64 v[40:41], v[104:105], 3, v[64:65]
	global_store_dwordx2 v[40:41], v[38:39], off
	s_or_b64 exec, exec, s[2:3]
	s_and_b64 s[4:5], s[24:25], s[30:31]
	s_and_saveexec_b64 s[2:3], s[4:5]
	s_cbranch_execz .LBB184_227
.LBB184_298:
	s_and_b64 vcc, exec, s[0:1]
	s_cbranch_vccnz .LBB184_300
; %bb.299:
	v_lshl_add_u64 v[38:39], v[102:103], 3, v[130:131]
	flat_load_dwordx2 v[38:39], v[38:39]
	s_waitcnt vmcnt(0) lgkmcnt(0)
	v_mul_f64 v[38:39], v[38:39], s[70:71]
	s_branch .LBB184_301
.LBB184_300:
	v_mov_b64_e32 v[38:39], 0
.LBB184_301:
	v_add_f64 v[36:37], v[36:37], v[38:39]
	v_lshl_add_u64 v[38:39], v[102:103], 3, v[64:65]
	global_store_dwordx2 v[38:39], v[36:37], off
	s_or_b64 exec, exec, s[2:3]
	s_and_b64 s[4:5], s[24:25], s[34:35]
	s_and_saveexec_b64 s[2:3], s[4:5]
	s_cbranch_execz .LBB184_228
.LBB184_302:
	s_and_b64 vcc, exec, s[0:1]
	s_cbranch_vccnz .LBB184_304
; %bb.303:
	v_lshl_add_u64 v[36:37], v[100:101], 3, v[130:131]
	flat_load_dwordx2 v[36:37], v[36:37]
	s_waitcnt vmcnt(0) lgkmcnt(0)
	v_mul_f64 v[36:37], v[36:37], s[70:71]
	s_branch .LBB184_305
.LBB184_304:
	v_mov_b64_e32 v[36:37], 0
.LBB184_305:
	v_add_f64 v[34:35], v[34:35], v[36:37]
	v_lshl_add_u64 v[36:37], v[100:101], 3, v[64:65]
	global_store_dwordx2 v[36:37], v[34:35], off
	s_or_b64 exec, exec, s[2:3]
	s_and_b64 s[4:5], s[24:25], s[36:37]
	s_and_saveexec_b64 s[2:3], s[4:5]
	s_cbranch_execz .LBB184_229
.LBB184_306:
	s_and_b64 vcc, exec, s[0:1]
	s_cbranch_vccnz .LBB184_308
; %bb.307:
	v_lshl_add_u64 v[34:35], v[98:99], 3, v[130:131]
	flat_load_dwordx2 v[34:35], v[34:35]
	s_waitcnt vmcnt(0) lgkmcnt(0)
	v_mul_f64 v[34:35], v[34:35], s[70:71]
	s_branch .LBB184_309
.LBB184_308:
	v_mov_b64_e32 v[34:35], 0
.LBB184_309:
	v_add_f64 v[32:33], v[32:33], v[34:35]
	v_lshl_add_u64 v[34:35], v[98:99], 3, v[64:65]
	global_store_dwordx2 v[34:35], v[32:33], off
	s_or_b64 exec, exec, s[2:3]
	s_and_b64 s[4:5], s[24:25], s[38:39]
	s_and_saveexec_b64 s[2:3], s[4:5]
	s_cbranch_execz .LBB184_230
.LBB184_310:
	s_and_b64 vcc, exec, s[0:1]
	s_cbranch_vccnz .LBB184_312
; %bb.311:
	v_lshl_add_u64 v[32:33], v[96:97], 3, v[130:131]
	flat_load_dwordx2 v[32:33], v[32:33]
	s_waitcnt vmcnt(0) lgkmcnt(0)
	v_mul_f64 v[32:33], v[32:33], s[70:71]
	s_branch .LBB184_313
.LBB184_312:
	v_mov_b64_e32 v[32:33], 0
.LBB184_313:
	v_add_f64 v[30:31], v[30:31], v[32:33]
	v_lshl_add_u64 v[32:33], v[96:97], 3, v[64:65]
	global_store_dwordx2 v[32:33], v[30:31], off
	s_or_b64 exec, exec, s[2:3]
	s_and_b64 s[4:5], s[24:25], s[40:41]
	s_and_saveexec_b64 s[2:3], s[4:5]
	s_cbranch_execz .LBB184_231
.LBB184_314:
	s_and_b64 vcc, exec, s[0:1]
	s_cbranch_vccnz .LBB184_316
; %bb.315:
	v_lshl_add_u64 v[30:31], v[94:95], 3, v[130:131]
	flat_load_dwordx2 v[30:31], v[30:31]
	s_waitcnt vmcnt(0) lgkmcnt(0)
	v_mul_f64 v[30:31], v[30:31], s[70:71]
	s_branch .LBB184_317
.LBB184_316:
	v_mov_b64_e32 v[30:31], 0
.LBB184_317:
	v_add_f64 v[28:29], v[28:29], v[30:31]
	v_lshl_add_u64 v[30:31], v[94:95], 3, v[64:65]
	global_store_dwordx2 v[30:31], v[28:29], off
	s_or_b64 exec, exec, s[2:3]
	s_and_b64 s[4:5], s[24:25], s[42:43]
	s_and_saveexec_b64 s[2:3], s[4:5]
	s_cbranch_execz .LBB184_232
.LBB184_318:
	s_and_b64 vcc, exec, s[0:1]
	s_cbranch_vccnz .LBB184_320
; %bb.319:
	v_lshl_add_u64 v[28:29], v[92:93], 3, v[130:131]
	flat_load_dwordx2 v[28:29], v[28:29]
	s_waitcnt vmcnt(0) lgkmcnt(0)
	v_mul_f64 v[28:29], v[28:29], s[70:71]
	s_branch .LBB184_321
.LBB184_320:
	v_mov_b64_e32 v[28:29], 0
.LBB184_321:
	v_add_f64 v[26:27], v[26:27], v[28:29]
	v_lshl_add_u64 v[28:29], v[92:93], 3, v[64:65]
	global_store_dwordx2 v[28:29], v[26:27], off
	s_or_b64 exec, exec, s[2:3]
	s_and_b64 s[4:5], s[24:25], s[44:45]
	s_and_saveexec_b64 s[2:3], s[4:5]
	s_cbranch_execz .LBB184_233
.LBB184_322:
	s_and_b64 vcc, exec, s[0:1]
	s_cbranch_vccnz .LBB184_324
; %bb.323:
	v_lshl_add_u64 v[26:27], v[90:91], 3, v[130:131]
	flat_load_dwordx2 v[26:27], v[26:27]
	s_waitcnt vmcnt(0) lgkmcnt(0)
	v_mul_f64 v[26:27], v[26:27], s[70:71]
	s_branch .LBB184_325
.LBB184_324:
	v_mov_b64_e32 v[26:27], 0
.LBB184_325:
	v_add_f64 v[24:25], v[24:25], v[26:27]
	v_lshl_add_u64 v[26:27], v[90:91], 3, v[64:65]
	global_store_dwordx2 v[26:27], v[24:25], off
	s_or_b64 exec, exec, s[2:3]
	s_and_b64 s[4:5], s[24:25], s[46:47]
	s_and_saveexec_b64 s[2:3], s[4:5]
	s_cbranch_execz .LBB184_234
.LBB184_326:
	s_and_b64 vcc, exec, s[0:1]
	s_cbranch_vccnz .LBB184_328
; %bb.327:
	v_lshl_add_u64 v[24:25], v[88:89], 3, v[130:131]
	flat_load_dwordx2 v[24:25], v[24:25]
	s_waitcnt vmcnt(0) lgkmcnt(0)
	v_mul_f64 v[24:25], v[24:25], s[70:71]
	s_branch .LBB184_329
.LBB184_328:
	v_mov_b64_e32 v[24:25], 0
.LBB184_329:
	v_add_f64 v[22:23], v[22:23], v[24:25]
	v_lshl_add_u64 v[24:25], v[88:89], 3, v[64:65]
	global_store_dwordx2 v[24:25], v[22:23], off
	s_or_b64 exec, exec, s[2:3]
	s_and_b64 s[4:5], s[24:25], s[48:49]
	s_and_saveexec_b64 s[2:3], s[4:5]
	s_cbranch_execz .LBB184_235
.LBB184_330:
	s_and_b64 vcc, exec, s[0:1]
	s_cbranch_vccnz .LBB184_332
; %bb.331:
	v_lshl_add_u64 v[22:23], v[86:87], 3, v[130:131]
	flat_load_dwordx2 v[22:23], v[22:23]
	s_waitcnt vmcnt(0) lgkmcnt(0)
	v_mul_f64 v[22:23], v[22:23], s[70:71]
	s_branch .LBB184_333
.LBB184_332:
	v_mov_b64_e32 v[22:23], 0
.LBB184_333:
	v_add_f64 v[20:21], v[20:21], v[22:23]
	v_lshl_add_u64 v[22:23], v[86:87], 3, v[64:65]
	global_store_dwordx2 v[22:23], v[20:21], off
	s_or_b64 exec, exec, s[2:3]
	s_and_b64 s[4:5], s[24:25], s[50:51]
	s_and_saveexec_b64 s[2:3], s[4:5]
	s_cbranch_execz .LBB184_236
.LBB184_334:
	s_and_b64 vcc, exec, s[0:1]
	s_cbranch_vccnz .LBB184_336
; %bb.335:
	v_lshl_add_u64 v[20:21], v[84:85], 3, v[130:131]
	flat_load_dwordx2 v[20:21], v[20:21]
	s_waitcnt vmcnt(0) lgkmcnt(0)
	v_mul_f64 v[20:21], v[20:21], s[70:71]
	s_branch .LBB184_337
.LBB184_336:
	v_mov_b64_e32 v[20:21], 0
.LBB184_337:
	v_add_f64 v[18:19], v[18:19], v[20:21]
	v_lshl_add_u64 v[20:21], v[84:85], 3, v[64:65]
	global_store_dwordx2 v[20:21], v[18:19], off
	s_or_b64 exec, exec, s[2:3]
	s_and_b64 s[4:5], s[24:25], s[52:53]
	s_and_saveexec_b64 s[2:3], s[4:5]
	s_cbranch_execz .LBB184_237
.LBB184_338:
	s_and_b64 vcc, exec, s[0:1]
	s_cbranch_vccnz .LBB184_340
; %bb.339:
	v_lshl_add_u64 v[18:19], v[82:83], 3, v[130:131]
	flat_load_dwordx2 v[18:19], v[18:19]
	s_waitcnt vmcnt(0) lgkmcnt(0)
	v_mul_f64 v[18:19], v[18:19], s[70:71]
	s_branch .LBB184_341
.LBB184_340:
	v_mov_b64_e32 v[18:19], 0
.LBB184_341:
	v_add_f64 v[16:17], v[16:17], v[18:19]
	v_lshl_add_u64 v[18:19], v[82:83], 3, v[64:65]
	global_store_dwordx2 v[18:19], v[16:17], off
	s_or_b64 exec, exec, s[2:3]
	s_and_b64 s[4:5], s[24:25], s[54:55]
	s_and_saveexec_b64 s[2:3], s[4:5]
	s_cbranch_execz .LBB184_238
.LBB184_342:
	s_and_b64 vcc, exec, s[0:1]
	s_cbranch_vccnz .LBB184_344
; %bb.343:
	v_lshl_add_u64 v[16:17], v[80:81], 3, v[130:131]
	flat_load_dwordx2 v[16:17], v[16:17]
	s_waitcnt vmcnt(0) lgkmcnt(0)
	v_mul_f64 v[16:17], v[16:17], s[70:71]
	s_branch .LBB184_345
.LBB184_344:
	v_mov_b64_e32 v[16:17], 0
.LBB184_345:
	v_add_f64 v[14:15], v[14:15], v[16:17]
	v_lshl_add_u64 v[16:17], v[80:81], 3, v[64:65]
	global_store_dwordx2 v[16:17], v[14:15], off
	s_or_b64 exec, exec, s[2:3]
	s_and_b64 s[4:5], s[24:25], s[56:57]
	s_and_saveexec_b64 s[2:3], s[4:5]
	s_cbranch_execz .LBB184_239
.LBB184_346:
	s_and_b64 vcc, exec, s[0:1]
	s_cbranch_vccnz .LBB184_348
; %bb.347:
	v_lshl_add_u64 v[14:15], v[78:79], 3, v[130:131]
	flat_load_dwordx2 v[14:15], v[14:15]
	s_waitcnt vmcnt(0) lgkmcnt(0)
	v_mul_f64 v[14:15], v[14:15], s[70:71]
	s_branch .LBB184_349
.LBB184_348:
	v_mov_b64_e32 v[14:15], 0
.LBB184_349:
	v_add_f64 v[12:13], v[12:13], v[14:15]
	v_lshl_add_u64 v[14:15], v[78:79], 3, v[64:65]
	global_store_dwordx2 v[14:15], v[12:13], off
	s_or_b64 exec, exec, s[2:3]
	s_and_b64 s[4:5], s[24:25], s[58:59]
	s_and_saveexec_b64 s[2:3], s[4:5]
	s_cbranch_execz .LBB184_240
.LBB184_350:
	s_and_b64 vcc, exec, s[0:1]
	s_cbranch_vccnz .LBB184_352
; %bb.351:
	v_lshl_add_u64 v[12:13], v[76:77], 3, v[130:131]
	flat_load_dwordx2 v[12:13], v[12:13]
	s_waitcnt vmcnt(0) lgkmcnt(0)
	v_mul_f64 v[12:13], v[12:13], s[70:71]
	s_branch .LBB184_353
.LBB184_352:
	v_mov_b64_e32 v[12:13], 0
.LBB184_353:
	v_add_f64 v[10:11], v[10:11], v[12:13]
	v_lshl_add_u64 v[12:13], v[76:77], 3, v[64:65]
	global_store_dwordx2 v[12:13], v[10:11], off
	s_or_b64 exec, exec, s[2:3]
	s_and_b64 s[4:5], s[24:25], s[60:61]
	s_and_saveexec_b64 s[2:3], s[4:5]
	s_cbranch_execz .LBB184_241
.LBB184_354:
	s_and_b64 vcc, exec, s[0:1]
	s_cbranch_vccnz .LBB184_356
; %bb.355:
	v_lshl_add_u64 v[10:11], v[74:75], 3, v[130:131]
	flat_load_dwordx2 v[10:11], v[10:11]
	s_waitcnt vmcnt(0) lgkmcnt(0)
	v_mul_f64 v[10:11], v[10:11], s[70:71]
	s_branch .LBB184_357
.LBB184_356:
	v_mov_b64_e32 v[10:11], 0
.LBB184_357:
	v_add_f64 v[8:9], v[8:9], v[10:11]
	v_lshl_add_u64 v[10:11], v[74:75], 3, v[64:65]
	global_store_dwordx2 v[10:11], v[8:9], off
	s_or_b64 exec, exec, s[2:3]
	s_and_b64 s[4:5], s[24:25], s[62:63]
	s_and_saveexec_b64 s[2:3], s[4:5]
	s_cbranch_execz .LBB184_242
.LBB184_358:
	s_and_b64 vcc, exec, s[0:1]
	s_cbranch_vccnz .LBB184_360
; %bb.359:
	v_lshl_add_u64 v[8:9], v[72:73], 3, v[130:131]
	flat_load_dwordx2 v[8:9], v[8:9]
	s_waitcnt vmcnt(0) lgkmcnt(0)
	v_mul_f64 v[8:9], v[8:9], s[70:71]
	s_branch .LBB184_361
.LBB184_360:
	v_mov_b64_e32 v[8:9], 0
.LBB184_361:
	v_add_f64 v[6:7], v[6:7], v[8:9]
	v_lshl_add_u64 v[8:9], v[72:73], 3, v[64:65]
	global_store_dwordx2 v[8:9], v[6:7], off
	s_or_b64 exec, exec, s[2:3]
	s_and_b64 s[4:5], s[24:25], s[64:65]
	s_and_saveexec_b64 s[2:3], s[4:5]
	s_cbranch_execz .LBB184_243
.LBB184_362:
	s_and_b64 vcc, exec, s[0:1]
	s_cbranch_vccnz .LBB184_364
; %bb.363:
	v_lshl_add_u64 v[6:7], v[70:71], 3, v[130:131]
	flat_load_dwordx2 v[6:7], v[6:7]
	s_waitcnt vmcnt(0) lgkmcnt(0)
	v_mul_f64 v[6:7], v[6:7], s[70:71]
	s_branch .LBB184_365
.LBB184_364:
	v_mov_b64_e32 v[6:7], 0
.LBB184_365:
	v_add_f64 v[4:5], v[4:5], v[6:7]
	v_lshl_add_u64 v[6:7], v[70:71], 3, v[64:65]
	global_store_dwordx2 v[6:7], v[4:5], off
	s_or_b64 exec, exec, s[2:3]
	s_and_b64 s[4:5], s[24:25], s[66:67]
	s_and_saveexec_b64 s[2:3], s[4:5]
	s_cbranch_execz .LBB184_244
.LBB184_366:
	s_and_b64 vcc, exec, s[0:1]
	s_cbranch_vccnz .LBB184_368
; %bb.367:
	v_lshl_add_u64 v[4:5], v[68:69], 3, v[130:131]
	flat_load_dwordx2 v[4:5], v[4:5]
	s_waitcnt vmcnt(0) lgkmcnt(0)
	v_mul_f64 v[4:5], v[4:5], s[70:71]
	s_branch .LBB184_369
.LBB184_368:
	v_mov_b64_e32 v[4:5], 0
.LBB184_369:
	v_add_f64 v[2:3], v[2:3], v[4:5]
	v_lshl_add_u64 v[4:5], v[68:69], 3, v[64:65]
	global_store_dwordx2 v[4:5], v[2:3], off
	s_or_b64 exec, exec, s[2:3]
	s_and_b64 s[2:3], s[24:25], s[68:69]
	s_and_saveexec_b64 s[4:5], s[2:3]
	s_cbranch_execz .LBB184_245
.LBB184_370:
	s_and_b64 vcc, exec, s[0:1]
	s_cbranch_vccnz .LBB184_372
; %bb.371:
	v_lshl_add_u64 v[2:3], v[66:67], 3, v[130:131]
	flat_load_dwordx2 v[2:3], v[2:3]
	s_waitcnt vmcnt(0) lgkmcnt(0)
	v_mul_f64 v[2:3], v[2:3], s[70:71]
	v_add_f64 v[0:1], v[0:1], v[2:3]
	v_lshl_add_u64 v[2:3], v[66:67], 3, v[64:65]
	global_store_dwordx2 v[2:3], v[0:1], off
	s_endpgm
.LBB184_372:
	v_mov_b64_e32 v[2:3], 0
	v_add_f64 v[0:1], v[0:1], v[2:3]
	v_lshl_add_u64 v[2:3], v[66:67], 3, v[64:65]
	global_store_dwordx2 v[2:3], v[0:1], off
	s_endpgm
	.section	.rodata,"a",@progbits
	.p2align	6, 0x0
	.amdhsa_kernel _ZN12_GLOBAL__N_120geam_min_plus_kernelIdddLi4ELi64ELi128ELi128ELi4ELi64ELi4ELi4ELi64ELc78ELc78ELb1ELb1ELb0EdKddEEviiiT16_PT17_ilS4_ilS2_S4_ilPT18_ili26rocblas_geam_ex_operation_
		.amdhsa_group_segment_fixed_size 16384
		.amdhsa_private_segment_fixed_size 0
		.amdhsa_kernarg_size 136
		.amdhsa_user_sgpr_count 2
		.amdhsa_user_sgpr_dispatch_ptr 0
		.amdhsa_user_sgpr_queue_ptr 0
		.amdhsa_user_sgpr_kernarg_segment_ptr 1
		.amdhsa_user_sgpr_dispatch_id 0
		.amdhsa_user_sgpr_kernarg_preload_length 0
		.amdhsa_user_sgpr_kernarg_preload_offset 0
		.amdhsa_user_sgpr_private_segment_size 0
		.amdhsa_uses_dynamic_stack 0
		.amdhsa_enable_private_segment 0
		.amdhsa_system_sgpr_workgroup_id_x 1
		.amdhsa_system_sgpr_workgroup_id_y 0
		.amdhsa_system_sgpr_workgroup_id_z 1
		.amdhsa_system_sgpr_workgroup_info 0
		.amdhsa_system_vgpr_workitem_id 1
		.amdhsa_next_free_vgpr 252
		.amdhsa_next_free_sgpr 82
		.amdhsa_accum_offset 252
		.amdhsa_reserve_vcc 1
		.amdhsa_float_round_mode_32 0
		.amdhsa_float_round_mode_16_64 0
		.amdhsa_float_denorm_mode_32 3
		.amdhsa_float_denorm_mode_16_64 3
		.amdhsa_dx10_clamp 1
		.amdhsa_ieee_mode 1
		.amdhsa_fp16_overflow 0
		.amdhsa_tg_split 0
		.amdhsa_exception_fp_ieee_invalid_op 0
		.amdhsa_exception_fp_denorm_src 0
		.amdhsa_exception_fp_ieee_div_zero 0
		.amdhsa_exception_fp_ieee_overflow 0
		.amdhsa_exception_fp_ieee_underflow 0
		.amdhsa_exception_fp_ieee_inexact 0
		.amdhsa_exception_int_div_zero 0
	.end_amdhsa_kernel
	.section	.text._ZN12_GLOBAL__N_120geam_min_plus_kernelIdddLi4ELi64ELi128ELi128ELi4ELi64ELi4ELi4ELi64ELc78ELc78ELb1ELb1ELb0EdKddEEviiiT16_PT17_ilS4_ilS2_S4_ilPT18_ili26rocblas_geam_ex_operation_,"axG",@progbits,_ZN12_GLOBAL__N_120geam_min_plus_kernelIdddLi4ELi64ELi128ELi128ELi4ELi64ELi4ELi4ELi64ELc78ELc78ELb1ELb1ELb0EdKddEEviiiT16_PT17_ilS4_ilS2_S4_ilPT18_ili26rocblas_geam_ex_operation_,comdat
.Lfunc_end184:
	.size	_ZN12_GLOBAL__N_120geam_min_plus_kernelIdddLi4ELi64ELi128ELi128ELi4ELi64ELi4ELi4ELi64ELc78ELc78ELb1ELb1ELb0EdKddEEviiiT16_PT17_ilS4_ilS2_S4_ilPT18_ili26rocblas_geam_ex_operation_, .Lfunc_end184-_ZN12_GLOBAL__N_120geam_min_plus_kernelIdddLi4ELi64ELi128ELi128ELi4ELi64ELi4ELi4ELi64ELc78ELc78ELb1ELb1ELb0EdKddEEviiiT16_PT17_ilS4_ilS2_S4_ilPT18_ili26rocblas_geam_ex_operation_
                                        ; -- End function
	.section	.AMDGPU.csdata,"",@progbits
; Kernel info:
; codeLenInByte = 14448
; NumSgprs: 88
; NumVgprs: 252
; NumAgprs: 0
; TotalNumVgprs: 252
; ScratchSize: 0
; MemoryBound: 0
; FloatMode: 240
; IeeeMode: 1
; LDSByteSize: 16384 bytes/workgroup (compile time only)
; SGPRBlocks: 10
; VGPRBlocks: 31
; NumSGPRsForWavesPerEU: 88
; NumVGPRsForWavesPerEU: 252
; AccumOffset: 252
; Occupancy: 2
; WaveLimiterHint : 0
; COMPUTE_PGM_RSRC2:SCRATCH_EN: 0
; COMPUTE_PGM_RSRC2:USER_SGPR: 2
; COMPUTE_PGM_RSRC2:TRAP_HANDLER: 0
; COMPUTE_PGM_RSRC2:TGID_X_EN: 1
; COMPUTE_PGM_RSRC2:TGID_Y_EN: 0
; COMPUTE_PGM_RSRC2:TGID_Z_EN: 1
; COMPUTE_PGM_RSRC2:TIDIG_COMP_CNT: 1
; COMPUTE_PGM_RSRC3_GFX90A:ACCUM_OFFSET: 62
; COMPUTE_PGM_RSRC3_GFX90A:TG_SPLIT: 0
	.section	.text._ZN12_GLOBAL__N_120geam_min_plus_kernelIdddLi4ELi64ELi128ELi128ELi4ELi64ELi4ELi4ELi64ELc78ELc78ELb0ELb1ELb0EdKddEEviiiT16_PT17_ilS4_ilS2_S4_ilPT18_ili26rocblas_geam_ex_operation_,"axG",@progbits,_ZN12_GLOBAL__N_120geam_min_plus_kernelIdddLi4ELi64ELi128ELi128ELi4ELi64ELi4ELi4ELi64ELc78ELc78ELb0ELb1ELb0EdKddEEviiiT16_PT17_ilS4_ilS2_S4_ilPT18_ili26rocblas_geam_ex_operation_,comdat
	.globl	_ZN12_GLOBAL__N_120geam_min_plus_kernelIdddLi4ELi64ELi128ELi128ELi4ELi64ELi4ELi4ELi64ELc78ELc78ELb0ELb1ELb0EdKddEEviiiT16_PT17_ilS4_ilS2_S4_ilPT18_ili26rocblas_geam_ex_operation_ ; -- Begin function _ZN12_GLOBAL__N_120geam_min_plus_kernelIdddLi4ELi64ELi128ELi128ELi4ELi64ELi4ELi4ELi64ELc78ELc78ELb0ELb1ELb0EdKddEEviiiT16_PT17_ilS4_ilS2_S4_ilPT18_ili26rocblas_geam_ex_operation_
	.p2align	8
	.type	_ZN12_GLOBAL__N_120geam_min_plus_kernelIdddLi4ELi64ELi128ELi128ELi4ELi64ELi4ELi4ELi64ELc78ELc78ELb0ELb1ELb0EdKddEEviiiT16_PT17_ilS4_ilS2_S4_ilPT18_ili26rocblas_geam_ex_operation_,@function
_ZN12_GLOBAL__N_120geam_min_plus_kernelIdddLi4ELi64ELi128ELi128ELi4ELi64ELi4ELi4ELi64ELc78ELc78ELb0ELb1ELb0EdKddEEviiiT16_PT17_ilS4_ilS2_S4_ilPT18_ili26rocblas_geam_ex_operation_: ; @_ZN12_GLOBAL__N_120geam_min_plus_kernelIdddLi4ELi64ELi128ELi128ELi4ELi64ELi4ELi4ELi64ELc78ELc78ELb0ELb1ELb0EdKddEEviiiT16_PT17_ilS4_ilS2_S4_ilPT18_ili26rocblas_geam_ex_operation_
; %bb.0:
	s_load_dwordx4 s[16:19], s[0:1], 0x10
	s_load_dwordx4 s[4:7], s[0:1], 0x28
	s_mov_b64 s[22:23], 0
	s_waitcnt lgkmcnt(0)
	v_cmp_eq_f64_e64 s[8:9], s[16:17], 0
	s_and_b64 vcc, exec, s[8:9]
	s_cbranch_vccnz .LBB185_2
; %bb.1:
	s_mul_i32 s5, s3, s5
	s_mul_hi_u32 s10, s3, s4
	s_add_i32 s5, s10, s5
	s_mul_i32 s4, s3, s4
	s_lshl_b64 s[4:5], s[4:5], 3
	s_add_u32 s22, s18, s4
	s_addc_u32 s23, s19, s5
.LBB185_2:
	s_load_dwordx4 s[68:71], s[0:1], 0x40
	s_load_dwordx2 s[4:5], s[0:1], 0x50
	s_andn2_b64 vcc, exec, s[8:9]
	s_cbranch_vccnz .LBB185_4
; %bb.3:
	s_mov_b32 s19, 0
	s_mov_b64 s[24:25], 0
	s_cbranch_execz .LBB185_5
	s_branch .LBB185_6
.LBB185_4:
                                        ; implicit-def: $sgpr24_sgpr25
                                        ; implicit-def: $sgpr18_sgpr19
.LBB185_5:
	s_waitcnt lgkmcnt(0)
	s_mul_i32 s8, s3, s69
	s_mul_hi_u32 s9, s3, s68
	s_add_i32 s9, s9, s8
	s_mul_i32 s8, s3, s68
	s_lshl_b64 s[8:9], s[8:9], 3
	s_add_u32 s24, s6, s8
	s_mov_b32 s19, 0
	s_addc_u32 s25, s7, s9
.LBB185_6:
	s_load_dwordx4 s[12:15], s[0:1], 0x60
	s_waitcnt lgkmcnt(0)
	v_cmp_eq_f64_e64 s[6:7], s[70:71], 0
	s_mov_b64 s[76:77], 0
	v_cmp_neq_f64_e64 s[20:21], s[70:71], 0
	s_and_b64 vcc, exec, s[6:7]
	s_cbranch_vccnz .LBB185_8
; %bb.7:
	s_mul_i32 s6, s3, s13
	s_mul_hi_u32 s7, s3, s12
	s_add_i32 s6, s7, s6
	s_mul_i32 s7, s19, s12
	s_add_i32 s7, s6, s7
	s_mul_i32 s6, s3, s12
	s_lshl_b64 s[6:7], s[6:7], 3
	s_add_u32 s76, s4, s6
	s_addc_u32 s77, s5, s7
.LBB185_8:
	s_load_dwordx4 s[72:75], s[0:1], 0x0
	s_load_dword s28, s[0:1], 0x20
	v_and_b32_e32 v144, 0x3ff, v0
	v_bfe_u32 v145, v0, 10, 10
	v_lshl_add_u32 v8, v145, 2, v144
	s_waitcnt lgkmcnt(0)
	s_add_i32 s4, s72, -1
	s_ashr_i32 s5, s4, 31
	s_lshr_b32 s5, s5, 25
	s_add_i32 s4, s4, s5
	s_ashr_i32 s4, s4, 7
	s_add_i32 s5, s4, 1
	v_cvt_f32_u32_e32 v1, s5
	s_not_b32 s4, s4
	v_and_b32_e32 v142, 63, v8
	v_lshrrev_b32_e32 v146, 6, v8
	v_rcp_iflag_f32_e32 v2, v1
	v_cmp_le_i32_e32 vcc, s74, v146
	v_cmp_eq_f64_e64 s[12:13], s[16:17], 0
	v_mov_b64_e32 v[0:1], 0
	v_mul_f32_e32 v2, 0x4f7ffffe, v2
	v_cvt_u32_f32_e32 v2, v2
	s_nop 0
	v_readfirstlane_b32 s6, v2
	s_mul_i32 s4, s4, s6
	s_mul_hi_u32 s4, s6, s4
	s_add_i32 s6, s6, s4
	s_mul_hi_u32 s4, s2, s6
	s_mul_i32 s6, s4, s5
	s_sub_i32 s6, s2, s6
	s_add_i32 s7, s4, 1
	s_sub_i32 s8, s6, s5
	s_cmp_ge_u32 s6, s5
	s_cselect_b32 s4, s7, s4
	s_cselect_b32 s6, s8, s6
	s_add_i32 s7, s4, 1
	s_cmp_ge_u32 s6, s5
	s_cselect_b32 s8, s7, s4
	s_mul_i32 s4, s8, s5
	s_sub_i32 s2, s2, s4
	s_add_i32 s29, s74, -1
	s_lshl_b32 s2, s2, 7
	v_min_i32_e32 v2, s29, v146
	v_or_b32_e32 v128, s2, v142
	v_mad_i64_i32 v[2:3], s[4:5], s28, v2, 0
	v_cmp_le_i32_e64 s[10:11], s72, v128
	s_or_b64 s[4:5], s[10:11], vcc
	s_or_b64 s[4:5], s[12:13], s[4:5]
	v_lshl_add_u64 v[6:7], v[2:3], 3, s[22:23]
	s_xor_b64 s[6:7], s[4:5], -1
	v_ashrrev_i32_e32 v129, 31, v128
	v_mov_b64_e32 v[2:3], v[0:1]
	s_and_saveexec_b64 s[4:5], s[6:7]
	s_cbranch_execz .LBB185_10
; %bb.9:
	v_lshl_add_u64 v[2:3], v[128:129], 3, v[6:7]
	flat_load_dwordx2 v[2:3], v[2:3]
	s_waitcnt vmcnt(0) lgkmcnt(0)
	v_mul_f64 v[2:3], v[2:3], s[16:17]
.LBB185_10:
	s_or_b64 exec, exec, s[4:5]
	v_or_b32_e32 v4, 64, v128
	v_cmp_le_i32_e64 s[4:5], s72, v4
	s_or_b64 s[6:7], s[4:5], vcc
	s_or_b64 s[6:7], s[12:13], s[6:7]
	s_xor_b64 s[26:27], s[6:7], -1
	v_mov_b64_e32 v[4:5], v[0:1]
	s_and_saveexec_b64 s[6:7], s[26:27]
	s_cbranch_execz .LBB185_12
; %bb.11:
	v_lshl_add_u64 v[4:5], v[128:129], 3, v[6:7]
	flat_load_dwordx2 v[4:5], v[4:5] offset:512
	s_waitcnt vmcnt(0) lgkmcnt(0)
	v_mul_f64 v[4:5], v[4:5], s[16:17]
.LBB185_12:
	s_or_b64 exec, exec, s[6:7]
	v_lshrrev_b32_e32 v10, 2, v8
	s_lshl_b32 s18, s8, 7
	s_load_dword s31, s[0:1], 0x38
	v_and_b32_e32 v147, 3, v144
	v_add_u32_e32 v138, s18, v10
	v_cmp_le_i32_e32 vcc, s74, v147
	v_cmp_le_i32_e64 s[6:7], s73, v138
	v_min_i32_e32 v6, s29, v147
	s_or_b64 s[8:9], vcc, s[6:7]
	v_ashrrev_i32_e32 v7, 31, v6
	s_or_b64 s[8:9], s[12:13], s[8:9]
	v_lshl_add_u64 v[8:9], v[6:7], 3, s[24:25]
	s_xor_b64 s[26:27], s[8:9], -1
	s_and_saveexec_b64 s[8:9], s[26:27]
	s_cbranch_execz .LBB185_14
; %bb.13:
	s_waitcnt lgkmcnt(0)
	v_mad_i64_i32 v[0:1], s[26:27], v138, s31, 0
	v_lshl_add_u64 v[0:1], v[0:1], 3, v[8:9]
	flat_load_dwordx2 v[0:1], v[0:1]
	s_waitcnt vmcnt(0) lgkmcnt(0)
	v_mul_f64 v[0:1], v[0:1], s[16:17]
.LBB185_14:
	s_or_b64 exec, exec, s[8:9]
	v_add_u32_e32 v139, 64, v138
	v_cmp_le_i32_e64 s[8:9], s73, v139
	s_or_b64 s[26:27], vcc, s[8:9]
	s_or_b64 s[26:27], s[12:13], s[26:27]
	v_mov_b64_e32 v[130:131], 0
	s_xor_b64 s[34:35], s[26:27], -1
	v_mov_b64_e32 v[6:7], v[130:131]
	s_and_saveexec_b64 s[26:27], s[34:35]
	s_cbranch_execz .LBB185_16
; %bb.15:
	s_waitcnt lgkmcnt(0)
	v_mad_i64_i32 v[6:7], s[34:35], v139, s31, 0
	v_lshl_add_u64 v[6:7], v[6:7], 3, v[8:9]
	flat_load_dwordx2 v[6:7], v[6:7]
	s_waitcnt vmcnt(0) lgkmcnt(0)
	v_mul_f64 v[6:7], v[6:7], s[16:17]
.LBB185_16:
	s_or_b64 exec, exec, s[26:27]
	v_add_u32_e32 v8, 4, v146
	v_cmp_le_i32_e32 vcc, s74, v8
	v_min_i32_e32 v8, s29, v8
	v_mad_i64_i32 v[8:9], s[26:27], s28, v8, 0
	s_or_b64 s[26:27], s[10:11], vcc
	s_or_b64 s[26:27], s[12:13], s[26:27]
	v_lshl_add_u64 v[8:9], v[8:9], 3, s[22:23]
	s_xor_b64 s[34:35], s[26:27], -1
	s_and_saveexec_b64 s[26:27], s[34:35]
	s_cbranch_execz .LBB185_18
; %bb.17:
	v_lshl_add_u64 v[12:13], v[128:129], 3, v[8:9]
	flat_load_dwordx2 v[12:13], v[12:13]
	s_waitcnt vmcnt(0) lgkmcnt(0)
	v_mul_f64 v[130:131], v[12:13], s[16:17]
.LBB185_18:
	s_or_b64 exec, exec, s[26:27]
	s_or_b64 s[26:27], s[4:5], vcc
	s_or_b64 s[26:27], s[12:13], s[26:27]
	v_mov_b64_e32 v[132:133], 0
	s_xor_b64 s[34:35], s[26:27], -1
	v_mov_b64_e32 v[134:135], v[132:133]
	s_and_saveexec_b64 s[26:27], s[34:35]
	s_cbranch_execz .LBB185_20
; %bb.19:
	v_lshl_add_u64 v[8:9], v[128:129], 3, v[8:9]
	flat_load_dwordx2 v[8:9], v[8:9] offset:512
	s_waitcnt vmcnt(0) lgkmcnt(0)
	v_mul_f64 v[134:135], v[8:9], s[16:17]
.LBB185_20:
	s_or_b64 exec, exec, s[26:27]
	v_or_b32_e32 v8, 4, v147
	v_cmp_le_i32_e32 vcc, s74, v8
	v_min_i32_e32 v8, s29, v8
	s_or_b64 s[26:27], vcc, s[6:7]
	v_ashrrev_i32_e32 v9, 31, v8
	s_or_b64 s[26:27], s[12:13], s[26:27]
	v_lshl_add_u64 v[8:9], v[8:9], 3, s[24:25]
	s_xor_b64 s[34:35], s[26:27], -1
	s_and_saveexec_b64 s[26:27], s[34:35]
	s_cbranch_execz .LBB185_22
; %bb.21:
	s_waitcnt lgkmcnt(0)
	v_mad_i64_i32 v[12:13], s[34:35], v138, s31, 0
	v_lshl_add_u64 v[12:13], v[12:13], 3, v[8:9]
	flat_load_dwordx2 v[12:13], v[12:13]
	s_waitcnt vmcnt(0) lgkmcnt(0)
	v_mul_f64 v[132:133], v[12:13], s[16:17]
.LBB185_22:
	s_or_b64 exec, exec, s[26:27]
	s_or_b64 s[26:27], vcc, s[8:9]
	s_or_b64 s[26:27], s[12:13], s[26:27]
	v_mov_b64_e32 v[124:125], 0
	s_xor_b64 s[34:35], s[26:27], -1
	v_mov_b64_e32 v[136:137], v[124:125]
	s_and_saveexec_b64 s[26:27], s[34:35]
	s_cbranch_execz .LBB185_24
; %bb.23:
	s_waitcnt lgkmcnt(0)
	v_mad_i64_i32 v[12:13], s[34:35], v139, s31, 0
	v_lshl_add_u64 v[8:9], v[12:13], 3, v[8:9]
	flat_load_dwordx2 v[8:9], v[8:9]
	s_waitcnt vmcnt(0) lgkmcnt(0)
	v_mul_f64 v[136:137], v[8:9], s[16:17]
.LBB185_24:
	s_or_b64 exec, exec, s[26:27]
	v_lshlrev_b32_e32 v8, 3, v146
	v_lshl_add_u32 v148, v142, 5, v8
	ds_write2st64_b64 v148, v[2:3], v[4:5] offset1:4
	v_lshlrev_b32_e32 v2, 3, v147
	v_lshl_or_b32 v141, v10, 5, v2
	v_lshlrev_b32_e32 v140, 5, v145
	v_add_u32_e32 v149, 0x2000, v141
	ds_write2st64_b64 v141, v[0:1], v[6:7] offset0:16 offset1:20
	v_lshlrev_b32_e32 v150, 5, v144
	v_add_u32_e32 v151, 0x2000, v140
	s_mov_b32 s26, 0
	v_mov_b64_e32 v[126:127], v[124:125]
	v_mov_b64_e32 v[122:123], v[124:125]
	;; [unrolled: 1-line block ×63, first 2 shown]
	s_waitcnt lgkmcnt(0)
	s_barrier
.LBB185_25:                             ; =>This Inner Loop Header: Depth=1
	v_add_u32_e32 v143, s26, v150
	v_add_u32_e32 v184, s26, v151
	ds_read2_b64 v[152:155], v143 offset1:16
	ds_read2_b64 v[156:159], v143 offset0:32 offset1:48
	ds_read2_b64 v[160:163], v143 offset0:64 offset1:80
	;; [unrolled: 1-line block ×7, first 2 shown]
	ds_read2st64_b64 v[184:187], v184 offset1:4
	v_add_u32_e32 v143, 0x800, v143
	ds_read2_b64 v[188:191], v143 offset1:16
	ds_read2_b64 v[192:195], v143 offset0:32 offset1:48
	ds_read2_b64 v[196:199], v143 offset0:64 offset1:80
	;; [unrolled: 1-line block ×7, first 2 shown]
	s_waitcnt lgkmcnt(14)
	v_max_f64 v[152:153], v[152:153], v[152:153]
	v_max_f64 v[154:155], v[154:155], v[154:155]
	;; [unrolled: 1-line block ×6, first 2 shown]
	s_waitcnt lgkmcnt(13)
	v_max_f64 v[164:165], v[164:165], v[164:165]
	v_max_f64 v[166:167], v[166:167], v[166:167]
	s_waitcnt lgkmcnt(12)
	v_max_f64 v[168:169], v[168:169], v[168:169]
	v_max_f64 v[170:171], v[170:171], v[170:171]
	;; [unrolled: 3-line block ×14, first 2 shown]
	v_min_f64 v[220:221], v[152:153], v[184:185]
	v_min_f64 v[222:223], v[154:155], v[184:185]
	v_min_f64 v[224:225], v[156:157], v[184:185]
	v_min_f64 v[226:227], v[158:159], v[184:185]
	v_min_f64 v[228:229], v[160:161], v[184:185]
	v_min_f64 v[230:231], v[162:163], v[184:185]
	v_min_f64 v[232:233], v[164:165], v[184:185]
	v_min_f64 v[234:235], v[166:167], v[184:185]
	v_min_f64 v[236:237], v[168:169], v[184:185]
	v_min_f64 v[238:239], v[170:171], v[184:185]
	v_min_f64 v[240:241], v[172:173], v[184:185]
	v_min_f64 v[242:243], v[174:175], v[184:185]
	v_min_f64 v[244:245], v[176:177], v[184:185]
	v_min_f64 v[246:247], v[178:179], v[184:185]
	v_min_f64 v[248:249], v[180:181], v[184:185]
	v_min_f64 v[250:251], v[182:183], v[184:185]
	v_min_f64 v[152:153], v[152:153], v[186:187]
	v_min_f64 v[154:155], v[154:155], v[186:187]
	v_min_f64 v[156:157], v[156:157], v[186:187]
	v_min_f64 v[158:159], v[158:159], v[186:187]
	v_min_f64 v[160:161], v[160:161], v[186:187]
	v_min_f64 v[162:163], v[162:163], v[186:187]
	v_min_f64 v[164:165], v[164:165], v[186:187]
	v_min_f64 v[166:167], v[166:167], v[186:187]
	v_min_f64 v[168:169], v[168:169], v[186:187]
	v_min_f64 v[170:171], v[170:171], v[186:187]
	v_min_f64 v[172:173], v[172:173], v[186:187]
	v_min_f64 v[174:175], v[174:175], v[186:187]
	v_min_f64 v[176:177], v[176:177], v[186:187]
	v_min_f64 v[178:179], v[178:179], v[186:187]
	v_min_f64 v[180:181], v[180:181], v[186:187]
	v_min_f64 v[182:183], v[182:183], v[186:187]
	s_add_i32 s26, s26, 8
	v_add_f64 v[62:63], v[152:153], v[62:63]
	v_add_f64 v[60:61], v[154:155], v[60:61]
	;; [unrolled: 1-line block ×16, first 2 shown]
	v_min_f64 v[152:153], v[188:189], v[184:185]
	v_min_f64 v[154:155], v[190:191], v[184:185]
	;; [unrolled: 1-line block ×32, first 2 shown]
	s_cmp_eq_u32 s26, 32
	v_add_f64 v[124:125], v[220:221], v[124:125]
	v_add_f64 v[126:127], v[222:223], v[126:127]
	;; [unrolled: 1-line block ×48, first 2 shown]
	s_cbranch_scc0 .LBB185_25
; %bb.26:
	v_lshlrev_b32_e32 v142, 5, v142
	v_lshl_add_u32 v142, v146, 3, v142
	s_cmp_gt_i32 s74, 8
	ds_write2st64_b64 v142, v[130:131], v[134:135] offset0:8 offset1:12
	ds_write2st64_b64 v141, v[132:133], v[136:137] offset0:24 offset1:28
	s_waitcnt lgkmcnt(0)
	s_barrier
	s_cbranch_scc1 .LBB185_28
; %bb.27:
	v_add_u32_e32 v152, 0x1000, v150
	v_add_u32_e32 v153, 0x3000, v140
	s_cbranch_execz .LBB185_29
	s_branch .LBB185_51
.LBB185_28:
                                        ; implicit-def: $vgpr152
                                        ; implicit-def: $vgpr153
.LBB185_29:
	v_or_b32_e32 v154, 0x1000, v142
	v_add_u32_e32 v155, 0x3000, v141
	s_add_i32 s30, s74, -8
	v_mad_i64_i32 v[130:131], s[26:27], v138, s31, 0
	v_mad_i64_i32 v[132:133], s[26:27], v139, s31, 0
	v_add_u32_e32 v152, 0x1000, v150
	v_add_u32_e32 v153, 0x3000, v140
	s_mov_b32 s31, 8
	s_mov_b32 s33, 0
.LBB185_30:                             ; =>This Loop Header: Depth=1
                                        ;     Child Loop BB185_39 Depth 2
                                        ;     Child Loop BB185_49 Depth 2
	v_add_u32_e32 v134, s31, v146
	v_cmp_le_i32_e32 vcc, s74, v134
	v_min_i32_e32 v134, s29, v134
	v_mad_i64_i32 v[134:135], s[26:27], v134, s28, 0
	s_or_b64 s[26:27], s[10:11], vcc
	v_lshl_add_u64 v[136:137], v[134:135], 3, s[22:23]
	s_or_b64 s[26:27], s[12:13], s[26:27]
	v_mov_b64_e32 v[134:135], 0
	s_xor_b64 s[34:35], s[26:27], -1
	v_lshl_add_u64 v[138:139], v[128:129], 3, v[136:137]
	v_mov_b64_e32 v[136:137], v[134:135]
	s_and_saveexec_b64 s[26:27], s[34:35]
	s_cbranch_execz .LBB185_32
; %bb.31:                               ;   in Loop: Header=BB185_30 Depth=1
	flat_load_dwordx2 v[136:137], v[138:139]
	s_waitcnt vmcnt(0) lgkmcnt(0)
	v_mul_f64 v[136:137], v[136:137], s[16:17]
.LBB185_32:                             ;   in Loop: Header=BB185_30 Depth=1
	s_or_b64 exec, exec, s[26:27]
	s_or_b64 s[26:27], s[4:5], vcc
	s_or_b64 s[26:27], s[12:13], s[26:27]
	s_xor_b64 s[34:35], s[26:27], -1
	s_and_saveexec_b64 s[26:27], s[34:35]
	s_cbranch_execz .LBB185_34
; %bb.33:                               ;   in Loop: Header=BB185_30 Depth=1
	flat_load_dwordx2 v[134:135], v[138:139] offset:512
	s_waitcnt vmcnt(0) lgkmcnt(0)
	v_mul_f64 v[134:135], v[134:135], s[16:17]
.LBB185_34:                             ;   in Loop: Header=BB185_30 Depth=1
	s_or_b64 exec, exec, s[26:27]
	v_or_b32_e32 v156, s31, v147
	v_cmp_le_i32_e32 vcc, s74, v156
	v_min_i32_e32 v138, s29, v156
	v_ashrrev_i32_e32 v139, 31, v138
	s_or_b64 s[26:27], s[6:7], vcc
	v_lshl_add_u64 v[142:143], v[138:139], 3, s[24:25]
	s_or_b64 s[26:27], s[12:13], s[26:27]
	v_mov_b64_e32 v[138:139], 0
	s_xor_b64 s[34:35], s[26:27], -1
	v_mov_b64_e32 v[140:141], v[138:139]
	s_and_saveexec_b64 s[26:27], s[34:35]
	s_cbranch_execz .LBB185_36
; %bb.35:                               ;   in Loop: Header=BB185_30 Depth=1
	v_lshl_add_u64 v[140:141], v[130:131], 3, v[142:143]
	flat_load_dwordx2 v[140:141], v[140:141]
	s_waitcnt vmcnt(0) lgkmcnt(0)
	v_mul_f64 v[140:141], v[140:141], s[16:17]
.LBB185_36:                             ;   in Loop: Header=BB185_30 Depth=1
	s_or_b64 exec, exec, s[26:27]
	s_or_b64 s[26:27], s[8:9], vcc
	s_or_b64 s[26:27], s[12:13], s[26:27]
	s_xor_b64 s[34:35], s[26:27], -1
	s_and_saveexec_b64 s[26:27], s[34:35]
	s_cbranch_execz .LBB185_38
; %bb.37:                               ;   in Loop: Header=BB185_30 Depth=1
	v_lshl_add_u64 v[138:139], v[132:133], 3, v[142:143]
	flat_load_dwordx2 v[138:139], v[138:139]
	s_waitcnt vmcnt(0) lgkmcnt(0)
	v_mul_f64 v[138:139], v[138:139], s[16:17]
.LBB185_38:                             ;   in Loop: Header=BB185_30 Depth=1
	s_or_b64 exec, exec, s[26:27]
	s_mov_b32 s26, 0
.LBB185_39:                             ;   Parent Loop BB185_30 Depth=1
                                        ; =>  This Inner Loop Header: Depth=2
	v_add_u32_e32 v142, s26, v152
	ds_read2_b64 v[158:161], v142 offset1:16
	ds_read2_b64 v[162:165], v142 offset0:32 offset1:48
	ds_read2_b64 v[166:169], v142 offset0:64 offset1:80
	;; [unrolled: 1-line block ×7, first 2 shown]
	v_add_u32_e32 v142, 0x800, v142
	ds_read2_b64 v[190:193], v142 offset1:16
	ds_read2_b64 v[194:197], v142 offset0:32 offset1:48
	ds_read2_b64 v[198:201], v142 offset0:64 offset1:80
	;; [unrolled: 1-line block ×7, first 2 shown]
	v_add_u32_e32 v142, s26, v153
	ds_read2st64_b64 v[222:225], v142 offset1:4
	s_waitcnt lgkmcnt(14)
	v_max_f64 v[158:159], v[158:159], v[158:159]
	v_max_f64 v[160:161], v[160:161], v[160:161]
	;; [unrolled: 1-line block ×4, first 2 shown]
	s_waitcnt lgkmcnt(0)
	v_max_f64 v[142:143], v[222:223], v[222:223]
	v_min_f64 v[222:223], v[158:159], v[142:143]
	v_add_f64 v[124:125], v[222:223], v[124:125]
	v_min_f64 v[222:223], v[160:161], v[142:143]
	v_add_f64 v[126:127], v[222:223], v[126:127]
	;; [unrolled: 2-line block ×3, first 2 shown]
	v_min_f64 v[222:223], v[164:165], v[142:143]
	v_max_f64 v[166:167], v[166:167], v[166:167]
	v_add_f64 v[120:121], v[222:223], v[120:121]
	v_min_f64 v[222:223], v[166:167], v[142:143]
	v_max_f64 v[168:169], v[168:169], v[168:169]
	v_add_f64 v[118:119], v[222:223], v[118:119]
	;; [unrolled: 3-line block ×26, first 2 shown]
	v_min_f64 v[222:223], v[216:217], v[142:143]
	v_max_f64 v[218:219], v[218:219], v[218:219]
	v_max_f64 v[220:221], v[220:221], v[220:221]
	v_add_f64 v[68:69], v[222:223], v[68:69]
	v_min_f64 v[222:223], v[218:219], v[142:143]
	v_min_f64 v[142:143], v[220:221], v[142:143]
	v_add_f64 v[64:65], v[142:143], v[64:65]
	v_max_f64 v[142:143], v[224:225], v[224:225]
	v_min_f64 v[158:159], v[158:159], v[142:143]
	v_add_f64 v[62:63], v[158:159], v[62:63]
	v_min_f64 v[158:159], v[160:161], v[142:143]
	v_add_f64 v[60:61], v[158:159], v[60:61]
	;; [unrolled: 2-line block ×30, first 2 shown]
	v_min_f64 v[158:159], v[218:219], v[142:143]
	v_min_f64 v[142:143], v[220:221], v[142:143]
	s_add_i32 s26, s26, 8
	v_add_f64 v[66:67], v[222:223], v[66:67]
	v_add_f64 v[2:3], v[158:159], v[2:3]
	;; [unrolled: 1-line block ×3, first 2 shown]
	s_cmp_eq_u32 s26, 32
	s_cbranch_scc0 .LBB185_39
; %bb.40:                               ;   in Loop: Header=BB185_30 Depth=1
	ds_write2st64_b64 v148, v[136:137], v[134:135] offset1:4
	ds_write2st64_b64 v149, v[140:141], v[138:139] offset1:4
	v_add3_u32 v134, v146, s31, 4
	v_cmp_le_i32_e32 vcc, s74, v134
	v_min_i32_e32 v134, s29, v134
	v_mad_i64_i32 v[134:135], s[26:27], v134, s28, 0
	s_or_b64 s[26:27], s[10:11], vcc
	v_lshl_add_u64 v[136:137], v[134:135], 3, s[22:23]
	s_or_b64 s[26:27], s[12:13], s[26:27]
	v_mov_b64_e32 v[134:135], 0
	s_xor_b64 s[34:35], s[26:27], -1
	v_lshl_add_u64 v[138:139], v[128:129], 3, v[136:137]
	v_mov_b64_e32 v[136:137], v[134:135]
	s_waitcnt lgkmcnt(0)
	s_barrier
	s_and_saveexec_b64 s[26:27], s[34:35]
	s_cbranch_execz .LBB185_42
; %bb.41:                               ;   in Loop: Header=BB185_30 Depth=1
	flat_load_dwordx2 v[136:137], v[138:139]
	s_waitcnt vmcnt(0) lgkmcnt(0)
	v_mul_f64 v[136:137], v[136:137], s[16:17]
.LBB185_42:                             ;   in Loop: Header=BB185_30 Depth=1
	s_or_b64 exec, exec, s[26:27]
	s_or_b64 s[26:27], s[4:5], vcc
	s_or_b64 s[26:27], s[12:13], s[26:27]
	s_xor_b64 s[34:35], s[26:27], -1
	s_and_saveexec_b64 s[26:27], s[34:35]
	s_cbranch_execz .LBB185_44
; %bb.43:                               ;   in Loop: Header=BB185_30 Depth=1
	flat_load_dwordx2 v[134:135], v[138:139] offset:512
	s_waitcnt vmcnt(0) lgkmcnt(0)
	v_mul_f64 v[134:135], v[134:135], s[16:17]
.LBB185_44:                             ;   in Loop: Header=BB185_30 Depth=1
	s_or_b64 exec, exec, s[26:27]
	v_or_b32_e32 v138, 4, v156
	v_cmp_le_i32_e32 vcc, s74, v138
	v_min_i32_e32 v138, s29, v138
	v_ashrrev_i32_e32 v139, 31, v138
	s_or_b64 s[26:27], s[6:7], vcc
	v_lshl_add_u64 v[142:143], v[138:139], 3, s[24:25]
	s_or_b64 s[26:27], s[12:13], s[26:27]
	v_mov_b64_e32 v[138:139], 0
	s_xor_b64 s[34:35], s[26:27], -1
	v_mov_b64_e32 v[140:141], v[138:139]
	s_and_saveexec_b64 s[26:27], s[34:35]
	s_cbranch_execz .LBB185_46
; %bb.45:                               ;   in Loop: Header=BB185_30 Depth=1
	v_lshl_add_u64 v[140:141], v[130:131], 3, v[142:143]
	flat_load_dwordx2 v[140:141], v[140:141]
	s_waitcnt vmcnt(0) lgkmcnt(0)
	v_mul_f64 v[140:141], v[140:141], s[16:17]
.LBB185_46:                             ;   in Loop: Header=BB185_30 Depth=1
	s_or_b64 exec, exec, s[26:27]
	s_or_b64 s[26:27], s[8:9], vcc
	s_or_b64 s[26:27], s[12:13], s[26:27]
	s_xor_b64 s[34:35], s[26:27], -1
	s_and_saveexec_b64 s[26:27], s[34:35]
	s_cbranch_execz .LBB185_48
; %bb.47:                               ;   in Loop: Header=BB185_30 Depth=1
	v_lshl_add_u64 v[138:139], v[132:133], 3, v[142:143]
	flat_load_dwordx2 v[138:139], v[138:139]
	s_waitcnt vmcnt(0) lgkmcnt(0)
	v_mul_f64 v[138:139], v[138:139], s[16:17]
.LBB185_48:                             ;   in Loop: Header=BB185_30 Depth=1
	s_or_b64 exec, exec, s[26:27]
	s_mov_b32 s26, 0
.LBB185_49:                             ;   Parent Loop BB185_30 Depth=1
                                        ; =>  This Inner Loop Header: Depth=2
	v_add_u32_e32 v142, s26, v150
	v_add_u32_e32 v143, s26, v151
	ds_read2_b64 v[156:159], v142 offset1:16
	ds_read2_b64 v[160:163], v142 offset0:32 offset1:48
	ds_read2_b64 v[164:167], v142 offset0:64 offset1:80
	;; [unrolled: 1-line block ×7, first 2 shown]
	v_add_u32_e32 v142, 0x800, v142
	ds_read2st64_b64 v[188:191], v143 offset1:4
	ds_read2_b64 v[192:195], v142 offset1:16
	ds_read2_b64 v[196:199], v142 offset0:32 offset1:48
	ds_read2_b64 v[200:203], v142 offset0:64 offset1:80
	;; [unrolled: 1-line block ×7, first 2 shown]
	s_waitcnt lgkmcnt(14)
	v_max_f64 v[156:157], v[156:157], v[156:157]
	v_max_f64 v[158:159], v[158:159], v[158:159]
	;; [unrolled: 1-line block ×3, first 2 shown]
	s_waitcnt lgkmcnt(8)
	v_max_f64 v[142:143], v[188:189], v[188:189]
	v_max_f64 v[162:163], v[162:163], v[162:163]
	;; [unrolled: 1-line block ×15, first 2 shown]
	v_min_f64 v[190:191], v[156:157], v[142:143]
	v_min_f64 v[224:225], v[158:159], v[142:143]
	;; [unrolled: 1-line block ×16, first 2 shown]
	s_waitcnt lgkmcnt(7)
	v_max_f64 v[192:193], v[192:193], v[192:193]
	v_max_f64 v[194:195], v[194:195], v[194:195]
	s_waitcnt lgkmcnt(6)
	v_max_f64 v[196:197], v[196:197], v[196:197]
	v_max_f64 v[198:199], v[198:199], v[198:199]
	;; [unrolled: 3-line block ×8, first 2 shown]
	v_min_f64 v[156:157], v[156:157], v[188:189]
	v_min_f64 v[158:159], v[158:159], v[188:189]
	;; [unrolled: 1-line block ×16, first 2 shown]
	s_add_i32 s26, s26, 8
	v_add_f64 v[124:125], v[190:191], v[124:125]
	v_add_f64 v[126:127], v[224:225], v[126:127]
	;; [unrolled: 1-line block ×15, first 2 shown]
	v_min_f64 v[190:191], v[192:193], v[142:143]
	v_min_f64 v[224:225], v[194:195], v[142:143]
	;; [unrolled: 1-line block ×16, first 2 shown]
	v_add_f64 v[62:63], v[156:157], v[62:63]
	v_add_f64 v[60:61], v[158:159], v[60:61]
	;; [unrolled: 1-line block ×16, first 2 shown]
	v_min_f64 v[156:157], v[192:193], v[188:189]
	v_min_f64 v[158:159], v[194:195], v[188:189]
	;; [unrolled: 1-line block ×16, first 2 shown]
	s_cmp_eq_u32 s26, 32
	v_add_f64 v[96:97], v[252:253], v[96:97]
	v_add_f64 v[94:95], v[190:191], v[94:95]
	v_add_f64 v[92:93], v[224:225], v[92:93]
	v_add_f64 v[90:91], v[226:227], v[90:91]
	v_add_f64 v[88:89], v[228:229], v[88:89]
	v_add_f64 v[86:87], v[230:231], v[86:87]
	v_add_f64 v[84:85], v[232:233], v[84:85]
	v_add_f64 v[82:83], v[234:235], v[82:83]
	v_add_f64 v[80:81], v[236:237], v[80:81]
	v_add_f64 v[78:79], v[238:239], v[78:79]
	v_add_f64 v[76:77], v[240:241], v[76:77]
	v_add_f64 v[74:75], v[242:243], v[74:75]
	v_add_f64 v[72:73], v[244:245], v[72:73]
	v_add_f64 v[70:71], v[246:247], v[70:71]
	v_add_f64 v[68:69], v[248:249], v[68:69]
	v_add_f64 v[66:67], v[250:251], v[66:67]
	v_add_f64 v[64:65], v[142:143], v[64:65]
	v_add_f64 v[30:31], v[156:157], v[30:31]
	v_add_f64 v[28:29], v[158:159], v[28:29]
	v_add_f64 v[26:27], v[160:161], v[26:27]
	v_add_f64 v[24:25], v[162:163], v[24:25]
	v_add_f64 v[22:23], v[164:165], v[22:23]
	v_add_f64 v[20:21], v[166:167], v[20:21]
	v_add_f64 v[18:19], v[168:169], v[18:19]
	v_add_f64 v[16:17], v[170:171], v[16:17]
	v_add_f64 v[14:15], v[172:173], v[14:15]
	v_add_f64 v[12:13], v[174:175], v[12:13]
	v_add_f64 v[10:11], v[176:177], v[10:11]
	v_add_f64 v[8:9], v[178:179], v[8:9]
	v_add_f64 v[6:7], v[180:181], v[6:7]
	v_add_f64 v[4:5], v[182:183], v[4:5]
	v_add_f64 v[2:3], v[184:185], v[2:3]
	v_add_f64 v[0:1], v[186:187], v[0:1]
	s_cbranch_scc0 .LBB185_49
; %bb.50:                               ;   in Loop: Header=BB185_30 Depth=1
	s_add_i32 s31, s31, 8
	s_add_i32 s33, s33, 8
	s_cmp_ge_i32 s33, s30
	ds_write2st64_b64 v154, v[136:137], v[134:135] offset1:4
	ds_write2st64_b64 v155, v[140:141], v[138:139] offset1:4
	s_waitcnt lgkmcnt(0)
	s_barrier
	s_cbranch_scc0 .LBB185_30
.LBB185_51:
	s_mov_b32 s4, 0
.LBB185_52:                             ; =>This Inner Loop Header: Depth=1
	v_add_u32_e32 v150, s4, v152
	v_add_u32_e32 v151, s4, v153
	ds_read2_b64 v[128:131], v150 offset1:16
	ds_read2_b64 v[132:135], v150 offset0:32 offset1:48
	ds_read2_b64 v[136:139], v150 offset0:64 offset1:80
	;; [unrolled: 1-line block ×7, first 2 shown]
	v_add_u32_e32 v150, 0x800, v150
	ds_read2st64_b64 v[166:169], v151 offset1:4
	ds_read2_b64 v[170:173], v150 offset1:16
	ds_read2_b64 v[174:177], v150 offset0:32 offset1:48
	ds_read2_b64 v[178:181], v150 offset0:64 offset1:80
	;; [unrolled: 1-line block ×7, first 2 shown]
	s_waitcnt lgkmcnt(14)
	v_max_f64 v[128:129], v[128:129], v[128:129]
	v_max_f64 v[130:131], v[130:131], v[130:131]
	;; [unrolled: 1-line block ×3, first 2 shown]
	s_waitcnt lgkmcnt(8)
	v_max_f64 v[150:151], v[166:167], v[166:167]
	v_max_f64 v[134:135], v[134:135], v[134:135]
	;; [unrolled: 1-line block ×15, first 2 shown]
	v_min_f64 v[168:169], v[128:129], v[150:151]
	v_min_f64 v[202:203], v[130:131], v[150:151]
	;; [unrolled: 1-line block ×16, first 2 shown]
	s_waitcnt lgkmcnt(7)
	v_max_f64 v[170:171], v[170:171], v[170:171]
	v_max_f64 v[172:173], v[172:173], v[172:173]
	s_waitcnt lgkmcnt(6)
	v_max_f64 v[174:175], v[174:175], v[174:175]
	v_max_f64 v[176:177], v[176:177], v[176:177]
	;; [unrolled: 3-line block ×8, first 2 shown]
	v_min_f64 v[128:129], v[128:129], v[166:167]
	v_min_f64 v[130:131], v[130:131], v[166:167]
	;; [unrolled: 1-line block ×16, first 2 shown]
	s_add_i32 s4, s4, 8
	v_add_f64 v[124:125], v[168:169], v[124:125]
	v_add_f64 v[126:127], v[202:203], v[126:127]
	;; [unrolled: 1-line block ×15, first 2 shown]
	v_min_f64 v[168:169], v[170:171], v[150:151]
	v_min_f64 v[202:203], v[172:173], v[150:151]
	;; [unrolled: 1-line block ×16, first 2 shown]
	v_add_f64 v[62:63], v[128:129], v[62:63]
	v_add_f64 v[60:61], v[130:131], v[60:61]
	;; [unrolled: 1-line block ×16, first 2 shown]
	v_min_f64 v[128:129], v[170:171], v[166:167]
	v_min_f64 v[130:131], v[172:173], v[166:167]
	;; [unrolled: 1-line block ×16, first 2 shown]
	s_cmp_eq_u32 s4, 32
	v_add_f64 v[96:97], v[230:231], v[96:97]
	v_add_f64 v[94:95], v[168:169], v[94:95]
	;; [unrolled: 1-line block ×33, first 2 shown]
	s_cbranch_scc0 .LBB185_52
; %bb.53:
	s_load_dwordx2 s[4:5], s[0:1], 0x78
	s_load_dword s78, s[0:1], 0x58
	s_load_dword s33, s[0:1], 0x70
	v_add_u32_e32 v136, s18, v145
	v_add_u32_e32 v128, s2, v144
	s_waitcnt lgkmcnt(0)
	s_mul_i32 s0, s3, s5
	s_mul_hi_u32 s1, s3, s4
	s_mul_i32 s5, s19, s4
	s_add_i32 s0, s1, s0
	s_add_i32 s1, s0, s5
	s_mul_i32 s0, s3, s4
	s_lshl_b64 s[0:1], s[0:1], 3
	s_add_u32 s74, s14, s0
	s_addc_u32 s75, s15, s1
	v_mad_i64_i32 v[130:131], s[0:1], v136, s78, 0
	v_cmp_gt_i32_e64 s[24:25], s73, v136
	v_lshl_add_u64 v[132:133], v[130:131], 3, s[76:77]
	v_mad_i64_i32 v[130:131], s[0:1], v136, s33, 0
	v_cmp_gt_i32_e64 s[2:3], s72, v128
	v_cndmask_b32_e64 v134, 0, 1, s[20:21]
	v_lshl_add_u64 v[130:131], v[130:131], 3, s[74:75]
	s_and_b64 s[6:7], s[24:25], s[2:3]
	v_ashrrev_i32_e32 v129, 31, v128
	v_cmp_ne_u32_e64 s[0:1], 1, v134
	s_and_saveexec_b64 s[4:5], s[6:7]
	s_cbranch_execz .LBB185_58
; %bb.54:
	s_and_b64 vcc, exec, s[0:1]
	s_cbranch_vccnz .LBB185_56
; %bb.55:
	v_lshl_add_u64 v[134:135], v[128:129], 3, v[132:133]
	flat_load_dwordx2 v[134:135], v[134:135]
	s_waitcnt vmcnt(0) lgkmcnt(0)
	v_mul_f64 v[134:135], v[134:135], s[70:71]
	s_branch .LBB185_57
.LBB185_56:
	v_mov_b64_e32 v[134:135], 0
.LBB185_57:
	v_add_f64 v[124:125], v[124:125], v[134:135]
	v_lshl_add_u64 v[134:135], v[128:129], 3, v[130:131]
	global_store_dwordx2 v[134:135], v[124:125], off
.LBB185_58:
	s_or_b64 exec, exec, s[4:5]
	v_add_u32_e32 v124, 4, v128
	v_cmp_gt_i32_e64 s[4:5], s72, v124
	s_and_b64 s[8:9], s[24:25], s[4:5]
	v_ashrrev_i32_e32 v125, 31, v124
	s_and_saveexec_b64 s[6:7], s[8:9]
	s_cbranch_execz .LBB185_63
; %bb.59:
	s_and_b64 vcc, exec, s[0:1]
	s_cbranch_vccnz .LBB185_61
; %bb.60:
	v_lshl_add_u64 v[134:135], v[124:125], 3, v[132:133]
	flat_load_dwordx2 v[134:135], v[134:135]
	s_waitcnt vmcnt(0) lgkmcnt(0)
	v_mul_f64 v[134:135], v[134:135], s[70:71]
	s_branch .LBB185_62
.LBB185_61:
	v_mov_b64_e32 v[134:135], 0
.LBB185_62:
	v_add_f64 v[126:127], v[126:127], v[134:135]
	v_lshl_add_u64 v[134:135], v[124:125], 3, v[130:131]
	global_store_dwordx2 v[134:135], v[126:127], off
.LBB185_63:
	s_or_b64 exec, exec, s[6:7]
	v_add_u32_e32 v126, 8, v128
	v_cmp_gt_i32_e64 s[6:7], s72, v126
	s_and_b64 s[10:11], s[24:25], s[6:7]
	v_ashrrev_i32_e32 v127, 31, v126
	;; [unrolled: 23-line block ×31, first 2 shown]
	s_and_saveexec_b64 s[24:25], s[80:81]
	s_cbranch_execz .LBB185_213
; %bb.209:
	s_and_b64 vcc, exec, s[0:1]
	s_cbranch_vccnz .LBB185_211
; %bb.210:
	v_lshl_add_u64 v[132:133], v[66:67], 3, v[132:133]
	flat_load_dwordx2 v[132:133], v[132:133]
	s_waitcnt vmcnt(0) lgkmcnt(0)
	v_mul_f64 v[132:133], v[132:133], s[70:71]
	s_branch .LBB185_212
.LBB185_211:
	v_mov_b64_e32 v[132:133], 0
.LBB185_212:
	v_add_f64 v[64:65], v[64:65], v[132:133]
	v_lshl_add_u64 v[130:131], v[66:67], 3, v[130:131]
	global_store_dwordx2 v[130:131], v[64:65], off
.LBB185_213:
	s_or_b64 exec, exec, s[24:25]
	v_add_u32_e32 v132, 64, v136
	v_cmp_gt_i32_e64 s[24:25], s73, v132
	v_mad_i64_i32 v[64:65], s[72:73], v132, s78, 0
	v_lshl_add_u64 v[130:131], v[64:65], 3, s[76:77]
	v_mad_i64_i32 v[64:65], s[72:73], v132, s33, 0
	v_lshl_add_u64 v[64:65], v[64:65], 3, s[74:75]
	s_and_b64 s[2:3], s[24:25], s[2:3]
	s_and_saveexec_b64 s[72:73], s[2:3]
	s_xor_b64 s[2:3], exec, s[72:73]
	s_cbranch_execnz .LBB185_246
; %bb.214:
	s_or_b64 exec, exec, s[2:3]
	s_and_b64 s[4:5], s[24:25], s[4:5]
	s_and_saveexec_b64 s[2:3], s[4:5]
	s_cbranch_execnz .LBB185_250
.LBB185_215:
	s_or_b64 exec, exec, s[2:3]
	s_and_b64 s[4:5], s[24:25], s[6:7]
	s_and_saveexec_b64 s[2:3], s[4:5]
	s_cbranch_execnz .LBB185_254
.LBB185_216:
	s_or_b64 exec, exec, s[2:3]
	s_and_b64 s[4:5], s[24:25], s[8:9]
	s_and_saveexec_b64 s[2:3], s[4:5]
	s_cbranch_execnz .LBB185_258
.LBB185_217:
	s_or_b64 exec, exec, s[2:3]
	s_and_b64 s[4:5], s[24:25], s[10:11]
	s_and_saveexec_b64 s[2:3], s[4:5]
	s_cbranch_execnz .LBB185_262
.LBB185_218:
	s_or_b64 exec, exec, s[2:3]
	s_and_b64 s[4:5], s[24:25], s[12:13]
	s_and_saveexec_b64 s[2:3], s[4:5]
	s_cbranch_execnz .LBB185_266
.LBB185_219:
	s_or_b64 exec, exec, s[2:3]
	s_and_b64 s[4:5], s[24:25], s[14:15]
	s_and_saveexec_b64 s[2:3], s[4:5]
	s_cbranch_execnz .LBB185_270
.LBB185_220:
	s_or_b64 exec, exec, s[2:3]
	s_and_b64 s[4:5], s[24:25], s[16:17]
	s_and_saveexec_b64 s[2:3], s[4:5]
	s_cbranch_execnz .LBB185_274
.LBB185_221:
	s_or_b64 exec, exec, s[2:3]
	s_and_b64 s[4:5], s[24:25], s[18:19]
	s_and_saveexec_b64 s[2:3], s[4:5]
	s_cbranch_execnz .LBB185_278
.LBB185_222:
	s_or_b64 exec, exec, s[2:3]
	s_and_b64 s[4:5], s[24:25], s[20:21]
	s_and_saveexec_b64 s[2:3], s[4:5]
	s_cbranch_execnz .LBB185_282
.LBB185_223:
	s_or_b64 exec, exec, s[2:3]
	s_and_b64 s[4:5], s[24:25], s[22:23]
	s_and_saveexec_b64 s[2:3], s[4:5]
	s_cbranch_execnz .LBB185_286
.LBB185_224:
	s_or_b64 exec, exec, s[2:3]
	s_and_b64 s[4:5], s[24:25], s[26:27]
	s_and_saveexec_b64 s[2:3], s[4:5]
	s_cbranch_execnz .LBB185_290
.LBB185_225:
	s_or_b64 exec, exec, s[2:3]
	s_and_b64 s[4:5], s[24:25], s[28:29]
	s_and_saveexec_b64 s[2:3], s[4:5]
	s_cbranch_execnz .LBB185_294
.LBB185_226:
	s_or_b64 exec, exec, s[2:3]
	s_and_b64 s[4:5], s[24:25], s[30:31]
	s_and_saveexec_b64 s[2:3], s[4:5]
	s_cbranch_execnz .LBB185_298
.LBB185_227:
	s_or_b64 exec, exec, s[2:3]
	s_and_b64 s[4:5], s[24:25], s[34:35]
	s_and_saveexec_b64 s[2:3], s[4:5]
	s_cbranch_execnz .LBB185_302
.LBB185_228:
	s_or_b64 exec, exec, s[2:3]
	s_and_b64 s[4:5], s[24:25], s[36:37]
	s_and_saveexec_b64 s[2:3], s[4:5]
	s_cbranch_execnz .LBB185_306
.LBB185_229:
	s_or_b64 exec, exec, s[2:3]
	s_and_b64 s[4:5], s[24:25], s[38:39]
	s_and_saveexec_b64 s[2:3], s[4:5]
	s_cbranch_execnz .LBB185_310
.LBB185_230:
	s_or_b64 exec, exec, s[2:3]
	s_and_b64 s[4:5], s[24:25], s[40:41]
	s_and_saveexec_b64 s[2:3], s[4:5]
	s_cbranch_execnz .LBB185_314
.LBB185_231:
	s_or_b64 exec, exec, s[2:3]
	s_and_b64 s[4:5], s[24:25], s[42:43]
	s_and_saveexec_b64 s[2:3], s[4:5]
	s_cbranch_execnz .LBB185_318
.LBB185_232:
	s_or_b64 exec, exec, s[2:3]
	s_and_b64 s[4:5], s[24:25], s[44:45]
	s_and_saveexec_b64 s[2:3], s[4:5]
	s_cbranch_execnz .LBB185_322
.LBB185_233:
	s_or_b64 exec, exec, s[2:3]
	s_and_b64 s[4:5], s[24:25], s[46:47]
	s_and_saveexec_b64 s[2:3], s[4:5]
	s_cbranch_execnz .LBB185_326
.LBB185_234:
	s_or_b64 exec, exec, s[2:3]
	s_and_b64 s[4:5], s[24:25], s[48:49]
	s_and_saveexec_b64 s[2:3], s[4:5]
	s_cbranch_execnz .LBB185_330
.LBB185_235:
	s_or_b64 exec, exec, s[2:3]
	s_and_b64 s[4:5], s[24:25], s[50:51]
	s_and_saveexec_b64 s[2:3], s[4:5]
	s_cbranch_execnz .LBB185_334
.LBB185_236:
	s_or_b64 exec, exec, s[2:3]
	s_and_b64 s[4:5], s[24:25], s[52:53]
	s_and_saveexec_b64 s[2:3], s[4:5]
	s_cbranch_execnz .LBB185_338
.LBB185_237:
	s_or_b64 exec, exec, s[2:3]
	s_and_b64 s[4:5], s[24:25], s[54:55]
	s_and_saveexec_b64 s[2:3], s[4:5]
	s_cbranch_execnz .LBB185_342
.LBB185_238:
	s_or_b64 exec, exec, s[2:3]
	s_and_b64 s[4:5], s[24:25], s[56:57]
	s_and_saveexec_b64 s[2:3], s[4:5]
	s_cbranch_execnz .LBB185_346
.LBB185_239:
	s_or_b64 exec, exec, s[2:3]
	s_and_b64 s[4:5], s[24:25], s[58:59]
	s_and_saveexec_b64 s[2:3], s[4:5]
	s_cbranch_execnz .LBB185_350
.LBB185_240:
	s_or_b64 exec, exec, s[2:3]
	s_and_b64 s[4:5], s[24:25], s[60:61]
	s_and_saveexec_b64 s[2:3], s[4:5]
	s_cbranch_execnz .LBB185_354
.LBB185_241:
	s_or_b64 exec, exec, s[2:3]
	s_and_b64 s[4:5], s[24:25], s[62:63]
	s_and_saveexec_b64 s[2:3], s[4:5]
	s_cbranch_execnz .LBB185_358
.LBB185_242:
	s_or_b64 exec, exec, s[2:3]
	s_and_b64 s[4:5], s[24:25], s[64:65]
	s_and_saveexec_b64 s[2:3], s[4:5]
	s_cbranch_execnz .LBB185_362
.LBB185_243:
	s_or_b64 exec, exec, s[2:3]
	s_and_b64 s[4:5], s[24:25], s[66:67]
	s_and_saveexec_b64 s[2:3], s[4:5]
	s_cbranch_execnz .LBB185_366
.LBB185_244:
	s_or_b64 exec, exec, s[2:3]
	s_and_b64 s[2:3], s[24:25], s[68:69]
	s_and_saveexec_b64 s[4:5], s[2:3]
	s_cbranch_execnz .LBB185_370
.LBB185_245:
	s_endpgm
.LBB185_246:
	s_and_b64 vcc, exec, s[0:1]
	s_cbranch_vccnz .LBB185_248
; %bb.247:
	v_lshl_add_u64 v[132:133], v[128:129], 3, v[130:131]
	flat_load_dwordx2 v[132:133], v[132:133]
	s_waitcnt vmcnt(0) lgkmcnt(0)
	v_mul_f64 v[132:133], v[132:133], s[70:71]
	s_branch .LBB185_249
.LBB185_248:
	v_mov_b64_e32 v[132:133], 0
.LBB185_249:
	v_add_f64 v[62:63], v[62:63], v[132:133]
	v_lshl_add_u64 v[128:129], v[128:129], 3, v[64:65]
	global_store_dwordx2 v[128:129], v[62:63], off
	s_or_b64 exec, exec, s[2:3]
	s_and_b64 s[4:5], s[24:25], s[4:5]
	s_and_saveexec_b64 s[2:3], s[4:5]
	s_cbranch_execz .LBB185_215
.LBB185_250:
	s_and_b64 vcc, exec, s[0:1]
	s_cbranch_vccnz .LBB185_252
; %bb.251:
	v_lshl_add_u64 v[62:63], v[124:125], 3, v[130:131]
	flat_load_dwordx2 v[62:63], v[62:63]
	s_waitcnt vmcnt(0) lgkmcnt(0)
	v_mul_f64 v[62:63], v[62:63], s[70:71]
	s_branch .LBB185_253
.LBB185_252:
	v_mov_b64_e32 v[62:63], 0
.LBB185_253:
	v_add_f64 v[60:61], v[60:61], v[62:63]
	v_lshl_add_u64 v[62:63], v[124:125], 3, v[64:65]
	global_store_dwordx2 v[62:63], v[60:61], off
	s_or_b64 exec, exec, s[2:3]
	s_and_b64 s[4:5], s[24:25], s[6:7]
	s_and_saveexec_b64 s[2:3], s[4:5]
	s_cbranch_execz .LBB185_216
.LBB185_254:
	s_and_b64 vcc, exec, s[0:1]
	s_cbranch_vccnz .LBB185_256
; %bb.255:
	v_lshl_add_u64 v[60:61], v[126:127], 3, v[130:131]
	flat_load_dwordx2 v[60:61], v[60:61]
	s_waitcnt vmcnt(0) lgkmcnt(0)
	v_mul_f64 v[60:61], v[60:61], s[70:71]
	s_branch .LBB185_257
.LBB185_256:
	v_mov_b64_e32 v[60:61], 0
.LBB185_257:
	v_add_f64 v[58:59], v[58:59], v[60:61]
	v_lshl_add_u64 v[60:61], v[126:127], 3, v[64:65]
	global_store_dwordx2 v[60:61], v[58:59], off
	s_or_b64 exec, exec, s[2:3]
	s_and_b64 s[4:5], s[24:25], s[8:9]
	s_and_saveexec_b64 s[2:3], s[4:5]
	s_cbranch_execz .LBB185_217
.LBB185_258:
	s_and_b64 vcc, exec, s[0:1]
	s_cbranch_vccnz .LBB185_260
; %bb.259:
	v_lshl_add_u64 v[58:59], v[122:123], 3, v[130:131]
	flat_load_dwordx2 v[58:59], v[58:59]
	s_waitcnt vmcnt(0) lgkmcnt(0)
	v_mul_f64 v[58:59], v[58:59], s[70:71]
	s_branch .LBB185_261
.LBB185_260:
	v_mov_b64_e32 v[58:59], 0
.LBB185_261:
	v_add_f64 v[56:57], v[56:57], v[58:59]
	v_lshl_add_u64 v[58:59], v[122:123], 3, v[64:65]
	global_store_dwordx2 v[58:59], v[56:57], off
	s_or_b64 exec, exec, s[2:3]
	s_and_b64 s[4:5], s[24:25], s[10:11]
	s_and_saveexec_b64 s[2:3], s[4:5]
	s_cbranch_execz .LBB185_218
.LBB185_262:
	s_and_b64 vcc, exec, s[0:1]
	s_cbranch_vccnz .LBB185_264
; %bb.263:
	v_lshl_add_u64 v[56:57], v[120:121], 3, v[130:131]
	flat_load_dwordx2 v[56:57], v[56:57]
	s_waitcnt vmcnt(0) lgkmcnt(0)
	v_mul_f64 v[56:57], v[56:57], s[70:71]
	s_branch .LBB185_265
.LBB185_264:
	v_mov_b64_e32 v[56:57], 0
.LBB185_265:
	v_add_f64 v[54:55], v[54:55], v[56:57]
	v_lshl_add_u64 v[56:57], v[120:121], 3, v[64:65]
	global_store_dwordx2 v[56:57], v[54:55], off
	s_or_b64 exec, exec, s[2:3]
	s_and_b64 s[4:5], s[24:25], s[12:13]
	s_and_saveexec_b64 s[2:3], s[4:5]
	s_cbranch_execz .LBB185_219
.LBB185_266:
	s_and_b64 vcc, exec, s[0:1]
	s_cbranch_vccnz .LBB185_268
; %bb.267:
	v_lshl_add_u64 v[54:55], v[118:119], 3, v[130:131]
	flat_load_dwordx2 v[54:55], v[54:55]
	s_waitcnt vmcnt(0) lgkmcnt(0)
	v_mul_f64 v[54:55], v[54:55], s[70:71]
	s_branch .LBB185_269
.LBB185_268:
	v_mov_b64_e32 v[54:55], 0
.LBB185_269:
	v_add_f64 v[52:53], v[52:53], v[54:55]
	v_lshl_add_u64 v[54:55], v[118:119], 3, v[64:65]
	global_store_dwordx2 v[54:55], v[52:53], off
	s_or_b64 exec, exec, s[2:3]
	s_and_b64 s[4:5], s[24:25], s[14:15]
	s_and_saveexec_b64 s[2:3], s[4:5]
	s_cbranch_execz .LBB185_220
.LBB185_270:
	s_and_b64 vcc, exec, s[0:1]
	s_cbranch_vccnz .LBB185_272
; %bb.271:
	v_lshl_add_u64 v[52:53], v[116:117], 3, v[130:131]
	flat_load_dwordx2 v[52:53], v[52:53]
	s_waitcnt vmcnt(0) lgkmcnt(0)
	v_mul_f64 v[52:53], v[52:53], s[70:71]
	s_branch .LBB185_273
.LBB185_272:
	v_mov_b64_e32 v[52:53], 0
.LBB185_273:
	v_add_f64 v[50:51], v[50:51], v[52:53]
	v_lshl_add_u64 v[52:53], v[116:117], 3, v[64:65]
	global_store_dwordx2 v[52:53], v[50:51], off
	s_or_b64 exec, exec, s[2:3]
	s_and_b64 s[4:5], s[24:25], s[16:17]
	s_and_saveexec_b64 s[2:3], s[4:5]
	s_cbranch_execz .LBB185_221
.LBB185_274:
	s_and_b64 vcc, exec, s[0:1]
	s_cbranch_vccnz .LBB185_276
; %bb.275:
	v_lshl_add_u64 v[50:51], v[114:115], 3, v[130:131]
	flat_load_dwordx2 v[50:51], v[50:51]
	s_waitcnt vmcnt(0) lgkmcnt(0)
	v_mul_f64 v[50:51], v[50:51], s[70:71]
	s_branch .LBB185_277
.LBB185_276:
	v_mov_b64_e32 v[50:51], 0
.LBB185_277:
	v_add_f64 v[48:49], v[48:49], v[50:51]
	v_lshl_add_u64 v[50:51], v[114:115], 3, v[64:65]
	global_store_dwordx2 v[50:51], v[48:49], off
	s_or_b64 exec, exec, s[2:3]
	s_and_b64 s[4:5], s[24:25], s[18:19]
	s_and_saveexec_b64 s[2:3], s[4:5]
	s_cbranch_execz .LBB185_222
.LBB185_278:
	s_and_b64 vcc, exec, s[0:1]
	s_cbranch_vccnz .LBB185_280
; %bb.279:
	v_lshl_add_u64 v[48:49], v[112:113], 3, v[130:131]
	flat_load_dwordx2 v[48:49], v[48:49]
	s_waitcnt vmcnt(0) lgkmcnt(0)
	v_mul_f64 v[48:49], v[48:49], s[70:71]
	s_branch .LBB185_281
.LBB185_280:
	v_mov_b64_e32 v[48:49], 0
.LBB185_281:
	v_add_f64 v[46:47], v[46:47], v[48:49]
	v_lshl_add_u64 v[48:49], v[112:113], 3, v[64:65]
	global_store_dwordx2 v[48:49], v[46:47], off
	s_or_b64 exec, exec, s[2:3]
	s_and_b64 s[4:5], s[24:25], s[20:21]
	s_and_saveexec_b64 s[2:3], s[4:5]
	s_cbranch_execz .LBB185_223
.LBB185_282:
	s_and_b64 vcc, exec, s[0:1]
	s_cbranch_vccnz .LBB185_284
; %bb.283:
	v_lshl_add_u64 v[46:47], v[110:111], 3, v[130:131]
	flat_load_dwordx2 v[46:47], v[46:47]
	s_waitcnt vmcnt(0) lgkmcnt(0)
	v_mul_f64 v[46:47], v[46:47], s[70:71]
	s_branch .LBB185_285
.LBB185_284:
	v_mov_b64_e32 v[46:47], 0
.LBB185_285:
	v_add_f64 v[44:45], v[44:45], v[46:47]
	v_lshl_add_u64 v[46:47], v[110:111], 3, v[64:65]
	global_store_dwordx2 v[46:47], v[44:45], off
	s_or_b64 exec, exec, s[2:3]
	s_and_b64 s[4:5], s[24:25], s[22:23]
	s_and_saveexec_b64 s[2:3], s[4:5]
	s_cbranch_execz .LBB185_224
.LBB185_286:
	s_and_b64 vcc, exec, s[0:1]
	s_cbranch_vccnz .LBB185_288
; %bb.287:
	v_lshl_add_u64 v[44:45], v[108:109], 3, v[130:131]
	flat_load_dwordx2 v[44:45], v[44:45]
	s_waitcnt vmcnt(0) lgkmcnt(0)
	v_mul_f64 v[44:45], v[44:45], s[70:71]
	s_branch .LBB185_289
.LBB185_288:
	v_mov_b64_e32 v[44:45], 0
.LBB185_289:
	v_add_f64 v[42:43], v[42:43], v[44:45]
	v_lshl_add_u64 v[44:45], v[108:109], 3, v[64:65]
	global_store_dwordx2 v[44:45], v[42:43], off
	s_or_b64 exec, exec, s[2:3]
	s_and_b64 s[4:5], s[24:25], s[26:27]
	s_and_saveexec_b64 s[2:3], s[4:5]
	s_cbranch_execz .LBB185_225
.LBB185_290:
	s_and_b64 vcc, exec, s[0:1]
	s_cbranch_vccnz .LBB185_292
; %bb.291:
	v_lshl_add_u64 v[42:43], v[106:107], 3, v[130:131]
	flat_load_dwordx2 v[42:43], v[42:43]
	s_waitcnt vmcnt(0) lgkmcnt(0)
	v_mul_f64 v[42:43], v[42:43], s[70:71]
	s_branch .LBB185_293
.LBB185_292:
	v_mov_b64_e32 v[42:43], 0
.LBB185_293:
	v_add_f64 v[40:41], v[40:41], v[42:43]
	v_lshl_add_u64 v[42:43], v[106:107], 3, v[64:65]
	global_store_dwordx2 v[42:43], v[40:41], off
	s_or_b64 exec, exec, s[2:3]
	s_and_b64 s[4:5], s[24:25], s[28:29]
	s_and_saveexec_b64 s[2:3], s[4:5]
	s_cbranch_execz .LBB185_226
.LBB185_294:
	s_and_b64 vcc, exec, s[0:1]
	s_cbranch_vccnz .LBB185_296
; %bb.295:
	v_lshl_add_u64 v[40:41], v[104:105], 3, v[130:131]
	flat_load_dwordx2 v[40:41], v[40:41]
	s_waitcnt vmcnt(0) lgkmcnt(0)
	v_mul_f64 v[40:41], v[40:41], s[70:71]
	s_branch .LBB185_297
.LBB185_296:
	v_mov_b64_e32 v[40:41], 0
.LBB185_297:
	v_add_f64 v[38:39], v[38:39], v[40:41]
	v_lshl_add_u64 v[40:41], v[104:105], 3, v[64:65]
	global_store_dwordx2 v[40:41], v[38:39], off
	s_or_b64 exec, exec, s[2:3]
	s_and_b64 s[4:5], s[24:25], s[30:31]
	s_and_saveexec_b64 s[2:3], s[4:5]
	s_cbranch_execz .LBB185_227
.LBB185_298:
	s_and_b64 vcc, exec, s[0:1]
	s_cbranch_vccnz .LBB185_300
; %bb.299:
	v_lshl_add_u64 v[38:39], v[102:103], 3, v[130:131]
	flat_load_dwordx2 v[38:39], v[38:39]
	s_waitcnt vmcnt(0) lgkmcnt(0)
	v_mul_f64 v[38:39], v[38:39], s[70:71]
	s_branch .LBB185_301
.LBB185_300:
	v_mov_b64_e32 v[38:39], 0
.LBB185_301:
	v_add_f64 v[36:37], v[36:37], v[38:39]
	v_lshl_add_u64 v[38:39], v[102:103], 3, v[64:65]
	global_store_dwordx2 v[38:39], v[36:37], off
	s_or_b64 exec, exec, s[2:3]
	s_and_b64 s[4:5], s[24:25], s[34:35]
	s_and_saveexec_b64 s[2:3], s[4:5]
	s_cbranch_execz .LBB185_228
.LBB185_302:
	s_and_b64 vcc, exec, s[0:1]
	s_cbranch_vccnz .LBB185_304
; %bb.303:
	v_lshl_add_u64 v[36:37], v[100:101], 3, v[130:131]
	flat_load_dwordx2 v[36:37], v[36:37]
	s_waitcnt vmcnt(0) lgkmcnt(0)
	v_mul_f64 v[36:37], v[36:37], s[70:71]
	s_branch .LBB185_305
.LBB185_304:
	v_mov_b64_e32 v[36:37], 0
.LBB185_305:
	v_add_f64 v[34:35], v[34:35], v[36:37]
	v_lshl_add_u64 v[36:37], v[100:101], 3, v[64:65]
	global_store_dwordx2 v[36:37], v[34:35], off
	s_or_b64 exec, exec, s[2:3]
	s_and_b64 s[4:5], s[24:25], s[36:37]
	s_and_saveexec_b64 s[2:3], s[4:5]
	s_cbranch_execz .LBB185_229
.LBB185_306:
	s_and_b64 vcc, exec, s[0:1]
	s_cbranch_vccnz .LBB185_308
; %bb.307:
	v_lshl_add_u64 v[34:35], v[98:99], 3, v[130:131]
	flat_load_dwordx2 v[34:35], v[34:35]
	s_waitcnt vmcnt(0) lgkmcnt(0)
	v_mul_f64 v[34:35], v[34:35], s[70:71]
	s_branch .LBB185_309
.LBB185_308:
	v_mov_b64_e32 v[34:35], 0
.LBB185_309:
	v_add_f64 v[32:33], v[32:33], v[34:35]
	v_lshl_add_u64 v[34:35], v[98:99], 3, v[64:65]
	global_store_dwordx2 v[34:35], v[32:33], off
	s_or_b64 exec, exec, s[2:3]
	s_and_b64 s[4:5], s[24:25], s[38:39]
	s_and_saveexec_b64 s[2:3], s[4:5]
	s_cbranch_execz .LBB185_230
.LBB185_310:
	s_and_b64 vcc, exec, s[0:1]
	s_cbranch_vccnz .LBB185_312
; %bb.311:
	v_lshl_add_u64 v[32:33], v[96:97], 3, v[130:131]
	flat_load_dwordx2 v[32:33], v[32:33]
	s_waitcnt vmcnt(0) lgkmcnt(0)
	v_mul_f64 v[32:33], v[32:33], s[70:71]
	s_branch .LBB185_313
.LBB185_312:
	v_mov_b64_e32 v[32:33], 0
.LBB185_313:
	v_add_f64 v[30:31], v[30:31], v[32:33]
	v_lshl_add_u64 v[32:33], v[96:97], 3, v[64:65]
	global_store_dwordx2 v[32:33], v[30:31], off
	s_or_b64 exec, exec, s[2:3]
	s_and_b64 s[4:5], s[24:25], s[40:41]
	s_and_saveexec_b64 s[2:3], s[4:5]
	s_cbranch_execz .LBB185_231
.LBB185_314:
	s_and_b64 vcc, exec, s[0:1]
	s_cbranch_vccnz .LBB185_316
; %bb.315:
	v_lshl_add_u64 v[30:31], v[94:95], 3, v[130:131]
	flat_load_dwordx2 v[30:31], v[30:31]
	s_waitcnt vmcnt(0) lgkmcnt(0)
	v_mul_f64 v[30:31], v[30:31], s[70:71]
	s_branch .LBB185_317
.LBB185_316:
	v_mov_b64_e32 v[30:31], 0
.LBB185_317:
	v_add_f64 v[28:29], v[28:29], v[30:31]
	v_lshl_add_u64 v[30:31], v[94:95], 3, v[64:65]
	global_store_dwordx2 v[30:31], v[28:29], off
	s_or_b64 exec, exec, s[2:3]
	s_and_b64 s[4:5], s[24:25], s[42:43]
	s_and_saveexec_b64 s[2:3], s[4:5]
	s_cbranch_execz .LBB185_232
.LBB185_318:
	s_and_b64 vcc, exec, s[0:1]
	s_cbranch_vccnz .LBB185_320
; %bb.319:
	v_lshl_add_u64 v[28:29], v[92:93], 3, v[130:131]
	flat_load_dwordx2 v[28:29], v[28:29]
	s_waitcnt vmcnt(0) lgkmcnt(0)
	v_mul_f64 v[28:29], v[28:29], s[70:71]
	s_branch .LBB185_321
.LBB185_320:
	v_mov_b64_e32 v[28:29], 0
.LBB185_321:
	v_add_f64 v[26:27], v[26:27], v[28:29]
	v_lshl_add_u64 v[28:29], v[92:93], 3, v[64:65]
	global_store_dwordx2 v[28:29], v[26:27], off
	s_or_b64 exec, exec, s[2:3]
	s_and_b64 s[4:5], s[24:25], s[44:45]
	s_and_saveexec_b64 s[2:3], s[4:5]
	s_cbranch_execz .LBB185_233
.LBB185_322:
	s_and_b64 vcc, exec, s[0:1]
	s_cbranch_vccnz .LBB185_324
; %bb.323:
	v_lshl_add_u64 v[26:27], v[90:91], 3, v[130:131]
	flat_load_dwordx2 v[26:27], v[26:27]
	s_waitcnt vmcnt(0) lgkmcnt(0)
	v_mul_f64 v[26:27], v[26:27], s[70:71]
	s_branch .LBB185_325
.LBB185_324:
	v_mov_b64_e32 v[26:27], 0
.LBB185_325:
	v_add_f64 v[24:25], v[24:25], v[26:27]
	v_lshl_add_u64 v[26:27], v[90:91], 3, v[64:65]
	global_store_dwordx2 v[26:27], v[24:25], off
	s_or_b64 exec, exec, s[2:3]
	s_and_b64 s[4:5], s[24:25], s[46:47]
	s_and_saveexec_b64 s[2:3], s[4:5]
	s_cbranch_execz .LBB185_234
.LBB185_326:
	s_and_b64 vcc, exec, s[0:1]
	s_cbranch_vccnz .LBB185_328
; %bb.327:
	v_lshl_add_u64 v[24:25], v[88:89], 3, v[130:131]
	flat_load_dwordx2 v[24:25], v[24:25]
	s_waitcnt vmcnt(0) lgkmcnt(0)
	v_mul_f64 v[24:25], v[24:25], s[70:71]
	s_branch .LBB185_329
.LBB185_328:
	v_mov_b64_e32 v[24:25], 0
.LBB185_329:
	v_add_f64 v[22:23], v[22:23], v[24:25]
	v_lshl_add_u64 v[24:25], v[88:89], 3, v[64:65]
	global_store_dwordx2 v[24:25], v[22:23], off
	s_or_b64 exec, exec, s[2:3]
	s_and_b64 s[4:5], s[24:25], s[48:49]
	s_and_saveexec_b64 s[2:3], s[4:5]
	s_cbranch_execz .LBB185_235
.LBB185_330:
	s_and_b64 vcc, exec, s[0:1]
	s_cbranch_vccnz .LBB185_332
; %bb.331:
	v_lshl_add_u64 v[22:23], v[86:87], 3, v[130:131]
	flat_load_dwordx2 v[22:23], v[22:23]
	s_waitcnt vmcnt(0) lgkmcnt(0)
	v_mul_f64 v[22:23], v[22:23], s[70:71]
	s_branch .LBB185_333
.LBB185_332:
	v_mov_b64_e32 v[22:23], 0
.LBB185_333:
	v_add_f64 v[20:21], v[20:21], v[22:23]
	v_lshl_add_u64 v[22:23], v[86:87], 3, v[64:65]
	global_store_dwordx2 v[22:23], v[20:21], off
	s_or_b64 exec, exec, s[2:3]
	s_and_b64 s[4:5], s[24:25], s[50:51]
	s_and_saveexec_b64 s[2:3], s[4:5]
	s_cbranch_execz .LBB185_236
.LBB185_334:
	s_and_b64 vcc, exec, s[0:1]
	s_cbranch_vccnz .LBB185_336
; %bb.335:
	v_lshl_add_u64 v[20:21], v[84:85], 3, v[130:131]
	flat_load_dwordx2 v[20:21], v[20:21]
	s_waitcnt vmcnt(0) lgkmcnt(0)
	v_mul_f64 v[20:21], v[20:21], s[70:71]
	s_branch .LBB185_337
.LBB185_336:
	v_mov_b64_e32 v[20:21], 0
.LBB185_337:
	v_add_f64 v[18:19], v[18:19], v[20:21]
	v_lshl_add_u64 v[20:21], v[84:85], 3, v[64:65]
	global_store_dwordx2 v[20:21], v[18:19], off
	s_or_b64 exec, exec, s[2:3]
	s_and_b64 s[4:5], s[24:25], s[52:53]
	s_and_saveexec_b64 s[2:3], s[4:5]
	s_cbranch_execz .LBB185_237
.LBB185_338:
	s_and_b64 vcc, exec, s[0:1]
	s_cbranch_vccnz .LBB185_340
; %bb.339:
	v_lshl_add_u64 v[18:19], v[82:83], 3, v[130:131]
	flat_load_dwordx2 v[18:19], v[18:19]
	s_waitcnt vmcnt(0) lgkmcnt(0)
	v_mul_f64 v[18:19], v[18:19], s[70:71]
	s_branch .LBB185_341
.LBB185_340:
	v_mov_b64_e32 v[18:19], 0
.LBB185_341:
	v_add_f64 v[16:17], v[16:17], v[18:19]
	v_lshl_add_u64 v[18:19], v[82:83], 3, v[64:65]
	global_store_dwordx2 v[18:19], v[16:17], off
	s_or_b64 exec, exec, s[2:3]
	s_and_b64 s[4:5], s[24:25], s[54:55]
	s_and_saveexec_b64 s[2:3], s[4:5]
	s_cbranch_execz .LBB185_238
.LBB185_342:
	s_and_b64 vcc, exec, s[0:1]
	s_cbranch_vccnz .LBB185_344
; %bb.343:
	v_lshl_add_u64 v[16:17], v[80:81], 3, v[130:131]
	flat_load_dwordx2 v[16:17], v[16:17]
	s_waitcnt vmcnt(0) lgkmcnt(0)
	v_mul_f64 v[16:17], v[16:17], s[70:71]
	s_branch .LBB185_345
.LBB185_344:
	v_mov_b64_e32 v[16:17], 0
.LBB185_345:
	v_add_f64 v[14:15], v[14:15], v[16:17]
	v_lshl_add_u64 v[16:17], v[80:81], 3, v[64:65]
	global_store_dwordx2 v[16:17], v[14:15], off
	s_or_b64 exec, exec, s[2:3]
	s_and_b64 s[4:5], s[24:25], s[56:57]
	s_and_saveexec_b64 s[2:3], s[4:5]
	s_cbranch_execz .LBB185_239
.LBB185_346:
	s_and_b64 vcc, exec, s[0:1]
	s_cbranch_vccnz .LBB185_348
; %bb.347:
	v_lshl_add_u64 v[14:15], v[78:79], 3, v[130:131]
	flat_load_dwordx2 v[14:15], v[14:15]
	s_waitcnt vmcnt(0) lgkmcnt(0)
	v_mul_f64 v[14:15], v[14:15], s[70:71]
	s_branch .LBB185_349
.LBB185_348:
	v_mov_b64_e32 v[14:15], 0
.LBB185_349:
	v_add_f64 v[12:13], v[12:13], v[14:15]
	v_lshl_add_u64 v[14:15], v[78:79], 3, v[64:65]
	global_store_dwordx2 v[14:15], v[12:13], off
	s_or_b64 exec, exec, s[2:3]
	s_and_b64 s[4:5], s[24:25], s[58:59]
	s_and_saveexec_b64 s[2:3], s[4:5]
	s_cbranch_execz .LBB185_240
.LBB185_350:
	s_and_b64 vcc, exec, s[0:1]
	s_cbranch_vccnz .LBB185_352
; %bb.351:
	v_lshl_add_u64 v[12:13], v[76:77], 3, v[130:131]
	flat_load_dwordx2 v[12:13], v[12:13]
	s_waitcnt vmcnt(0) lgkmcnt(0)
	v_mul_f64 v[12:13], v[12:13], s[70:71]
	s_branch .LBB185_353
.LBB185_352:
	v_mov_b64_e32 v[12:13], 0
.LBB185_353:
	v_add_f64 v[10:11], v[10:11], v[12:13]
	v_lshl_add_u64 v[12:13], v[76:77], 3, v[64:65]
	global_store_dwordx2 v[12:13], v[10:11], off
	s_or_b64 exec, exec, s[2:3]
	s_and_b64 s[4:5], s[24:25], s[60:61]
	s_and_saveexec_b64 s[2:3], s[4:5]
	s_cbranch_execz .LBB185_241
.LBB185_354:
	s_and_b64 vcc, exec, s[0:1]
	s_cbranch_vccnz .LBB185_356
; %bb.355:
	v_lshl_add_u64 v[10:11], v[74:75], 3, v[130:131]
	flat_load_dwordx2 v[10:11], v[10:11]
	s_waitcnt vmcnt(0) lgkmcnt(0)
	v_mul_f64 v[10:11], v[10:11], s[70:71]
	s_branch .LBB185_357
.LBB185_356:
	v_mov_b64_e32 v[10:11], 0
.LBB185_357:
	v_add_f64 v[8:9], v[8:9], v[10:11]
	v_lshl_add_u64 v[10:11], v[74:75], 3, v[64:65]
	global_store_dwordx2 v[10:11], v[8:9], off
	s_or_b64 exec, exec, s[2:3]
	s_and_b64 s[4:5], s[24:25], s[62:63]
	s_and_saveexec_b64 s[2:3], s[4:5]
	s_cbranch_execz .LBB185_242
.LBB185_358:
	s_and_b64 vcc, exec, s[0:1]
	s_cbranch_vccnz .LBB185_360
; %bb.359:
	v_lshl_add_u64 v[8:9], v[72:73], 3, v[130:131]
	flat_load_dwordx2 v[8:9], v[8:9]
	s_waitcnt vmcnt(0) lgkmcnt(0)
	v_mul_f64 v[8:9], v[8:9], s[70:71]
	s_branch .LBB185_361
.LBB185_360:
	v_mov_b64_e32 v[8:9], 0
.LBB185_361:
	v_add_f64 v[6:7], v[6:7], v[8:9]
	v_lshl_add_u64 v[8:9], v[72:73], 3, v[64:65]
	global_store_dwordx2 v[8:9], v[6:7], off
	s_or_b64 exec, exec, s[2:3]
	s_and_b64 s[4:5], s[24:25], s[64:65]
	s_and_saveexec_b64 s[2:3], s[4:5]
	s_cbranch_execz .LBB185_243
.LBB185_362:
	s_and_b64 vcc, exec, s[0:1]
	s_cbranch_vccnz .LBB185_364
; %bb.363:
	v_lshl_add_u64 v[6:7], v[70:71], 3, v[130:131]
	flat_load_dwordx2 v[6:7], v[6:7]
	s_waitcnt vmcnt(0) lgkmcnt(0)
	v_mul_f64 v[6:7], v[6:7], s[70:71]
	s_branch .LBB185_365
.LBB185_364:
	v_mov_b64_e32 v[6:7], 0
.LBB185_365:
	v_add_f64 v[4:5], v[4:5], v[6:7]
	v_lshl_add_u64 v[6:7], v[70:71], 3, v[64:65]
	global_store_dwordx2 v[6:7], v[4:5], off
	s_or_b64 exec, exec, s[2:3]
	s_and_b64 s[4:5], s[24:25], s[66:67]
	s_and_saveexec_b64 s[2:3], s[4:5]
	s_cbranch_execz .LBB185_244
.LBB185_366:
	s_and_b64 vcc, exec, s[0:1]
	s_cbranch_vccnz .LBB185_368
; %bb.367:
	v_lshl_add_u64 v[4:5], v[68:69], 3, v[130:131]
	flat_load_dwordx2 v[4:5], v[4:5]
	s_waitcnt vmcnt(0) lgkmcnt(0)
	v_mul_f64 v[4:5], v[4:5], s[70:71]
	s_branch .LBB185_369
.LBB185_368:
	v_mov_b64_e32 v[4:5], 0
.LBB185_369:
	v_add_f64 v[2:3], v[2:3], v[4:5]
	v_lshl_add_u64 v[4:5], v[68:69], 3, v[64:65]
	global_store_dwordx2 v[4:5], v[2:3], off
	s_or_b64 exec, exec, s[2:3]
	s_and_b64 s[2:3], s[24:25], s[68:69]
	s_and_saveexec_b64 s[4:5], s[2:3]
	s_cbranch_execz .LBB185_245
.LBB185_370:
	s_and_b64 vcc, exec, s[0:1]
	s_cbranch_vccnz .LBB185_372
; %bb.371:
	v_lshl_add_u64 v[2:3], v[66:67], 3, v[130:131]
	flat_load_dwordx2 v[2:3], v[2:3]
	s_waitcnt vmcnt(0) lgkmcnt(0)
	v_mul_f64 v[2:3], v[2:3], s[70:71]
	v_add_f64 v[0:1], v[0:1], v[2:3]
	v_lshl_add_u64 v[2:3], v[66:67], 3, v[64:65]
	global_store_dwordx2 v[2:3], v[0:1], off
	s_endpgm
.LBB185_372:
	v_mov_b64_e32 v[2:3], 0
	v_add_f64 v[0:1], v[0:1], v[2:3]
	v_lshl_add_u64 v[2:3], v[66:67], 3, v[64:65]
	global_store_dwordx2 v[2:3], v[0:1], off
	s_endpgm
	.section	.rodata,"a",@progbits
	.p2align	6, 0x0
	.amdhsa_kernel _ZN12_GLOBAL__N_120geam_min_plus_kernelIdddLi4ELi64ELi128ELi128ELi4ELi64ELi4ELi4ELi64ELc78ELc78ELb0ELb1ELb0EdKddEEviiiT16_PT17_ilS4_ilS2_S4_ilPT18_ili26rocblas_geam_ex_operation_
		.amdhsa_group_segment_fixed_size 16384
		.amdhsa_private_segment_fixed_size 0
		.amdhsa_kernarg_size 136
		.amdhsa_user_sgpr_count 2
		.amdhsa_user_sgpr_dispatch_ptr 0
		.amdhsa_user_sgpr_queue_ptr 0
		.amdhsa_user_sgpr_kernarg_segment_ptr 1
		.amdhsa_user_sgpr_dispatch_id 0
		.amdhsa_user_sgpr_kernarg_preload_length 0
		.amdhsa_user_sgpr_kernarg_preload_offset 0
		.amdhsa_user_sgpr_private_segment_size 0
		.amdhsa_uses_dynamic_stack 0
		.amdhsa_enable_private_segment 0
		.amdhsa_system_sgpr_workgroup_id_x 1
		.amdhsa_system_sgpr_workgroup_id_y 0
		.amdhsa_system_sgpr_workgroup_id_z 1
		.amdhsa_system_sgpr_workgroup_info 0
		.amdhsa_system_vgpr_workitem_id 1
		.amdhsa_next_free_vgpr 254
		.amdhsa_next_free_sgpr 82
		.amdhsa_accum_offset 256
		.amdhsa_reserve_vcc 1
		.amdhsa_float_round_mode_32 0
		.amdhsa_float_round_mode_16_64 0
		.amdhsa_float_denorm_mode_32 3
		.amdhsa_float_denorm_mode_16_64 3
		.amdhsa_dx10_clamp 1
		.amdhsa_ieee_mode 1
		.amdhsa_fp16_overflow 0
		.amdhsa_tg_split 0
		.amdhsa_exception_fp_ieee_invalid_op 0
		.amdhsa_exception_fp_denorm_src 0
		.amdhsa_exception_fp_ieee_div_zero 0
		.amdhsa_exception_fp_ieee_overflow 0
		.amdhsa_exception_fp_ieee_underflow 0
		.amdhsa_exception_fp_ieee_inexact 0
		.amdhsa_exception_int_div_zero 0
	.end_amdhsa_kernel
	.section	.text._ZN12_GLOBAL__N_120geam_min_plus_kernelIdddLi4ELi64ELi128ELi128ELi4ELi64ELi4ELi4ELi64ELc78ELc78ELb0ELb1ELb0EdKddEEviiiT16_PT17_ilS4_ilS2_S4_ilPT18_ili26rocblas_geam_ex_operation_,"axG",@progbits,_ZN12_GLOBAL__N_120geam_min_plus_kernelIdddLi4ELi64ELi128ELi128ELi4ELi64ELi4ELi4ELi64ELc78ELc78ELb0ELb1ELb0EdKddEEviiiT16_PT17_ilS4_ilS2_S4_ilPT18_ili26rocblas_geam_ex_operation_,comdat
.Lfunc_end185:
	.size	_ZN12_GLOBAL__N_120geam_min_plus_kernelIdddLi4ELi64ELi128ELi128ELi4ELi64ELi4ELi4ELi64ELc78ELc78ELb0ELb1ELb0EdKddEEviiiT16_PT17_ilS4_ilS2_S4_ilPT18_ili26rocblas_geam_ex_operation_, .Lfunc_end185-_ZN12_GLOBAL__N_120geam_min_plus_kernelIdddLi4ELi64ELi128ELi128ELi4ELi64ELi4ELi4ELi64ELc78ELc78ELb0ELb1ELb0EdKddEEviiiT16_PT17_ilS4_ilS2_S4_ilPT18_ili26rocblas_geam_ex_operation_
                                        ; -- End function
	.section	.AMDGPU.csdata,"",@progbits
; Kernel info:
; codeLenInByte = 14780
; NumSgprs: 88
; NumVgprs: 254
; NumAgprs: 0
; TotalNumVgprs: 254
; ScratchSize: 0
; MemoryBound: 0
; FloatMode: 240
; IeeeMode: 1
; LDSByteSize: 16384 bytes/workgroup (compile time only)
; SGPRBlocks: 10
; VGPRBlocks: 31
; NumSGPRsForWavesPerEU: 88
; NumVGPRsForWavesPerEU: 254
; AccumOffset: 256
; Occupancy: 2
; WaveLimiterHint : 0
; COMPUTE_PGM_RSRC2:SCRATCH_EN: 0
; COMPUTE_PGM_RSRC2:USER_SGPR: 2
; COMPUTE_PGM_RSRC2:TRAP_HANDLER: 0
; COMPUTE_PGM_RSRC2:TGID_X_EN: 1
; COMPUTE_PGM_RSRC2:TGID_Y_EN: 0
; COMPUTE_PGM_RSRC2:TGID_Z_EN: 1
; COMPUTE_PGM_RSRC2:TIDIG_COMP_CNT: 1
; COMPUTE_PGM_RSRC3_GFX90A:ACCUM_OFFSET: 63
; COMPUTE_PGM_RSRC3_GFX90A:TG_SPLIT: 0
	.section	.text._ZN12_GLOBAL__N_120geam_min_plus_kernelIdddLi4ELi64ELi128ELi128ELi4ELi4ELi64ELi4ELi64ELc84ELc78ELb0ELb0ELb0EPKdS1_dEEviiiT16_PT17_ilS5_ilS3_S5_ilPT18_ili26rocblas_geam_ex_operation_,"axG",@progbits,_ZN12_GLOBAL__N_120geam_min_plus_kernelIdddLi4ELi64ELi128ELi128ELi4ELi4ELi64ELi4ELi64ELc84ELc78ELb0ELb0ELb0EPKdS1_dEEviiiT16_PT17_ilS5_ilS3_S5_ilPT18_ili26rocblas_geam_ex_operation_,comdat
	.globl	_ZN12_GLOBAL__N_120geam_min_plus_kernelIdddLi4ELi64ELi128ELi128ELi4ELi4ELi64ELi4ELi64ELc84ELc78ELb0ELb0ELb0EPKdS1_dEEviiiT16_PT17_ilS5_ilS3_S5_ilPT18_ili26rocblas_geam_ex_operation_ ; -- Begin function _ZN12_GLOBAL__N_120geam_min_plus_kernelIdddLi4ELi64ELi128ELi128ELi4ELi4ELi64ELi4ELi64ELc84ELc78ELb0ELb0ELb0EPKdS1_dEEviiiT16_PT17_ilS5_ilS3_S5_ilPT18_ili26rocblas_geam_ex_operation_
	.p2align	8
	.type	_ZN12_GLOBAL__N_120geam_min_plus_kernelIdddLi4ELi64ELi128ELi128ELi4ELi4ELi64ELi4ELi64ELc84ELc78ELb0ELb0ELb0EPKdS1_dEEviiiT16_PT17_ilS5_ilS3_S5_ilPT18_ili26rocblas_geam_ex_operation_,@function
_ZN12_GLOBAL__N_120geam_min_plus_kernelIdddLi4ELi64ELi128ELi128ELi4ELi4ELi64ELi4ELi64ELc84ELc78ELb0ELb0ELb0EPKdS1_dEEviiiT16_PT17_ilS5_ilS3_S5_ilPT18_ili26rocblas_geam_ex_operation_: ; @_ZN12_GLOBAL__N_120geam_min_plus_kernelIdddLi4ELi64ELi128ELi128ELi4ELi4ELi64ELi4ELi64ELc84ELc78ELb0ELb0ELb0EPKdS1_dEEviiiT16_PT17_ilS5_ilS3_S5_ilPT18_ili26rocblas_geam_ex_operation_
; %bb.0:
	s_load_dwordx4 s[12:15], s[0:1], 0x10
	s_load_dwordx4 s[4:7], s[0:1], 0x28
	s_mov_b32 s16, s3
	s_mov_b32 s17, 0
	s_lshl_b64 s[20:21], s[16:17], 3
	s_waitcnt lgkmcnt(0)
	s_add_u32 s12, s12, s20
	s_load_dwordx4 s[8:11], s[0:1], 0x40
	s_addc_u32 s13, s13, s21
	s_load_dwordx2 s[18:19], s[12:13], 0x0
	s_load_dwordx2 s[24:25], s[0:1], 0x50
	s_mov_b64 s[22:23], 0
	s_waitcnt lgkmcnt(0)
	s_add_u32 s10, s10, s20
	v_cmp_eq_f64_e64 s[12:13], s[18:19], 0
	s_addc_u32 s11, s11, s21
	s_mov_b64 s[20:21], 0
	v_cmp_neq_f64_e64 s[26:27], s[18:19], 0
	s_and_b64 vcc, exec, s[12:13]
	s_cbranch_vccnz .LBB186_2
; %bb.1:
	s_mul_i32 s3, s16, s5
	s_mul_hi_u32 s5, s16, s4
	s_add_i32 s5, s5, s3
	s_mul_i32 s4, s16, s4
	s_lshl_b64 s[4:5], s[4:5], 3
	s_add_u32 s22, s14, s4
	s_addc_u32 s23, s15, s5
.LBB186_2:
	s_load_dwordx2 s[12:13], s[10:11], 0x0
	v_cndmask_b32_e64 v1, 0, 1, s[26:27]
	v_cmp_ne_u32_e64 s[4:5], 1, v1
	s_andn2_b64 vcc, exec, s[26:27]
	s_cbranch_vccnz .LBB186_4
; %bb.3:
	s_mul_i32 s3, s16, s9
	s_mul_hi_u32 s9, s16, s8
	s_add_i32 s9, s9, s3
	s_mul_i32 s8, s16, s8
	s_lshl_b64 s[8:9], s[8:9], 3
	s_add_u32 s20, s6, s8
	s_addc_u32 s21, s7, s9
.LBB186_4:
	s_load_dwordx4 s[8:11], s[0:1], 0x60
	s_waitcnt lgkmcnt(0)
	v_cmp_eq_f64_e64 s[6:7], s[12:13], 0
	s_and_b64 s[6:7], exec, s[6:7]
	s_mov_b64 s[14:15], 0
	s_mov_b64 vcc, s[6:7]
	s_cbranch_vccnz .LBB186_6
; %bb.5:
	s_mul_i32 s3, s16, s9
	s_mul_hi_u32 s9, s16, s8
	s_add_i32 s9, s9, s3
	s_mul_i32 s8, s16, s8
	s_lshl_b64 s[8:9], s[8:9], 3
	s_add_u32 s14, s24, s8
	s_addc_u32 s15, s25, s9
.LBB186_6:
	s_load_dword s3, s[0:1], 0x0
	s_load_dword s17, s[0:1], 0x20
	v_and_b32_e32 v146, 0x3ff, v0
	v_bfe_u32 v147, v0, 10, 10
	v_and_b32_e32 v148, 3, v146
	s_waitcnt lgkmcnt(0)
	s_add_i32 s3, s3, -1
	s_ashr_i32 s8, s3, 31
	s_lshr_b32 s8, s8, 25
	s_add_i32 s3, s3, s8
	s_ashr_i32 s3, s3, 7
	s_add_i32 s8, s3, 1
	v_cvt_f32_u32_e32 v1, s8
	s_not_b32 s3, s3
	v_rcp_iflag_f32_e32 v1, v1
	s_nop 0
	v_mul_f32_e32 v0, 0x4f7ffffe, v1
	v_cvt_u32_f32_e32 v0, v0
	v_lshrrev_b32_e32 v1, 2, v146
	v_add_u32_e32 v10, v1, v147
	v_readfirstlane_b32 s9, v0
	s_mul_i32 s3, s3, s9
	s_mul_hi_u32 s3, s9, s3
	s_add_i32 s9, s9, s3
	s_mul_hi_u32 s3, s2, s9
	s_mul_i32 s9, s3, s8
	s_sub_i32 s9, s2, s9
	s_add_i32 s24, s3, 1
	s_sub_i32 s25, s9, s8
	s_cmp_ge_u32 s9, s8
	s_cselect_b32 s3, s24, s3
	s_cselect_b32 s9, s25, s9
	s_add_i32 s24, s3, 1
	s_cmp_ge_u32 s9, s8
	s_cselect_b32 s3, s24, s3
	s_mul_i32 s8, s3, s8
	s_sub_i32 s2, s2, s8
	s_lshl_b32 s8, s2, 7
	v_add_u32_e32 v137, s8, v10
	s_and_b64 vcc, exec, s[4:5]
	v_lshlrev_b32_e32 v0, 3, v148
	v_add_u32_e32 v136, 64, v137
	s_cbranch_vccnz .LBB186_8
; %bb.7:
	v_mov_b32_e32 v1, 0
	v_lshl_add_u64 v[2:3], s[22:23], 0, v[0:1]
	v_mad_i64_i32 v[4:5], s[24:25], v137, s17, 0
	v_lshl_add_u64 v[4:5], v[4:5], 3, v[2:3]
	v_mad_i64_i32 v[6:7], s[24:25], v136, s17, 0
	v_lshl_add_u64 v[2:3], v[6:7], 3, v[2:3]
	flat_load_dwordx2 v[6:7], v[4:5]
	flat_load_dwordx2 v[8:9], v[2:3]
	s_waitcnt vmcnt(0) lgkmcnt(0)
	v_mul_f64 v[2:3], s[18:19], v[6:7]
	v_mul_f64 v[4:5], s[18:19], v[8:9]
	s_branch .LBB186_9
.LBB186_8:
	v_mov_b64_e32 v[2:3], 0
	v_mov_b64_e32 v[4:5], 0
.LBB186_9:
	s_load_dword s24, s[0:1], 0x38
	s_lshl_b32 s9, s3, 7
	v_add_u32_e32 v139, s9, v10
	s_and_b64 vcc, exec, s[4:5]
	v_add_u32_e32 v138, 64, v139
	s_cbranch_vccnz .LBB186_13
; %bb.10:
	v_mov_b32_e32 v1, 0
	v_lshl_add_u64 v[6:7], s[20:21], 0, v[0:1]
	s_waitcnt lgkmcnt(0)
	v_mad_i64_i32 v[8:9], s[2:3], v139, s24, 0
	v_lshl_add_u64 v[8:9], v[8:9], 3, v[6:7]
	v_mad_i64_i32 v[12:13], s[2:3], v138, s24, 0
	v_lshl_add_u64 v[6:7], v[12:13], 3, v[6:7]
	flat_load_dwordx2 v[12:13], v[8:9]
	flat_load_dwordx2 v[14:15], v[6:7]
	s_waitcnt vmcnt(0) lgkmcnt(0)
	v_mul_f64 v[6:7], s[18:19], v[12:13]
	v_mul_f64 v[8:9], s[18:19], v[14:15]
	s_and_b64 vcc, exec, s[4:5]
	s_cbranch_vccnz .LBB186_14
.LBB186_11:
	v_mov_b32_e32 v1, 0
	v_lshl_add_u64 v[12:13], s[22:23], 0, v[0:1]
	v_mad_i64_i32 v[14:15], s[2:3], v137, s17, 0
	v_lshl_add_u64 v[14:15], v[14:15], 3, v[12:13]
	v_mad_i64_i32 v[16:17], s[2:3], v136, s17, 0
	v_lshl_add_u64 v[12:13], v[16:17], 3, v[12:13]
	flat_load_dwordx2 v[16:17], v[14:15] offset:32
	flat_load_dwordx2 v[18:19], v[12:13] offset:32
	s_waitcnt vmcnt(0) lgkmcnt(0)
	v_mul_f64 v[128:129], s[18:19], v[16:17]
	v_mul_f64 v[130:131], s[18:19], v[18:19]
	s_and_b64 vcc, exec, s[4:5]
	s_cbranch_vccnz .LBB186_15
.LBB186_12:
	v_mov_b32_e32 v1, 0
	v_lshl_add_u64 v[12:13], s[20:21], 0, v[0:1]
	s_waitcnt lgkmcnt(0)
	v_mad_i64_i32 v[14:15], s[2:3], v139, s24, 0
	v_lshl_add_u64 v[14:15], v[14:15], 3, v[12:13]
	v_mad_i64_i32 v[16:17], s[2:3], v138, s24, 0
	v_lshl_add_u64 v[12:13], v[16:17], 3, v[12:13]
	flat_load_dwordx2 v[16:17], v[14:15] offset:32
	flat_load_dwordx2 v[18:19], v[12:13] offset:32
	s_waitcnt vmcnt(0) lgkmcnt(0)
	v_mul_f64 v[132:133], s[18:19], v[16:17]
	v_mul_f64 v[134:135], s[18:19], v[18:19]
	s_branch .LBB186_16
.LBB186_13:
	v_mov_b64_e32 v[6:7], 0
	v_mov_b64_e32 v[8:9], 0
	s_and_b64 vcc, exec, s[4:5]
	s_cbranch_vccz .LBB186_11
.LBB186_14:
	v_mov_b64_e32 v[128:129], 0
	v_mov_b64_e32 v[130:131], 0
	s_and_b64 vcc, exec, s[4:5]
	s_cbranch_vccz .LBB186_12
.LBB186_15:
	v_mov_b64_e32 v[132:133], 0
	v_mov_b64_e32 v[134:135], 0
.LBB186_16:
	v_lshl_or_b32 v149, v10, 5, v0
	v_lshlrev_b32_e32 v140, 5, v147
	ds_write2st64_b64 v149, v[2:3], v[4:5] offset1:4
	v_add_u32_e32 v150, 0x2000, v149
	ds_write2st64_b64 v149, v[6:7], v[8:9] offset0:16 offset1:20
	v_lshlrev_b32_e32 v151, 5, v146
	v_add_u32_e32 v152, 0x2000, v140
	s_mov_b32 s2, 0
	v_mov_b64_e32 v[126:127], 0
	v_mov_b64_e32 v[124:125], 0
	;; [unrolled: 1-line block ×64, first 2 shown]
	s_waitcnt lgkmcnt(0)
	s_barrier
.LBB186_17:                             ; =>This Inner Loop Header: Depth=1
	v_add_u32_e32 v141, s2, v151
	v_add_u32_e32 v153, s2, v152
	ds_read2_b64 v[142:145], v141 offset1:16
	ds_read2_b64 v[154:157], v141 offset0:32 offset1:48
	ds_read2_b64 v[158:161], v141 offset0:64 offset1:80
	;; [unrolled: 1-line block ×7, first 2 shown]
	ds_read2st64_b64 v[182:185], v153 offset1:4
	v_add_u32_e32 v141, 0x800, v141
	ds_read2_b64 v[186:189], v141 offset1:16
	ds_read2_b64 v[190:193], v141 offset0:32 offset1:48
	ds_read2_b64 v[194:197], v141 offset0:64 offset1:80
	;; [unrolled: 1-line block ×7, first 2 shown]
	s_waitcnt lgkmcnt(14)
	v_max_f64 v[142:143], v[142:143], v[142:143]
	v_max_f64 v[144:145], v[144:145], v[144:145]
	;; [unrolled: 1-line block ×6, first 2 shown]
	s_waitcnt lgkmcnt(13)
	v_max_f64 v[162:163], v[162:163], v[162:163]
	v_max_f64 v[164:165], v[164:165], v[164:165]
	s_waitcnt lgkmcnt(12)
	v_max_f64 v[166:167], v[166:167], v[166:167]
	v_max_f64 v[168:169], v[168:169], v[168:169]
	;; [unrolled: 3-line block ×14, first 2 shown]
	v_min_f64 v[218:219], v[142:143], v[182:183]
	v_min_f64 v[220:221], v[144:145], v[182:183]
	;; [unrolled: 1-line block ×32, first 2 shown]
	s_add_i32 s2, s2, 8
	v_add_f64 v[62:63], v[142:143], v[62:63]
	v_add_f64 v[60:61], v[144:145], v[60:61]
	;; [unrolled: 1-line block ×16, first 2 shown]
	v_min_f64 v[142:143], v[186:187], v[182:183]
	v_min_f64 v[144:145], v[188:189], v[182:183]
	;; [unrolled: 1-line block ×32, first 2 shown]
	s_cmp_eq_u32 s2, 32
	v_add_f64 v[126:127], v[218:219], v[126:127]
	v_add_f64 v[124:125], v[220:221], v[124:125]
	;; [unrolled: 1-line block ×48, first 2 shown]
	s_cbranch_scc0 .LBB186_17
; %bb.18:
	s_load_dword s25, s[0:1], 0x8
	ds_write2st64_b64 v149, v[128:129], v[130:131] offset0:8 offset1:12
	ds_write2st64_b64 v149, v[132:133], v[134:135] offset0:24 offset1:28
	s_waitcnt lgkmcnt(0)
	s_barrier
	s_cmp_gt_i32 s25, 8
	s_cbranch_scc1 .LBB186_20
; %bb.19:
	v_add_u32_e32 v153, 0x1000, v151
	v_add_u32_e32 v154, 0x3000, v140
	s_cbranch_execz .LBB186_21
	s_branch .LBB186_37
.LBB186_20:
                                        ; implicit-def: $vgpr153
                                        ; implicit-def: $vgpr154
.LBB186_21:
	v_add_u32_e32 v155, 0x1000, v149
	v_add_u32_e32 v156, 0x3000, v149
	s_add_i32 s2, s25, -8
	v_mad_i64_i32 v[128:129], s[26:27], v137, s17, 0
	v_mad_i64_i32 v[130:131], s[26:27], v136, s17, 0
	;; [unrolled: 1-line block ×4, first 2 shown]
	v_add_u32_e32 v153, 0x1000, v151
	v_add_u32_e32 v154, 0x3000, v140
	s_mov_b32 s3, 8
	s_mov_b32 s17, 0
	v_mov_b32_e32 v137, 0
.LBB186_22:                             ; =>This Loop Header: Depth=1
                                        ;     Child Loop BB186_28 Depth 2
                                        ;     Child Loop BB186_35 Depth 2
	s_and_b64 vcc, exec, s[4:5]
	v_or_b32_e32 v136, s3, v148
	s_cbranch_vccnz .LBB186_25
; %bb.23:                               ;   in Loop: Header=BB186_22 Depth=1
	v_lshl_add_u64 v[138:139], v[136:137], 3, s[22:23]
	v_lshl_add_u64 v[140:141], v[128:129], 3, v[138:139]
	;; [unrolled: 1-line block ×3, first 2 shown]
	flat_load_dwordx2 v[140:141], v[140:141]
	s_nop 0
	flat_load_dwordx2 v[142:143], v[138:139]
	s_waitcnt vmcnt(0) lgkmcnt(0)
	v_mul_f64 v[138:139], s[18:19], v[140:141]
	v_mul_f64 v[140:141], s[18:19], v[142:143]
	s_and_b64 vcc, exec, s[4:5]
	s_cbranch_vccnz .LBB186_26
.LBB186_24:                             ;   in Loop: Header=BB186_22 Depth=1
	v_lshl_add_u64 v[142:143], v[136:137], 3, s[20:21]
	v_lshl_add_u64 v[144:145], v[132:133], 3, v[142:143]
	;; [unrolled: 1-line block ×3, first 2 shown]
	flat_load_dwordx2 v[144:145], v[144:145]
	s_nop 0
	flat_load_dwordx2 v[158:159], v[142:143]
	s_waitcnt vmcnt(0) lgkmcnt(0)
	v_mul_f64 v[142:143], s[18:19], v[144:145]
	v_mul_f64 v[144:145], s[18:19], v[158:159]
	s_branch .LBB186_27
.LBB186_25:                             ;   in Loop: Header=BB186_22 Depth=1
	v_mov_b64_e32 v[138:139], 0
	v_mov_b64_e32 v[140:141], 0
	s_and_b64 vcc, exec, s[4:5]
	s_cbranch_vccz .LBB186_24
.LBB186_26:                             ;   in Loop: Header=BB186_22 Depth=1
	v_mov_b64_e32 v[142:143], 0
	v_mov_b64_e32 v[144:145], 0
.LBB186_27:                             ;   in Loop: Header=BB186_22 Depth=1
	s_mov_b32 s24, 0
.LBB186_28:                             ;   Parent Loop BB186_22 Depth=1
                                        ; =>  This Inner Loop Header: Depth=2
	v_add_u32_e32 v157, s24, v153
	ds_read2_b64 v[158:161], v157 offset1:16
	ds_read2_b64 v[162:165], v157 offset0:32 offset1:48
	ds_read2_b64 v[166:169], v157 offset0:64 offset1:80
	;; [unrolled: 1-line block ×7, first 2 shown]
	v_add_u32_e32 v157, 0x800, v157
	ds_read2_b64 v[190:193], v157 offset1:16
	ds_read2_b64 v[194:197], v157 offset0:32 offset1:48
	ds_read2_b64 v[198:201], v157 offset0:64 offset1:80
	;; [unrolled: 1-line block ×7, first 2 shown]
	v_add_u32_e32 v157, s24, v154
	ds_read2st64_b64 v[222:225], v157 offset1:4
	s_waitcnt lgkmcnt(14)
	v_max_f64 v[158:159], v[158:159], v[158:159]
	v_max_f64 v[160:161], v[160:161], v[160:161]
	;; [unrolled: 1-line block ×4, first 2 shown]
	s_waitcnt lgkmcnt(0)
	v_max_f64 v[222:223], v[222:223], v[222:223]
	v_min_f64 v[226:227], v[158:159], v[222:223]
	v_add_f64 v[126:127], v[226:227], v[126:127]
	v_min_f64 v[226:227], v[160:161], v[222:223]
	v_add_f64 v[124:125], v[226:227], v[124:125]
	;; [unrolled: 2-line block ×3, first 2 shown]
	v_min_f64 v[226:227], v[164:165], v[222:223]
	v_max_f64 v[166:167], v[166:167], v[166:167]
	v_add_f64 v[120:121], v[226:227], v[120:121]
	v_min_f64 v[226:227], v[166:167], v[222:223]
	v_max_f64 v[168:169], v[168:169], v[168:169]
	v_add_f64 v[118:119], v[226:227], v[118:119]
	;; [unrolled: 3-line block ×26, first 2 shown]
	v_min_f64 v[226:227], v[216:217], v[222:223]
	v_max_f64 v[218:219], v[218:219], v[218:219]
	v_max_f64 v[220:221], v[220:221], v[220:221]
	v_add_f64 v[68:69], v[226:227], v[68:69]
	v_min_f64 v[226:227], v[218:219], v[222:223]
	v_min_f64 v[222:223], v[220:221], v[222:223]
	v_add_f64 v[64:65], v[222:223], v[64:65]
	v_max_f64 v[222:223], v[224:225], v[224:225]
	v_min_f64 v[158:159], v[158:159], v[222:223]
	v_add_f64 v[62:63], v[158:159], v[62:63]
	v_min_f64 v[158:159], v[160:161], v[222:223]
	v_add_f64 v[60:61], v[158:159], v[60:61]
	;; [unrolled: 2-line block ×31, first 2 shown]
	v_min_f64 v[158:159], v[220:221], v[222:223]
	s_add_i32 s24, s24, 8
	v_add_f64 v[66:67], v[226:227], v[66:67]
	v_add_f64 v[0:1], v[158:159], v[0:1]
	s_cmp_eq_u32 s24, 32
	s_cbranch_scc0 .LBB186_28
; %bb.29:                               ;   in Loop: Header=BB186_22 Depth=1
	s_and_b64 vcc, exec, s[4:5]
	ds_write2st64_b64 v149, v[138:139], v[140:141] offset1:4
	ds_write2st64_b64 v150, v[142:143], v[144:145] offset1:4
	s_waitcnt lgkmcnt(0)
	s_barrier
	s_cbranch_vccnz .LBB186_32
; %bb.30:                               ;   in Loop: Header=BB186_22 Depth=1
	v_lshl_add_u64 v[138:139], v[136:137], 3, s[22:23]
	v_lshl_add_u64 v[140:141], v[128:129], 3, v[138:139]
	;; [unrolled: 1-line block ×3, first 2 shown]
	flat_load_dwordx2 v[140:141], v[140:141] offset:32
	s_nop 0
	flat_load_dwordx2 v[142:143], v[138:139] offset:32
	s_waitcnt vmcnt(0) lgkmcnt(0)
	v_mul_f64 v[138:139], s[18:19], v[140:141]
	v_mul_f64 v[140:141], s[18:19], v[142:143]
	s_and_b64 vcc, exec, s[4:5]
	s_cbranch_vccnz .LBB186_33
.LBB186_31:                             ;   in Loop: Header=BB186_22 Depth=1
	v_lshl_add_u64 v[142:143], v[136:137], 3, s[20:21]
	v_lshl_add_u64 v[144:145], v[132:133], 3, v[142:143]
	;; [unrolled: 1-line block ×3, first 2 shown]
	flat_load_dwordx2 v[144:145], v[144:145] offset:32
	s_nop 0
	flat_load_dwordx2 v[158:159], v[142:143] offset:32
	s_waitcnt vmcnt(0) lgkmcnt(0)
	v_mul_f64 v[142:143], s[18:19], v[144:145]
	v_mul_f64 v[144:145], s[18:19], v[158:159]
	s_branch .LBB186_34
.LBB186_32:                             ;   in Loop: Header=BB186_22 Depth=1
	v_mov_b64_e32 v[138:139], 0
	v_mov_b64_e32 v[140:141], 0
	s_and_b64 vcc, exec, s[4:5]
	s_cbranch_vccz .LBB186_31
.LBB186_33:                             ;   in Loop: Header=BB186_22 Depth=1
	v_mov_b64_e32 v[142:143], 0
	v_mov_b64_e32 v[144:145], 0
.LBB186_34:                             ;   in Loop: Header=BB186_22 Depth=1
	s_mov_b32 s24, 0
.LBB186_35:                             ;   Parent Loop BB186_22 Depth=1
                                        ; =>  This Inner Loop Header: Depth=2
	v_add_u32_e32 v136, s24, v151
	ds_read2_b64 v[158:161], v136 offset1:16
	ds_read2_b64 v[162:165], v136 offset0:32 offset1:48
	ds_read2_b64 v[166:169], v136 offset0:64 offset1:80
	;; [unrolled: 1-line block ×7, first 2 shown]
	v_add_u32_e32 v136, 0x800, v136
	ds_read2_b64 v[190:193], v136 offset1:16
	ds_read2_b64 v[194:197], v136 offset0:32 offset1:48
	ds_read2_b64 v[198:201], v136 offset0:64 offset1:80
	;; [unrolled: 1-line block ×7, first 2 shown]
	v_add_u32_e32 v136, s24, v152
	ds_read2st64_b64 v[222:225], v136 offset1:4
	s_waitcnt lgkmcnt(14)
	v_max_f64 v[158:159], v[158:159], v[158:159]
	v_max_f64 v[160:161], v[160:161], v[160:161]
	;; [unrolled: 1-line block ×4, first 2 shown]
	s_waitcnt lgkmcnt(0)
	v_max_f64 v[222:223], v[222:223], v[222:223]
	v_min_f64 v[226:227], v[158:159], v[222:223]
	v_add_f64 v[126:127], v[226:227], v[126:127]
	v_min_f64 v[226:227], v[160:161], v[222:223]
	v_add_f64 v[124:125], v[226:227], v[124:125]
	;; [unrolled: 2-line block ×3, first 2 shown]
	v_min_f64 v[226:227], v[164:165], v[222:223]
	v_max_f64 v[166:167], v[166:167], v[166:167]
	v_add_f64 v[120:121], v[226:227], v[120:121]
	v_min_f64 v[226:227], v[166:167], v[222:223]
	v_max_f64 v[168:169], v[168:169], v[168:169]
	v_add_f64 v[118:119], v[226:227], v[118:119]
	;; [unrolled: 3-line block ×26, first 2 shown]
	v_min_f64 v[226:227], v[216:217], v[222:223]
	v_max_f64 v[218:219], v[218:219], v[218:219]
	v_max_f64 v[220:221], v[220:221], v[220:221]
	v_add_f64 v[68:69], v[226:227], v[68:69]
	v_min_f64 v[226:227], v[218:219], v[222:223]
	v_min_f64 v[222:223], v[220:221], v[222:223]
	v_add_f64 v[64:65], v[222:223], v[64:65]
	v_max_f64 v[222:223], v[224:225], v[224:225]
	v_min_f64 v[158:159], v[158:159], v[222:223]
	v_add_f64 v[62:63], v[158:159], v[62:63]
	v_min_f64 v[158:159], v[160:161], v[222:223]
	v_add_f64 v[60:61], v[158:159], v[60:61]
	v_min_f64 v[158:159], v[162:163], v[222:223]
	v_add_f64 v[58:59], v[158:159], v[58:59]
	v_min_f64 v[158:159], v[164:165], v[222:223]
	v_add_f64 v[56:57], v[158:159], v[56:57]
	v_min_f64 v[158:159], v[166:167], v[222:223]
	v_add_f64 v[54:55], v[158:159], v[54:55]
	v_min_f64 v[158:159], v[168:169], v[222:223]
	v_add_f64 v[52:53], v[158:159], v[52:53]
	v_min_f64 v[158:159], v[170:171], v[222:223]
	v_add_f64 v[50:51], v[158:159], v[50:51]
	v_min_f64 v[158:159], v[172:173], v[222:223]
	v_add_f64 v[48:49], v[158:159], v[48:49]
	v_min_f64 v[158:159], v[174:175], v[222:223]
	v_add_f64 v[46:47], v[158:159], v[46:47]
	v_min_f64 v[158:159], v[176:177], v[222:223]
	v_add_f64 v[44:45], v[158:159], v[44:45]
	v_min_f64 v[158:159], v[178:179], v[222:223]
	v_add_f64 v[42:43], v[158:159], v[42:43]
	v_min_f64 v[158:159], v[180:181], v[222:223]
	v_add_f64 v[40:41], v[158:159], v[40:41]
	v_min_f64 v[158:159], v[182:183], v[222:223]
	v_add_f64 v[38:39], v[158:159], v[38:39]
	v_min_f64 v[158:159], v[184:185], v[222:223]
	v_add_f64 v[36:37], v[158:159], v[36:37]
	v_min_f64 v[158:159], v[186:187], v[222:223]
	v_add_f64 v[34:35], v[158:159], v[34:35]
	v_min_f64 v[158:159], v[188:189], v[222:223]
	v_add_f64 v[32:33], v[158:159], v[32:33]
	v_min_f64 v[158:159], v[190:191], v[222:223]
	v_add_f64 v[30:31], v[158:159], v[30:31]
	v_min_f64 v[158:159], v[192:193], v[222:223]
	v_add_f64 v[28:29], v[158:159], v[28:29]
	v_min_f64 v[158:159], v[194:195], v[222:223]
	v_add_f64 v[26:27], v[158:159], v[26:27]
	v_min_f64 v[158:159], v[196:197], v[222:223]
	v_add_f64 v[24:25], v[158:159], v[24:25]
	v_min_f64 v[158:159], v[198:199], v[222:223]
	v_add_f64 v[22:23], v[158:159], v[22:23]
	v_min_f64 v[158:159], v[200:201], v[222:223]
	v_add_f64 v[20:21], v[158:159], v[20:21]
	v_min_f64 v[158:159], v[202:203], v[222:223]
	v_add_f64 v[18:19], v[158:159], v[18:19]
	v_min_f64 v[158:159], v[204:205], v[222:223]
	v_add_f64 v[16:17], v[158:159], v[16:17]
	v_min_f64 v[158:159], v[206:207], v[222:223]
	v_add_f64 v[14:15], v[158:159], v[14:15]
	v_min_f64 v[158:159], v[208:209], v[222:223]
	v_add_f64 v[12:13], v[158:159], v[12:13]
	v_min_f64 v[158:159], v[210:211], v[222:223]
	v_add_f64 v[10:11], v[158:159], v[10:11]
	v_min_f64 v[158:159], v[212:213], v[222:223]
	v_add_f64 v[8:9], v[158:159], v[8:9]
	v_min_f64 v[158:159], v[214:215], v[222:223]
	v_add_f64 v[6:7], v[158:159], v[6:7]
	v_min_f64 v[158:159], v[216:217], v[222:223]
	v_add_f64 v[4:5], v[158:159], v[4:5]
	v_min_f64 v[158:159], v[218:219], v[222:223]
	v_add_f64 v[2:3], v[158:159], v[2:3]
	v_min_f64 v[158:159], v[220:221], v[222:223]
	s_add_i32 s24, s24, 8
	v_add_f64 v[66:67], v[226:227], v[66:67]
	v_add_f64 v[0:1], v[158:159], v[0:1]
	s_cmp_eq_u32 s24, 32
	s_cbranch_scc0 .LBB186_35
; %bb.36:                               ;   in Loop: Header=BB186_22 Depth=1
	s_add_i32 s3, s3, 8
	s_add_i32 s17, s17, 8
	s_cmp_ge_i32 s17, s2
	ds_write2st64_b64 v155, v[138:139], v[140:141] offset1:4
	ds_write2st64_b64 v156, v[142:143], v[144:145] offset1:4
	s_waitcnt lgkmcnt(0)
	s_barrier
	s_cbranch_scc0 .LBB186_22
.LBB186_37:
	s_mov_b32 s2, 0
.LBB186_38:                             ; =>This Inner Loop Header: Depth=1
	v_add_u32_e32 v144, s2, v153
	v_add_u32_e32 v145, s2, v154
	ds_read2_b64 v[128:131], v144 offset1:16
	ds_read2_b64 v[132:135], v144 offset0:32 offset1:48
	ds_read2_b64 v[136:139], v144 offset0:64 offset1:80
	;; [unrolled: 1-line block ×7, first 2 shown]
	v_add_u32_e32 v144, 0x800, v144
	ds_read2st64_b64 v[168:171], v145 offset1:4
	ds_read2_b64 v[172:175], v144 offset1:16
	ds_read2_b64 v[176:179], v144 offset0:32 offset1:48
	ds_read2_b64 v[180:183], v144 offset0:64 offset1:80
	;; [unrolled: 1-line block ×7, first 2 shown]
	s_waitcnt lgkmcnt(14)
	v_max_f64 v[128:129], v[128:129], v[128:129]
	v_max_f64 v[130:131], v[130:131], v[130:131]
	;; [unrolled: 1-line block ×3, first 2 shown]
	s_waitcnt lgkmcnt(8)
	v_max_f64 v[144:145], v[168:169], v[168:169]
	v_max_f64 v[134:135], v[134:135], v[134:135]
	v_max_f64 v[136:137], v[136:137], v[136:137]
	v_max_f64 v[138:139], v[138:139], v[138:139]
	v_max_f64 v[140:141], v[140:141], v[140:141]
	v_max_f64 v[142:143], v[142:143], v[142:143]
	v_max_f64 v[148:149], v[148:149], v[148:149]
	v_max_f64 v[150:151], v[150:151], v[150:151]
	v_max_f64 v[156:157], v[156:157], v[156:157]
	v_max_f64 v[158:159], v[158:159], v[158:159]
	v_max_f64 v[160:161], v[160:161], v[160:161]
	v_max_f64 v[162:163], v[162:163], v[162:163]
	v_max_f64 v[164:165], v[164:165], v[164:165]
	v_max_f64 v[166:167], v[166:167], v[166:167]
	v_max_f64 v[168:169], v[170:171], v[170:171]
	v_min_f64 v[170:171], v[128:129], v[144:145]
	v_min_f64 v[204:205], v[130:131], v[144:145]
	v_min_f64 v[206:207], v[132:133], v[144:145]
	v_min_f64 v[208:209], v[134:135], v[144:145]
	v_min_f64 v[210:211], v[136:137], v[144:145]
	v_min_f64 v[212:213], v[138:139], v[144:145]
	v_min_f64 v[214:215], v[140:141], v[144:145]
	v_min_f64 v[216:217], v[142:143], v[144:145]
	v_min_f64 v[218:219], v[148:149], v[144:145]
	v_min_f64 v[220:221], v[150:151], v[144:145]
	v_min_f64 v[222:223], v[156:157], v[144:145]
	v_min_f64 v[224:225], v[158:159], v[144:145]
	v_min_f64 v[226:227], v[160:161], v[144:145]
	v_min_f64 v[228:229], v[162:163], v[144:145]
	v_min_f64 v[230:231], v[164:165], v[144:145]
	v_min_f64 v[232:233], v[166:167], v[144:145]
	s_waitcnt lgkmcnt(7)
	v_max_f64 v[172:173], v[172:173], v[172:173]
	v_max_f64 v[174:175], v[174:175], v[174:175]
	s_waitcnt lgkmcnt(6)
	v_max_f64 v[176:177], v[176:177], v[176:177]
	v_max_f64 v[178:179], v[178:179], v[178:179]
	;; [unrolled: 3-line block ×8, first 2 shown]
	v_min_f64 v[128:129], v[128:129], v[168:169]
	v_min_f64 v[130:131], v[130:131], v[168:169]
	;; [unrolled: 1-line block ×16, first 2 shown]
	s_add_i32 s2, s2, 8
	v_add_f64 v[126:127], v[170:171], v[126:127]
	v_add_f64 v[124:125], v[204:205], v[124:125]
	;; [unrolled: 1-line block ×15, first 2 shown]
	v_min_f64 v[170:171], v[172:173], v[144:145]
	v_min_f64 v[204:205], v[174:175], v[144:145]
	;; [unrolled: 1-line block ×16, first 2 shown]
	v_add_f64 v[62:63], v[128:129], v[62:63]
	v_add_f64 v[60:61], v[130:131], v[60:61]
	;; [unrolled: 1-line block ×16, first 2 shown]
	v_min_f64 v[128:129], v[172:173], v[168:169]
	v_min_f64 v[130:131], v[174:175], v[168:169]
	;; [unrolled: 1-line block ×16, first 2 shown]
	s_cmp_eq_u32 s2, 32
	v_add_f64 v[96:97], v[232:233], v[96:97]
	v_add_f64 v[94:95], v[170:171], v[94:95]
	;; [unrolled: 1-line block ×33, first 2 shown]
	s_cbranch_scc0 .LBB186_38
; %bb.39:
	s_load_dwordx2 s[2:3], s[0:1], 0x78
	s_load_dword s4, s[0:1], 0x58
	s_load_dword s5, s[0:1], 0x70
	v_add_u32_e32 v130, s8, v146
	v_add_u32_e32 v170, s9, v147
	s_waitcnt lgkmcnt(0)
	s_mul_i32 s1, s16, s3
	s_mul_hi_u32 s3, s16, s2
	s_mul_i32 s0, s16, s2
	s_add_i32 s1, s3, s1
	s_lshl_b64 s[0:1], s[0:1], 3
	s_add_u32 s0, s10, s0
	s_addc_u32 s1, s11, s1
	v_add_u32_e32 v128, 4, v130
	v_mad_i64_i32 v[132:133], s[2:3], v170, s5, 0
	v_ashrrev_i32_e32 v131, 31, v130
	v_ashrrev_i32_e32 v129, 31, v128
	v_lshl_add_u64 v[138:139], v[132:133], 3, s[0:1]
	v_mad_i64_i32 v[132:133], s[2:3], v170, s4, 0
	s_mov_b64 vcc, s[6:7]
	s_cbranch_vccz .LBB186_42
; %bb.40:
	v_add_f64 v[134:135], v[126:127], 0
	v_lshl_add_u64 v[136:137], v[130:131], 3, v[138:139]
	s_mov_b64 s[2:3], 0
	global_store_dwordx2 v[136:137], v[134:135], off
	v_lshl_add_u64 v[146:147], v[132:133], 3, s[14:15]
	v_lshlrev_b64 v[134:135], 3, v[130:131]
	s_cbranch_execz .LBB186_43
; %bb.41:
	v_mov_b64_e32 v[136:137], s[2:3]
	s_branch .LBB186_44
.LBB186_42:
	s_mov_b64 s[2:3], -1
	v_lshl_add_u64 v[146:147], v[132:133], 3, s[14:15]
	v_lshlrev_b64 v[134:135], 3, v[130:131]
.LBB186_43:
	v_lshl_add_u64 v[132:133], v[146:147], 0, v[134:135]
	flat_load_dwordx2 v[132:133], v[132:133]
	v_lshl_add_u64 v[136:137], v[138:139], 0, v[134:135]
	s_waitcnt vmcnt(0) lgkmcnt(0)
	v_fmac_f64_e32 v[126:127], s[12:13], v[132:133]
	global_store_dwordx2 v[136:137], v[126:127], off
	v_lshl_add_u64 v[126:127], v[128:129], 3, v[146:147]
	flat_load_dwordx2 v[126:127], v[126:127]
	s_waitcnt vmcnt(0) lgkmcnt(0)
	v_mul_f64 v[136:137], s[12:13], v[126:127]
.LBB186_44:
	v_add_u32_e32 v132, 8, v130
	v_add_u32_e32 v126, 12, v130
	v_ashrrev_i32_e32 v133, 31, v132
	v_ashrrev_i32_e32 v127, 31, v126
	v_add_f64 v[124:125], v[124:125], v[136:137]
	v_lshl_add_u64 v[136:137], v[128:129], 3, v[138:139]
	s_mov_b64 vcc, s[6:7]
	global_store_dwordx2 v[136:137], v[124:125], off
	s_cbranch_vccz .LBB186_47
; %bb.45:
	v_add_f64 v[124:125], v[122:123], 0
	v_lshl_add_u64 v[136:137], v[132:133], 3, v[138:139]
	s_mov_b64 s[2:3], 0
	global_store_dwordx2 v[136:137], v[124:125], off
	v_lshlrev_b64 v[136:137], 3, v[132:133]
	s_cbranch_execz .LBB186_48
; %bb.46:
	v_mov_b64_e32 v[140:141], s[2:3]
	s_branch .LBB186_49
.LBB186_47:
	s_mov_b64 s[2:3], -1
	v_lshlrev_b64 v[136:137], 3, v[132:133]
.LBB186_48:
	v_lshl_add_u64 v[124:125], v[146:147], 0, v[136:137]
	flat_load_dwordx2 v[124:125], v[124:125]
	v_lshl_add_u64 v[140:141], v[138:139], 0, v[136:137]
	s_waitcnt vmcnt(0) lgkmcnt(0)
	v_fmac_f64_e32 v[122:123], s[12:13], v[124:125]
	global_store_dwordx2 v[140:141], v[122:123], off
	v_lshl_add_u64 v[122:123], v[126:127], 3, v[146:147]
	flat_load_dwordx2 v[122:123], v[122:123]
	s_waitcnt vmcnt(0) lgkmcnt(0)
	v_mul_f64 v[140:141], s[12:13], v[122:123]
.LBB186_49:
	v_add_u32_e32 v124, 16, v130
	v_add_u32_e32 v122, 20, v130
	v_ashrrev_i32_e32 v125, 31, v124
	v_ashrrev_i32_e32 v123, 31, v122
	v_add_f64 v[120:121], v[120:121], v[140:141]
	v_lshl_add_u64 v[140:141], v[126:127], 3, v[138:139]
	s_mov_b64 vcc, s[6:7]
	global_store_dwordx2 v[140:141], v[120:121], off
	s_cbranch_vccz .LBB186_52
; %bb.50:
	v_add_f64 v[120:121], v[118:119], 0
	v_lshl_add_u64 v[140:141], v[124:125], 3, v[138:139]
	s_mov_b64 s[2:3], 0
	global_store_dwordx2 v[140:141], v[120:121], off
	v_lshlrev_b64 v[140:141], 3, v[124:125]
	s_cbranch_execz .LBB186_53
; %bb.51:
	v_mov_b64_e32 v[142:143], s[2:3]
	s_branch .LBB186_54
.LBB186_52:
	s_mov_b64 s[2:3], -1
	v_lshlrev_b64 v[140:141], 3, v[124:125]
.LBB186_53:
	v_lshl_add_u64 v[120:121], v[146:147], 0, v[140:141]
	flat_load_dwordx2 v[120:121], v[120:121]
	v_lshl_add_u64 v[142:143], v[138:139], 0, v[140:141]
	s_waitcnt vmcnt(0) lgkmcnt(0)
	v_fmac_f64_e32 v[118:119], s[12:13], v[120:121]
	global_store_dwordx2 v[142:143], v[118:119], off
	v_lshl_add_u64 v[118:119], v[122:123], 3, v[146:147]
	flat_load_dwordx2 v[118:119], v[118:119]
	s_waitcnt vmcnt(0) lgkmcnt(0)
	v_mul_f64 v[142:143], s[12:13], v[118:119]
.LBB186_54:
	;; [unrolled: 34-line block ×15, first 2 shown]
	v_add_f64 v[64:65], v[64:65], v[66:67]
	v_lshl_add_u64 v[66:67], v[70:71], 3, v[138:139]
	global_store_dwordx2 v[66:67], v[64:65], off
	v_add_u32_e32 v66, 64, v170
	v_mad_i64_i32 v[64:65], s[2:3], v66, s5, 0
	v_lshl_add_u64 v[64:65], v[64:65], 3, s[0:1]
	v_mad_i64_i32 v[66:67], s[0:1], v66, s4, 0
	s_mov_b64 vcc, s[6:7]
	s_cbranch_vccz .LBB186_122
; %bb.120:
	v_add_f64 v[138:139], v[62:63], 0
	v_lshl_add_u64 v[130:131], v[130:131], 3, v[64:65]
	s_mov_b64 s[0:1], 0
	global_store_dwordx2 v[130:131], v[138:139], off
	v_lshl_add_u64 v[66:67], v[66:67], 3, s[14:15]
	s_cbranch_execz .LBB186_123
; %bb.121:
	v_mov_b64_e32 v[62:63], s[0:1]
	s_branch .LBB186_124
.LBB186_122:
	s_mov_b64 s[0:1], -1
	v_lshl_add_u64 v[66:67], v[66:67], 3, s[14:15]
.LBB186_123:
	v_lshl_add_u64 v[130:131], v[66:67], 0, v[134:135]
	flat_load_dwordx2 v[130:131], v[130:131]
	v_lshl_add_u64 v[134:135], v[64:65], 0, v[134:135]
	s_waitcnt vmcnt(0) lgkmcnt(0)
	v_fmac_f64_e32 v[62:63], s[12:13], v[130:131]
	global_store_dwordx2 v[134:135], v[62:63], off
	v_lshl_add_u64 v[62:63], v[128:129], 3, v[66:67]
	flat_load_dwordx2 v[62:63], v[62:63]
	s_waitcnt vmcnt(0) lgkmcnt(0)
	v_mul_f64 v[62:63], s[12:13], v[62:63]
.LBB186_124:
	v_add_f64 v[60:61], v[60:61], v[62:63]
	v_lshl_add_u64 v[62:63], v[128:129], 3, v[64:65]
	s_mov_b64 vcc, s[6:7]
	global_store_dwordx2 v[62:63], v[60:61], off
	s_cbranch_vccz .LBB186_127
; %bb.125:
	v_add_f64 v[60:61], v[58:59], 0
	v_lshl_add_u64 v[62:63], v[132:133], 3, v[64:65]
	s_mov_b64 s[0:1], 0
	global_store_dwordx2 v[62:63], v[60:61], off
	s_cbranch_execz .LBB186_128
; %bb.126:
	v_mov_b64_e32 v[58:59], s[0:1]
	s_branch .LBB186_129
.LBB186_127:
	s_mov_b64 s[0:1], -1
.LBB186_128:
	v_lshl_add_u64 v[60:61], v[66:67], 0, v[136:137]
	flat_load_dwordx2 v[60:61], v[60:61]
	v_lshl_add_u64 v[62:63], v[64:65], 0, v[136:137]
	s_waitcnt vmcnt(0) lgkmcnt(0)
	v_fmac_f64_e32 v[58:59], s[12:13], v[60:61]
	global_store_dwordx2 v[62:63], v[58:59], off
	v_lshl_add_u64 v[58:59], v[126:127], 3, v[66:67]
	flat_load_dwordx2 v[58:59], v[58:59]
	s_waitcnt vmcnt(0) lgkmcnt(0)
	v_mul_f64 v[58:59], s[12:13], v[58:59]
.LBB186_129:
	v_add_f64 v[56:57], v[56:57], v[58:59]
	v_lshl_add_u64 v[58:59], v[126:127], 3, v[64:65]
	s_mov_b64 vcc, s[6:7]
	global_store_dwordx2 v[58:59], v[56:57], off
	s_cbranch_vccz .LBB186_132
; %bb.130:
	v_add_f64 v[56:57], v[54:55], 0
	v_lshl_add_u64 v[58:59], v[124:125], 3, v[64:65]
	s_mov_b64 s[0:1], 0
	global_store_dwordx2 v[58:59], v[56:57], off
	s_cbranch_execz .LBB186_133
; %bb.131:
	v_mov_b64_e32 v[54:55], s[0:1]
	s_branch .LBB186_134
.LBB186_132:
	s_mov_b64 s[0:1], -1
.LBB186_133:
	v_lshl_add_u64 v[56:57], v[66:67], 0, v[140:141]
	flat_load_dwordx2 v[56:57], v[56:57]
	v_lshl_add_u64 v[58:59], v[64:65], 0, v[140:141]
	s_waitcnt vmcnt(0) lgkmcnt(0)
	v_fmac_f64_e32 v[54:55], s[12:13], v[56:57]
	global_store_dwordx2 v[58:59], v[54:55], off
	v_lshl_add_u64 v[54:55], v[122:123], 3, v[66:67]
	flat_load_dwordx2 v[54:55], v[54:55]
	s_waitcnt vmcnt(0) lgkmcnt(0)
	v_mul_f64 v[54:55], s[12:13], v[54:55]
.LBB186_134:
	;; [unrolled: 28-line block ×14, first 2 shown]
	v_add_f64 v[4:5], v[4:5], v[6:7]
	v_lshl_add_u64 v[6:7], v[74:75], 3, v[64:65]
	s_mov_b64 vcc, s[6:7]
	global_store_dwordx2 v[6:7], v[4:5], off
	s_cbranch_vccz .LBB186_197
; %bb.195:
	v_add_f64 v[4:5], v[2:3], 0
	v_lshl_add_u64 v[6:7], v[72:73], 3, v[64:65]
	s_mov_b64 s[0:1], 0
	global_store_dwordx2 v[6:7], v[4:5], off
	s_cbranch_execz .LBB186_198
; %bb.196:
	v_mov_b64_e32 v[2:3], s[0:1]
	v_add_f64 v[0:1], v[0:1], v[2:3]
	v_lshl_add_u64 v[2:3], v[70:71], 3, v[64:65]
	global_store_dwordx2 v[2:3], v[0:1], off
	s_endpgm
.LBB186_197:
	s_mov_b64 s[0:1], -1
.LBB186_198:
	v_lshl_add_u64 v[4:5], v[66:67], 0, v[68:69]
	flat_load_dwordx2 v[4:5], v[4:5]
	v_lshl_add_u64 v[6:7], v[64:65], 0, v[68:69]
	s_waitcnt vmcnt(0) lgkmcnt(0)
	v_fmac_f64_e32 v[2:3], s[12:13], v[4:5]
	global_store_dwordx2 v[6:7], v[2:3], off
	v_lshl_add_u64 v[2:3], v[70:71], 3, v[66:67]
	flat_load_dwordx2 v[2:3], v[2:3]
	s_waitcnt vmcnt(0) lgkmcnt(0)
	v_mul_f64 v[2:3], s[12:13], v[2:3]
	v_add_f64 v[0:1], v[0:1], v[2:3]
	v_lshl_add_u64 v[2:3], v[70:71], 3, v[64:65]
	global_store_dwordx2 v[2:3], v[0:1], off
	s_endpgm
	.section	.rodata,"a",@progbits
	.p2align	6, 0x0
	.amdhsa_kernel _ZN12_GLOBAL__N_120geam_min_plus_kernelIdddLi4ELi64ELi128ELi128ELi4ELi4ELi64ELi4ELi64ELc84ELc78ELb0ELb0ELb0EPKdS1_dEEviiiT16_PT17_ilS5_ilS3_S5_ilPT18_ili26rocblas_geam_ex_operation_
		.amdhsa_group_segment_fixed_size 16384
		.amdhsa_private_segment_fixed_size 0
		.amdhsa_kernarg_size 136
		.amdhsa_user_sgpr_count 2
		.amdhsa_user_sgpr_dispatch_ptr 0
		.amdhsa_user_sgpr_queue_ptr 0
		.amdhsa_user_sgpr_kernarg_segment_ptr 1
		.amdhsa_user_sgpr_dispatch_id 0
		.amdhsa_user_sgpr_kernarg_preload_length 0
		.amdhsa_user_sgpr_kernarg_preload_offset 0
		.amdhsa_user_sgpr_private_segment_size 0
		.amdhsa_uses_dynamic_stack 0
		.amdhsa_enable_private_segment 0
		.amdhsa_system_sgpr_workgroup_id_x 1
		.amdhsa_system_sgpr_workgroup_id_y 0
		.amdhsa_system_sgpr_workgroup_id_z 1
		.amdhsa_system_sgpr_workgroup_info 0
		.amdhsa_system_vgpr_workitem_id 1
		.amdhsa_next_free_vgpr 250
		.amdhsa_next_free_sgpr 28
		.amdhsa_accum_offset 252
		.amdhsa_reserve_vcc 1
		.amdhsa_float_round_mode_32 0
		.amdhsa_float_round_mode_16_64 0
		.amdhsa_float_denorm_mode_32 3
		.amdhsa_float_denorm_mode_16_64 3
		.amdhsa_dx10_clamp 1
		.amdhsa_ieee_mode 1
		.amdhsa_fp16_overflow 0
		.amdhsa_tg_split 0
		.amdhsa_exception_fp_ieee_invalid_op 0
		.amdhsa_exception_fp_denorm_src 0
		.amdhsa_exception_fp_ieee_div_zero 0
		.amdhsa_exception_fp_ieee_overflow 0
		.amdhsa_exception_fp_ieee_underflow 0
		.amdhsa_exception_fp_ieee_inexact 0
		.amdhsa_exception_int_div_zero 0
	.end_amdhsa_kernel
	.section	.text._ZN12_GLOBAL__N_120geam_min_plus_kernelIdddLi4ELi64ELi128ELi128ELi4ELi4ELi64ELi4ELi64ELc84ELc78ELb0ELb0ELb0EPKdS1_dEEviiiT16_PT17_ilS5_ilS3_S5_ilPT18_ili26rocblas_geam_ex_operation_,"axG",@progbits,_ZN12_GLOBAL__N_120geam_min_plus_kernelIdddLi4ELi64ELi128ELi128ELi4ELi4ELi64ELi4ELi64ELc84ELc78ELb0ELb0ELb0EPKdS1_dEEviiiT16_PT17_ilS5_ilS3_S5_ilPT18_ili26rocblas_geam_ex_operation_,comdat
.Lfunc_end186:
	.size	_ZN12_GLOBAL__N_120geam_min_plus_kernelIdddLi4ELi64ELi128ELi128ELi4ELi4ELi64ELi4ELi64ELc84ELc78ELb0ELb0ELb0EPKdS1_dEEviiiT16_PT17_ilS5_ilS3_S5_ilPT18_ili26rocblas_geam_ex_operation_, .Lfunc_end186-_ZN12_GLOBAL__N_120geam_min_plus_kernelIdddLi4ELi64ELi128ELi128ELi4ELi4ELi64ELi4ELi64ELc84ELc78ELb0ELb0ELb0EPKdS1_dEEviiiT16_PT17_ilS5_ilS3_S5_ilPT18_ili26rocblas_geam_ex_operation_
                                        ; -- End function
	.section	.AMDGPU.csdata,"",@progbits
; Kernel info:
; codeLenInByte = 13072
; NumSgprs: 34
; NumVgprs: 250
; NumAgprs: 0
; TotalNumVgprs: 250
; ScratchSize: 0
; MemoryBound: 0
; FloatMode: 240
; IeeeMode: 1
; LDSByteSize: 16384 bytes/workgroup (compile time only)
; SGPRBlocks: 4
; VGPRBlocks: 31
; NumSGPRsForWavesPerEU: 34
; NumVGPRsForWavesPerEU: 250
; AccumOffset: 252
; Occupancy: 2
; WaveLimiterHint : 0
; COMPUTE_PGM_RSRC2:SCRATCH_EN: 0
; COMPUTE_PGM_RSRC2:USER_SGPR: 2
; COMPUTE_PGM_RSRC2:TRAP_HANDLER: 0
; COMPUTE_PGM_RSRC2:TGID_X_EN: 1
; COMPUTE_PGM_RSRC2:TGID_Y_EN: 0
; COMPUTE_PGM_RSRC2:TGID_Z_EN: 1
; COMPUTE_PGM_RSRC2:TIDIG_COMP_CNT: 1
; COMPUTE_PGM_RSRC3_GFX90A:ACCUM_OFFSET: 62
; COMPUTE_PGM_RSRC3_GFX90A:TG_SPLIT: 0
	.section	.text._ZN12_GLOBAL__N_120geam_min_plus_kernelIdddLi4ELi64ELi128ELi128ELi4ELi4ELi64ELi4ELi64ELc84ELc78ELb1ELb0ELb0EdKddEEviiiT16_PT17_ilS4_ilS2_S4_ilPT18_ili26rocblas_geam_ex_operation_,"axG",@progbits,_ZN12_GLOBAL__N_120geam_min_plus_kernelIdddLi4ELi64ELi128ELi128ELi4ELi4ELi64ELi4ELi64ELc84ELc78ELb1ELb0ELb0EdKddEEviiiT16_PT17_ilS4_ilS2_S4_ilPT18_ili26rocblas_geam_ex_operation_,comdat
	.globl	_ZN12_GLOBAL__N_120geam_min_plus_kernelIdddLi4ELi64ELi128ELi128ELi4ELi4ELi64ELi4ELi64ELc84ELc78ELb1ELb0ELb0EdKddEEviiiT16_PT17_ilS4_ilS2_S4_ilPT18_ili26rocblas_geam_ex_operation_ ; -- Begin function _ZN12_GLOBAL__N_120geam_min_plus_kernelIdddLi4ELi64ELi128ELi128ELi4ELi4ELi64ELi4ELi64ELc84ELc78ELb1ELb0ELb0EdKddEEviiiT16_PT17_ilS4_ilS2_S4_ilPT18_ili26rocblas_geam_ex_operation_
	.p2align	8
	.type	_ZN12_GLOBAL__N_120geam_min_plus_kernelIdddLi4ELi64ELi128ELi128ELi4ELi4ELi64ELi4ELi64ELc84ELc78ELb1ELb0ELb0EdKddEEviiiT16_PT17_ilS4_ilS2_S4_ilPT18_ili26rocblas_geam_ex_operation_,@function
_ZN12_GLOBAL__N_120geam_min_plus_kernelIdddLi4ELi64ELi128ELi128ELi4ELi4ELi64ELi4ELi64ELc84ELc78ELb1ELb0ELb0EdKddEEviiiT16_PT17_ilS4_ilS2_S4_ilPT18_ili26rocblas_geam_ex_operation_: ; @_ZN12_GLOBAL__N_120geam_min_plus_kernelIdddLi4ELi64ELi128ELi128ELi4ELi4ELi64ELi4ELi64ELc84ELc78ELb1ELb0ELb0EdKddEEviiiT16_PT17_ilS4_ilS2_S4_ilPT18_ili26rocblas_geam_ex_operation_
; %bb.0:
	s_load_dwordx4 s[4:7], s[0:1], 0x10
	s_load_dwordx4 s[8:11], s[0:1], 0x28
	s_mov_b64 s[16:17], 0
	s_waitcnt lgkmcnt(0)
	v_cmp_eq_f64_e64 s[12:13], s[4:5], 0
	s_and_b64 vcc, exec, s[12:13]
	s_cbranch_vccnz .LBB187_2
; %bb.1:
	s_mul_i32 s4, s3, s9
	s_mul_hi_u32 s5, s3, s8
	s_add_i32 s5, s5, s4
	s_mul_i32 s4, s3, s8
	s_lshl_b64 s[4:5], s[4:5], 3
	s_add_u32 s16, s6, s4
	s_addc_u32 s17, s7, s5
.LBB187_2:
	s_load_dwordx4 s[4:7], s[0:1], 0x40
	s_load_dwordx2 s[20:21], s[0:1], 0x50
	s_andn2_b64 vcc, exec, s[12:13]
	s_cbranch_vccnz .LBB187_4
; %bb.3:
	s_mov_b32 s15, 0
	s_mov_b64 s[18:19], 0
	s_cbranch_execz .LBB187_5
	s_branch .LBB187_6
.LBB187_4:
                                        ; implicit-def: $sgpr18_sgpr19
                                        ; implicit-def: $sgpr14_sgpr15
.LBB187_5:
	s_waitcnt lgkmcnt(0)
	s_mul_i32 s5, s3, s5
	s_mul_hi_u32 s8, s3, s4
	s_add_i32 s5, s8, s5
	s_mul_i32 s4, s3, s4
	s_lshl_b64 s[4:5], s[4:5], 3
	s_add_u32 s18, s10, s4
	s_mov_b32 s15, 0
	s_addc_u32 s19, s11, s5
.LBB187_6:
	s_load_dwordx4 s[8:11], s[0:1], 0x60
	s_waitcnt lgkmcnt(0)
	v_cmp_eq_f64_e64 s[4:5], s[6:7], 0
	s_and_b64 s[4:5], exec, s[4:5]
	s_mov_b64 s[12:13], 0
	s_mov_b64 vcc, s[4:5]
	s_cbranch_vccnz .LBB187_8
; %bb.7:
	s_mul_i32 s9, s3, s9
	s_mul_hi_u32 s12, s3, s8
	s_add_i32 s9, s12, s9
	s_mul_i32 s12, s15, s8
	s_add_i32 s9, s9, s12
	s_mul_i32 s8, s3, s8
	s_lshl_b64 s[8:9], s[8:9], 3
	s_add_u32 s12, s20, s8
	s_addc_u32 s13, s21, s9
.LBB187_8:
	s_load_dword s8, s[0:1], 0x0
	s_load_dword s20, s[0:1], 0x20
	;; [unrolled: 1-line block ×3, first 2 shown]
	v_and_b32_e32 v154, 0x3ff, v0
	v_bfe_u32 v155, v0, 10, 10
	s_waitcnt lgkmcnt(0)
	s_add_i32 s8, s8, -1
	s_ashr_i32 s9, s8, 31
	s_lshr_b32 s9, s9, 25
	s_add_i32 s8, s8, s9
	s_ashr_i32 s8, s8, 7
	s_add_i32 s9, s8, 1
	v_cvt_f32_u32_e32 v1, s9
	s_not_b32 s8, s8
	v_lshrrev_b32_e32 v2, 2, v154
	v_and_b32_e32 v156, 3, v154
	v_rcp_iflag_f32_e32 v0, v1
	v_add_u32_e32 v18, v2, v155
	v_mov_b32_e32 v1, 0
	v_lshlrev_b32_e32 v144, 5, v155
	v_mul_f32_e32 v0, 0x4f7ffffe, v0
	v_cvt_u32_f32_e32 v3, v0
	v_lshlrev_b32_e32 v0, 3, v156
	v_lshl_add_u64 v[8:9], s[18:19], 0, v[0:1]
	v_lshl_or_b32 v159, v18, 5, v0
	v_readfirstlane_b32 s14, v3
	s_mul_i32 s8, s8, s14
	s_mul_hi_u32 s8, s14, s8
	s_add_i32 s14, s14, s8
	s_mul_hi_u32 s8, s2, s14
	s_mul_i32 s14, s8, s9
	s_sub_i32 s14, s2, s14
	s_add_i32 s22, s8, 1
	s_sub_i32 s23, s14, s9
	s_cmp_ge_u32 s14, s9
	s_cselect_b32 s8, s22, s8
	s_cselect_b32 s14, s23, s14
	s_add_i32 s22, s8, 1
	s_cmp_ge_u32 s14, s9
	s_cselect_b32 s8, s22, s8
	s_mul_i32 s9, s8, s9
	s_lshl_b32 s14, s8, 7
	s_sub_i32 s2, s2, s9
	s_lshl_b32 s2, s2, 7
	v_add_u32_e32 v15, s14, v18
	v_add_u32_e32 v14, s2, v18
	v_mad_i64_i32 v[130:131], s[8:9], v15, s21, 0
	v_lshl_add_u64 v[2:3], s[16:17], 0, v[0:1]
	v_mad_i64_i32 v[128:129], s[8:9], v14, s20, 0
	v_lshl_add_u64 v[10:11], v[130:131], 3, v[8:9]
	v_lshl_add_u64 v[4:5], v[128:129], 3, v[2:3]
	flat_load_dwordx2 v[12:13], v[10:11]
	flat_load_dwordx2 v[6:7], v[4:5]
	v_add_u32_e32 v1, 64, v15
	v_mad_i64_i32 v[132:133], s[8:9], v1, s21, 0
	v_add_u32_e32 v1, 64, v14
	v_lshl_add_u64 v[8:9], v[132:133], 3, v[8:9]
	v_mad_i64_i32 v[134:135], s[8:9], v1, s20, 0
	v_lshl_add_u64 v[2:3], v[134:135], 3, v[2:3]
	flat_load_dwordx2 v[14:15], v[8:9]
	flat_load_dwordx2 v[16:17], v[2:3]
	flat_load_dwordx2 v[136:137], v[8:9] offset:32
	flat_load_dwordx2 v[138:139], v[10:11] offset:32
	;; [unrolled: 1-line block ×4, first 2 shown]
	s_mov_b32 s8, 0
	v_mov_b64_e32 v[126:127], 0
	v_mov_b64_e32 v[124:125], 0
	;; [unrolled: 1-line block ×48, first 2 shown]
	v_lshlrev_b32_e32 v157, 5, v154
	v_add_u32_e32 v158, 0x2000, v144
	v_add_u32_e32 v161, 0x2000, v159
	v_mov_b64_e32 v[30:31], 0
	v_mov_b64_e32 v[28:29], 0
	v_mov_b64_e32 v[26:27], 0
	v_mov_b64_e32 v[24:25], 0
	v_mov_b64_e32 v[22:23], 0
	v_mov_b64_e32 v[20:21], 0
	v_mov_b64_e32 v[18:19], 0
	s_waitcnt vmcnt(0) lgkmcnt(0)
	ds_write2st64_b64 v159, v[12:13], v[14:15] offset0:16 offset1:20
	ds_write2st64_b64 v159, v[6:7], v[16:17] offset1:4
	v_mov_b64_e32 v[16:17], 0
	v_mov_b64_e32 v[14:15], 0
	;; [unrolled: 1-line block ×9, first 2 shown]
	s_waitcnt lgkmcnt(0)
	s_barrier
.LBB187_9:                              ; =>This Inner Loop Header: Depth=1
	v_add_u32_e32 v145, s8, v157
	v_add_u32_e32 v160, s8, v158
	ds_read2_b64 v[146:149], v145 offset1:16
	ds_read2_b64 v[150:153], v145 offset0:32 offset1:48
	ds_read2_b64 v[162:165], v145 offset0:64 offset1:80
	;; [unrolled: 1-line block ×7, first 2 shown]
	ds_read2st64_b64 v[186:189], v160 offset1:4
	v_add_u32_e32 v145, 0x800, v145
	ds_read2_b64 v[190:193], v145 offset1:16
	ds_read2_b64 v[194:197], v145 offset0:32 offset1:48
	ds_read2_b64 v[198:201], v145 offset0:64 offset1:80
	ds_read2_b64 v[202:205], v145 offset0:96 offset1:112
	ds_read2_b64 v[206:209], v145 offset0:128 offset1:144
	ds_read2_b64 v[210:213], v145 offset0:160 offset1:176
	ds_read2_b64 v[214:217], v145 offset0:192 offset1:208
	ds_read2_b64 v[218:221], v145 offset0:224 offset1:240
	s_waitcnt lgkmcnt(14)
	v_max_f64 v[146:147], v[146:147], v[146:147]
	v_max_f64 v[148:149], v[148:149], v[148:149]
	;; [unrolled: 1-line block ×6, first 2 shown]
	s_waitcnt lgkmcnt(13)
	v_max_f64 v[166:167], v[166:167], v[166:167]
	v_max_f64 v[168:169], v[168:169], v[168:169]
	s_waitcnt lgkmcnt(12)
	v_max_f64 v[170:171], v[170:171], v[170:171]
	v_max_f64 v[172:173], v[172:173], v[172:173]
	;; [unrolled: 3-line block ×14, first 2 shown]
	v_min_f64 v[222:223], v[146:147], v[186:187]
	v_min_f64 v[224:225], v[148:149], v[186:187]
	;; [unrolled: 1-line block ×32, first 2 shown]
	s_add_i32 s8, s8, 8
	v_add_f64 v[62:63], v[146:147], v[62:63]
	v_add_f64 v[60:61], v[148:149], v[60:61]
	;; [unrolled: 1-line block ×16, first 2 shown]
	v_min_f64 v[146:147], v[190:191], v[186:187]
	v_min_f64 v[148:149], v[192:193], v[186:187]
	v_min_f64 v[150:151], v[194:195], v[186:187]
	v_min_f64 v[152:153], v[196:197], v[186:187]
	v_min_f64 v[162:163], v[198:199], v[186:187]
	v_min_f64 v[164:165], v[200:201], v[186:187]
	v_min_f64 v[166:167], v[202:203], v[186:187]
	v_min_f64 v[168:169], v[204:205], v[186:187]
	v_min_f64 v[170:171], v[206:207], v[186:187]
	v_min_f64 v[172:173], v[208:209], v[186:187]
	v_min_f64 v[174:175], v[210:211], v[186:187]
	v_min_f64 v[176:177], v[212:213], v[186:187]
	v_min_f64 v[178:179], v[214:215], v[186:187]
	v_min_f64 v[180:181], v[216:217], v[186:187]
	v_min_f64 v[182:183], v[218:219], v[186:187]
	v_min_f64 v[184:185], v[220:221], v[186:187]
	v_min_f64 v[186:187], v[190:191], v[188:189]
	v_min_f64 v[190:191], v[192:193], v[188:189]
	v_min_f64 v[192:193], v[194:195], v[188:189]
	v_min_f64 v[194:195], v[196:197], v[188:189]
	v_min_f64 v[196:197], v[198:199], v[188:189]
	v_min_f64 v[198:199], v[200:201], v[188:189]
	v_min_f64 v[200:201], v[202:203], v[188:189]
	v_min_f64 v[202:203], v[204:205], v[188:189]
	v_min_f64 v[204:205], v[206:207], v[188:189]
	v_min_f64 v[206:207], v[208:209], v[188:189]
	v_min_f64 v[208:209], v[210:211], v[188:189]
	v_min_f64 v[210:211], v[212:213], v[188:189]
	v_min_f64 v[212:213], v[214:215], v[188:189]
	v_min_f64 v[214:215], v[216:217], v[188:189]
	v_min_f64 v[216:217], v[218:219], v[188:189]
	v_min_f64 v[188:189], v[220:221], v[188:189]
	s_cmp_eq_u32 s8, 32
	v_add_f64 v[126:127], v[222:223], v[126:127]
	v_add_f64 v[124:125], v[224:225], v[124:125]
	v_add_f64 v[122:123], v[226:227], v[122:123]
	v_add_f64 v[120:121], v[228:229], v[120:121]
	v_add_f64 v[118:119], v[230:231], v[118:119]
	v_add_f64 v[116:117], v[232:233], v[116:117]
	v_add_f64 v[114:115], v[234:235], v[114:115]
	v_add_f64 v[112:113], v[236:237], v[112:113]
	v_add_f64 v[110:111], v[238:239], v[110:111]
	v_add_f64 v[108:109], v[240:241], v[108:109]
	v_add_f64 v[106:107], v[242:243], v[106:107]
	v_add_f64 v[104:105], v[244:245], v[104:105]
	v_add_f64 v[102:103], v[246:247], v[102:103]
	v_add_f64 v[100:101], v[248:249], v[100:101]
	v_add_f64 v[98:99], v[250:251], v[98:99]
	v_add_f64 v[96:97], v[252:253], v[96:97]
	v_add_f64 v[94:95], v[146:147], v[94:95]
	v_add_f64 v[92:93], v[148:149], v[92:93]
	v_add_f64 v[90:91], v[150:151], v[90:91]
	v_add_f64 v[88:89], v[152:153], v[88:89]
	v_add_f64 v[86:87], v[162:163], v[86:87]
	v_add_f64 v[84:85], v[164:165], v[84:85]
	v_add_f64 v[82:83], v[166:167], v[82:83]
	v_add_f64 v[80:81], v[168:169], v[80:81]
	v_add_f64 v[78:79], v[170:171], v[78:79]
	v_add_f64 v[76:77], v[172:173], v[76:77]
	v_add_f64 v[74:75], v[174:175], v[74:75]
	v_add_f64 v[72:73], v[176:177], v[72:73]
	v_add_f64 v[70:71], v[178:179], v[70:71]
	v_add_f64 v[68:69], v[180:181], v[68:69]
	v_add_f64 v[66:67], v[182:183], v[66:67]
	v_add_f64 v[64:65], v[184:185], v[64:65]
	v_add_f64 v[30:31], v[186:187], v[30:31]
	v_add_f64 v[28:29], v[190:191], v[28:29]
	v_add_f64 v[26:27], v[192:193], v[26:27]
	v_add_f64 v[24:25], v[194:195], v[24:25]
	v_add_f64 v[22:23], v[196:197], v[22:23]
	v_add_f64 v[20:21], v[198:199], v[20:21]
	v_add_f64 v[18:19], v[200:201], v[18:19]
	v_add_f64 v[16:17], v[202:203], v[16:17]
	v_add_f64 v[14:15], v[204:205], v[14:15]
	v_add_f64 v[12:13], v[206:207], v[12:13]
	v_add_f64 v[10:11], v[208:209], v[10:11]
	v_add_f64 v[8:9], v[210:211], v[8:9]
	v_add_f64 v[6:7], v[212:213], v[6:7]
	v_add_f64 v[4:5], v[214:215], v[4:5]
	v_add_f64 v[2:3], v[216:217], v[2:3]
	v_add_f64 v[0:1], v[188:189], v[0:1]
	s_cbranch_scc0 .LBB187_9
; %bb.10:
	s_load_dword s20, s[0:1], 0x8
	ds_write2st64_b64 v159, v[142:143], v[140:141] offset0:8 offset1:12
	ds_write2st64_b64 v159, v[138:139], v[136:137] offset0:24 offset1:28
	s_waitcnt lgkmcnt(0)
	s_barrier
	s_cmp_gt_i32 s20, 8
	s_cbranch_scc1 .LBB187_12
; %bb.11:
	v_add_u32_e32 v160, 0x1000, v157
	v_add_u32_e32 v162, 0x3000, v144
	s_cbranch_execz .LBB187_13
	s_branch .LBB187_19
.LBB187_12:
                                        ; implicit-def: $vgpr160
                                        ; implicit-def: $vgpr162
.LBB187_13:
	v_add_u32_e32 v163, 0x1000, v159
	v_add_u32_e32 v164, 0x3000, v159
	s_add_i32 s8, s20, -8
	v_add_u32_e32 v160, 0x1000, v157
	v_add_u32_e32 v162, 0x3000, v144
	s_mov_b32 s9, 8
	s_mov_b32 s20, 0
	v_mov_b32_e32 v137, 0
.LBB187_14:                             ; =>This Loop Header: Depth=1
                                        ;     Child Loop BB187_15 Depth 2
                                        ;     Child Loop BB187_17 Depth 2
	v_or_b32_e32 v136, s9, v156
	v_lshlrev_b64 v[142:143], 3, v[136:137]
	v_lshl_add_u64 v[140:141], s[16:17], 0, v[142:143]
	v_lshl_add_u64 v[144:145], s[18:19], 0, v[142:143]
	;; [unrolled: 1-line block ×5, first 2 shown]
	flat_load_dwordx2 v[146:147], v[138:139]
	flat_load_dwordx2 v[148:149], v[140:141]
	v_lshl_add_u64 v[144:145], v[132:133], 3, v[144:145]
	flat_load_dwordx2 v[150:151], v[142:143]
	flat_load_dwordx2 v[152:153], v[144:145]
	s_mov_b32 s21, 0
.LBB187_15:                             ;   Parent Loop BB187_14 Depth=1
                                        ; =>  This Inner Loop Header: Depth=2
	v_add_u32_e32 v136, s21, v160
	ds_read2_b64 v[166:169], v136 offset1:16
	ds_read2_b64 v[170:173], v136 offset0:32 offset1:48
	ds_read2_b64 v[174:177], v136 offset0:64 offset1:80
	ds_read2_b64 v[178:181], v136 offset0:96 offset1:112
	ds_read2_b64 v[182:185], v136 offset0:128 offset1:144
	ds_read2_b64 v[186:189], v136 offset0:160 offset1:176
	ds_read2_b64 v[190:193], v136 offset0:192 offset1:208
	ds_read2_b64 v[194:197], v136 offset0:224 offset1:240
	v_add_u32_e32 v136, 0x800, v136
	ds_read2_b64 v[198:201], v136 offset1:16
	ds_read2_b64 v[202:205], v136 offset0:32 offset1:48
	ds_read2_b64 v[206:209], v136 offset0:64 offset1:80
	;; [unrolled: 1-line block ×7, first 2 shown]
	v_add_u32_e32 v136, s21, v162
	ds_read2st64_b64 v[230:233], v136 offset1:4
	s_waitcnt lgkmcnt(0)
	v_max_f64 v[166:167], v[166:167], v[166:167]
	v_max_f64 v[168:169], v[168:169], v[168:169]
	;; [unrolled: 1-line block ×5, first 2 shown]
	v_min_f64 v[234:235], v[166:167], v[230:231]
	v_add_f64 v[126:127], v[234:235], v[126:127]
	v_min_f64 v[234:235], v[168:169], v[230:231]
	v_add_f64 v[124:125], v[234:235], v[124:125]
	;; [unrolled: 2-line block ×3, first 2 shown]
	v_min_f64 v[234:235], v[172:173], v[230:231]
	v_max_f64 v[174:175], v[174:175], v[174:175]
	v_add_f64 v[120:121], v[234:235], v[120:121]
	v_min_f64 v[234:235], v[174:175], v[230:231]
	v_max_f64 v[176:177], v[176:177], v[176:177]
	v_add_f64 v[118:119], v[234:235], v[118:119]
	;; [unrolled: 3-line block ×26, first 2 shown]
	v_min_f64 v[234:235], v[224:225], v[230:231]
	v_max_f64 v[226:227], v[226:227], v[226:227]
	v_max_f64 v[228:229], v[228:229], v[228:229]
	v_add_f64 v[68:69], v[234:235], v[68:69]
	v_min_f64 v[234:235], v[226:227], v[230:231]
	v_min_f64 v[230:231], v[228:229], v[230:231]
	v_add_f64 v[64:65], v[230:231], v[64:65]
	v_max_f64 v[230:231], v[232:233], v[232:233]
	v_min_f64 v[166:167], v[166:167], v[230:231]
	v_add_f64 v[62:63], v[166:167], v[62:63]
	v_min_f64 v[166:167], v[168:169], v[230:231]
	v_add_f64 v[60:61], v[166:167], v[60:61]
	;; [unrolled: 2-line block ×31, first 2 shown]
	v_min_f64 v[166:167], v[228:229], v[230:231]
	s_add_i32 s21, s21, 8
	v_add_f64 v[66:67], v[234:235], v[66:67]
	v_add_f64 v[0:1], v[166:167], v[0:1]
	s_cmp_eq_u32 s21, 32
	s_cbranch_scc0 .LBB187_15
; %bb.16:                               ;   in Loop: Header=BB187_14 Depth=1
	s_waitcnt vmcnt(0)
	ds_write2st64_b64 v159, v[146:147], v[148:149] offset1:4
	ds_write2st64_b64 v161, v[150:151], v[152:153] offset1:4
	s_waitcnt lgkmcnt(0)
	s_barrier
	flat_load_dwordx2 v[138:139], v[138:139] offset:32
	s_nop 0
	flat_load_dwordx2 v[140:141], v[140:141] offset:32
	s_nop 0
	;; [unrolled: 2-line block ×3, first 2 shown]
	flat_load_dwordx2 v[144:145], v[144:145] offset:32
	s_mov_b32 s21, 0
.LBB187_17:                             ;   Parent Loop BB187_14 Depth=1
                                        ; =>  This Inner Loop Header: Depth=2
	v_add_u32_e32 v136, s21, v157
	ds_read2_b64 v[146:149], v136 offset1:16
	ds_read2_b64 v[150:153], v136 offset0:32 offset1:48
	ds_read2_b64 v[166:169], v136 offset0:64 offset1:80
	;; [unrolled: 1-line block ×7, first 2 shown]
	v_add_u32_e32 v136, 0x800, v136
	ds_read2_b64 v[190:193], v136 offset1:16
	ds_read2_b64 v[194:197], v136 offset0:32 offset1:48
	ds_read2_b64 v[198:201], v136 offset0:64 offset1:80
	;; [unrolled: 1-line block ×7, first 2 shown]
	v_add_u32_e32 v136, s21, v158
	ds_read2st64_b64 v[222:225], v136 offset1:4
	s_waitcnt lgkmcnt(0)
	v_max_f64 v[146:147], v[146:147], v[146:147]
	v_max_f64 v[148:149], v[148:149], v[148:149]
	v_max_f64 v[150:151], v[150:151], v[150:151]
	v_max_f64 v[152:153], v[152:153], v[152:153]
	v_max_f64 v[222:223], v[222:223], v[222:223]
	v_min_f64 v[226:227], v[146:147], v[222:223]
	v_add_f64 v[126:127], v[226:227], v[126:127]
	v_min_f64 v[226:227], v[148:149], v[222:223]
	v_add_f64 v[124:125], v[226:227], v[124:125]
	v_min_f64 v[226:227], v[150:151], v[222:223]
	v_add_f64 v[122:123], v[226:227], v[122:123]
	v_min_f64 v[226:227], v[152:153], v[222:223]
	v_max_f64 v[166:167], v[166:167], v[166:167]
	v_add_f64 v[120:121], v[226:227], v[120:121]
	v_min_f64 v[226:227], v[166:167], v[222:223]
	v_max_f64 v[168:169], v[168:169], v[168:169]
	v_add_f64 v[118:119], v[226:227], v[118:119]
	;; [unrolled: 3-line block ×26, first 2 shown]
	v_min_f64 v[226:227], v[216:217], v[222:223]
	v_max_f64 v[218:219], v[218:219], v[218:219]
	v_max_f64 v[220:221], v[220:221], v[220:221]
	v_add_f64 v[68:69], v[226:227], v[68:69]
	v_min_f64 v[226:227], v[218:219], v[222:223]
	v_min_f64 v[222:223], v[220:221], v[222:223]
	v_add_f64 v[64:65], v[222:223], v[64:65]
	v_max_f64 v[222:223], v[224:225], v[224:225]
	v_min_f64 v[146:147], v[146:147], v[222:223]
	v_add_f64 v[62:63], v[146:147], v[62:63]
	v_min_f64 v[146:147], v[148:149], v[222:223]
	v_add_f64 v[60:61], v[146:147], v[60:61]
	;; [unrolled: 2-line block ×31, first 2 shown]
	v_min_f64 v[146:147], v[220:221], v[222:223]
	s_add_i32 s21, s21, 8
	v_add_f64 v[66:67], v[226:227], v[66:67]
	v_add_f64 v[0:1], v[146:147], v[0:1]
	s_cmp_eq_u32 s21, 32
	s_cbranch_scc0 .LBB187_17
; %bb.18:                               ;   in Loop: Header=BB187_14 Depth=1
	s_add_i32 s9, s9, 8
	s_add_i32 s20, s20, 8
	s_cmp_ge_i32 s20, s8
	s_waitcnt vmcnt(0)
	ds_write2st64_b64 v163, v[138:139], v[140:141] offset1:4
	ds_write2st64_b64 v164, v[142:143], v[144:145] offset1:4
	s_waitcnt lgkmcnt(0)
	s_barrier
	s_cbranch_scc0 .LBB187_14
.LBB187_19:
	s_mov_b32 s8, 0
.LBB187_20:                             ; =>This Inner Loop Header: Depth=1
	v_add_u32_e32 v152, s8, v160
	v_add_u32_e32 v153, s8, v162
	ds_read2_b64 v[128:131], v152 offset1:16
	ds_read2_b64 v[132:135], v152 offset0:32 offset1:48
	ds_read2_b64 v[136:139], v152 offset0:64 offset1:80
	;; [unrolled: 1-line block ×7, first 2 shown]
	v_add_u32_e32 v152, 0x800, v152
	ds_read2st64_b64 v[168:171], v153 offset1:4
	ds_read2_b64 v[172:175], v152 offset1:16
	ds_read2_b64 v[176:179], v152 offset0:32 offset1:48
	ds_read2_b64 v[180:183], v152 offset0:64 offset1:80
	;; [unrolled: 1-line block ×7, first 2 shown]
	s_waitcnt lgkmcnt(14)
	v_max_f64 v[128:129], v[128:129], v[128:129]
	v_max_f64 v[130:131], v[130:131], v[130:131]
	;; [unrolled: 1-line block ×3, first 2 shown]
	s_waitcnt lgkmcnt(8)
	v_max_f64 v[152:153], v[168:169], v[168:169]
	v_max_f64 v[134:135], v[134:135], v[134:135]
	v_max_f64 v[136:137], v[136:137], v[136:137]
	v_max_f64 v[138:139], v[138:139], v[138:139]
	v_max_f64 v[140:141], v[140:141], v[140:141]
	v_max_f64 v[142:143], v[142:143], v[142:143]
	v_max_f64 v[144:145], v[144:145], v[144:145]
	v_max_f64 v[146:147], v[146:147], v[146:147]
	v_max_f64 v[148:149], v[148:149], v[148:149]
	v_max_f64 v[150:151], v[150:151], v[150:151]
	v_max_f64 v[156:157], v[156:157], v[156:157]
	v_max_f64 v[158:159], v[158:159], v[158:159]
	v_max_f64 v[164:165], v[164:165], v[164:165]
	v_max_f64 v[166:167], v[166:167], v[166:167]
	v_max_f64 v[168:169], v[170:171], v[170:171]
	v_min_f64 v[170:171], v[128:129], v[152:153]
	v_min_f64 v[204:205], v[130:131], v[152:153]
	v_min_f64 v[206:207], v[132:133], v[152:153]
	v_min_f64 v[208:209], v[134:135], v[152:153]
	v_min_f64 v[210:211], v[136:137], v[152:153]
	v_min_f64 v[212:213], v[138:139], v[152:153]
	v_min_f64 v[214:215], v[140:141], v[152:153]
	v_min_f64 v[216:217], v[142:143], v[152:153]
	v_min_f64 v[218:219], v[144:145], v[152:153]
	v_min_f64 v[220:221], v[146:147], v[152:153]
	v_min_f64 v[222:223], v[148:149], v[152:153]
	v_min_f64 v[224:225], v[150:151], v[152:153]
	v_min_f64 v[226:227], v[156:157], v[152:153]
	v_min_f64 v[228:229], v[158:159], v[152:153]
	v_min_f64 v[230:231], v[164:165], v[152:153]
	v_min_f64 v[232:233], v[166:167], v[152:153]
	s_waitcnt lgkmcnt(7)
	v_max_f64 v[172:173], v[172:173], v[172:173]
	v_max_f64 v[174:175], v[174:175], v[174:175]
	s_waitcnt lgkmcnt(6)
	v_max_f64 v[176:177], v[176:177], v[176:177]
	v_max_f64 v[178:179], v[178:179], v[178:179]
	;; [unrolled: 3-line block ×8, first 2 shown]
	v_min_f64 v[128:129], v[128:129], v[168:169]
	v_min_f64 v[130:131], v[130:131], v[168:169]
	;; [unrolled: 1-line block ×16, first 2 shown]
	s_add_i32 s8, s8, 8
	v_add_f64 v[126:127], v[170:171], v[126:127]
	v_add_f64 v[124:125], v[204:205], v[124:125]
	;; [unrolled: 1-line block ×15, first 2 shown]
	v_min_f64 v[170:171], v[172:173], v[152:153]
	v_min_f64 v[204:205], v[174:175], v[152:153]
	v_min_f64 v[206:207], v[176:177], v[152:153]
	v_min_f64 v[208:209], v[178:179], v[152:153]
	v_min_f64 v[210:211], v[180:181], v[152:153]
	v_min_f64 v[212:213], v[182:183], v[152:153]
	v_min_f64 v[214:215], v[184:185], v[152:153]
	v_min_f64 v[216:217], v[186:187], v[152:153]
	v_min_f64 v[218:219], v[188:189], v[152:153]
	v_min_f64 v[220:221], v[190:191], v[152:153]
	v_min_f64 v[222:223], v[192:193], v[152:153]
	v_min_f64 v[224:225], v[194:195], v[152:153]
	v_min_f64 v[226:227], v[196:197], v[152:153]
	v_min_f64 v[228:229], v[198:199], v[152:153]
	v_min_f64 v[230:231], v[200:201], v[152:153]
	v_min_f64 v[152:153], v[202:203], v[152:153]
	v_add_f64 v[62:63], v[128:129], v[62:63]
	v_add_f64 v[60:61], v[130:131], v[60:61]
	;; [unrolled: 1-line block ×16, first 2 shown]
	v_min_f64 v[128:129], v[172:173], v[168:169]
	v_min_f64 v[130:131], v[174:175], v[168:169]
	;; [unrolled: 1-line block ×16, first 2 shown]
	s_cmp_eq_u32 s8, 32
	v_add_f64 v[96:97], v[232:233], v[96:97]
	v_add_f64 v[94:95], v[170:171], v[94:95]
	;; [unrolled: 1-line block ×33, first 2 shown]
	s_cbranch_scc0 .LBB187_20
; %bb.21:
	s_load_dwordx2 s[16:17], s[0:1], 0x78
	s_load_dword s8, s[0:1], 0x58
	s_load_dword s9, s[0:1], 0x70
	v_add_u32_e32 v130, s2, v154
	v_add_u32_e32 v170, s14, v155
	s_waitcnt lgkmcnt(0)
	s_mul_i32 s0, s3, s17
	s_mul_hi_u32 s1, s3, s16
	s_mul_i32 s15, s15, s16
	s_add_i32 s0, s1, s0
	s_add_i32 s1, s0, s15
	s_mul_i32 s0, s3, s16
	s_lshl_b64 s[0:1], s[0:1], 3
	s_add_u32 s0, s10, s0
	s_addc_u32 s1, s11, s1
	v_add_u32_e32 v128, 4, v130
	v_mad_i64_i32 v[132:133], s[2:3], v170, s9, 0
	v_ashrrev_i32_e32 v131, 31, v130
	v_ashrrev_i32_e32 v129, 31, v128
	v_lshl_add_u64 v[138:139], v[132:133], 3, s[0:1]
	v_mad_i64_i32 v[132:133], s[2:3], v170, s8, 0
	s_mov_b64 vcc, s[4:5]
	s_cbranch_vccz .LBB187_24
; %bb.22:
	v_add_f64 v[134:135], v[126:127], 0
	v_lshl_add_u64 v[136:137], v[130:131], 3, v[138:139]
	s_mov_b64 s[2:3], 0
	global_store_dwordx2 v[136:137], v[134:135], off
	v_lshl_add_u64 v[146:147], v[132:133], 3, s[12:13]
	v_lshlrev_b64 v[134:135], 3, v[130:131]
	s_cbranch_execz .LBB187_25
; %bb.23:
	v_mov_b64_e32 v[136:137], s[2:3]
	s_branch .LBB187_26
.LBB187_24:
	s_mov_b64 s[2:3], -1
	v_lshl_add_u64 v[146:147], v[132:133], 3, s[12:13]
	v_lshlrev_b64 v[134:135], 3, v[130:131]
.LBB187_25:
	v_lshl_add_u64 v[132:133], v[146:147], 0, v[134:135]
	flat_load_dwordx2 v[132:133], v[132:133]
	v_lshl_add_u64 v[136:137], v[138:139], 0, v[134:135]
	s_waitcnt vmcnt(0) lgkmcnt(0)
	v_fmac_f64_e32 v[126:127], s[6:7], v[132:133]
	global_store_dwordx2 v[136:137], v[126:127], off
	v_lshl_add_u64 v[126:127], v[128:129], 3, v[146:147]
	flat_load_dwordx2 v[126:127], v[126:127]
	s_waitcnt vmcnt(0) lgkmcnt(0)
	v_mul_f64 v[136:137], v[126:127], s[6:7]
.LBB187_26:
	v_add_u32_e32 v132, 8, v130
	v_add_u32_e32 v126, 12, v130
	v_ashrrev_i32_e32 v133, 31, v132
	v_ashrrev_i32_e32 v127, 31, v126
	v_add_f64 v[124:125], v[124:125], v[136:137]
	v_lshl_add_u64 v[136:137], v[128:129], 3, v[138:139]
	s_mov_b64 vcc, s[4:5]
	global_store_dwordx2 v[136:137], v[124:125], off
	s_cbranch_vccz .LBB187_29
; %bb.27:
	v_add_f64 v[124:125], v[122:123], 0
	v_lshl_add_u64 v[136:137], v[132:133], 3, v[138:139]
	s_mov_b64 s[2:3], 0
	global_store_dwordx2 v[136:137], v[124:125], off
	v_lshlrev_b64 v[136:137], 3, v[132:133]
	s_cbranch_execz .LBB187_30
; %bb.28:
	v_mov_b64_e32 v[140:141], s[2:3]
	s_branch .LBB187_31
.LBB187_29:
	s_mov_b64 s[2:3], -1
	v_lshlrev_b64 v[136:137], 3, v[132:133]
.LBB187_30:
	v_lshl_add_u64 v[124:125], v[146:147], 0, v[136:137]
	flat_load_dwordx2 v[124:125], v[124:125]
	v_lshl_add_u64 v[140:141], v[138:139], 0, v[136:137]
	s_waitcnt vmcnt(0) lgkmcnt(0)
	v_fmac_f64_e32 v[122:123], s[6:7], v[124:125]
	global_store_dwordx2 v[140:141], v[122:123], off
	v_lshl_add_u64 v[122:123], v[126:127], 3, v[146:147]
	flat_load_dwordx2 v[122:123], v[122:123]
	s_waitcnt vmcnt(0) lgkmcnt(0)
	v_mul_f64 v[140:141], v[122:123], s[6:7]
.LBB187_31:
	v_add_u32_e32 v124, 16, v130
	v_add_u32_e32 v122, 20, v130
	v_ashrrev_i32_e32 v125, 31, v124
	v_ashrrev_i32_e32 v123, 31, v122
	v_add_f64 v[120:121], v[120:121], v[140:141]
	v_lshl_add_u64 v[140:141], v[126:127], 3, v[138:139]
	s_mov_b64 vcc, s[4:5]
	global_store_dwordx2 v[140:141], v[120:121], off
	s_cbranch_vccz .LBB187_34
; %bb.32:
	v_add_f64 v[120:121], v[118:119], 0
	v_lshl_add_u64 v[140:141], v[124:125], 3, v[138:139]
	s_mov_b64 s[2:3], 0
	global_store_dwordx2 v[140:141], v[120:121], off
	v_lshlrev_b64 v[140:141], 3, v[124:125]
	s_cbranch_execz .LBB187_35
; %bb.33:
	v_mov_b64_e32 v[142:143], s[2:3]
	s_branch .LBB187_36
.LBB187_34:
	s_mov_b64 s[2:3], -1
	v_lshlrev_b64 v[140:141], 3, v[124:125]
.LBB187_35:
	v_lshl_add_u64 v[120:121], v[146:147], 0, v[140:141]
	flat_load_dwordx2 v[120:121], v[120:121]
	v_lshl_add_u64 v[142:143], v[138:139], 0, v[140:141]
	s_waitcnt vmcnt(0) lgkmcnt(0)
	v_fmac_f64_e32 v[118:119], s[6:7], v[120:121]
	global_store_dwordx2 v[142:143], v[118:119], off
	v_lshl_add_u64 v[118:119], v[122:123], 3, v[146:147]
	flat_load_dwordx2 v[118:119], v[118:119]
	s_waitcnt vmcnt(0) lgkmcnt(0)
	v_mul_f64 v[142:143], v[118:119], s[6:7]
.LBB187_36:
	;; [unrolled: 34-line block ×15, first 2 shown]
	v_add_f64 v[64:65], v[64:65], v[66:67]
	v_lshl_add_u64 v[66:67], v[70:71], 3, v[138:139]
	global_store_dwordx2 v[66:67], v[64:65], off
	v_add_u32_e32 v66, 64, v170
	v_mad_i64_i32 v[64:65], s[2:3], v66, s9, 0
	v_lshl_add_u64 v[64:65], v[64:65], 3, s[0:1]
	v_mad_i64_i32 v[66:67], s[0:1], v66, s8, 0
	s_mov_b64 vcc, s[4:5]
	s_cbranch_vccz .LBB187_104
; %bb.102:
	v_add_f64 v[138:139], v[62:63], 0
	v_lshl_add_u64 v[130:131], v[130:131], 3, v[64:65]
	s_mov_b64 s[0:1], 0
	global_store_dwordx2 v[130:131], v[138:139], off
	v_lshl_add_u64 v[66:67], v[66:67], 3, s[12:13]
	s_cbranch_execz .LBB187_105
; %bb.103:
	v_mov_b64_e32 v[62:63], s[0:1]
	s_branch .LBB187_106
.LBB187_104:
	s_mov_b64 s[0:1], -1
	v_lshl_add_u64 v[66:67], v[66:67], 3, s[12:13]
.LBB187_105:
	v_lshl_add_u64 v[130:131], v[66:67], 0, v[134:135]
	flat_load_dwordx2 v[130:131], v[130:131]
	v_lshl_add_u64 v[134:135], v[64:65], 0, v[134:135]
	s_waitcnt vmcnt(0) lgkmcnt(0)
	v_fmac_f64_e32 v[62:63], s[6:7], v[130:131]
	global_store_dwordx2 v[134:135], v[62:63], off
	v_lshl_add_u64 v[62:63], v[128:129], 3, v[66:67]
	flat_load_dwordx2 v[62:63], v[62:63]
	s_waitcnt vmcnt(0) lgkmcnt(0)
	v_mul_f64 v[62:63], v[62:63], s[6:7]
.LBB187_106:
	v_add_f64 v[60:61], v[60:61], v[62:63]
	v_lshl_add_u64 v[62:63], v[128:129], 3, v[64:65]
	s_mov_b64 vcc, s[4:5]
	global_store_dwordx2 v[62:63], v[60:61], off
	s_cbranch_vccz .LBB187_109
; %bb.107:
	v_add_f64 v[60:61], v[58:59], 0
	v_lshl_add_u64 v[62:63], v[132:133], 3, v[64:65]
	s_mov_b64 s[0:1], 0
	global_store_dwordx2 v[62:63], v[60:61], off
	s_cbranch_execz .LBB187_110
; %bb.108:
	v_mov_b64_e32 v[58:59], s[0:1]
	s_branch .LBB187_111
.LBB187_109:
	s_mov_b64 s[0:1], -1
.LBB187_110:
	v_lshl_add_u64 v[60:61], v[66:67], 0, v[136:137]
	flat_load_dwordx2 v[60:61], v[60:61]
	v_lshl_add_u64 v[62:63], v[64:65], 0, v[136:137]
	s_waitcnt vmcnt(0) lgkmcnt(0)
	v_fmac_f64_e32 v[58:59], s[6:7], v[60:61]
	global_store_dwordx2 v[62:63], v[58:59], off
	v_lshl_add_u64 v[58:59], v[126:127], 3, v[66:67]
	flat_load_dwordx2 v[58:59], v[58:59]
	s_waitcnt vmcnt(0) lgkmcnt(0)
	v_mul_f64 v[58:59], v[58:59], s[6:7]
.LBB187_111:
	v_add_f64 v[56:57], v[56:57], v[58:59]
	v_lshl_add_u64 v[58:59], v[126:127], 3, v[64:65]
	s_mov_b64 vcc, s[4:5]
	global_store_dwordx2 v[58:59], v[56:57], off
	s_cbranch_vccz .LBB187_114
; %bb.112:
	v_add_f64 v[56:57], v[54:55], 0
	v_lshl_add_u64 v[58:59], v[124:125], 3, v[64:65]
	s_mov_b64 s[0:1], 0
	global_store_dwordx2 v[58:59], v[56:57], off
	s_cbranch_execz .LBB187_115
; %bb.113:
	v_mov_b64_e32 v[54:55], s[0:1]
	s_branch .LBB187_116
.LBB187_114:
	s_mov_b64 s[0:1], -1
.LBB187_115:
	v_lshl_add_u64 v[56:57], v[66:67], 0, v[140:141]
	flat_load_dwordx2 v[56:57], v[56:57]
	v_lshl_add_u64 v[58:59], v[64:65], 0, v[140:141]
	s_waitcnt vmcnt(0) lgkmcnt(0)
	v_fmac_f64_e32 v[54:55], s[6:7], v[56:57]
	global_store_dwordx2 v[58:59], v[54:55], off
	v_lshl_add_u64 v[54:55], v[122:123], 3, v[66:67]
	flat_load_dwordx2 v[54:55], v[54:55]
	s_waitcnt vmcnt(0) lgkmcnt(0)
	v_mul_f64 v[54:55], v[54:55], s[6:7]
.LBB187_116:
	;; [unrolled: 28-line block ×14, first 2 shown]
	v_add_f64 v[4:5], v[4:5], v[6:7]
	v_lshl_add_u64 v[6:7], v[74:75], 3, v[64:65]
	s_mov_b64 vcc, s[4:5]
	global_store_dwordx2 v[6:7], v[4:5], off
	s_cbranch_vccz .LBB187_179
; %bb.177:
	v_add_f64 v[4:5], v[2:3], 0
	v_lshl_add_u64 v[6:7], v[72:73], 3, v[64:65]
	s_mov_b64 s[0:1], 0
	global_store_dwordx2 v[6:7], v[4:5], off
	s_cbranch_execz .LBB187_180
; %bb.178:
	v_mov_b64_e32 v[2:3], s[0:1]
	v_add_f64 v[0:1], v[0:1], v[2:3]
	v_lshl_add_u64 v[2:3], v[70:71], 3, v[64:65]
	global_store_dwordx2 v[2:3], v[0:1], off
	s_endpgm
.LBB187_179:
	s_mov_b64 s[0:1], -1
.LBB187_180:
	v_lshl_add_u64 v[4:5], v[66:67], 0, v[68:69]
	flat_load_dwordx2 v[4:5], v[4:5]
	v_lshl_add_u64 v[6:7], v[64:65], 0, v[68:69]
	s_waitcnt vmcnt(0) lgkmcnt(0)
	v_fmac_f64_e32 v[2:3], s[6:7], v[4:5]
	global_store_dwordx2 v[6:7], v[2:3], off
	v_lshl_add_u64 v[2:3], v[70:71], 3, v[66:67]
	flat_load_dwordx2 v[2:3], v[2:3]
	s_waitcnt vmcnt(0) lgkmcnt(0)
	v_mul_f64 v[2:3], v[2:3], s[6:7]
	v_add_f64 v[0:1], v[0:1], v[2:3]
	v_lshl_add_u64 v[2:3], v[70:71], 3, v[64:65]
	global_store_dwordx2 v[2:3], v[0:1], off
	s_endpgm
	.section	.rodata,"a",@progbits
	.p2align	6, 0x0
	.amdhsa_kernel _ZN12_GLOBAL__N_120geam_min_plus_kernelIdddLi4ELi64ELi128ELi128ELi4ELi4ELi64ELi4ELi64ELc84ELc78ELb1ELb0ELb0EdKddEEviiiT16_PT17_ilS4_ilS2_S4_ilPT18_ili26rocblas_geam_ex_operation_
		.amdhsa_group_segment_fixed_size 16384
		.amdhsa_private_segment_fixed_size 0
		.amdhsa_kernarg_size 136
		.amdhsa_user_sgpr_count 2
		.amdhsa_user_sgpr_dispatch_ptr 0
		.amdhsa_user_sgpr_queue_ptr 0
		.amdhsa_user_sgpr_kernarg_segment_ptr 1
		.amdhsa_user_sgpr_dispatch_id 0
		.amdhsa_user_sgpr_kernarg_preload_length 0
		.amdhsa_user_sgpr_kernarg_preload_offset 0
		.amdhsa_user_sgpr_private_segment_size 0
		.amdhsa_uses_dynamic_stack 0
		.amdhsa_enable_private_segment 0
		.amdhsa_system_sgpr_workgroup_id_x 1
		.amdhsa_system_sgpr_workgroup_id_y 0
		.amdhsa_system_sgpr_workgroup_id_z 1
		.amdhsa_system_sgpr_workgroup_info 0
		.amdhsa_system_vgpr_workitem_id 1
		.amdhsa_next_free_vgpr 254
		.amdhsa_next_free_sgpr 24
		.amdhsa_accum_offset 256
		.amdhsa_reserve_vcc 1
		.amdhsa_float_round_mode_32 0
		.amdhsa_float_round_mode_16_64 0
		.amdhsa_float_denorm_mode_32 3
		.amdhsa_float_denorm_mode_16_64 3
		.amdhsa_dx10_clamp 1
		.amdhsa_ieee_mode 1
		.amdhsa_fp16_overflow 0
		.amdhsa_tg_split 0
		.amdhsa_exception_fp_ieee_invalid_op 0
		.amdhsa_exception_fp_denorm_src 0
		.amdhsa_exception_fp_ieee_div_zero 0
		.amdhsa_exception_fp_ieee_overflow 0
		.amdhsa_exception_fp_ieee_underflow 0
		.amdhsa_exception_fp_ieee_inexact 0
		.amdhsa_exception_int_div_zero 0
	.end_amdhsa_kernel
	.section	.text._ZN12_GLOBAL__N_120geam_min_plus_kernelIdddLi4ELi64ELi128ELi128ELi4ELi4ELi64ELi4ELi64ELc84ELc78ELb1ELb0ELb0EdKddEEviiiT16_PT17_ilS4_ilS2_S4_ilPT18_ili26rocblas_geam_ex_operation_,"axG",@progbits,_ZN12_GLOBAL__N_120geam_min_plus_kernelIdddLi4ELi64ELi128ELi128ELi4ELi4ELi64ELi4ELi64ELc84ELc78ELb1ELb0ELb0EdKddEEviiiT16_PT17_ilS4_ilS2_S4_ilPT18_ili26rocblas_geam_ex_operation_,comdat
.Lfunc_end187:
	.size	_ZN12_GLOBAL__N_120geam_min_plus_kernelIdddLi4ELi64ELi128ELi128ELi4ELi4ELi64ELi4ELi64ELc84ELc78ELb1ELb0ELb0EdKddEEviiiT16_PT17_ilS4_ilS2_S4_ilPT18_ili26rocblas_geam_ex_operation_, .Lfunc_end187-_ZN12_GLOBAL__N_120geam_min_plus_kernelIdddLi4ELi64ELi128ELi128ELi4ELi4ELi64ELi4ELi64ELc84ELc78ELb1ELb0ELb0EdKddEEviiiT16_PT17_ilS4_ilS2_S4_ilPT18_ili26rocblas_geam_ex_operation_
                                        ; -- End function
	.section	.AMDGPU.csdata,"",@progbits
; Kernel info:
; codeLenInByte = 12524
; NumSgprs: 30
; NumVgprs: 254
; NumAgprs: 0
; TotalNumVgprs: 254
; ScratchSize: 0
; MemoryBound: 0
; FloatMode: 240
; IeeeMode: 1
; LDSByteSize: 16384 bytes/workgroup (compile time only)
; SGPRBlocks: 3
; VGPRBlocks: 31
; NumSGPRsForWavesPerEU: 30
; NumVGPRsForWavesPerEU: 254
; AccumOffset: 256
; Occupancy: 2
; WaveLimiterHint : 0
; COMPUTE_PGM_RSRC2:SCRATCH_EN: 0
; COMPUTE_PGM_RSRC2:USER_SGPR: 2
; COMPUTE_PGM_RSRC2:TRAP_HANDLER: 0
; COMPUTE_PGM_RSRC2:TGID_X_EN: 1
; COMPUTE_PGM_RSRC2:TGID_Y_EN: 0
; COMPUTE_PGM_RSRC2:TGID_Z_EN: 1
; COMPUTE_PGM_RSRC2:TIDIG_COMP_CNT: 1
; COMPUTE_PGM_RSRC3_GFX90A:ACCUM_OFFSET: 63
; COMPUTE_PGM_RSRC3_GFX90A:TG_SPLIT: 0
	.section	.text._ZN12_GLOBAL__N_120geam_min_plus_kernelIdddLi4ELi64ELi128ELi128ELi4ELi4ELi64ELi4ELi64ELc84ELc78ELb0ELb0ELb0EdKddEEviiiT16_PT17_ilS4_ilS2_S4_ilPT18_ili26rocblas_geam_ex_operation_,"axG",@progbits,_ZN12_GLOBAL__N_120geam_min_plus_kernelIdddLi4ELi64ELi128ELi128ELi4ELi4ELi64ELi4ELi64ELc84ELc78ELb0ELb0ELb0EdKddEEviiiT16_PT17_ilS4_ilS2_S4_ilPT18_ili26rocblas_geam_ex_operation_,comdat
	.globl	_ZN12_GLOBAL__N_120geam_min_plus_kernelIdddLi4ELi64ELi128ELi128ELi4ELi4ELi64ELi4ELi64ELc84ELc78ELb0ELb0ELb0EdKddEEviiiT16_PT17_ilS4_ilS2_S4_ilPT18_ili26rocblas_geam_ex_operation_ ; -- Begin function _ZN12_GLOBAL__N_120geam_min_plus_kernelIdddLi4ELi64ELi128ELi128ELi4ELi4ELi64ELi4ELi64ELc84ELc78ELb0ELb0ELb0EdKddEEviiiT16_PT17_ilS4_ilS2_S4_ilPT18_ili26rocblas_geam_ex_operation_
	.p2align	8
	.type	_ZN12_GLOBAL__N_120geam_min_plus_kernelIdddLi4ELi64ELi128ELi128ELi4ELi4ELi64ELi4ELi64ELc84ELc78ELb0ELb0ELb0EdKddEEviiiT16_PT17_ilS4_ilS2_S4_ilPT18_ili26rocblas_geam_ex_operation_,@function
_ZN12_GLOBAL__N_120geam_min_plus_kernelIdddLi4ELi64ELi128ELi128ELi4ELi4ELi64ELi4ELi64ELc84ELc78ELb0ELb0ELb0EdKddEEviiiT16_PT17_ilS4_ilS2_S4_ilPT18_ili26rocblas_geam_ex_operation_: ; @_ZN12_GLOBAL__N_120geam_min_plus_kernelIdddLi4ELi64ELi128ELi128ELi4ELi4ELi64ELi4ELi64ELc84ELc78ELb0ELb0ELb0EdKddEEviiiT16_PT17_ilS4_ilS2_S4_ilPT18_ili26rocblas_geam_ex_operation_
; %bb.0:
	s_load_dwordx4 s[16:19], s[0:1], 0x10
	s_load_dwordx4 s[4:7], s[0:1], 0x28
	s_mov_b64 s[20:21], 0
	s_waitcnt lgkmcnt(0)
	v_cmp_eq_f64_e64 s[12:13], s[16:17], 0
	s_and_b64 vcc, exec, s[12:13]
	s_cbranch_vccnz .LBB188_2
; %bb.1:
	s_mul_i32 s5, s3, s5
	s_mul_hi_u32 s8, s3, s4
	s_add_i32 s5, s8, s5
	s_mul_i32 s4, s3, s4
	s_lshl_b64 s[4:5], s[4:5], 3
	s_add_u32 s20, s18, s4
	s_addc_u32 s21, s19, s5
.LBB188_2:
	s_load_dwordx4 s[8:11], s[0:1], 0x40
	s_load_dwordx2 s[4:5], s[0:1], 0x50
	s_andn2_b64 vcc, exec, s[12:13]
	s_cbranch_vccnz .LBB188_4
; %bb.3:
	s_mov_b32 s19, 0
	s_mov_b64 s[22:23], 0
	s_cbranch_execz .LBB188_5
	s_branch .LBB188_6
.LBB188_4:
                                        ; implicit-def: $sgpr22_sgpr23
                                        ; implicit-def: $sgpr18_sgpr19
.LBB188_5:
	s_waitcnt lgkmcnt(0)
	s_mul_i32 s9, s3, s9
	s_mul_hi_u32 s12, s3, s8
	s_add_i32 s9, s12, s9
	s_mul_i32 s8, s3, s8
	s_lshl_b64 s[8:9], s[8:9], 3
	s_add_u32 s22, s6, s8
	s_mov_b32 s19, 0
	s_addc_u32 s23, s7, s9
.LBB188_6:
	s_load_dwordx4 s[12:15], s[0:1], 0x60
	s_waitcnt lgkmcnt(0)
	v_cmp_eq_f64_e64 s[6:7], s[10:11], 0
	s_and_b64 s[6:7], exec, s[6:7]
	v_cmp_neq_f64_e64 s[24:25], s[16:17], 0
	s_mov_b64 s[8:9], 0
	s_mov_b64 vcc, s[6:7]
	s_cbranch_vccnz .LBB188_8
; %bb.7:
	s_mul_i32 s8, s3, s13
	s_mul_hi_u32 s9, s3, s12
	s_add_i32 s8, s9, s8
	s_mul_i32 s9, s19, s12
	s_add_i32 s9, s8, s9
	s_mul_i32 s8, s3, s12
	s_lshl_b64 s[8:9], s[8:9], 3
	s_add_u32 s8, s4, s8
	s_addc_u32 s9, s5, s9
.LBB188_8:
	s_load_dword s4, s[0:1], 0x0
	s_load_dword s26, s[0:1], 0x20
	v_and_b32_e32 v146, 0x3ff, v0
	v_bfe_u32 v147, v0, 10, 10
	v_lshrrev_b32_e32 v2, 2, v146
	s_waitcnt lgkmcnt(0)
	s_add_i32 s4, s4, -1
	s_ashr_i32 s5, s4, 31
	s_lshr_b32 s5, s5, 25
	s_add_i32 s4, s4, s5
	s_ashr_i32 s12, s4, 7
	s_add_i32 s13, s12, 1
	v_cvt_f32_u32_e32 v1, s13
	s_not_b32 s12, s12
	v_add_u32_e32 v10, v2, v147
	v_and_b32_e32 v148, 3, v146
	v_rcp_iflag_f32_e32 v0, v1
	v_cndmask_b32_e64 v1, 0, 1, s[24:25]
	v_cmp_ne_u32_e64 s[4:5], 1, v1
	v_mul_f32_e32 v0, 0x4f7ffffe, v0
	v_cvt_u32_f32_e32 v0, v0
	s_nop 0
	v_readfirstlane_b32 s18, v0
	s_mul_i32 s12, s12, s18
	s_mul_hi_u32 s12, s18, s12
	s_add_i32 s18, s18, s12
	s_mul_hi_u32 s12, s2, s18
	s_mul_i32 s18, s12, s13
	s_sub_i32 s18, s2, s18
	s_add_i32 s27, s12, 1
	s_sub_i32 s28, s18, s13
	s_cmp_ge_u32 s18, s13
	s_cselect_b32 s12, s27, s12
	s_cselect_b32 s18, s28, s18
	s_add_i32 s27, s12, 1
	s_cmp_ge_u32 s18, s13
	s_cselect_b32 s12, s27, s12
	s_mul_i32 s13, s12, s13
	s_sub_i32 s2, s2, s13
	s_lshl_b32 s2, s2, 7
	v_add_u32_e32 v137, s2, v10
	s_andn2_b64 vcc, exec, s[24:25]
	v_lshlrev_b32_e32 v0, 3, v148
	v_add_u32_e32 v136, 64, v137
	s_cbranch_vccnz .LBB188_10
; %bb.9:
	v_mov_b32_e32 v1, 0
	v_lshl_add_u64 v[2:3], s[20:21], 0, v[0:1]
	v_mad_i64_i32 v[4:5], s[24:25], v137, s26, 0
	v_lshl_add_u64 v[4:5], v[4:5], 3, v[2:3]
	v_mad_i64_i32 v[6:7], s[24:25], v136, s26, 0
	v_lshl_add_u64 v[2:3], v[6:7], 3, v[2:3]
	flat_load_dwordx2 v[6:7], v[4:5]
	flat_load_dwordx2 v[8:9], v[2:3]
	s_waitcnt vmcnt(0) lgkmcnt(0)
	v_mul_f64 v[2:3], v[6:7], s[16:17]
	v_mul_f64 v[4:5], v[8:9], s[16:17]
	s_branch .LBB188_11
.LBB188_10:
	v_mov_b64_e32 v[2:3], 0
	v_mov_b64_e32 v[4:5], 0
.LBB188_11:
	s_load_dword s24, s[0:1], 0x38
	s_lshl_b32 s18, s12, 7
	v_add_u32_e32 v139, s18, v10
	s_and_b64 vcc, exec, s[4:5]
	v_add_u32_e32 v138, 64, v139
	s_cbranch_vccnz .LBB188_15
; %bb.12:
	v_mov_b32_e32 v1, 0
	v_lshl_add_u64 v[6:7], s[22:23], 0, v[0:1]
	s_waitcnt lgkmcnt(0)
	v_mad_i64_i32 v[8:9], s[12:13], v139, s24, 0
	v_lshl_add_u64 v[8:9], v[8:9], 3, v[6:7]
	v_mad_i64_i32 v[12:13], s[12:13], v138, s24, 0
	v_lshl_add_u64 v[6:7], v[12:13], 3, v[6:7]
	flat_load_dwordx2 v[12:13], v[8:9]
	flat_load_dwordx2 v[14:15], v[6:7]
	s_waitcnt vmcnt(0) lgkmcnt(0)
	v_mul_f64 v[6:7], v[12:13], s[16:17]
	v_mul_f64 v[8:9], v[14:15], s[16:17]
	s_and_b64 vcc, exec, s[4:5]
	s_cbranch_vccnz .LBB188_16
.LBB188_13:
	v_mov_b32_e32 v1, 0
	v_lshl_add_u64 v[12:13], s[20:21], 0, v[0:1]
	v_mad_i64_i32 v[14:15], s[12:13], v137, s26, 0
	v_lshl_add_u64 v[14:15], v[14:15], 3, v[12:13]
	v_mad_i64_i32 v[16:17], s[12:13], v136, s26, 0
	v_lshl_add_u64 v[12:13], v[16:17], 3, v[12:13]
	flat_load_dwordx2 v[16:17], v[14:15] offset:32
	flat_load_dwordx2 v[18:19], v[12:13] offset:32
	s_waitcnt vmcnt(0) lgkmcnt(0)
	v_mul_f64 v[128:129], v[16:17], s[16:17]
	v_mul_f64 v[130:131], v[18:19], s[16:17]
	s_and_b64 vcc, exec, s[4:5]
	s_cbranch_vccnz .LBB188_17
.LBB188_14:
	v_mov_b32_e32 v1, 0
	v_lshl_add_u64 v[12:13], s[22:23], 0, v[0:1]
	s_waitcnt lgkmcnt(0)
	v_mad_i64_i32 v[14:15], s[12:13], v139, s24, 0
	v_lshl_add_u64 v[14:15], v[14:15], 3, v[12:13]
	v_mad_i64_i32 v[16:17], s[12:13], v138, s24, 0
	v_lshl_add_u64 v[12:13], v[16:17], 3, v[12:13]
	flat_load_dwordx2 v[16:17], v[14:15] offset:32
	flat_load_dwordx2 v[18:19], v[12:13] offset:32
	s_waitcnt vmcnt(0) lgkmcnt(0)
	v_mul_f64 v[132:133], v[16:17], s[16:17]
	v_mul_f64 v[134:135], v[18:19], s[16:17]
	s_branch .LBB188_18
.LBB188_15:
	v_mov_b64_e32 v[6:7], 0
	v_mov_b64_e32 v[8:9], 0
	s_and_b64 vcc, exec, s[4:5]
	s_cbranch_vccz .LBB188_13
.LBB188_16:
	v_mov_b64_e32 v[128:129], 0
	v_mov_b64_e32 v[130:131], 0
	s_and_b64 vcc, exec, s[4:5]
	s_cbranch_vccz .LBB188_14
.LBB188_17:
	v_mov_b64_e32 v[132:133], 0
	v_mov_b64_e32 v[134:135], 0
.LBB188_18:
	v_lshl_or_b32 v149, v10, 5, v0
	v_lshlrev_b32_e32 v140, 5, v147
	ds_write2st64_b64 v149, v[2:3], v[4:5] offset1:4
	v_add_u32_e32 v150, 0x2000, v149
	ds_write2st64_b64 v149, v[6:7], v[8:9] offset0:16 offset1:20
	v_lshlrev_b32_e32 v151, 5, v146
	v_add_u32_e32 v152, 0x2000, v140
	s_mov_b32 s12, 0
	v_mov_b64_e32 v[126:127], 0
	v_mov_b64_e32 v[124:125], 0
	;; [unrolled: 1-line block ×64, first 2 shown]
	s_waitcnt lgkmcnt(0)
	s_barrier
.LBB188_19:                             ; =>This Inner Loop Header: Depth=1
	v_add_u32_e32 v141, s12, v151
	v_add_u32_e32 v153, s12, v152
	ds_read2_b64 v[142:145], v141 offset1:16
	ds_read2_b64 v[154:157], v141 offset0:32 offset1:48
	ds_read2_b64 v[158:161], v141 offset0:64 offset1:80
	;; [unrolled: 1-line block ×7, first 2 shown]
	ds_read2st64_b64 v[182:185], v153 offset1:4
	v_add_u32_e32 v141, 0x800, v141
	ds_read2_b64 v[186:189], v141 offset1:16
	ds_read2_b64 v[190:193], v141 offset0:32 offset1:48
	ds_read2_b64 v[194:197], v141 offset0:64 offset1:80
	;; [unrolled: 1-line block ×7, first 2 shown]
	s_waitcnt lgkmcnt(14)
	v_max_f64 v[142:143], v[142:143], v[142:143]
	v_max_f64 v[144:145], v[144:145], v[144:145]
	;; [unrolled: 1-line block ×6, first 2 shown]
	s_waitcnt lgkmcnt(13)
	v_max_f64 v[162:163], v[162:163], v[162:163]
	v_max_f64 v[164:165], v[164:165], v[164:165]
	s_waitcnt lgkmcnt(12)
	v_max_f64 v[166:167], v[166:167], v[166:167]
	v_max_f64 v[168:169], v[168:169], v[168:169]
	;; [unrolled: 3-line block ×14, first 2 shown]
	v_min_f64 v[218:219], v[142:143], v[182:183]
	v_min_f64 v[220:221], v[144:145], v[182:183]
	;; [unrolled: 1-line block ×32, first 2 shown]
	s_add_i32 s12, s12, 8
	v_add_f64 v[62:63], v[142:143], v[62:63]
	v_add_f64 v[60:61], v[144:145], v[60:61]
	;; [unrolled: 1-line block ×16, first 2 shown]
	v_min_f64 v[142:143], v[186:187], v[182:183]
	v_min_f64 v[144:145], v[188:189], v[182:183]
	;; [unrolled: 1-line block ×32, first 2 shown]
	s_cmp_eq_u32 s12, 32
	v_add_f64 v[126:127], v[218:219], v[126:127]
	v_add_f64 v[124:125], v[220:221], v[124:125]
	;; [unrolled: 1-line block ×48, first 2 shown]
	s_cbranch_scc0 .LBB188_19
; %bb.20:
	s_load_dword s25, s[0:1], 0x8
	ds_write2st64_b64 v149, v[128:129], v[130:131] offset0:8 offset1:12
	ds_write2st64_b64 v149, v[132:133], v[134:135] offset0:24 offset1:28
	s_waitcnt lgkmcnt(0)
	s_barrier
	s_cmp_gt_i32 s25, 8
	s_cbranch_scc1 .LBB188_22
; %bb.21:
	v_add_u32_e32 v153, 0x1000, v151
	v_add_u32_e32 v154, 0x3000, v140
	s_cbranch_execz .LBB188_23
	s_branch .LBB188_39
.LBB188_22:
                                        ; implicit-def: $vgpr153
                                        ; implicit-def: $vgpr154
.LBB188_23:
	s_add_i32 s12, s25, -8
	v_mad_i64_i32 v[128:129], s[28:29], v137, s26, 0
	v_mad_i64_i32 v[130:131], s[26:27], v136, s26, 0
	;; [unrolled: 1-line block ×4, first 2 shown]
	v_add_u32_e32 v155, 0x1000, v149
	v_add_u32_e32 v156, 0x3000, v149
	;; [unrolled: 1-line block ×4, first 2 shown]
	s_mov_b32 s13, 8
	s_mov_b32 s24, 0
	v_mov_b32_e32 v137, 0
.LBB188_24:                             ; =>This Loop Header: Depth=1
                                        ;     Child Loop BB188_30 Depth 2
                                        ;     Child Loop BB188_37 Depth 2
	s_and_b64 vcc, exec, s[4:5]
	v_or_b32_e32 v136, s13, v148
	s_cbranch_vccnz .LBB188_27
; %bb.25:                               ;   in Loop: Header=BB188_24 Depth=1
	v_lshl_add_u64 v[138:139], v[136:137], 3, s[20:21]
	v_lshl_add_u64 v[140:141], v[128:129], 3, v[138:139]
	v_lshl_add_u64 v[138:139], v[130:131], 3, v[138:139]
	flat_load_dwordx2 v[140:141], v[140:141]
	s_nop 0
	flat_load_dwordx2 v[142:143], v[138:139]
	s_waitcnt vmcnt(0) lgkmcnt(0)
	v_mul_f64 v[138:139], v[140:141], s[16:17]
	v_mul_f64 v[140:141], v[142:143], s[16:17]
	s_and_b64 vcc, exec, s[4:5]
	s_cbranch_vccnz .LBB188_28
.LBB188_26:                             ;   in Loop: Header=BB188_24 Depth=1
	v_lshl_add_u64 v[142:143], v[136:137], 3, s[22:23]
	v_lshl_add_u64 v[144:145], v[132:133], 3, v[142:143]
	;; [unrolled: 1-line block ×3, first 2 shown]
	flat_load_dwordx2 v[144:145], v[144:145]
	s_nop 0
	flat_load_dwordx2 v[158:159], v[142:143]
	s_waitcnt vmcnt(0) lgkmcnt(0)
	v_mul_f64 v[142:143], v[144:145], s[16:17]
	v_mul_f64 v[144:145], v[158:159], s[16:17]
	s_branch .LBB188_29
.LBB188_27:                             ;   in Loop: Header=BB188_24 Depth=1
	v_mov_b64_e32 v[138:139], 0
	v_mov_b64_e32 v[140:141], 0
	s_and_b64 vcc, exec, s[4:5]
	s_cbranch_vccz .LBB188_26
.LBB188_28:                             ;   in Loop: Header=BB188_24 Depth=1
	v_mov_b64_e32 v[142:143], 0
	v_mov_b64_e32 v[144:145], 0
.LBB188_29:                             ;   in Loop: Header=BB188_24 Depth=1
	s_mov_b32 s25, 0
.LBB188_30:                             ;   Parent Loop BB188_24 Depth=1
                                        ; =>  This Inner Loop Header: Depth=2
	v_add_u32_e32 v157, s25, v153
	ds_read2_b64 v[158:161], v157 offset1:16
	ds_read2_b64 v[162:165], v157 offset0:32 offset1:48
	ds_read2_b64 v[166:169], v157 offset0:64 offset1:80
	;; [unrolled: 1-line block ×7, first 2 shown]
	v_add_u32_e32 v157, 0x800, v157
	ds_read2_b64 v[190:193], v157 offset1:16
	ds_read2_b64 v[194:197], v157 offset0:32 offset1:48
	ds_read2_b64 v[198:201], v157 offset0:64 offset1:80
	;; [unrolled: 1-line block ×7, first 2 shown]
	v_add_u32_e32 v157, s25, v154
	ds_read2st64_b64 v[222:225], v157 offset1:4
	s_waitcnt lgkmcnt(14)
	v_max_f64 v[158:159], v[158:159], v[158:159]
	v_max_f64 v[160:161], v[160:161], v[160:161]
	;; [unrolled: 1-line block ×4, first 2 shown]
	s_waitcnt lgkmcnt(0)
	v_max_f64 v[222:223], v[222:223], v[222:223]
	v_min_f64 v[226:227], v[158:159], v[222:223]
	v_add_f64 v[126:127], v[226:227], v[126:127]
	v_min_f64 v[226:227], v[160:161], v[222:223]
	v_add_f64 v[124:125], v[226:227], v[124:125]
	;; [unrolled: 2-line block ×3, first 2 shown]
	v_min_f64 v[226:227], v[164:165], v[222:223]
	v_max_f64 v[166:167], v[166:167], v[166:167]
	v_add_f64 v[120:121], v[226:227], v[120:121]
	v_min_f64 v[226:227], v[166:167], v[222:223]
	v_max_f64 v[168:169], v[168:169], v[168:169]
	v_add_f64 v[118:119], v[226:227], v[118:119]
	;; [unrolled: 3-line block ×26, first 2 shown]
	v_min_f64 v[226:227], v[216:217], v[222:223]
	v_max_f64 v[218:219], v[218:219], v[218:219]
	v_max_f64 v[220:221], v[220:221], v[220:221]
	v_add_f64 v[68:69], v[226:227], v[68:69]
	v_min_f64 v[226:227], v[218:219], v[222:223]
	v_min_f64 v[222:223], v[220:221], v[222:223]
	v_add_f64 v[64:65], v[222:223], v[64:65]
	v_max_f64 v[222:223], v[224:225], v[224:225]
	v_min_f64 v[158:159], v[158:159], v[222:223]
	v_add_f64 v[62:63], v[158:159], v[62:63]
	v_min_f64 v[158:159], v[160:161], v[222:223]
	v_add_f64 v[60:61], v[158:159], v[60:61]
	;; [unrolled: 2-line block ×31, first 2 shown]
	v_min_f64 v[158:159], v[220:221], v[222:223]
	s_add_i32 s25, s25, 8
	v_add_f64 v[66:67], v[226:227], v[66:67]
	v_add_f64 v[0:1], v[158:159], v[0:1]
	s_cmp_eq_u32 s25, 32
	s_cbranch_scc0 .LBB188_30
; %bb.31:                               ;   in Loop: Header=BB188_24 Depth=1
	s_and_b64 vcc, exec, s[4:5]
	ds_write2st64_b64 v149, v[138:139], v[140:141] offset1:4
	ds_write2st64_b64 v150, v[142:143], v[144:145] offset1:4
	s_waitcnt lgkmcnt(0)
	s_barrier
	s_cbranch_vccnz .LBB188_34
; %bb.32:                               ;   in Loop: Header=BB188_24 Depth=1
	v_lshl_add_u64 v[138:139], v[136:137], 3, s[20:21]
	v_lshl_add_u64 v[140:141], v[128:129], 3, v[138:139]
	;; [unrolled: 1-line block ×3, first 2 shown]
	flat_load_dwordx2 v[140:141], v[140:141] offset:32
	s_nop 0
	flat_load_dwordx2 v[142:143], v[138:139] offset:32
	s_waitcnt vmcnt(0) lgkmcnt(0)
	v_mul_f64 v[138:139], v[140:141], s[16:17]
	v_mul_f64 v[140:141], v[142:143], s[16:17]
	s_and_b64 vcc, exec, s[4:5]
	s_cbranch_vccnz .LBB188_35
.LBB188_33:                             ;   in Loop: Header=BB188_24 Depth=1
	v_lshl_add_u64 v[142:143], v[136:137], 3, s[22:23]
	v_lshl_add_u64 v[144:145], v[132:133], 3, v[142:143]
	;; [unrolled: 1-line block ×3, first 2 shown]
	flat_load_dwordx2 v[144:145], v[144:145] offset:32
	s_nop 0
	flat_load_dwordx2 v[158:159], v[142:143] offset:32
	s_waitcnt vmcnt(0) lgkmcnt(0)
	v_mul_f64 v[142:143], v[144:145], s[16:17]
	v_mul_f64 v[144:145], v[158:159], s[16:17]
	s_branch .LBB188_36
.LBB188_34:                             ;   in Loop: Header=BB188_24 Depth=1
	v_mov_b64_e32 v[138:139], 0
	v_mov_b64_e32 v[140:141], 0
	s_and_b64 vcc, exec, s[4:5]
	s_cbranch_vccz .LBB188_33
.LBB188_35:                             ;   in Loop: Header=BB188_24 Depth=1
	v_mov_b64_e32 v[142:143], 0
	v_mov_b64_e32 v[144:145], 0
.LBB188_36:                             ;   in Loop: Header=BB188_24 Depth=1
	s_mov_b32 s25, 0
.LBB188_37:                             ;   Parent Loop BB188_24 Depth=1
                                        ; =>  This Inner Loop Header: Depth=2
	v_add_u32_e32 v136, s25, v151
	ds_read2_b64 v[158:161], v136 offset1:16
	ds_read2_b64 v[162:165], v136 offset0:32 offset1:48
	ds_read2_b64 v[166:169], v136 offset0:64 offset1:80
	;; [unrolled: 1-line block ×7, first 2 shown]
	v_add_u32_e32 v136, 0x800, v136
	ds_read2_b64 v[190:193], v136 offset1:16
	ds_read2_b64 v[194:197], v136 offset0:32 offset1:48
	ds_read2_b64 v[198:201], v136 offset0:64 offset1:80
	ds_read2_b64 v[202:205], v136 offset0:96 offset1:112
	ds_read2_b64 v[206:209], v136 offset0:128 offset1:144
	ds_read2_b64 v[210:213], v136 offset0:160 offset1:176
	ds_read2_b64 v[214:217], v136 offset0:192 offset1:208
	ds_read2_b64 v[218:221], v136 offset0:224 offset1:240
	v_add_u32_e32 v136, s25, v152
	ds_read2st64_b64 v[222:225], v136 offset1:4
	s_waitcnt lgkmcnt(14)
	v_max_f64 v[158:159], v[158:159], v[158:159]
	v_max_f64 v[160:161], v[160:161], v[160:161]
	v_max_f64 v[162:163], v[162:163], v[162:163]
	v_max_f64 v[164:165], v[164:165], v[164:165]
	s_waitcnt lgkmcnt(0)
	v_max_f64 v[222:223], v[222:223], v[222:223]
	v_min_f64 v[226:227], v[158:159], v[222:223]
	v_add_f64 v[126:127], v[226:227], v[126:127]
	v_min_f64 v[226:227], v[160:161], v[222:223]
	v_add_f64 v[124:125], v[226:227], v[124:125]
	;; [unrolled: 2-line block ×3, first 2 shown]
	v_min_f64 v[226:227], v[164:165], v[222:223]
	v_max_f64 v[166:167], v[166:167], v[166:167]
	v_add_f64 v[120:121], v[226:227], v[120:121]
	v_min_f64 v[226:227], v[166:167], v[222:223]
	v_max_f64 v[168:169], v[168:169], v[168:169]
	v_add_f64 v[118:119], v[226:227], v[118:119]
	;; [unrolled: 3-line block ×26, first 2 shown]
	v_min_f64 v[226:227], v[216:217], v[222:223]
	v_max_f64 v[218:219], v[218:219], v[218:219]
	v_max_f64 v[220:221], v[220:221], v[220:221]
	v_add_f64 v[68:69], v[226:227], v[68:69]
	v_min_f64 v[226:227], v[218:219], v[222:223]
	v_min_f64 v[222:223], v[220:221], v[222:223]
	v_add_f64 v[64:65], v[222:223], v[64:65]
	v_max_f64 v[222:223], v[224:225], v[224:225]
	v_min_f64 v[158:159], v[158:159], v[222:223]
	v_add_f64 v[62:63], v[158:159], v[62:63]
	v_min_f64 v[158:159], v[160:161], v[222:223]
	v_add_f64 v[60:61], v[158:159], v[60:61]
	;; [unrolled: 2-line block ×31, first 2 shown]
	v_min_f64 v[158:159], v[220:221], v[222:223]
	s_add_i32 s25, s25, 8
	v_add_f64 v[66:67], v[226:227], v[66:67]
	v_add_f64 v[0:1], v[158:159], v[0:1]
	s_cmp_eq_u32 s25, 32
	s_cbranch_scc0 .LBB188_37
; %bb.38:                               ;   in Loop: Header=BB188_24 Depth=1
	s_add_i32 s13, s13, 8
	s_add_i32 s24, s24, 8
	s_cmp_ge_i32 s24, s12
	ds_write2st64_b64 v155, v[138:139], v[140:141] offset1:4
	ds_write2st64_b64 v156, v[142:143], v[144:145] offset1:4
	s_waitcnt lgkmcnt(0)
	s_barrier
	s_cbranch_scc0 .LBB188_24
.LBB188_39:
	s_mov_b32 s4, 0
.LBB188_40:                             ; =>This Inner Loop Header: Depth=1
	v_add_u32_e32 v144, s4, v153
	v_add_u32_e32 v145, s4, v154
	ds_read2_b64 v[128:131], v144 offset1:16
	ds_read2_b64 v[132:135], v144 offset0:32 offset1:48
	ds_read2_b64 v[136:139], v144 offset0:64 offset1:80
	;; [unrolled: 1-line block ×7, first 2 shown]
	v_add_u32_e32 v144, 0x800, v144
	ds_read2st64_b64 v[168:171], v145 offset1:4
	ds_read2_b64 v[172:175], v144 offset1:16
	ds_read2_b64 v[176:179], v144 offset0:32 offset1:48
	ds_read2_b64 v[180:183], v144 offset0:64 offset1:80
	;; [unrolled: 1-line block ×7, first 2 shown]
	s_waitcnt lgkmcnt(14)
	v_max_f64 v[128:129], v[128:129], v[128:129]
	v_max_f64 v[130:131], v[130:131], v[130:131]
	;; [unrolled: 1-line block ×3, first 2 shown]
	s_waitcnt lgkmcnt(8)
	v_max_f64 v[144:145], v[168:169], v[168:169]
	v_max_f64 v[134:135], v[134:135], v[134:135]
	;; [unrolled: 1-line block ×15, first 2 shown]
	v_min_f64 v[170:171], v[128:129], v[144:145]
	v_min_f64 v[204:205], v[130:131], v[144:145]
	;; [unrolled: 1-line block ×16, first 2 shown]
	s_waitcnt lgkmcnt(7)
	v_max_f64 v[172:173], v[172:173], v[172:173]
	v_max_f64 v[174:175], v[174:175], v[174:175]
	s_waitcnt lgkmcnt(6)
	v_max_f64 v[176:177], v[176:177], v[176:177]
	v_max_f64 v[178:179], v[178:179], v[178:179]
	;; [unrolled: 3-line block ×8, first 2 shown]
	v_min_f64 v[128:129], v[128:129], v[168:169]
	v_min_f64 v[130:131], v[130:131], v[168:169]
	;; [unrolled: 1-line block ×16, first 2 shown]
	s_add_i32 s4, s4, 8
	v_add_f64 v[126:127], v[170:171], v[126:127]
	v_add_f64 v[124:125], v[204:205], v[124:125]
	;; [unrolled: 1-line block ×15, first 2 shown]
	v_min_f64 v[170:171], v[172:173], v[144:145]
	v_min_f64 v[204:205], v[174:175], v[144:145]
	;; [unrolled: 1-line block ×16, first 2 shown]
	v_add_f64 v[62:63], v[128:129], v[62:63]
	v_add_f64 v[60:61], v[130:131], v[60:61]
	;; [unrolled: 1-line block ×16, first 2 shown]
	v_min_f64 v[128:129], v[172:173], v[168:169]
	v_min_f64 v[130:131], v[174:175], v[168:169]
	;; [unrolled: 1-line block ×16, first 2 shown]
	s_cmp_eq_u32 s4, 32
	v_add_f64 v[96:97], v[232:233], v[96:97]
	v_add_f64 v[94:95], v[170:171], v[94:95]
	v_add_f64 v[92:93], v[204:205], v[92:93]
	v_add_f64 v[90:91], v[206:207], v[90:91]
	v_add_f64 v[88:89], v[208:209], v[88:89]
	v_add_f64 v[86:87], v[210:211], v[86:87]
	v_add_f64 v[84:85], v[212:213], v[84:85]
	v_add_f64 v[82:83], v[214:215], v[82:83]
	v_add_f64 v[80:81], v[216:217], v[80:81]
	v_add_f64 v[78:79], v[218:219], v[78:79]
	v_add_f64 v[76:77], v[220:221], v[76:77]
	v_add_f64 v[74:75], v[222:223], v[74:75]
	v_add_f64 v[72:73], v[224:225], v[72:73]
	v_add_f64 v[70:71], v[226:227], v[70:71]
	v_add_f64 v[68:69], v[228:229], v[68:69]
	v_add_f64 v[66:67], v[230:231], v[66:67]
	v_add_f64 v[64:65], v[144:145], v[64:65]
	v_add_f64 v[30:31], v[128:129], v[30:31]
	v_add_f64 v[28:29], v[130:131], v[28:29]
	v_add_f64 v[26:27], v[132:133], v[26:27]
	v_add_f64 v[24:25], v[134:135], v[24:25]
	v_add_f64 v[22:23], v[136:137], v[22:23]
	v_add_f64 v[20:21], v[138:139], v[20:21]
	v_add_f64 v[18:19], v[140:141], v[18:19]
	v_add_f64 v[16:17], v[142:143], v[16:17]
	v_add_f64 v[14:15], v[148:149], v[14:15]
	v_add_f64 v[12:13], v[150:151], v[12:13]
	v_add_f64 v[10:11], v[156:157], v[10:11]
	v_add_f64 v[8:9], v[158:159], v[8:9]
	v_add_f64 v[6:7], v[160:161], v[6:7]
	v_add_f64 v[4:5], v[162:163], v[4:5]
	v_add_f64 v[2:3], v[164:165], v[2:3]
	v_add_f64 v[0:1], v[166:167], v[0:1]
	s_cbranch_scc0 .LBB188_40
; %bb.41:
	s_load_dwordx2 s[12:13], s[0:1], 0x78
	s_load_dword s4, s[0:1], 0x58
	s_load_dword s5, s[0:1], 0x70
	v_add_u32_e32 v130, s2, v146
	v_add_u32_e32 v170, s18, v147
	s_waitcnt lgkmcnt(0)
	s_mul_i32 s0, s3, s13
	s_mul_hi_u32 s1, s3, s12
	s_mul_i32 s13, s19, s12
	s_add_i32 s0, s1, s0
	s_add_i32 s1, s0, s13
	s_mul_i32 s0, s3, s12
	s_lshl_b64 s[0:1], s[0:1], 3
	s_add_u32 s0, s14, s0
	s_addc_u32 s1, s15, s1
	v_add_u32_e32 v128, 4, v130
	v_mad_i64_i32 v[132:133], s[2:3], v170, s5, 0
	v_ashrrev_i32_e32 v131, 31, v130
	v_ashrrev_i32_e32 v129, 31, v128
	v_lshl_add_u64 v[138:139], v[132:133], 3, s[0:1]
	v_mad_i64_i32 v[132:133], s[2:3], v170, s4, 0
	s_mov_b64 vcc, s[6:7]
	s_cbranch_vccz .LBB188_44
; %bb.42:
	v_add_f64 v[134:135], v[126:127], 0
	v_lshl_add_u64 v[136:137], v[130:131], 3, v[138:139]
	s_mov_b64 s[2:3], 0
	global_store_dwordx2 v[136:137], v[134:135], off
	v_lshl_add_u64 v[146:147], v[132:133], 3, s[8:9]
	v_lshlrev_b64 v[134:135], 3, v[130:131]
	s_cbranch_execz .LBB188_45
; %bb.43:
	v_mov_b64_e32 v[136:137], s[2:3]
	s_branch .LBB188_46
.LBB188_44:
	s_mov_b64 s[2:3], -1
	v_lshl_add_u64 v[146:147], v[132:133], 3, s[8:9]
	v_lshlrev_b64 v[134:135], 3, v[130:131]
.LBB188_45:
	v_lshl_add_u64 v[132:133], v[146:147], 0, v[134:135]
	flat_load_dwordx2 v[132:133], v[132:133]
	v_lshl_add_u64 v[136:137], v[138:139], 0, v[134:135]
	s_waitcnt vmcnt(0) lgkmcnt(0)
	v_fmac_f64_e32 v[126:127], s[10:11], v[132:133]
	global_store_dwordx2 v[136:137], v[126:127], off
	v_lshl_add_u64 v[126:127], v[128:129], 3, v[146:147]
	flat_load_dwordx2 v[126:127], v[126:127]
	s_waitcnt vmcnt(0) lgkmcnt(0)
	v_mul_f64 v[136:137], v[126:127], s[10:11]
.LBB188_46:
	v_add_u32_e32 v132, 8, v130
	v_add_u32_e32 v126, 12, v130
	v_ashrrev_i32_e32 v133, 31, v132
	v_ashrrev_i32_e32 v127, 31, v126
	v_add_f64 v[124:125], v[124:125], v[136:137]
	v_lshl_add_u64 v[136:137], v[128:129], 3, v[138:139]
	s_mov_b64 vcc, s[6:7]
	global_store_dwordx2 v[136:137], v[124:125], off
	s_cbranch_vccz .LBB188_49
; %bb.47:
	v_add_f64 v[124:125], v[122:123], 0
	v_lshl_add_u64 v[136:137], v[132:133], 3, v[138:139]
	s_mov_b64 s[2:3], 0
	global_store_dwordx2 v[136:137], v[124:125], off
	v_lshlrev_b64 v[136:137], 3, v[132:133]
	s_cbranch_execz .LBB188_50
; %bb.48:
	v_mov_b64_e32 v[140:141], s[2:3]
	s_branch .LBB188_51
.LBB188_49:
	s_mov_b64 s[2:3], -1
	v_lshlrev_b64 v[136:137], 3, v[132:133]
.LBB188_50:
	v_lshl_add_u64 v[124:125], v[146:147], 0, v[136:137]
	flat_load_dwordx2 v[124:125], v[124:125]
	v_lshl_add_u64 v[140:141], v[138:139], 0, v[136:137]
	s_waitcnt vmcnt(0) lgkmcnt(0)
	v_fmac_f64_e32 v[122:123], s[10:11], v[124:125]
	global_store_dwordx2 v[140:141], v[122:123], off
	v_lshl_add_u64 v[122:123], v[126:127], 3, v[146:147]
	flat_load_dwordx2 v[122:123], v[122:123]
	s_waitcnt vmcnt(0) lgkmcnt(0)
	v_mul_f64 v[140:141], v[122:123], s[10:11]
.LBB188_51:
	v_add_u32_e32 v124, 16, v130
	v_add_u32_e32 v122, 20, v130
	v_ashrrev_i32_e32 v125, 31, v124
	v_ashrrev_i32_e32 v123, 31, v122
	v_add_f64 v[120:121], v[120:121], v[140:141]
	v_lshl_add_u64 v[140:141], v[126:127], 3, v[138:139]
	s_mov_b64 vcc, s[6:7]
	global_store_dwordx2 v[140:141], v[120:121], off
	s_cbranch_vccz .LBB188_54
; %bb.52:
	v_add_f64 v[120:121], v[118:119], 0
	v_lshl_add_u64 v[140:141], v[124:125], 3, v[138:139]
	s_mov_b64 s[2:3], 0
	global_store_dwordx2 v[140:141], v[120:121], off
	v_lshlrev_b64 v[140:141], 3, v[124:125]
	s_cbranch_execz .LBB188_55
; %bb.53:
	v_mov_b64_e32 v[142:143], s[2:3]
	s_branch .LBB188_56
.LBB188_54:
	s_mov_b64 s[2:3], -1
	v_lshlrev_b64 v[140:141], 3, v[124:125]
.LBB188_55:
	v_lshl_add_u64 v[120:121], v[146:147], 0, v[140:141]
	flat_load_dwordx2 v[120:121], v[120:121]
	v_lshl_add_u64 v[142:143], v[138:139], 0, v[140:141]
	s_waitcnt vmcnt(0) lgkmcnt(0)
	v_fmac_f64_e32 v[118:119], s[10:11], v[120:121]
	global_store_dwordx2 v[142:143], v[118:119], off
	v_lshl_add_u64 v[118:119], v[122:123], 3, v[146:147]
	flat_load_dwordx2 v[118:119], v[118:119]
	s_waitcnt vmcnt(0) lgkmcnt(0)
	v_mul_f64 v[142:143], v[118:119], s[10:11]
.LBB188_56:
	v_add_u32_e32 v120, 24, v130
	v_add_u32_e32 v118, 28, v130
	v_ashrrev_i32_e32 v121, 31, v120
	v_ashrrev_i32_e32 v119, 31, v118
	v_add_f64 v[116:117], v[116:117], v[142:143]
	v_lshl_add_u64 v[142:143], v[122:123], 3, v[138:139]
	s_mov_b64 vcc, s[6:7]
	global_store_dwordx2 v[142:143], v[116:117], off
	s_cbranch_vccz .LBB188_59
; %bb.57:
	v_add_f64 v[116:117], v[114:115], 0
	v_lshl_add_u64 v[142:143], v[120:121], 3, v[138:139]
	s_mov_b64 s[2:3], 0
	global_store_dwordx2 v[142:143], v[116:117], off
	v_lshlrev_b64 v[142:143], 3, v[120:121]
	s_cbranch_execz .LBB188_60
; %bb.58:
	v_mov_b64_e32 v[144:145], s[2:3]
	s_branch .LBB188_61
.LBB188_59:
	s_mov_b64 s[2:3], -1
	v_lshlrev_b64 v[142:143], 3, v[120:121]
.LBB188_60:
	v_lshl_add_u64 v[116:117], v[146:147], 0, v[142:143]
	flat_load_dwordx2 v[116:117], v[116:117]
	v_lshl_add_u64 v[144:145], v[138:139], 0, v[142:143]
	s_waitcnt vmcnt(0) lgkmcnt(0)
	v_fmac_f64_e32 v[114:115], s[10:11], v[116:117]
	global_store_dwordx2 v[144:145], v[114:115], off
	v_lshl_add_u64 v[114:115], v[118:119], 3, v[146:147]
	flat_load_dwordx2 v[114:115], v[114:115]
	s_waitcnt vmcnt(0) lgkmcnt(0)
	v_mul_f64 v[144:145], v[114:115], s[10:11]
.LBB188_61:
	v_add_u32_e32 v116, 32, v130
	v_add_u32_e32 v114, 36, v130
	v_ashrrev_i32_e32 v117, 31, v116
	v_ashrrev_i32_e32 v115, 31, v114
	v_add_f64 v[112:113], v[112:113], v[144:145]
	v_lshl_add_u64 v[144:145], v[118:119], 3, v[138:139]
	s_mov_b64 vcc, s[6:7]
	global_store_dwordx2 v[144:145], v[112:113], off
	s_cbranch_vccz .LBB188_64
; %bb.62:
	v_add_f64 v[112:113], v[110:111], 0
	v_lshl_add_u64 v[144:145], v[116:117], 3, v[138:139]
	s_mov_b64 s[2:3], 0
	global_store_dwordx2 v[144:145], v[112:113], off
	v_lshlrev_b64 v[144:145], 3, v[116:117]
	s_cbranch_execz .LBB188_65
; %bb.63:
	v_mov_b64_e32 v[148:149], s[2:3]
	s_branch .LBB188_66
.LBB188_64:
	s_mov_b64 s[2:3], -1
	v_lshlrev_b64 v[144:145], 3, v[116:117]
.LBB188_65:
	v_lshl_add_u64 v[112:113], v[146:147], 0, v[144:145]
	flat_load_dwordx2 v[112:113], v[112:113]
	v_lshl_add_u64 v[148:149], v[138:139], 0, v[144:145]
	s_waitcnt vmcnt(0) lgkmcnt(0)
	v_fmac_f64_e32 v[110:111], s[10:11], v[112:113]
	global_store_dwordx2 v[148:149], v[110:111], off
	v_lshl_add_u64 v[110:111], v[114:115], 3, v[146:147]
	flat_load_dwordx2 v[110:111], v[110:111]
	s_waitcnt vmcnt(0) lgkmcnt(0)
	v_mul_f64 v[148:149], v[110:111], s[10:11]
.LBB188_66:
	v_add_u32_e32 v112, 40, v130
	v_add_u32_e32 v110, 44, v130
	v_ashrrev_i32_e32 v113, 31, v112
	v_ashrrev_i32_e32 v111, 31, v110
	v_add_f64 v[108:109], v[108:109], v[148:149]
	v_lshl_add_u64 v[148:149], v[114:115], 3, v[138:139]
	s_mov_b64 vcc, s[6:7]
	global_store_dwordx2 v[148:149], v[108:109], off
	s_cbranch_vccz .LBB188_69
; %bb.67:
	v_add_f64 v[108:109], v[106:107], 0
	v_lshl_add_u64 v[148:149], v[112:113], 3, v[138:139]
	s_mov_b64 s[2:3], 0
	global_store_dwordx2 v[148:149], v[108:109], off
	v_lshlrev_b64 v[148:149], 3, v[112:113]
	s_cbranch_execz .LBB188_70
; %bb.68:
	v_mov_b64_e32 v[150:151], s[2:3]
	s_branch .LBB188_71
.LBB188_69:
	s_mov_b64 s[2:3], -1
	v_lshlrev_b64 v[148:149], 3, v[112:113]
.LBB188_70:
	v_lshl_add_u64 v[108:109], v[146:147], 0, v[148:149]
	flat_load_dwordx2 v[108:109], v[108:109]
	v_lshl_add_u64 v[150:151], v[138:139], 0, v[148:149]
	s_waitcnt vmcnt(0) lgkmcnt(0)
	v_fmac_f64_e32 v[106:107], s[10:11], v[108:109]
	global_store_dwordx2 v[150:151], v[106:107], off
	v_lshl_add_u64 v[106:107], v[110:111], 3, v[146:147]
	flat_load_dwordx2 v[106:107], v[106:107]
	s_waitcnt vmcnt(0) lgkmcnt(0)
	v_mul_f64 v[150:151], v[106:107], s[10:11]
.LBB188_71:
	v_add_u32_e32 v108, 48, v130
	v_add_u32_e32 v106, 52, v130
	v_ashrrev_i32_e32 v109, 31, v108
	v_ashrrev_i32_e32 v107, 31, v106
	v_add_f64 v[104:105], v[104:105], v[150:151]
	v_lshl_add_u64 v[150:151], v[110:111], 3, v[138:139]
	s_mov_b64 vcc, s[6:7]
	global_store_dwordx2 v[150:151], v[104:105], off
	s_cbranch_vccz .LBB188_74
; %bb.72:
	v_add_f64 v[104:105], v[102:103], 0
	v_lshl_add_u64 v[150:151], v[108:109], 3, v[138:139]
	s_mov_b64 s[2:3], 0
	global_store_dwordx2 v[150:151], v[104:105], off
	v_lshlrev_b64 v[150:151], 3, v[108:109]
	s_cbranch_execz .LBB188_75
; %bb.73:
	v_mov_b64_e32 v[152:153], s[2:3]
	s_branch .LBB188_76
.LBB188_74:
	s_mov_b64 s[2:3], -1
	v_lshlrev_b64 v[150:151], 3, v[108:109]
.LBB188_75:
	v_lshl_add_u64 v[104:105], v[146:147], 0, v[150:151]
	flat_load_dwordx2 v[104:105], v[104:105]
	v_lshl_add_u64 v[152:153], v[138:139], 0, v[150:151]
	s_waitcnt vmcnt(0) lgkmcnt(0)
	v_fmac_f64_e32 v[102:103], s[10:11], v[104:105]
	global_store_dwordx2 v[152:153], v[102:103], off
	v_lshl_add_u64 v[102:103], v[106:107], 3, v[146:147]
	flat_load_dwordx2 v[102:103], v[102:103]
	s_waitcnt vmcnt(0) lgkmcnt(0)
	v_mul_f64 v[152:153], v[102:103], s[10:11]
.LBB188_76:
	v_add_u32_e32 v104, 56, v130
	v_add_u32_e32 v102, 60, v130
	v_ashrrev_i32_e32 v105, 31, v104
	v_ashrrev_i32_e32 v103, 31, v102
	v_add_f64 v[100:101], v[100:101], v[152:153]
	v_lshl_add_u64 v[152:153], v[106:107], 3, v[138:139]
	s_mov_b64 vcc, s[6:7]
	global_store_dwordx2 v[152:153], v[100:101], off
	s_cbranch_vccz .LBB188_79
; %bb.77:
	v_add_f64 v[100:101], v[98:99], 0
	v_lshl_add_u64 v[152:153], v[104:105], 3, v[138:139]
	s_mov_b64 s[2:3], 0
	global_store_dwordx2 v[152:153], v[100:101], off
	v_lshlrev_b64 v[152:153], 3, v[104:105]
	s_cbranch_execz .LBB188_80
; %bb.78:
	v_mov_b64_e32 v[154:155], s[2:3]
	s_branch .LBB188_81
.LBB188_79:
	s_mov_b64 s[2:3], -1
	v_lshlrev_b64 v[152:153], 3, v[104:105]
.LBB188_80:
	v_lshl_add_u64 v[100:101], v[146:147], 0, v[152:153]
	flat_load_dwordx2 v[100:101], v[100:101]
	v_lshl_add_u64 v[154:155], v[138:139], 0, v[152:153]
	s_waitcnt vmcnt(0) lgkmcnt(0)
	v_fmac_f64_e32 v[98:99], s[10:11], v[100:101]
	global_store_dwordx2 v[154:155], v[98:99], off
	v_lshl_add_u64 v[98:99], v[102:103], 3, v[146:147]
	flat_load_dwordx2 v[98:99], v[98:99]
	s_waitcnt vmcnt(0) lgkmcnt(0)
	v_mul_f64 v[154:155], v[98:99], s[10:11]
.LBB188_81:
	v_add_u32_e32 v100, 64, v130
	v_add_u32_e32 v98, 0x44, v130
	v_ashrrev_i32_e32 v101, 31, v100
	v_ashrrev_i32_e32 v99, 31, v98
	v_add_f64 v[96:97], v[96:97], v[154:155]
	v_lshl_add_u64 v[154:155], v[102:103], 3, v[138:139]
	s_mov_b64 vcc, s[6:7]
	global_store_dwordx2 v[154:155], v[96:97], off
	s_cbranch_vccz .LBB188_84
; %bb.82:
	v_add_f64 v[96:97], v[94:95], 0
	v_lshl_add_u64 v[154:155], v[100:101], 3, v[138:139]
	s_mov_b64 s[2:3], 0
	global_store_dwordx2 v[154:155], v[96:97], off
	v_lshlrev_b64 v[154:155], 3, v[100:101]
	s_cbranch_execz .LBB188_85
; %bb.83:
	v_mov_b64_e32 v[156:157], s[2:3]
	s_branch .LBB188_86
.LBB188_84:
	s_mov_b64 s[2:3], -1
	v_lshlrev_b64 v[154:155], 3, v[100:101]
.LBB188_85:
	v_lshl_add_u64 v[96:97], v[146:147], 0, v[154:155]
	flat_load_dwordx2 v[96:97], v[96:97]
	v_lshl_add_u64 v[156:157], v[138:139], 0, v[154:155]
	s_waitcnt vmcnt(0) lgkmcnt(0)
	v_fmac_f64_e32 v[94:95], s[10:11], v[96:97]
	global_store_dwordx2 v[156:157], v[94:95], off
	v_lshl_add_u64 v[94:95], v[98:99], 3, v[146:147]
	flat_load_dwordx2 v[94:95], v[94:95]
	s_waitcnt vmcnt(0) lgkmcnt(0)
	v_mul_f64 v[156:157], v[94:95], s[10:11]
.LBB188_86:
	v_add_u32_e32 v96, 0x48, v130
	v_add_u32_e32 v94, 0x4c, v130
	v_ashrrev_i32_e32 v97, 31, v96
	v_ashrrev_i32_e32 v95, 31, v94
	v_add_f64 v[92:93], v[92:93], v[156:157]
	v_lshl_add_u64 v[156:157], v[98:99], 3, v[138:139]
	s_mov_b64 vcc, s[6:7]
	global_store_dwordx2 v[156:157], v[92:93], off
	s_cbranch_vccz .LBB188_89
; %bb.87:
	v_add_f64 v[92:93], v[90:91], 0
	v_lshl_add_u64 v[156:157], v[96:97], 3, v[138:139]
	s_mov_b64 s[2:3], 0
	global_store_dwordx2 v[156:157], v[92:93], off
	v_lshlrev_b64 v[156:157], 3, v[96:97]
	s_cbranch_execz .LBB188_90
; %bb.88:
	v_mov_b64_e32 v[158:159], s[2:3]
	s_branch .LBB188_91
.LBB188_89:
	s_mov_b64 s[2:3], -1
	v_lshlrev_b64 v[156:157], 3, v[96:97]
.LBB188_90:
	v_lshl_add_u64 v[92:93], v[146:147], 0, v[156:157]
	flat_load_dwordx2 v[92:93], v[92:93]
	v_lshl_add_u64 v[158:159], v[138:139], 0, v[156:157]
	s_waitcnt vmcnt(0) lgkmcnt(0)
	v_fmac_f64_e32 v[90:91], s[10:11], v[92:93]
	global_store_dwordx2 v[158:159], v[90:91], off
	v_lshl_add_u64 v[90:91], v[94:95], 3, v[146:147]
	flat_load_dwordx2 v[90:91], v[90:91]
	s_waitcnt vmcnt(0) lgkmcnt(0)
	v_mul_f64 v[158:159], v[90:91], s[10:11]
.LBB188_91:
	v_add_u32_e32 v92, 0x50, v130
	v_add_u32_e32 v90, 0x54, v130
	v_ashrrev_i32_e32 v93, 31, v92
	v_ashrrev_i32_e32 v91, 31, v90
	v_add_f64 v[88:89], v[88:89], v[158:159]
	v_lshl_add_u64 v[158:159], v[94:95], 3, v[138:139]
	s_mov_b64 vcc, s[6:7]
	global_store_dwordx2 v[158:159], v[88:89], off
	s_cbranch_vccz .LBB188_94
; %bb.92:
	v_add_f64 v[88:89], v[86:87], 0
	v_lshl_add_u64 v[158:159], v[92:93], 3, v[138:139]
	s_mov_b64 s[2:3], 0
	global_store_dwordx2 v[158:159], v[88:89], off
	v_lshlrev_b64 v[158:159], 3, v[92:93]
	s_cbranch_execz .LBB188_95
; %bb.93:
	v_mov_b64_e32 v[160:161], s[2:3]
	s_branch .LBB188_96
.LBB188_94:
	s_mov_b64 s[2:3], -1
	v_lshlrev_b64 v[158:159], 3, v[92:93]
.LBB188_95:
	v_lshl_add_u64 v[88:89], v[146:147], 0, v[158:159]
	flat_load_dwordx2 v[88:89], v[88:89]
	v_lshl_add_u64 v[160:161], v[138:139], 0, v[158:159]
	s_waitcnt vmcnt(0) lgkmcnt(0)
	v_fmac_f64_e32 v[86:87], s[10:11], v[88:89]
	global_store_dwordx2 v[160:161], v[86:87], off
	v_lshl_add_u64 v[86:87], v[90:91], 3, v[146:147]
	flat_load_dwordx2 v[86:87], v[86:87]
	s_waitcnt vmcnt(0) lgkmcnt(0)
	v_mul_f64 v[160:161], v[86:87], s[10:11]
.LBB188_96:
	v_add_u32_e32 v88, 0x58, v130
	v_add_u32_e32 v86, 0x5c, v130
	v_ashrrev_i32_e32 v89, 31, v88
	v_ashrrev_i32_e32 v87, 31, v86
	v_add_f64 v[84:85], v[84:85], v[160:161]
	v_lshl_add_u64 v[160:161], v[90:91], 3, v[138:139]
	s_mov_b64 vcc, s[6:7]
	global_store_dwordx2 v[160:161], v[84:85], off
	s_cbranch_vccz .LBB188_99
; %bb.97:
	v_add_f64 v[84:85], v[82:83], 0
	v_lshl_add_u64 v[160:161], v[88:89], 3, v[138:139]
	s_mov_b64 s[2:3], 0
	global_store_dwordx2 v[160:161], v[84:85], off
	v_lshlrev_b64 v[160:161], 3, v[88:89]
	s_cbranch_execz .LBB188_100
; %bb.98:
	v_mov_b64_e32 v[162:163], s[2:3]
	s_branch .LBB188_101
.LBB188_99:
	s_mov_b64 s[2:3], -1
	v_lshlrev_b64 v[160:161], 3, v[88:89]
.LBB188_100:
	v_lshl_add_u64 v[84:85], v[146:147], 0, v[160:161]
	flat_load_dwordx2 v[84:85], v[84:85]
	v_lshl_add_u64 v[162:163], v[138:139], 0, v[160:161]
	s_waitcnt vmcnt(0) lgkmcnt(0)
	v_fmac_f64_e32 v[82:83], s[10:11], v[84:85]
	global_store_dwordx2 v[162:163], v[82:83], off
	v_lshl_add_u64 v[82:83], v[86:87], 3, v[146:147]
	flat_load_dwordx2 v[82:83], v[82:83]
	s_waitcnt vmcnt(0) lgkmcnt(0)
	v_mul_f64 v[162:163], v[82:83], s[10:11]
.LBB188_101:
	v_add_u32_e32 v84, 0x60, v130
	v_add_u32_e32 v82, 0x64, v130
	v_ashrrev_i32_e32 v85, 31, v84
	v_ashrrev_i32_e32 v83, 31, v82
	v_add_f64 v[80:81], v[80:81], v[162:163]
	v_lshl_add_u64 v[162:163], v[86:87], 3, v[138:139]
	s_mov_b64 vcc, s[6:7]
	global_store_dwordx2 v[162:163], v[80:81], off
	s_cbranch_vccz .LBB188_104
; %bb.102:
	v_add_f64 v[80:81], v[78:79], 0
	v_lshl_add_u64 v[162:163], v[84:85], 3, v[138:139]
	s_mov_b64 s[2:3], 0
	global_store_dwordx2 v[162:163], v[80:81], off
	v_lshlrev_b64 v[162:163], 3, v[84:85]
	s_cbranch_execz .LBB188_105
; %bb.103:
	v_mov_b64_e32 v[164:165], s[2:3]
	s_branch .LBB188_106
.LBB188_104:
	s_mov_b64 s[2:3], -1
	v_lshlrev_b64 v[162:163], 3, v[84:85]
.LBB188_105:
	v_lshl_add_u64 v[80:81], v[146:147], 0, v[162:163]
	flat_load_dwordx2 v[80:81], v[80:81]
	v_lshl_add_u64 v[164:165], v[138:139], 0, v[162:163]
	s_waitcnt vmcnt(0) lgkmcnt(0)
	v_fmac_f64_e32 v[78:79], s[10:11], v[80:81]
	global_store_dwordx2 v[164:165], v[78:79], off
	v_lshl_add_u64 v[78:79], v[82:83], 3, v[146:147]
	flat_load_dwordx2 v[78:79], v[78:79]
	s_waitcnt vmcnt(0) lgkmcnt(0)
	v_mul_f64 v[164:165], v[78:79], s[10:11]
.LBB188_106:
	v_add_u32_e32 v80, 0x68, v130
	v_add_u32_e32 v78, 0x6c, v130
	v_ashrrev_i32_e32 v81, 31, v80
	v_ashrrev_i32_e32 v79, 31, v78
	v_add_f64 v[76:77], v[76:77], v[164:165]
	v_lshl_add_u64 v[164:165], v[82:83], 3, v[138:139]
	s_mov_b64 vcc, s[6:7]
	global_store_dwordx2 v[164:165], v[76:77], off
	s_cbranch_vccz .LBB188_109
; %bb.107:
	v_add_f64 v[76:77], v[74:75], 0
	v_lshl_add_u64 v[164:165], v[80:81], 3, v[138:139]
	s_mov_b64 s[2:3], 0
	global_store_dwordx2 v[164:165], v[76:77], off
	v_lshlrev_b64 v[164:165], 3, v[80:81]
	s_cbranch_execz .LBB188_110
; %bb.108:
	v_mov_b64_e32 v[166:167], s[2:3]
	s_branch .LBB188_111
.LBB188_109:
	s_mov_b64 s[2:3], -1
	v_lshlrev_b64 v[164:165], 3, v[80:81]
.LBB188_110:
	v_lshl_add_u64 v[76:77], v[146:147], 0, v[164:165]
	flat_load_dwordx2 v[76:77], v[76:77]
	v_lshl_add_u64 v[166:167], v[138:139], 0, v[164:165]
	s_waitcnt vmcnt(0) lgkmcnt(0)
	v_fmac_f64_e32 v[74:75], s[10:11], v[76:77]
	global_store_dwordx2 v[166:167], v[74:75], off
	v_lshl_add_u64 v[74:75], v[78:79], 3, v[146:147]
	flat_load_dwordx2 v[74:75], v[74:75]
	s_waitcnt vmcnt(0) lgkmcnt(0)
	v_mul_f64 v[166:167], v[74:75], s[10:11]
.LBB188_111:
	v_add_u32_e32 v76, 0x70, v130
	v_add_u32_e32 v74, 0x74, v130
	v_ashrrev_i32_e32 v77, 31, v76
	v_ashrrev_i32_e32 v75, 31, v74
	v_add_f64 v[72:73], v[72:73], v[166:167]
	v_lshl_add_u64 v[166:167], v[78:79], 3, v[138:139]
	s_mov_b64 vcc, s[6:7]
	global_store_dwordx2 v[166:167], v[72:73], off
	s_cbranch_vccz .LBB188_114
; %bb.112:
	v_add_f64 v[72:73], v[70:71], 0
	v_lshl_add_u64 v[166:167], v[76:77], 3, v[138:139]
	s_mov_b64 s[2:3], 0
	global_store_dwordx2 v[166:167], v[72:73], off
	v_lshlrev_b64 v[166:167], 3, v[76:77]
	s_cbranch_execz .LBB188_115
; %bb.113:
	v_mov_b64_e32 v[168:169], s[2:3]
	s_branch .LBB188_116
.LBB188_114:
	s_mov_b64 s[2:3], -1
	v_lshlrev_b64 v[166:167], 3, v[76:77]
.LBB188_115:
	v_lshl_add_u64 v[72:73], v[146:147], 0, v[166:167]
	flat_load_dwordx2 v[72:73], v[72:73]
	v_lshl_add_u64 v[168:169], v[138:139], 0, v[166:167]
	s_waitcnt vmcnt(0) lgkmcnt(0)
	v_fmac_f64_e32 v[70:71], s[10:11], v[72:73]
	global_store_dwordx2 v[168:169], v[70:71], off
	v_lshl_add_u64 v[70:71], v[74:75], 3, v[146:147]
	flat_load_dwordx2 v[70:71], v[70:71]
	s_waitcnt vmcnt(0) lgkmcnt(0)
	v_mul_f64 v[168:169], v[70:71], s[10:11]
.LBB188_116:
	v_add_u32_e32 v72, 0x78, v130
	v_add_u32_e32 v70, 0x7c, v130
	v_ashrrev_i32_e32 v73, 31, v72
	v_ashrrev_i32_e32 v71, 31, v70
	v_add_f64 v[68:69], v[68:69], v[168:169]
	v_lshl_add_u64 v[168:169], v[74:75], 3, v[138:139]
	s_mov_b64 vcc, s[6:7]
	global_store_dwordx2 v[168:169], v[68:69], off
	s_cbranch_vccz .LBB188_119
; %bb.117:
	v_add_f64 v[68:69], v[66:67], 0
	v_lshl_add_u64 v[168:169], v[72:73], 3, v[138:139]
	s_mov_b64 s[2:3], 0
	global_store_dwordx2 v[168:169], v[68:69], off
	v_lshlrev_b64 v[68:69], 3, v[72:73]
	s_cbranch_execz .LBB188_120
; %bb.118:
	v_mov_b64_e32 v[66:67], s[2:3]
	s_branch .LBB188_121
.LBB188_119:
	s_mov_b64 s[2:3], -1
	v_lshlrev_b64 v[68:69], 3, v[72:73]
.LBB188_120:
	v_lshl_add_u64 v[168:169], v[146:147], 0, v[68:69]
	flat_load_dwordx2 v[168:169], v[168:169]
	v_lshl_add_u64 v[172:173], v[138:139], 0, v[68:69]
	s_waitcnt vmcnt(0) lgkmcnt(0)
	v_fmac_f64_e32 v[66:67], s[10:11], v[168:169]
	global_store_dwordx2 v[172:173], v[66:67], off
	v_lshl_add_u64 v[66:67], v[70:71], 3, v[146:147]
	flat_load_dwordx2 v[66:67], v[66:67]
	s_waitcnt vmcnt(0) lgkmcnt(0)
	v_mul_f64 v[66:67], v[66:67], s[10:11]
.LBB188_121:
	v_add_f64 v[64:65], v[64:65], v[66:67]
	v_lshl_add_u64 v[66:67], v[70:71], 3, v[138:139]
	global_store_dwordx2 v[66:67], v[64:65], off
	v_add_u32_e32 v66, 64, v170
	v_mad_i64_i32 v[64:65], s[2:3], v66, s5, 0
	v_lshl_add_u64 v[64:65], v[64:65], 3, s[0:1]
	v_mad_i64_i32 v[66:67], s[0:1], v66, s4, 0
	s_mov_b64 vcc, s[6:7]
	s_cbranch_vccz .LBB188_124
; %bb.122:
	v_add_f64 v[138:139], v[62:63], 0
	v_lshl_add_u64 v[130:131], v[130:131], 3, v[64:65]
	s_mov_b64 s[0:1], 0
	global_store_dwordx2 v[130:131], v[138:139], off
	v_lshl_add_u64 v[66:67], v[66:67], 3, s[8:9]
	s_cbranch_execz .LBB188_125
; %bb.123:
	v_mov_b64_e32 v[62:63], s[0:1]
	s_branch .LBB188_126
.LBB188_124:
	s_mov_b64 s[0:1], -1
	v_lshl_add_u64 v[66:67], v[66:67], 3, s[8:9]
.LBB188_125:
	v_lshl_add_u64 v[130:131], v[66:67], 0, v[134:135]
	flat_load_dwordx2 v[130:131], v[130:131]
	v_lshl_add_u64 v[134:135], v[64:65], 0, v[134:135]
	s_waitcnt vmcnt(0) lgkmcnt(0)
	v_fmac_f64_e32 v[62:63], s[10:11], v[130:131]
	global_store_dwordx2 v[134:135], v[62:63], off
	v_lshl_add_u64 v[62:63], v[128:129], 3, v[66:67]
	flat_load_dwordx2 v[62:63], v[62:63]
	s_waitcnt vmcnt(0) lgkmcnt(0)
	v_mul_f64 v[62:63], v[62:63], s[10:11]
.LBB188_126:
	v_add_f64 v[60:61], v[60:61], v[62:63]
	v_lshl_add_u64 v[62:63], v[128:129], 3, v[64:65]
	s_mov_b64 vcc, s[6:7]
	global_store_dwordx2 v[62:63], v[60:61], off
	s_cbranch_vccz .LBB188_129
; %bb.127:
	v_add_f64 v[60:61], v[58:59], 0
	v_lshl_add_u64 v[62:63], v[132:133], 3, v[64:65]
	s_mov_b64 s[0:1], 0
	global_store_dwordx2 v[62:63], v[60:61], off
	s_cbranch_execz .LBB188_130
; %bb.128:
	v_mov_b64_e32 v[58:59], s[0:1]
	s_branch .LBB188_131
.LBB188_129:
	s_mov_b64 s[0:1], -1
.LBB188_130:
	v_lshl_add_u64 v[60:61], v[66:67], 0, v[136:137]
	flat_load_dwordx2 v[60:61], v[60:61]
	v_lshl_add_u64 v[62:63], v[64:65], 0, v[136:137]
	s_waitcnt vmcnt(0) lgkmcnt(0)
	v_fmac_f64_e32 v[58:59], s[10:11], v[60:61]
	global_store_dwordx2 v[62:63], v[58:59], off
	v_lshl_add_u64 v[58:59], v[126:127], 3, v[66:67]
	flat_load_dwordx2 v[58:59], v[58:59]
	s_waitcnt vmcnt(0) lgkmcnt(0)
	v_mul_f64 v[58:59], v[58:59], s[10:11]
.LBB188_131:
	v_add_f64 v[56:57], v[56:57], v[58:59]
	v_lshl_add_u64 v[58:59], v[126:127], 3, v[64:65]
	s_mov_b64 vcc, s[6:7]
	global_store_dwordx2 v[58:59], v[56:57], off
	s_cbranch_vccz .LBB188_134
; %bb.132:
	v_add_f64 v[56:57], v[54:55], 0
	v_lshl_add_u64 v[58:59], v[124:125], 3, v[64:65]
	s_mov_b64 s[0:1], 0
	global_store_dwordx2 v[58:59], v[56:57], off
	s_cbranch_execz .LBB188_135
; %bb.133:
	v_mov_b64_e32 v[54:55], s[0:1]
	s_branch .LBB188_136
.LBB188_134:
	s_mov_b64 s[0:1], -1
.LBB188_135:
	v_lshl_add_u64 v[56:57], v[66:67], 0, v[140:141]
	flat_load_dwordx2 v[56:57], v[56:57]
	v_lshl_add_u64 v[58:59], v[64:65], 0, v[140:141]
	s_waitcnt vmcnt(0) lgkmcnt(0)
	v_fmac_f64_e32 v[54:55], s[10:11], v[56:57]
	global_store_dwordx2 v[58:59], v[54:55], off
	v_lshl_add_u64 v[54:55], v[122:123], 3, v[66:67]
	flat_load_dwordx2 v[54:55], v[54:55]
	s_waitcnt vmcnt(0) lgkmcnt(0)
	v_mul_f64 v[54:55], v[54:55], s[10:11]
.LBB188_136:
	;; [unrolled: 28-line block ×14, first 2 shown]
	v_add_f64 v[4:5], v[4:5], v[6:7]
	v_lshl_add_u64 v[6:7], v[74:75], 3, v[64:65]
	s_mov_b64 vcc, s[6:7]
	global_store_dwordx2 v[6:7], v[4:5], off
	s_cbranch_vccz .LBB188_199
; %bb.197:
	v_add_f64 v[4:5], v[2:3], 0
	v_lshl_add_u64 v[6:7], v[72:73], 3, v[64:65]
	s_mov_b64 s[0:1], 0
	global_store_dwordx2 v[6:7], v[4:5], off
	s_cbranch_execz .LBB188_200
; %bb.198:
	v_mov_b64_e32 v[2:3], s[0:1]
	v_add_f64 v[0:1], v[0:1], v[2:3]
	v_lshl_add_u64 v[2:3], v[70:71], 3, v[64:65]
	global_store_dwordx2 v[2:3], v[0:1], off
	s_endpgm
.LBB188_199:
	s_mov_b64 s[0:1], -1
.LBB188_200:
	v_lshl_add_u64 v[4:5], v[66:67], 0, v[68:69]
	flat_load_dwordx2 v[4:5], v[4:5]
	v_lshl_add_u64 v[6:7], v[64:65], 0, v[68:69]
	s_waitcnt vmcnt(0) lgkmcnt(0)
	v_fmac_f64_e32 v[2:3], s[10:11], v[4:5]
	global_store_dwordx2 v[6:7], v[2:3], off
	v_lshl_add_u64 v[2:3], v[70:71], 3, v[66:67]
	flat_load_dwordx2 v[2:3], v[2:3]
	s_waitcnt vmcnt(0) lgkmcnt(0)
	v_mul_f64 v[2:3], v[2:3], s[10:11]
	v_add_f64 v[0:1], v[0:1], v[2:3]
	v_lshl_add_u64 v[2:3], v[70:71], 3, v[64:65]
	global_store_dwordx2 v[2:3], v[0:1], off
	s_endpgm
	.section	.rodata,"a",@progbits
	.p2align	6, 0x0
	.amdhsa_kernel _ZN12_GLOBAL__N_120geam_min_plus_kernelIdddLi4ELi64ELi128ELi128ELi4ELi4ELi64ELi4ELi64ELc84ELc78ELb0ELb0ELb0EdKddEEviiiT16_PT17_ilS4_ilS2_S4_ilPT18_ili26rocblas_geam_ex_operation_
		.amdhsa_group_segment_fixed_size 16384
		.amdhsa_private_segment_fixed_size 0
		.amdhsa_kernarg_size 136
		.amdhsa_user_sgpr_count 2
		.amdhsa_user_sgpr_dispatch_ptr 0
		.amdhsa_user_sgpr_queue_ptr 0
		.amdhsa_user_sgpr_kernarg_segment_ptr 1
		.amdhsa_user_sgpr_dispatch_id 0
		.amdhsa_user_sgpr_kernarg_preload_length 0
		.amdhsa_user_sgpr_kernarg_preload_offset 0
		.amdhsa_user_sgpr_private_segment_size 0
		.amdhsa_uses_dynamic_stack 0
		.amdhsa_enable_private_segment 0
		.amdhsa_system_sgpr_workgroup_id_x 1
		.amdhsa_system_sgpr_workgroup_id_y 0
		.amdhsa_system_sgpr_workgroup_id_z 1
		.amdhsa_system_sgpr_workgroup_info 0
		.amdhsa_system_vgpr_workitem_id 1
		.amdhsa_next_free_vgpr 250
		.amdhsa_next_free_sgpr 30
		.amdhsa_accum_offset 252
		.amdhsa_reserve_vcc 1
		.amdhsa_float_round_mode_32 0
		.amdhsa_float_round_mode_16_64 0
		.amdhsa_float_denorm_mode_32 3
		.amdhsa_float_denorm_mode_16_64 3
		.amdhsa_dx10_clamp 1
		.amdhsa_ieee_mode 1
		.amdhsa_fp16_overflow 0
		.amdhsa_tg_split 0
		.amdhsa_exception_fp_ieee_invalid_op 0
		.amdhsa_exception_fp_denorm_src 0
		.amdhsa_exception_fp_ieee_div_zero 0
		.amdhsa_exception_fp_ieee_overflow 0
		.amdhsa_exception_fp_ieee_underflow 0
		.amdhsa_exception_fp_ieee_inexact 0
		.amdhsa_exception_int_div_zero 0
	.end_amdhsa_kernel
	.section	.text._ZN12_GLOBAL__N_120geam_min_plus_kernelIdddLi4ELi64ELi128ELi128ELi4ELi4ELi64ELi4ELi64ELc84ELc78ELb0ELb0ELb0EdKddEEviiiT16_PT17_ilS4_ilS2_S4_ilPT18_ili26rocblas_geam_ex_operation_,"axG",@progbits,_ZN12_GLOBAL__N_120geam_min_plus_kernelIdddLi4ELi64ELi128ELi128ELi4ELi4ELi64ELi4ELi64ELc84ELc78ELb0ELb0ELb0EdKddEEviiiT16_PT17_ilS4_ilS2_S4_ilPT18_ili26rocblas_geam_ex_operation_,comdat
.Lfunc_end188:
	.size	_ZN12_GLOBAL__N_120geam_min_plus_kernelIdddLi4ELi64ELi128ELi128ELi4ELi4ELi64ELi4ELi64ELc84ELc78ELb0ELb0ELb0EdKddEEviiiT16_PT17_ilS4_ilS2_S4_ilPT18_ili26rocblas_geam_ex_operation_, .Lfunc_end188-_ZN12_GLOBAL__N_120geam_min_plus_kernelIdddLi4ELi64ELi128ELi128ELi4ELi4ELi64ELi4ELi64ELc84ELc78ELb0ELb0ELb0EdKddEEviiiT16_PT17_ilS4_ilS2_S4_ilPT18_ili26rocblas_geam_ex_operation_
                                        ; -- End function
	.section	.AMDGPU.csdata,"",@progbits
; Kernel info:
; codeLenInByte = 13060
; NumSgprs: 36
; NumVgprs: 250
; NumAgprs: 0
; TotalNumVgprs: 250
; ScratchSize: 0
; MemoryBound: 0
; FloatMode: 240
; IeeeMode: 1
; LDSByteSize: 16384 bytes/workgroup (compile time only)
; SGPRBlocks: 4
; VGPRBlocks: 31
; NumSGPRsForWavesPerEU: 36
; NumVGPRsForWavesPerEU: 250
; AccumOffset: 252
; Occupancy: 2
; WaveLimiterHint : 0
; COMPUTE_PGM_RSRC2:SCRATCH_EN: 0
; COMPUTE_PGM_RSRC2:USER_SGPR: 2
; COMPUTE_PGM_RSRC2:TRAP_HANDLER: 0
; COMPUTE_PGM_RSRC2:TGID_X_EN: 1
; COMPUTE_PGM_RSRC2:TGID_Y_EN: 0
; COMPUTE_PGM_RSRC2:TGID_Z_EN: 1
; COMPUTE_PGM_RSRC2:TIDIG_COMP_CNT: 1
; COMPUTE_PGM_RSRC3_GFX90A:ACCUM_OFFSET: 62
; COMPUTE_PGM_RSRC3_GFX90A:TG_SPLIT: 0
	.section	.text._ZN12_GLOBAL__N_120geam_min_plus_kernelIdddLi4ELi64ELi128ELi128ELi4ELi4ELi64ELi4ELi64ELc84ELc78ELb0ELb1ELb0EPKdS1_dEEviiiT16_PT17_ilS5_ilS3_S5_ilPT18_ili26rocblas_geam_ex_operation_,"axG",@progbits,_ZN12_GLOBAL__N_120geam_min_plus_kernelIdddLi4ELi64ELi128ELi128ELi4ELi4ELi64ELi4ELi64ELc84ELc78ELb0ELb1ELb0EPKdS1_dEEviiiT16_PT17_ilS5_ilS3_S5_ilPT18_ili26rocblas_geam_ex_operation_,comdat
	.globl	_ZN12_GLOBAL__N_120geam_min_plus_kernelIdddLi4ELi64ELi128ELi128ELi4ELi4ELi64ELi4ELi64ELc84ELc78ELb0ELb1ELb0EPKdS1_dEEviiiT16_PT17_ilS5_ilS3_S5_ilPT18_ili26rocblas_geam_ex_operation_ ; -- Begin function _ZN12_GLOBAL__N_120geam_min_plus_kernelIdddLi4ELi64ELi128ELi128ELi4ELi4ELi64ELi4ELi64ELc84ELc78ELb0ELb1ELb0EPKdS1_dEEviiiT16_PT17_ilS5_ilS3_S5_ilPT18_ili26rocblas_geam_ex_operation_
	.p2align	8
	.type	_ZN12_GLOBAL__N_120geam_min_plus_kernelIdddLi4ELi64ELi128ELi128ELi4ELi4ELi64ELi4ELi64ELc84ELc78ELb0ELb1ELb0EPKdS1_dEEviiiT16_PT17_ilS5_ilS3_S5_ilPT18_ili26rocblas_geam_ex_operation_,@function
_ZN12_GLOBAL__N_120geam_min_plus_kernelIdddLi4ELi64ELi128ELi128ELi4ELi4ELi64ELi4ELi64ELc84ELc78ELb0ELb1ELb0EPKdS1_dEEviiiT16_PT17_ilS5_ilS3_S5_ilPT18_ili26rocblas_geam_ex_operation_: ; @_ZN12_GLOBAL__N_120geam_min_plus_kernelIdddLi4ELi64ELi128ELi128ELi4ELi4ELi64ELi4ELi64ELc84ELc78ELb0ELb1ELb0EPKdS1_dEEviiiT16_PT17_ilS5_ilS3_S5_ilPT18_ili26rocblas_geam_ex_operation_
; %bb.0:
	s_load_dwordx4 s[12:15], s[0:1], 0x10
	s_load_dwordx4 s[4:7], s[0:1], 0x28
	s_mov_b32 s16, s3
	s_mov_b32 s17, 0
	s_lshl_b64 s[20:21], s[16:17], 3
	s_waitcnt lgkmcnt(0)
	s_add_u32 s12, s12, s20
	s_load_dwordx4 s[8:11], s[0:1], 0x40
	s_addc_u32 s13, s13, s21
	s_load_dwordx2 s[18:19], s[12:13], 0x0
	s_load_dwordx2 s[24:25], s[0:1], 0x50
	s_waitcnt lgkmcnt(0)
	s_add_u32 s10, s10, s20
	v_cmp_eq_f64_e64 s[22:23], s[18:19], 0
	s_addc_u32 s11, s11, s21
	s_mov_b64 s[20:21], 0
	v_cmp_neq_f64_e64 s[12:13], s[18:19], 0
	s_and_b64 vcc, exec, s[22:23]
	s_mov_b64 s[22:23], 0
	s_cbranch_vccnz .LBB189_2
; %bb.1:
	s_mul_i32 s3, s16, s5
	s_mul_hi_u32 s5, s16, s4
	s_add_i32 s5, s5, s3
	s_mul_i32 s4, s16, s4
	s_lshl_b64 s[4:5], s[4:5], 3
	s_add_u32 s22, s14, s4
	s_addc_u32 s23, s15, s5
.LBB189_2:
	s_load_dwordx2 s[70:71], s[10:11], 0x0
	s_andn2_b64 vcc, exec, s[12:13]
	s_cbranch_vccnz .LBB189_4
; %bb.3:
	s_mul_i32 s3, s16, s9
	s_mul_hi_u32 s4, s16, s8
	s_add_i32 s5, s4, s3
	s_mul_i32 s4, s16, s8
	s_lshl_b64 s[4:5], s[4:5], 3
	s_add_u32 s20, s6, s4
	s_addc_u32 s21, s7, s5
.LBB189_4:
	s_load_dwordx4 s[8:11], s[0:1], 0x60
	s_waitcnt lgkmcnt(0)
	v_cmp_eq_f64_e64 s[4:5], s[70:71], 0
	s_mov_b64 s[76:77], 0
	v_cmp_neq_f64_e64 s[12:13], s[70:71], 0
	s_and_b64 vcc, exec, s[4:5]
	s_cbranch_vccnz .LBB189_6
; %bb.5:
	s_mul_i32 s3, s16, s9
	s_mul_hi_u32 s4, s16, s8
	s_add_i32 s5, s4, s3
	s_mul_i32 s4, s16, s8
	s_lshl_b64 s[4:5], s[4:5], 3
	s_add_u32 s76, s24, s4
	s_addc_u32 s77, s25, s5
.LBB189_6:
	s_load_dwordx4 s[72:75], s[0:1], 0x0
	s_load_dword s29, s[0:1], 0x20
	v_and_b32_e32 v146, 0x3ff, v0
	v_bfe_u32 v147, v0, 10, 10
	v_lshrrev_b32_e32 v3, 2, v146
	s_waitcnt lgkmcnt(0)
	s_add_i32 s3, s72, -1
	s_ashr_i32 s4, s3, 31
	s_lshr_b32 s4, s4, 25
	s_add_i32 s3, s3, s4
	s_ashr_i32 s3, s3, 7
	s_add_i32 s4, s3, 1
	v_cvt_f32_u32_e32 v1, s4
	s_not_b32 s3, s3
	v_add_u32_e32 v12, v3, v147
	v_and_b32_e32 v148, 3, v146
	v_rcp_iflag_f32_e32 v2, v1
	v_cmp_le_i32_e32 vcc, s74, v148
	v_cmp_eq_f64_e64 s[14:15], s[18:19], 0
	v_mov_b64_e32 v[0:1], 0
	v_mul_f32_e32 v2, 0x4f7ffffe, v2
	v_cvt_u32_f32_e32 v2, v2
	s_nop 0
	v_readfirstlane_b32 s5, v2
	s_mul_i32 s3, s3, s5
	s_mul_hi_u32 s3, s5, s3
	s_add_i32 s5, s5, s3
	s_mul_hi_u32 s3, s2, s5
	s_mul_i32 s5, s3, s4
	s_sub_i32 s5, s2, s5
	s_add_i32 s6, s3, 1
	s_sub_i32 s7, s5, s4
	s_cmp_ge_u32 s5, s4
	s_cselect_b32 s3, s6, s3
	s_cselect_b32 s5, s7, s5
	s_add_i32 s6, s3, 1
	s_cmp_ge_u32 s5, s4
	s_cselect_b32 s8, s6, s3
	s_mul_i32 s3, s8, s4
	s_sub_i32 s2, s2, s3
	s_lshl_b32 s17, s2, 7
	v_add_u32_e32 v136, s17, v12
	s_add_i32 s27, s74, -1
	v_cmp_le_i32_e64 s[2:3], s72, v136
	v_min_i32_e32 v6, s27, v148
	s_or_b64 s[4:5], vcc, s[2:3]
	v_ashrrev_i32_e32 v7, 31, v6
	s_or_b64 s[4:5], s[14:15], s[4:5]
	v_lshl_add_u64 v[8:9], v[6:7], 3, s[22:23]
	s_xor_b64 s[6:7], s[4:5], -1
	v_mov_b64_e32 v[2:3], v[0:1]
	s_and_saveexec_b64 s[4:5], s[6:7]
	s_cbranch_execz .LBB189_8
; %bb.7:
	v_mad_i64_i32 v[2:3], s[6:7], v136, s29, 0
	v_lshl_add_u64 v[2:3], v[2:3], 3, v[8:9]
	flat_load_dwordx2 v[2:3], v[2:3]
	s_waitcnt vmcnt(0) lgkmcnt(0)
	v_mul_f64 v[2:3], s[18:19], v[2:3]
.LBB189_8:
	s_or_b64 exec, exec, s[4:5]
	v_add_u32_e32 v137, 64, v136
	v_cmp_le_i32_e64 s[4:5], s72, v137
	s_or_b64 s[6:7], vcc, s[4:5]
	s_or_b64 s[6:7], s[14:15], s[6:7]
	s_xor_b64 s[24:25], s[6:7], -1
	v_mov_b64_e32 v[4:5], v[0:1]
	s_and_saveexec_b64 s[6:7], s[24:25]
	s_cbranch_execz .LBB189_10
; %bb.9:
	v_mad_i64_i32 v[4:5], s[24:25], v137, s29, 0
	v_lshl_add_u64 v[4:5], v[4:5], 3, v[8:9]
	flat_load_dwordx2 v[4:5], v[4:5]
	s_waitcnt vmcnt(0) lgkmcnt(0)
	v_mul_f64 v[4:5], s[18:19], v[4:5]
.LBB189_10:
	s_or_b64 exec, exec, s[6:7]
	s_lshl_b32 s26, s8, 7
	s_load_dword s30, s[0:1], 0x38
	v_add_u32_e32 v138, s26, v12
	v_cmp_le_i32_e64 s[6:7], s73, v138
	s_or_b64 s[8:9], vcc, s[6:7]
	s_or_b64 s[8:9], s[14:15], s[8:9]
	v_lshl_add_u64 v[8:9], v[6:7], 3, s[20:21]
	s_xor_b64 s[24:25], s[8:9], -1
	s_and_saveexec_b64 s[8:9], s[24:25]
	s_cbranch_execz .LBB189_12
; %bb.11:
	s_waitcnt lgkmcnt(0)
	v_mad_i64_i32 v[0:1], s[24:25], v138, s30, 0
	v_lshl_add_u64 v[0:1], v[0:1], 3, v[8:9]
	flat_load_dwordx2 v[0:1], v[0:1]
	s_waitcnt vmcnt(0) lgkmcnt(0)
	v_mul_f64 v[0:1], s[18:19], v[0:1]
.LBB189_12:
	s_or_b64 exec, exec, s[8:9]
	v_add_u32_e32 v139, 64, v138
	v_cmp_le_i32_e64 s[8:9], s73, v139
	s_or_b64 s[24:25], vcc, s[8:9]
	s_or_b64 s[24:25], s[14:15], s[24:25]
	v_mov_b64_e32 v[128:129], 0
	s_xor_b64 s[34:35], s[24:25], -1
	v_mov_b64_e32 v[6:7], v[128:129]
	s_and_saveexec_b64 s[24:25], s[34:35]
	s_cbranch_execz .LBB189_14
; %bb.13:
	s_waitcnt lgkmcnt(0)
	v_mad_i64_i32 v[6:7], s[34:35], v139, s30, 0
	v_lshl_add_u64 v[6:7], v[6:7], 3, v[8:9]
	flat_load_dwordx2 v[6:7], v[6:7]
	s_waitcnt vmcnt(0) lgkmcnt(0)
	v_mul_f64 v[6:7], s[18:19], v[6:7]
.LBB189_14:
	s_or_b64 exec, exec, s[24:25]
	v_or_b32_e32 v8, 4, v148
	v_cmp_le_i32_e32 vcc, s74, v8
	v_min_i32_e32 v8, s27, v8
	s_or_b64 s[24:25], vcc, s[2:3]
	v_ashrrev_i32_e32 v9, 31, v8
	s_or_b64 s[24:25], s[14:15], s[24:25]
	v_lshl_add_u64 v[10:11], v[8:9], 3, s[22:23]
	s_xor_b64 s[34:35], s[24:25], -1
	s_and_saveexec_b64 s[24:25], s[34:35]
	s_cbranch_execz .LBB189_16
; %bb.15:
	v_mad_i64_i32 v[14:15], s[34:35], v136, s29, 0
	v_lshl_add_u64 v[14:15], v[14:15], 3, v[10:11]
	flat_load_dwordx2 v[14:15], v[14:15]
	s_waitcnt vmcnt(0) lgkmcnt(0)
	v_mul_f64 v[128:129], s[18:19], v[14:15]
.LBB189_16:
	s_or_b64 exec, exec, s[24:25]
	s_or_b64 s[24:25], vcc, s[4:5]
	s_or_b64 s[24:25], s[14:15], s[24:25]
	v_mov_b64_e32 v[130:131], 0
	s_xor_b64 s[34:35], s[24:25], -1
	v_mov_b64_e32 v[132:133], v[130:131]
	s_and_saveexec_b64 s[24:25], s[34:35]
	s_cbranch_execz .LBB189_18
; %bb.17:
	v_mad_i64_i32 v[14:15], s[34:35], v137, s29, 0
	v_lshl_add_u64 v[10:11], v[14:15], 3, v[10:11]
	flat_load_dwordx2 v[10:11], v[10:11]
	s_waitcnt vmcnt(0) lgkmcnt(0)
	v_mul_f64 v[132:133], s[18:19], v[10:11]
.LBB189_18:
	s_or_b64 exec, exec, s[24:25]
	s_or_b64 s[24:25], vcc, s[6:7]
	s_or_b64 s[24:25], s[14:15], s[24:25]
	v_lshl_add_u64 v[8:9], v[8:9], 3, s[20:21]
	s_xor_b64 s[34:35], s[24:25], -1
	s_and_saveexec_b64 s[24:25], s[34:35]
	s_cbranch_execz .LBB189_20
; %bb.19:
	s_waitcnt lgkmcnt(0)
	v_mad_i64_i32 v[10:11], s[34:35], v138, s30, 0
	v_lshl_add_u64 v[10:11], v[10:11], 3, v[8:9]
	flat_load_dwordx2 v[10:11], v[10:11]
	s_waitcnt vmcnt(0) lgkmcnt(0)
	v_mul_f64 v[130:131], s[18:19], v[10:11]
.LBB189_20:
	s_or_b64 exec, exec, s[24:25]
	s_or_b64 s[24:25], vcc, s[8:9]
	s_or_b64 s[24:25], s[14:15], s[24:25]
	v_mov_b64_e32 v[126:127], 0
	s_xor_b64 s[34:35], s[24:25], -1
	v_mov_b64_e32 v[134:135], v[126:127]
	s_and_saveexec_b64 s[24:25], s[34:35]
	s_cbranch_execz .LBB189_22
; %bb.21:
	s_waitcnt lgkmcnt(0)
	v_mad_i64_i32 v[10:11], s[34:35], v139, s30, 0
	v_lshl_add_u64 v[8:9], v[10:11], 3, v[8:9]
	flat_load_dwordx2 v[8:9], v[8:9]
	s_waitcnt vmcnt(0) lgkmcnt(0)
	v_mul_f64 v[134:135], s[18:19], v[8:9]
.LBB189_22:
	s_or_b64 exec, exec, s[24:25]
	v_lshlrev_b32_e32 v8, 3, v148
	v_lshl_or_b32 v149, v12, 5, v8
	v_lshlrev_b32_e32 v140, 5, v147
	ds_write2st64_b64 v149, v[2:3], v[4:5] offset1:4
	v_add_u32_e32 v150, 0x2000, v149
	ds_write2st64_b64 v149, v[0:1], v[6:7] offset0:16 offset1:20
	v_lshlrev_b32_e32 v151, 5, v146
	v_add_u32_e32 v152, 0x2000, v140
	s_mov_b32 s24, 0
	v_mov_b64_e32 v[124:125], v[126:127]
	v_mov_b64_e32 v[122:123], v[126:127]
	;; [unrolled: 1-line block ×63, first 2 shown]
	s_waitcnt lgkmcnt(0)
	s_barrier
.LBB189_23:                             ; =>This Inner Loop Header: Depth=1
	v_add_u32_e32 v141, s24, v151
	v_add_u32_e32 v153, s24, v152
	ds_read2_b64 v[142:145], v141 offset1:16
	ds_read2_b64 v[154:157], v141 offset0:32 offset1:48
	ds_read2_b64 v[158:161], v141 offset0:64 offset1:80
	;; [unrolled: 1-line block ×7, first 2 shown]
	ds_read2st64_b64 v[182:185], v153 offset1:4
	v_add_u32_e32 v141, 0x800, v141
	ds_read2_b64 v[186:189], v141 offset1:16
	ds_read2_b64 v[190:193], v141 offset0:32 offset1:48
	ds_read2_b64 v[194:197], v141 offset0:64 offset1:80
	;; [unrolled: 1-line block ×7, first 2 shown]
	s_waitcnt lgkmcnt(14)
	v_max_f64 v[142:143], v[142:143], v[142:143]
	v_max_f64 v[144:145], v[144:145], v[144:145]
	v_max_f64 v[154:155], v[154:155], v[154:155]
	v_max_f64 v[156:157], v[156:157], v[156:157]
	v_max_f64 v[158:159], v[158:159], v[158:159]
	v_max_f64 v[160:161], v[160:161], v[160:161]
	s_waitcnt lgkmcnt(13)
	v_max_f64 v[162:163], v[162:163], v[162:163]
	v_max_f64 v[164:165], v[164:165], v[164:165]
	s_waitcnt lgkmcnt(12)
	v_max_f64 v[166:167], v[166:167], v[166:167]
	v_max_f64 v[168:169], v[168:169], v[168:169]
	;; [unrolled: 3-line block ×14, first 2 shown]
	v_min_f64 v[218:219], v[142:143], v[182:183]
	v_min_f64 v[220:221], v[144:145], v[182:183]
	;; [unrolled: 1-line block ×32, first 2 shown]
	s_add_i32 s24, s24, 8
	v_add_f64 v[62:63], v[142:143], v[62:63]
	v_add_f64 v[60:61], v[144:145], v[60:61]
	;; [unrolled: 1-line block ×16, first 2 shown]
	v_min_f64 v[142:143], v[186:187], v[182:183]
	v_min_f64 v[144:145], v[188:189], v[182:183]
	;; [unrolled: 1-line block ×32, first 2 shown]
	s_cmp_eq_u32 s24, 32
	v_add_f64 v[126:127], v[218:219], v[126:127]
	v_add_f64 v[124:125], v[220:221], v[124:125]
	;; [unrolled: 1-line block ×48, first 2 shown]
	s_cbranch_scc0 .LBB189_23
; %bb.24:
	s_cmp_gt_i32 s74, 8
	ds_write2st64_b64 v149, v[128:129], v[132:133] offset0:8 offset1:12
	ds_write2st64_b64 v149, v[130:131], v[134:135] offset0:24 offset1:28
	s_waitcnt lgkmcnt(0)
	s_barrier
	s_cbranch_scc1 .LBB189_26
; %bb.25:
	v_add_u32_e32 v153, 0x1000, v151
	v_add_u32_e32 v154, 0x3000, v140
	s_cbranch_execz .LBB189_27
	s_branch .LBB189_49
.LBB189_26:
                                        ; implicit-def: $vgpr153
                                        ; implicit-def: $vgpr154
.LBB189_27:
	v_add_u32_e32 v155, 0x1000, v149
	v_add_u32_e32 v156, 0x3000, v149
	s_add_i32 s28, s74, -8
	v_mad_i64_i32 v[128:129], s[24:25], v136, s29, 0
	v_mad_i64_i32 v[130:131], s[24:25], v137, s29, 0
	;; [unrolled: 1-line block ×4, first 2 shown]
	v_add_u32_e32 v153, 0x1000, v151
	v_add_u32_e32 v154, 0x3000, v140
	s_mov_b32 s29, 8
	s_mov_b32 s30, 0
.LBB189_28:                             ; =>This Loop Header: Depth=1
                                        ;     Child Loop BB189_37 Depth 2
                                        ;     Child Loop BB189_47 Depth 2
	v_or_b32_e32 v157, s29, v148
	v_cmp_le_i32_e32 vcc, s74, v157
	v_min_i32_e32 v140, s27, v157
	s_or_b64 s[24:25], s[2:3], vcc
	v_ashrrev_i32_e32 v141, 31, v140
	s_or_b64 s[24:25], s[14:15], s[24:25]
	v_mov_b64_e32 v[136:137], 0
	v_lshl_add_u64 v[142:143], v[140:141], 3, s[22:23]
	s_xor_b64 s[34:35], s[24:25], -1
	v_mov_b64_e32 v[138:139], v[136:137]
	s_and_saveexec_b64 s[24:25], s[34:35]
	s_cbranch_execz .LBB189_30
; %bb.29:                               ;   in Loop: Header=BB189_28 Depth=1
	v_lshl_add_u64 v[138:139], v[128:129], 3, v[142:143]
	flat_load_dwordx2 v[138:139], v[138:139]
	s_waitcnt vmcnt(0) lgkmcnt(0)
	v_mul_f64 v[138:139], s[18:19], v[138:139]
.LBB189_30:                             ;   in Loop: Header=BB189_28 Depth=1
	s_or_b64 exec, exec, s[24:25]
	s_or_b64 s[24:25], s[4:5], vcc
	s_or_b64 s[24:25], s[14:15], s[24:25]
	s_xor_b64 s[34:35], s[24:25], -1
	s_and_saveexec_b64 s[24:25], s[34:35]
	s_cbranch_execz .LBB189_32
; %bb.31:                               ;   in Loop: Header=BB189_28 Depth=1
	v_lshl_add_u64 v[136:137], v[130:131], 3, v[142:143]
	flat_load_dwordx2 v[136:137], v[136:137]
	s_waitcnt vmcnt(0) lgkmcnt(0)
	v_mul_f64 v[136:137], s[18:19], v[136:137]
.LBB189_32:                             ;   in Loop: Header=BB189_28 Depth=1
	s_or_b64 exec, exec, s[24:25]
	s_or_b64 s[24:25], s[6:7], vcc
	v_lshl_add_u64 v[144:145], v[140:141], 3, s[20:21]
	s_or_b64 s[24:25], s[14:15], s[24:25]
	v_mov_b64_e32 v[140:141], 0
	s_xor_b64 s[34:35], s[24:25], -1
	v_mov_b64_e32 v[142:143], v[140:141]
	s_and_saveexec_b64 s[24:25], s[34:35]
	s_cbranch_execz .LBB189_34
; %bb.33:                               ;   in Loop: Header=BB189_28 Depth=1
	v_lshl_add_u64 v[142:143], v[132:133], 3, v[144:145]
	flat_load_dwordx2 v[142:143], v[142:143]
	s_waitcnt vmcnt(0) lgkmcnt(0)
	v_mul_f64 v[142:143], s[18:19], v[142:143]
.LBB189_34:                             ;   in Loop: Header=BB189_28 Depth=1
	s_or_b64 exec, exec, s[24:25]
	s_or_b64 s[24:25], s[8:9], vcc
	s_or_b64 s[24:25], s[14:15], s[24:25]
	s_xor_b64 s[34:35], s[24:25], -1
	s_and_saveexec_b64 s[24:25], s[34:35]
	s_cbranch_execz .LBB189_36
; %bb.35:                               ;   in Loop: Header=BB189_28 Depth=1
	v_lshl_add_u64 v[140:141], v[134:135], 3, v[144:145]
	flat_load_dwordx2 v[140:141], v[140:141]
	s_waitcnt vmcnt(0) lgkmcnt(0)
	v_mul_f64 v[140:141], s[18:19], v[140:141]
.LBB189_36:                             ;   in Loop: Header=BB189_28 Depth=1
	s_or_b64 exec, exec, s[24:25]
	s_mov_b32 s24, 0
.LBB189_37:                             ;   Parent Loop BB189_28 Depth=1
                                        ; =>  This Inner Loop Header: Depth=2
	v_add_u32_e32 v144, s24, v153
	ds_read2_b64 v[158:161], v144 offset1:16
	ds_read2_b64 v[162:165], v144 offset0:32 offset1:48
	ds_read2_b64 v[166:169], v144 offset0:64 offset1:80
	;; [unrolled: 1-line block ×7, first 2 shown]
	v_add_u32_e32 v144, 0x800, v144
	ds_read2_b64 v[190:193], v144 offset1:16
	ds_read2_b64 v[194:197], v144 offset0:32 offset1:48
	ds_read2_b64 v[198:201], v144 offset0:64 offset1:80
	ds_read2_b64 v[202:205], v144 offset0:96 offset1:112
	ds_read2_b64 v[206:209], v144 offset0:128 offset1:144
	ds_read2_b64 v[210:213], v144 offset0:160 offset1:176
	ds_read2_b64 v[214:217], v144 offset0:192 offset1:208
	ds_read2_b64 v[218:221], v144 offset0:224 offset1:240
	v_add_u32_e32 v144, s24, v154
	ds_read2st64_b64 v[222:225], v144 offset1:4
	s_waitcnt lgkmcnt(14)
	v_max_f64 v[158:159], v[158:159], v[158:159]
	v_max_f64 v[160:161], v[160:161], v[160:161]
	;; [unrolled: 1-line block ×4, first 2 shown]
	s_waitcnt lgkmcnt(0)
	v_max_f64 v[144:145], v[222:223], v[222:223]
	v_min_f64 v[222:223], v[158:159], v[144:145]
	v_add_f64 v[126:127], v[222:223], v[126:127]
	v_min_f64 v[222:223], v[160:161], v[144:145]
	v_add_f64 v[124:125], v[222:223], v[124:125]
	;; [unrolled: 2-line block ×3, first 2 shown]
	v_min_f64 v[222:223], v[164:165], v[144:145]
	v_max_f64 v[166:167], v[166:167], v[166:167]
	v_add_f64 v[120:121], v[222:223], v[120:121]
	v_min_f64 v[222:223], v[166:167], v[144:145]
	v_max_f64 v[168:169], v[168:169], v[168:169]
	v_add_f64 v[118:119], v[222:223], v[118:119]
	;; [unrolled: 3-line block ×26, first 2 shown]
	v_min_f64 v[222:223], v[216:217], v[144:145]
	v_max_f64 v[218:219], v[218:219], v[218:219]
	v_max_f64 v[220:221], v[220:221], v[220:221]
	v_add_f64 v[68:69], v[222:223], v[68:69]
	v_min_f64 v[222:223], v[218:219], v[144:145]
	v_min_f64 v[144:145], v[220:221], v[144:145]
	v_add_f64 v[64:65], v[144:145], v[64:65]
	v_max_f64 v[144:145], v[224:225], v[224:225]
	v_min_f64 v[158:159], v[158:159], v[144:145]
	v_add_f64 v[62:63], v[158:159], v[62:63]
	v_min_f64 v[158:159], v[160:161], v[144:145]
	v_add_f64 v[60:61], v[158:159], v[60:61]
	;; [unrolled: 2-line block ×30, first 2 shown]
	v_min_f64 v[158:159], v[218:219], v[144:145]
	v_min_f64 v[144:145], v[220:221], v[144:145]
	s_add_i32 s24, s24, 8
	v_add_f64 v[66:67], v[222:223], v[66:67]
	v_add_f64 v[2:3], v[158:159], v[2:3]
	;; [unrolled: 1-line block ×3, first 2 shown]
	s_cmp_eq_u32 s24, 32
	s_cbranch_scc0 .LBB189_37
; %bb.38:                               ;   in Loop: Header=BB189_28 Depth=1
	ds_write2st64_b64 v149, v[138:139], v[136:137] offset1:4
	ds_write2st64_b64 v150, v[142:143], v[140:141] offset1:4
	v_or_b32_e32 v136, 4, v157
	v_cmp_le_i32_e32 vcc, s74, v136
	v_min_i32_e32 v140, s27, v136
	s_or_b64 s[24:25], s[2:3], vcc
	v_ashrrev_i32_e32 v141, 31, v140
	s_or_b64 s[24:25], s[14:15], s[24:25]
	v_mov_b64_e32 v[136:137], 0
	v_lshl_add_u64 v[142:143], v[140:141], 3, s[22:23]
	s_xor_b64 s[34:35], s[24:25], -1
	v_mov_b64_e32 v[138:139], v[136:137]
	s_waitcnt lgkmcnt(0)
	s_barrier
	s_and_saveexec_b64 s[24:25], s[34:35]
	s_cbranch_execz .LBB189_40
; %bb.39:                               ;   in Loop: Header=BB189_28 Depth=1
	v_lshl_add_u64 v[138:139], v[128:129], 3, v[142:143]
	flat_load_dwordx2 v[138:139], v[138:139]
	s_waitcnt vmcnt(0) lgkmcnt(0)
	v_mul_f64 v[138:139], s[18:19], v[138:139]
.LBB189_40:                             ;   in Loop: Header=BB189_28 Depth=1
	s_or_b64 exec, exec, s[24:25]
	s_or_b64 s[24:25], s[4:5], vcc
	s_or_b64 s[24:25], s[14:15], s[24:25]
	s_xor_b64 s[34:35], s[24:25], -1
	s_and_saveexec_b64 s[24:25], s[34:35]
	s_cbranch_execz .LBB189_42
; %bb.41:                               ;   in Loop: Header=BB189_28 Depth=1
	v_lshl_add_u64 v[136:137], v[130:131], 3, v[142:143]
	flat_load_dwordx2 v[136:137], v[136:137]
	s_waitcnt vmcnt(0) lgkmcnt(0)
	v_mul_f64 v[136:137], s[18:19], v[136:137]
.LBB189_42:                             ;   in Loop: Header=BB189_28 Depth=1
	s_or_b64 exec, exec, s[24:25]
	s_or_b64 s[24:25], s[6:7], vcc
	v_lshl_add_u64 v[144:145], v[140:141], 3, s[20:21]
	s_or_b64 s[24:25], s[14:15], s[24:25]
	v_mov_b64_e32 v[140:141], 0
	s_xor_b64 s[34:35], s[24:25], -1
	v_mov_b64_e32 v[142:143], v[140:141]
	s_and_saveexec_b64 s[24:25], s[34:35]
	s_cbranch_execz .LBB189_44
; %bb.43:                               ;   in Loop: Header=BB189_28 Depth=1
	v_lshl_add_u64 v[142:143], v[132:133], 3, v[144:145]
	flat_load_dwordx2 v[142:143], v[142:143]
	s_waitcnt vmcnt(0) lgkmcnt(0)
	v_mul_f64 v[142:143], s[18:19], v[142:143]
.LBB189_44:                             ;   in Loop: Header=BB189_28 Depth=1
	s_or_b64 exec, exec, s[24:25]
	s_or_b64 s[24:25], s[8:9], vcc
	s_or_b64 s[24:25], s[14:15], s[24:25]
	s_xor_b64 s[34:35], s[24:25], -1
	s_and_saveexec_b64 s[24:25], s[34:35]
	s_cbranch_execz .LBB189_46
; %bb.45:                               ;   in Loop: Header=BB189_28 Depth=1
	v_lshl_add_u64 v[140:141], v[134:135], 3, v[144:145]
	flat_load_dwordx2 v[140:141], v[140:141]
	s_waitcnt vmcnt(0) lgkmcnt(0)
	v_mul_f64 v[140:141], s[18:19], v[140:141]
.LBB189_46:                             ;   in Loop: Header=BB189_28 Depth=1
	s_or_b64 exec, exec, s[24:25]
	s_mov_b32 s24, 0
.LBB189_47:                             ;   Parent Loop BB189_28 Depth=1
                                        ; =>  This Inner Loop Header: Depth=2
	v_add_u32_e32 v144, s24, v151
	ds_read2_b64 v[158:161], v144 offset1:16
	ds_read2_b64 v[162:165], v144 offset0:32 offset1:48
	ds_read2_b64 v[166:169], v144 offset0:64 offset1:80
	;; [unrolled: 1-line block ×7, first 2 shown]
	v_add_u32_e32 v144, 0x800, v144
	ds_read2_b64 v[190:193], v144 offset1:16
	ds_read2_b64 v[194:197], v144 offset0:32 offset1:48
	ds_read2_b64 v[198:201], v144 offset0:64 offset1:80
	;; [unrolled: 1-line block ×7, first 2 shown]
	v_add_u32_e32 v144, s24, v152
	ds_read2st64_b64 v[222:225], v144 offset1:4
	s_waitcnt lgkmcnt(14)
	v_max_f64 v[158:159], v[158:159], v[158:159]
	v_max_f64 v[160:161], v[160:161], v[160:161]
	;; [unrolled: 1-line block ×4, first 2 shown]
	s_waitcnt lgkmcnt(0)
	v_max_f64 v[144:145], v[222:223], v[222:223]
	v_min_f64 v[222:223], v[158:159], v[144:145]
	v_add_f64 v[126:127], v[222:223], v[126:127]
	v_min_f64 v[222:223], v[160:161], v[144:145]
	v_add_f64 v[124:125], v[222:223], v[124:125]
	;; [unrolled: 2-line block ×3, first 2 shown]
	v_min_f64 v[222:223], v[164:165], v[144:145]
	v_max_f64 v[166:167], v[166:167], v[166:167]
	v_add_f64 v[120:121], v[222:223], v[120:121]
	v_min_f64 v[222:223], v[166:167], v[144:145]
	v_max_f64 v[168:169], v[168:169], v[168:169]
	v_add_f64 v[118:119], v[222:223], v[118:119]
	;; [unrolled: 3-line block ×26, first 2 shown]
	v_min_f64 v[222:223], v[216:217], v[144:145]
	v_max_f64 v[218:219], v[218:219], v[218:219]
	v_max_f64 v[220:221], v[220:221], v[220:221]
	v_add_f64 v[68:69], v[222:223], v[68:69]
	v_min_f64 v[222:223], v[218:219], v[144:145]
	v_min_f64 v[144:145], v[220:221], v[144:145]
	v_add_f64 v[64:65], v[144:145], v[64:65]
	v_max_f64 v[144:145], v[224:225], v[224:225]
	v_min_f64 v[158:159], v[158:159], v[144:145]
	v_add_f64 v[62:63], v[158:159], v[62:63]
	v_min_f64 v[158:159], v[160:161], v[144:145]
	v_add_f64 v[60:61], v[158:159], v[60:61]
	;; [unrolled: 2-line block ×30, first 2 shown]
	v_min_f64 v[158:159], v[218:219], v[144:145]
	v_min_f64 v[144:145], v[220:221], v[144:145]
	s_add_i32 s24, s24, 8
	v_add_f64 v[66:67], v[222:223], v[66:67]
	v_add_f64 v[2:3], v[158:159], v[2:3]
	;; [unrolled: 1-line block ×3, first 2 shown]
	s_cmp_eq_u32 s24, 32
	s_cbranch_scc0 .LBB189_47
; %bb.48:                               ;   in Loop: Header=BB189_28 Depth=1
	s_add_i32 s29, s29, 8
	s_add_i32 s30, s30, 8
	s_cmp_ge_i32 s30, s28
	ds_write2st64_b64 v155, v[138:139], v[136:137] offset1:4
	ds_write2st64_b64 v156, v[142:143], v[140:141] offset1:4
	s_waitcnt lgkmcnt(0)
	s_barrier
	s_cbranch_scc0 .LBB189_28
.LBB189_49:
	s_mov_b32 s2, 0
.LBB189_50:                             ; =>This Inner Loop Header: Depth=1
	v_add_u32_e32 v144, s2, v153
	v_add_u32_e32 v145, s2, v154
	ds_read2_b64 v[128:131], v144 offset1:16
	ds_read2_b64 v[132:135], v144 offset0:32 offset1:48
	ds_read2_b64 v[136:139], v144 offset0:64 offset1:80
	;; [unrolled: 1-line block ×7, first 2 shown]
	v_add_u32_e32 v144, 0x800, v144
	ds_read2st64_b64 v[168:171], v145 offset1:4
	ds_read2_b64 v[172:175], v144 offset1:16
	ds_read2_b64 v[176:179], v144 offset0:32 offset1:48
	ds_read2_b64 v[180:183], v144 offset0:64 offset1:80
	;; [unrolled: 1-line block ×7, first 2 shown]
	s_waitcnt lgkmcnt(14)
	v_max_f64 v[128:129], v[128:129], v[128:129]
	v_max_f64 v[130:131], v[130:131], v[130:131]
	;; [unrolled: 1-line block ×3, first 2 shown]
	s_waitcnt lgkmcnt(8)
	v_max_f64 v[144:145], v[168:169], v[168:169]
	v_max_f64 v[134:135], v[134:135], v[134:135]
	v_max_f64 v[136:137], v[136:137], v[136:137]
	v_max_f64 v[138:139], v[138:139], v[138:139]
	v_max_f64 v[140:141], v[140:141], v[140:141]
	v_max_f64 v[142:143], v[142:143], v[142:143]
	v_max_f64 v[148:149], v[148:149], v[148:149]
	v_max_f64 v[150:151], v[150:151], v[150:151]
	v_max_f64 v[156:157], v[156:157], v[156:157]
	v_max_f64 v[158:159], v[158:159], v[158:159]
	v_max_f64 v[160:161], v[160:161], v[160:161]
	v_max_f64 v[162:163], v[162:163], v[162:163]
	v_max_f64 v[164:165], v[164:165], v[164:165]
	v_max_f64 v[166:167], v[166:167], v[166:167]
	v_max_f64 v[168:169], v[170:171], v[170:171]
	v_min_f64 v[170:171], v[128:129], v[144:145]
	v_min_f64 v[204:205], v[130:131], v[144:145]
	;; [unrolled: 1-line block ×16, first 2 shown]
	s_waitcnt lgkmcnt(7)
	v_max_f64 v[172:173], v[172:173], v[172:173]
	v_max_f64 v[174:175], v[174:175], v[174:175]
	s_waitcnt lgkmcnt(6)
	v_max_f64 v[176:177], v[176:177], v[176:177]
	v_max_f64 v[178:179], v[178:179], v[178:179]
	;; [unrolled: 3-line block ×8, first 2 shown]
	v_min_f64 v[128:129], v[128:129], v[168:169]
	v_min_f64 v[130:131], v[130:131], v[168:169]
	;; [unrolled: 1-line block ×16, first 2 shown]
	s_add_i32 s2, s2, 8
	v_add_f64 v[126:127], v[170:171], v[126:127]
	v_add_f64 v[124:125], v[204:205], v[124:125]
	;; [unrolled: 1-line block ×15, first 2 shown]
	v_min_f64 v[170:171], v[172:173], v[144:145]
	v_min_f64 v[204:205], v[174:175], v[144:145]
	;; [unrolled: 1-line block ×16, first 2 shown]
	v_add_f64 v[62:63], v[128:129], v[62:63]
	v_add_f64 v[60:61], v[130:131], v[60:61]
	;; [unrolled: 1-line block ×16, first 2 shown]
	v_min_f64 v[128:129], v[172:173], v[168:169]
	v_min_f64 v[130:131], v[174:175], v[168:169]
	;; [unrolled: 1-line block ×16, first 2 shown]
	s_cmp_eq_u32 s2, 32
	v_add_f64 v[96:97], v[232:233], v[96:97]
	v_add_f64 v[94:95], v[170:171], v[94:95]
	;; [unrolled: 1-line block ×33, first 2 shown]
	s_cbranch_scc0 .LBB189_50
; %bb.51:
	s_load_dwordx2 s[2:3], s[0:1], 0x78
	s_load_dword s78, s[0:1], 0x58
	s_load_dword s33, s[0:1], 0x70
	v_add_u32_e32 v136, s26, v147
	v_add_u32_e32 v128, s17, v146
	s_waitcnt lgkmcnt(0)
	s_mul_i32 s1, s16, s3
	s_mul_hi_u32 s3, s16, s2
	s_mul_i32 s0, s16, s2
	s_add_i32 s1, s3, s1
	s_lshl_b64 s[0:1], s[0:1], 3
	s_add_u32 s74, s10, s0
	s_addc_u32 s75, s11, s1
	v_mad_i64_i32 v[130:131], s[0:1], v136, s78, 0
	v_cmp_gt_i32_e64 s[24:25], s73, v136
	v_lshl_add_u64 v[132:133], v[130:131], 3, s[76:77]
	v_mad_i64_i32 v[130:131], s[0:1], v136, s33, 0
	v_cmp_gt_i32_e64 s[2:3], s72, v128
	v_cndmask_b32_e64 v134, 0, 1, s[12:13]
	v_lshl_add_u64 v[130:131], v[130:131], 3, s[74:75]
	s_and_b64 s[6:7], s[24:25], s[2:3]
	v_ashrrev_i32_e32 v129, 31, v128
	v_cmp_ne_u32_e64 s[0:1], 1, v134
	s_and_saveexec_b64 s[4:5], s[6:7]
	s_cbranch_execz .LBB189_56
; %bb.52:
	s_and_b64 vcc, exec, s[0:1]
	s_cbranch_vccnz .LBB189_54
; %bb.53:
	v_lshl_add_u64 v[134:135], v[128:129], 3, v[132:133]
	flat_load_dwordx2 v[134:135], v[134:135]
	s_waitcnt vmcnt(0) lgkmcnt(0)
	v_mul_f64 v[134:135], s[70:71], v[134:135]
	s_branch .LBB189_55
.LBB189_54:
	v_mov_b64_e32 v[134:135], 0
.LBB189_55:
	v_add_f64 v[126:127], v[126:127], v[134:135]
	v_lshl_add_u64 v[134:135], v[128:129], 3, v[130:131]
	global_store_dwordx2 v[134:135], v[126:127], off
.LBB189_56:
	s_or_b64 exec, exec, s[4:5]
	v_add_u32_e32 v126, 4, v128
	v_cmp_gt_i32_e64 s[4:5], s72, v126
	s_and_b64 s[8:9], s[24:25], s[4:5]
	v_ashrrev_i32_e32 v127, 31, v126
	s_and_saveexec_b64 s[6:7], s[8:9]
	s_cbranch_execz .LBB189_61
; %bb.57:
	s_and_b64 vcc, exec, s[0:1]
	s_cbranch_vccnz .LBB189_59
; %bb.58:
	v_lshl_add_u64 v[134:135], v[126:127], 3, v[132:133]
	flat_load_dwordx2 v[134:135], v[134:135]
	s_waitcnt vmcnt(0) lgkmcnt(0)
	v_mul_f64 v[134:135], s[70:71], v[134:135]
	s_branch .LBB189_60
.LBB189_59:
	v_mov_b64_e32 v[134:135], 0
.LBB189_60:
	v_add_f64 v[124:125], v[124:125], v[134:135]
	v_lshl_add_u64 v[134:135], v[126:127], 3, v[130:131]
	global_store_dwordx2 v[134:135], v[124:125], off
.LBB189_61:
	s_or_b64 exec, exec, s[6:7]
	v_add_u32_e32 v124, 8, v128
	v_cmp_gt_i32_e64 s[6:7], s72, v124
	s_and_b64 s[10:11], s[24:25], s[6:7]
	v_ashrrev_i32_e32 v125, 31, v124
	;; [unrolled: 23-line block ×31, first 2 shown]
	s_and_saveexec_b64 s[24:25], s[80:81]
	s_cbranch_execz .LBB189_211
; %bb.207:
	s_and_b64 vcc, exec, s[0:1]
	s_cbranch_vccnz .LBB189_209
; %bb.208:
	v_lshl_add_u64 v[132:133], v[66:67], 3, v[132:133]
	flat_load_dwordx2 v[132:133], v[132:133]
	s_waitcnt vmcnt(0) lgkmcnt(0)
	v_mul_f64 v[132:133], s[70:71], v[132:133]
	s_branch .LBB189_210
.LBB189_209:
	v_mov_b64_e32 v[132:133], 0
.LBB189_210:
	v_add_f64 v[64:65], v[64:65], v[132:133]
	v_lshl_add_u64 v[130:131], v[66:67], 3, v[130:131]
	global_store_dwordx2 v[130:131], v[64:65], off
.LBB189_211:
	s_or_b64 exec, exec, s[24:25]
	v_add_u32_e32 v132, 64, v136
	v_cmp_gt_i32_e64 s[24:25], s73, v132
	v_mad_i64_i32 v[64:65], s[72:73], v132, s78, 0
	v_lshl_add_u64 v[130:131], v[64:65], 3, s[76:77]
	v_mad_i64_i32 v[64:65], s[72:73], v132, s33, 0
	v_lshl_add_u64 v[64:65], v[64:65], 3, s[74:75]
	s_and_b64 s[2:3], s[24:25], s[2:3]
	s_and_saveexec_b64 s[72:73], s[2:3]
	s_xor_b64 s[2:3], exec, s[72:73]
	s_cbranch_execnz .LBB189_244
; %bb.212:
	s_or_b64 exec, exec, s[2:3]
	s_and_b64 s[4:5], s[24:25], s[4:5]
	s_and_saveexec_b64 s[2:3], s[4:5]
	s_cbranch_execnz .LBB189_248
.LBB189_213:
	s_or_b64 exec, exec, s[2:3]
	s_and_b64 s[4:5], s[24:25], s[6:7]
	s_and_saveexec_b64 s[2:3], s[4:5]
	s_cbranch_execnz .LBB189_252
.LBB189_214:
	s_or_b64 exec, exec, s[2:3]
	s_and_b64 s[4:5], s[24:25], s[8:9]
	s_and_saveexec_b64 s[2:3], s[4:5]
	s_cbranch_execnz .LBB189_256
.LBB189_215:
	s_or_b64 exec, exec, s[2:3]
	s_and_b64 s[4:5], s[24:25], s[10:11]
	s_and_saveexec_b64 s[2:3], s[4:5]
	s_cbranch_execnz .LBB189_260
.LBB189_216:
	s_or_b64 exec, exec, s[2:3]
	s_and_b64 s[4:5], s[24:25], s[12:13]
	s_and_saveexec_b64 s[2:3], s[4:5]
	s_cbranch_execnz .LBB189_264
.LBB189_217:
	s_or_b64 exec, exec, s[2:3]
	s_and_b64 s[4:5], s[24:25], s[14:15]
	s_and_saveexec_b64 s[2:3], s[4:5]
	s_cbranch_execnz .LBB189_268
.LBB189_218:
	s_or_b64 exec, exec, s[2:3]
	s_and_b64 s[4:5], s[24:25], s[16:17]
	s_and_saveexec_b64 s[2:3], s[4:5]
	s_cbranch_execnz .LBB189_272
.LBB189_219:
	s_or_b64 exec, exec, s[2:3]
	s_and_b64 s[4:5], s[24:25], s[18:19]
	s_and_saveexec_b64 s[2:3], s[4:5]
	s_cbranch_execnz .LBB189_276
.LBB189_220:
	s_or_b64 exec, exec, s[2:3]
	s_and_b64 s[4:5], s[24:25], s[20:21]
	s_and_saveexec_b64 s[2:3], s[4:5]
	s_cbranch_execnz .LBB189_280
.LBB189_221:
	s_or_b64 exec, exec, s[2:3]
	s_and_b64 s[4:5], s[24:25], s[22:23]
	s_and_saveexec_b64 s[2:3], s[4:5]
	s_cbranch_execnz .LBB189_284
.LBB189_222:
	s_or_b64 exec, exec, s[2:3]
	s_and_b64 s[4:5], s[24:25], s[26:27]
	s_and_saveexec_b64 s[2:3], s[4:5]
	s_cbranch_execnz .LBB189_288
.LBB189_223:
	s_or_b64 exec, exec, s[2:3]
	s_and_b64 s[4:5], s[24:25], s[28:29]
	s_and_saveexec_b64 s[2:3], s[4:5]
	s_cbranch_execnz .LBB189_292
.LBB189_224:
	s_or_b64 exec, exec, s[2:3]
	s_and_b64 s[4:5], s[24:25], s[30:31]
	s_and_saveexec_b64 s[2:3], s[4:5]
	s_cbranch_execnz .LBB189_296
.LBB189_225:
	s_or_b64 exec, exec, s[2:3]
	s_and_b64 s[4:5], s[24:25], s[34:35]
	s_and_saveexec_b64 s[2:3], s[4:5]
	s_cbranch_execnz .LBB189_300
.LBB189_226:
	s_or_b64 exec, exec, s[2:3]
	s_and_b64 s[4:5], s[24:25], s[36:37]
	s_and_saveexec_b64 s[2:3], s[4:5]
	s_cbranch_execnz .LBB189_304
.LBB189_227:
	s_or_b64 exec, exec, s[2:3]
	s_and_b64 s[4:5], s[24:25], s[38:39]
	s_and_saveexec_b64 s[2:3], s[4:5]
	s_cbranch_execnz .LBB189_308
.LBB189_228:
	s_or_b64 exec, exec, s[2:3]
	s_and_b64 s[4:5], s[24:25], s[40:41]
	s_and_saveexec_b64 s[2:3], s[4:5]
	s_cbranch_execnz .LBB189_312
.LBB189_229:
	s_or_b64 exec, exec, s[2:3]
	s_and_b64 s[4:5], s[24:25], s[42:43]
	s_and_saveexec_b64 s[2:3], s[4:5]
	s_cbranch_execnz .LBB189_316
.LBB189_230:
	s_or_b64 exec, exec, s[2:3]
	s_and_b64 s[4:5], s[24:25], s[44:45]
	s_and_saveexec_b64 s[2:3], s[4:5]
	s_cbranch_execnz .LBB189_320
.LBB189_231:
	s_or_b64 exec, exec, s[2:3]
	s_and_b64 s[4:5], s[24:25], s[46:47]
	s_and_saveexec_b64 s[2:3], s[4:5]
	s_cbranch_execnz .LBB189_324
.LBB189_232:
	s_or_b64 exec, exec, s[2:3]
	s_and_b64 s[4:5], s[24:25], s[48:49]
	s_and_saveexec_b64 s[2:3], s[4:5]
	s_cbranch_execnz .LBB189_328
.LBB189_233:
	s_or_b64 exec, exec, s[2:3]
	s_and_b64 s[4:5], s[24:25], s[50:51]
	s_and_saveexec_b64 s[2:3], s[4:5]
	s_cbranch_execnz .LBB189_332
.LBB189_234:
	s_or_b64 exec, exec, s[2:3]
	s_and_b64 s[4:5], s[24:25], s[52:53]
	s_and_saveexec_b64 s[2:3], s[4:5]
	s_cbranch_execnz .LBB189_336
.LBB189_235:
	s_or_b64 exec, exec, s[2:3]
	s_and_b64 s[4:5], s[24:25], s[54:55]
	s_and_saveexec_b64 s[2:3], s[4:5]
	s_cbranch_execnz .LBB189_340
.LBB189_236:
	s_or_b64 exec, exec, s[2:3]
	s_and_b64 s[4:5], s[24:25], s[56:57]
	s_and_saveexec_b64 s[2:3], s[4:5]
	s_cbranch_execnz .LBB189_344
.LBB189_237:
	s_or_b64 exec, exec, s[2:3]
	s_and_b64 s[4:5], s[24:25], s[58:59]
	s_and_saveexec_b64 s[2:3], s[4:5]
	s_cbranch_execnz .LBB189_348
.LBB189_238:
	s_or_b64 exec, exec, s[2:3]
	s_and_b64 s[4:5], s[24:25], s[60:61]
	s_and_saveexec_b64 s[2:3], s[4:5]
	s_cbranch_execnz .LBB189_352
.LBB189_239:
	s_or_b64 exec, exec, s[2:3]
	s_and_b64 s[4:5], s[24:25], s[62:63]
	s_and_saveexec_b64 s[2:3], s[4:5]
	s_cbranch_execnz .LBB189_356
.LBB189_240:
	s_or_b64 exec, exec, s[2:3]
	s_and_b64 s[4:5], s[24:25], s[64:65]
	s_and_saveexec_b64 s[2:3], s[4:5]
	s_cbranch_execnz .LBB189_360
.LBB189_241:
	s_or_b64 exec, exec, s[2:3]
	s_and_b64 s[4:5], s[24:25], s[66:67]
	s_and_saveexec_b64 s[2:3], s[4:5]
	s_cbranch_execnz .LBB189_364
.LBB189_242:
	s_or_b64 exec, exec, s[2:3]
	s_and_b64 s[2:3], s[24:25], s[68:69]
	s_and_saveexec_b64 s[4:5], s[2:3]
	s_cbranch_execnz .LBB189_368
.LBB189_243:
	s_endpgm
.LBB189_244:
	s_and_b64 vcc, exec, s[0:1]
	s_cbranch_vccnz .LBB189_246
; %bb.245:
	v_lshl_add_u64 v[132:133], v[128:129], 3, v[130:131]
	flat_load_dwordx2 v[132:133], v[132:133]
	s_waitcnt vmcnt(0) lgkmcnt(0)
	v_mul_f64 v[132:133], s[70:71], v[132:133]
	s_branch .LBB189_247
.LBB189_246:
	v_mov_b64_e32 v[132:133], 0
.LBB189_247:
	v_add_f64 v[62:63], v[62:63], v[132:133]
	v_lshl_add_u64 v[128:129], v[128:129], 3, v[64:65]
	global_store_dwordx2 v[128:129], v[62:63], off
	s_or_b64 exec, exec, s[2:3]
	s_and_b64 s[4:5], s[24:25], s[4:5]
	s_and_saveexec_b64 s[2:3], s[4:5]
	s_cbranch_execz .LBB189_213
.LBB189_248:
	s_and_b64 vcc, exec, s[0:1]
	s_cbranch_vccnz .LBB189_250
; %bb.249:
	v_lshl_add_u64 v[62:63], v[126:127], 3, v[130:131]
	flat_load_dwordx2 v[62:63], v[62:63]
	s_waitcnt vmcnt(0) lgkmcnt(0)
	v_mul_f64 v[62:63], s[70:71], v[62:63]
	s_branch .LBB189_251
.LBB189_250:
	v_mov_b64_e32 v[62:63], 0
.LBB189_251:
	v_add_f64 v[60:61], v[60:61], v[62:63]
	v_lshl_add_u64 v[62:63], v[126:127], 3, v[64:65]
	global_store_dwordx2 v[62:63], v[60:61], off
	s_or_b64 exec, exec, s[2:3]
	s_and_b64 s[4:5], s[24:25], s[6:7]
	s_and_saveexec_b64 s[2:3], s[4:5]
	s_cbranch_execz .LBB189_214
.LBB189_252:
	s_and_b64 vcc, exec, s[0:1]
	s_cbranch_vccnz .LBB189_254
; %bb.253:
	v_lshl_add_u64 v[60:61], v[124:125], 3, v[130:131]
	flat_load_dwordx2 v[60:61], v[60:61]
	s_waitcnt vmcnt(0) lgkmcnt(0)
	v_mul_f64 v[60:61], s[70:71], v[60:61]
	s_branch .LBB189_255
.LBB189_254:
	v_mov_b64_e32 v[60:61], 0
.LBB189_255:
	v_add_f64 v[58:59], v[58:59], v[60:61]
	v_lshl_add_u64 v[60:61], v[124:125], 3, v[64:65]
	global_store_dwordx2 v[60:61], v[58:59], off
	s_or_b64 exec, exec, s[2:3]
	s_and_b64 s[4:5], s[24:25], s[8:9]
	s_and_saveexec_b64 s[2:3], s[4:5]
	s_cbranch_execz .LBB189_215
.LBB189_256:
	s_and_b64 vcc, exec, s[0:1]
	s_cbranch_vccnz .LBB189_258
; %bb.257:
	v_lshl_add_u64 v[58:59], v[122:123], 3, v[130:131]
	flat_load_dwordx2 v[58:59], v[58:59]
	s_waitcnt vmcnt(0) lgkmcnt(0)
	v_mul_f64 v[58:59], s[70:71], v[58:59]
	s_branch .LBB189_259
.LBB189_258:
	v_mov_b64_e32 v[58:59], 0
.LBB189_259:
	v_add_f64 v[56:57], v[56:57], v[58:59]
	v_lshl_add_u64 v[58:59], v[122:123], 3, v[64:65]
	global_store_dwordx2 v[58:59], v[56:57], off
	s_or_b64 exec, exec, s[2:3]
	s_and_b64 s[4:5], s[24:25], s[10:11]
	s_and_saveexec_b64 s[2:3], s[4:5]
	s_cbranch_execz .LBB189_216
.LBB189_260:
	s_and_b64 vcc, exec, s[0:1]
	s_cbranch_vccnz .LBB189_262
; %bb.261:
	v_lshl_add_u64 v[56:57], v[120:121], 3, v[130:131]
	flat_load_dwordx2 v[56:57], v[56:57]
	s_waitcnt vmcnt(0) lgkmcnt(0)
	v_mul_f64 v[56:57], s[70:71], v[56:57]
	s_branch .LBB189_263
.LBB189_262:
	v_mov_b64_e32 v[56:57], 0
.LBB189_263:
	v_add_f64 v[54:55], v[54:55], v[56:57]
	v_lshl_add_u64 v[56:57], v[120:121], 3, v[64:65]
	global_store_dwordx2 v[56:57], v[54:55], off
	s_or_b64 exec, exec, s[2:3]
	s_and_b64 s[4:5], s[24:25], s[12:13]
	s_and_saveexec_b64 s[2:3], s[4:5]
	s_cbranch_execz .LBB189_217
.LBB189_264:
	s_and_b64 vcc, exec, s[0:1]
	s_cbranch_vccnz .LBB189_266
; %bb.265:
	v_lshl_add_u64 v[54:55], v[118:119], 3, v[130:131]
	flat_load_dwordx2 v[54:55], v[54:55]
	s_waitcnt vmcnt(0) lgkmcnt(0)
	v_mul_f64 v[54:55], s[70:71], v[54:55]
	s_branch .LBB189_267
.LBB189_266:
	v_mov_b64_e32 v[54:55], 0
.LBB189_267:
	v_add_f64 v[52:53], v[52:53], v[54:55]
	v_lshl_add_u64 v[54:55], v[118:119], 3, v[64:65]
	global_store_dwordx2 v[54:55], v[52:53], off
	s_or_b64 exec, exec, s[2:3]
	s_and_b64 s[4:5], s[24:25], s[14:15]
	s_and_saveexec_b64 s[2:3], s[4:5]
	s_cbranch_execz .LBB189_218
.LBB189_268:
	s_and_b64 vcc, exec, s[0:1]
	s_cbranch_vccnz .LBB189_270
; %bb.269:
	v_lshl_add_u64 v[52:53], v[116:117], 3, v[130:131]
	flat_load_dwordx2 v[52:53], v[52:53]
	s_waitcnt vmcnt(0) lgkmcnt(0)
	v_mul_f64 v[52:53], s[70:71], v[52:53]
	s_branch .LBB189_271
.LBB189_270:
	v_mov_b64_e32 v[52:53], 0
.LBB189_271:
	v_add_f64 v[50:51], v[50:51], v[52:53]
	v_lshl_add_u64 v[52:53], v[116:117], 3, v[64:65]
	global_store_dwordx2 v[52:53], v[50:51], off
	s_or_b64 exec, exec, s[2:3]
	s_and_b64 s[4:5], s[24:25], s[16:17]
	s_and_saveexec_b64 s[2:3], s[4:5]
	s_cbranch_execz .LBB189_219
.LBB189_272:
	s_and_b64 vcc, exec, s[0:1]
	s_cbranch_vccnz .LBB189_274
; %bb.273:
	v_lshl_add_u64 v[50:51], v[114:115], 3, v[130:131]
	flat_load_dwordx2 v[50:51], v[50:51]
	s_waitcnt vmcnt(0) lgkmcnt(0)
	v_mul_f64 v[50:51], s[70:71], v[50:51]
	s_branch .LBB189_275
.LBB189_274:
	v_mov_b64_e32 v[50:51], 0
.LBB189_275:
	v_add_f64 v[48:49], v[48:49], v[50:51]
	v_lshl_add_u64 v[50:51], v[114:115], 3, v[64:65]
	global_store_dwordx2 v[50:51], v[48:49], off
	s_or_b64 exec, exec, s[2:3]
	s_and_b64 s[4:5], s[24:25], s[18:19]
	s_and_saveexec_b64 s[2:3], s[4:5]
	s_cbranch_execz .LBB189_220
.LBB189_276:
	s_and_b64 vcc, exec, s[0:1]
	s_cbranch_vccnz .LBB189_278
; %bb.277:
	v_lshl_add_u64 v[48:49], v[112:113], 3, v[130:131]
	flat_load_dwordx2 v[48:49], v[48:49]
	s_waitcnt vmcnt(0) lgkmcnt(0)
	v_mul_f64 v[48:49], s[70:71], v[48:49]
	s_branch .LBB189_279
.LBB189_278:
	v_mov_b64_e32 v[48:49], 0
.LBB189_279:
	v_add_f64 v[46:47], v[46:47], v[48:49]
	v_lshl_add_u64 v[48:49], v[112:113], 3, v[64:65]
	global_store_dwordx2 v[48:49], v[46:47], off
	s_or_b64 exec, exec, s[2:3]
	s_and_b64 s[4:5], s[24:25], s[20:21]
	s_and_saveexec_b64 s[2:3], s[4:5]
	s_cbranch_execz .LBB189_221
.LBB189_280:
	s_and_b64 vcc, exec, s[0:1]
	s_cbranch_vccnz .LBB189_282
; %bb.281:
	v_lshl_add_u64 v[46:47], v[110:111], 3, v[130:131]
	flat_load_dwordx2 v[46:47], v[46:47]
	s_waitcnt vmcnt(0) lgkmcnt(0)
	v_mul_f64 v[46:47], s[70:71], v[46:47]
	s_branch .LBB189_283
.LBB189_282:
	v_mov_b64_e32 v[46:47], 0
.LBB189_283:
	v_add_f64 v[44:45], v[44:45], v[46:47]
	v_lshl_add_u64 v[46:47], v[110:111], 3, v[64:65]
	global_store_dwordx2 v[46:47], v[44:45], off
	s_or_b64 exec, exec, s[2:3]
	s_and_b64 s[4:5], s[24:25], s[22:23]
	s_and_saveexec_b64 s[2:3], s[4:5]
	s_cbranch_execz .LBB189_222
.LBB189_284:
	s_and_b64 vcc, exec, s[0:1]
	s_cbranch_vccnz .LBB189_286
; %bb.285:
	v_lshl_add_u64 v[44:45], v[108:109], 3, v[130:131]
	flat_load_dwordx2 v[44:45], v[44:45]
	s_waitcnt vmcnt(0) lgkmcnt(0)
	v_mul_f64 v[44:45], s[70:71], v[44:45]
	s_branch .LBB189_287
.LBB189_286:
	v_mov_b64_e32 v[44:45], 0
.LBB189_287:
	v_add_f64 v[42:43], v[42:43], v[44:45]
	v_lshl_add_u64 v[44:45], v[108:109], 3, v[64:65]
	global_store_dwordx2 v[44:45], v[42:43], off
	s_or_b64 exec, exec, s[2:3]
	s_and_b64 s[4:5], s[24:25], s[26:27]
	s_and_saveexec_b64 s[2:3], s[4:5]
	s_cbranch_execz .LBB189_223
.LBB189_288:
	s_and_b64 vcc, exec, s[0:1]
	s_cbranch_vccnz .LBB189_290
; %bb.289:
	v_lshl_add_u64 v[42:43], v[106:107], 3, v[130:131]
	flat_load_dwordx2 v[42:43], v[42:43]
	s_waitcnt vmcnt(0) lgkmcnt(0)
	v_mul_f64 v[42:43], s[70:71], v[42:43]
	s_branch .LBB189_291
.LBB189_290:
	v_mov_b64_e32 v[42:43], 0
.LBB189_291:
	v_add_f64 v[40:41], v[40:41], v[42:43]
	v_lshl_add_u64 v[42:43], v[106:107], 3, v[64:65]
	global_store_dwordx2 v[42:43], v[40:41], off
	s_or_b64 exec, exec, s[2:3]
	s_and_b64 s[4:5], s[24:25], s[28:29]
	s_and_saveexec_b64 s[2:3], s[4:5]
	s_cbranch_execz .LBB189_224
.LBB189_292:
	s_and_b64 vcc, exec, s[0:1]
	s_cbranch_vccnz .LBB189_294
; %bb.293:
	v_lshl_add_u64 v[40:41], v[104:105], 3, v[130:131]
	flat_load_dwordx2 v[40:41], v[40:41]
	s_waitcnt vmcnt(0) lgkmcnt(0)
	v_mul_f64 v[40:41], s[70:71], v[40:41]
	s_branch .LBB189_295
.LBB189_294:
	v_mov_b64_e32 v[40:41], 0
.LBB189_295:
	v_add_f64 v[38:39], v[38:39], v[40:41]
	v_lshl_add_u64 v[40:41], v[104:105], 3, v[64:65]
	global_store_dwordx2 v[40:41], v[38:39], off
	s_or_b64 exec, exec, s[2:3]
	s_and_b64 s[4:5], s[24:25], s[30:31]
	s_and_saveexec_b64 s[2:3], s[4:5]
	s_cbranch_execz .LBB189_225
.LBB189_296:
	s_and_b64 vcc, exec, s[0:1]
	s_cbranch_vccnz .LBB189_298
; %bb.297:
	v_lshl_add_u64 v[38:39], v[102:103], 3, v[130:131]
	flat_load_dwordx2 v[38:39], v[38:39]
	s_waitcnt vmcnt(0) lgkmcnt(0)
	v_mul_f64 v[38:39], s[70:71], v[38:39]
	s_branch .LBB189_299
.LBB189_298:
	v_mov_b64_e32 v[38:39], 0
.LBB189_299:
	v_add_f64 v[36:37], v[36:37], v[38:39]
	v_lshl_add_u64 v[38:39], v[102:103], 3, v[64:65]
	global_store_dwordx2 v[38:39], v[36:37], off
	s_or_b64 exec, exec, s[2:3]
	s_and_b64 s[4:5], s[24:25], s[34:35]
	s_and_saveexec_b64 s[2:3], s[4:5]
	s_cbranch_execz .LBB189_226
.LBB189_300:
	s_and_b64 vcc, exec, s[0:1]
	s_cbranch_vccnz .LBB189_302
; %bb.301:
	v_lshl_add_u64 v[36:37], v[100:101], 3, v[130:131]
	flat_load_dwordx2 v[36:37], v[36:37]
	s_waitcnt vmcnt(0) lgkmcnt(0)
	v_mul_f64 v[36:37], s[70:71], v[36:37]
	s_branch .LBB189_303
.LBB189_302:
	v_mov_b64_e32 v[36:37], 0
.LBB189_303:
	v_add_f64 v[34:35], v[34:35], v[36:37]
	v_lshl_add_u64 v[36:37], v[100:101], 3, v[64:65]
	global_store_dwordx2 v[36:37], v[34:35], off
	s_or_b64 exec, exec, s[2:3]
	s_and_b64 s[4:5], s[24:25], s[36:37]
	s_and_saveexec_b64 s[2:3], s[4:5]
	s_cbranch_execz .LBB189_227
.LBB189_304:
	s_and_b64 vcc, exec, s[0:1]
	s_cbranch_vccnz .LBB189_306
; %bb.305:
	v_lshl_add_u64 v[34:35], v[98:99], 3, v[130:131]
	flat_load_dwordx2 v[34:35], v[34:35]
	s_waitcnt vmcnt(0) lgkmcnt(0)
	v_mul_f64 v[34:35], s[70:71], v[34:35]
	s_branch .LBB189_307
.LBB189_306:
	v_mov_b64_e32 v[34:35], 0
.LBB189_307:
	v_add_f64 v[32:33], v[32:33], v[34:35]
	v_lshl_add_u64 v[34:35], v[98:99], 3, v[64:65]
	global_store_dwordx2 v[34:35], v[32:33], off
	s_or_b64 exec, exec, s[2:3]
	s_and_b64 s[4:5], s[24:25], s[38:39]
	s_and_saveexec_b64 s[2:3], s[4:5]
	s_cbranch_execz .LBB189_228
.LBB189_308:
	s_and_b64 vcc, exec, s[0:1]
	s_cbranch_vccnz .LBB189_310
; %bb.309:
	v_lshl_add_u64 v[32:33], v[96:97], 3, v[130:131]
	flat_load_dwordx2 v[32:33], v[32:33]
	s_waitcnt vmcnt(0) lgkmcnt(0)
	v_mul_f64 v[32:33], s[70:71], v[32:33]
	s_branch .LBB189_311
.LBB189_310:
	v_mov_b64_e32 v[32:33], 0
.LBB189_311:
	v_add_f64 v[30:31], v[30:31], v[32:33]
	v_lshl_add_u64 v[32:33], v[96:97], 3, v[64:65]
	global_store_dwordx2 v[32:33], v[30:31], off
	s_or_b64 exec, exec, s[2:3]
	s_and_b64 s[4:5], s[24:25], s[40:41]
	s_and_saveexec_b64 s[2:3], s[4:5]
	s_cbranch_execz .LBB189_229
.LBB189_312:
	s_and_b64 vcc, exec, s[0:1]
	s_cbranch_vccnz .LBB189_314
; %bb.313:
	v_lshl_add_u64 v[30:31], v[94:95], 3, v[130:131]
	flat_load_dwordx2 v[30:31], v[30:31]
	s_waitcnt vmcnt(0) lgkmcnt(0)
	v_mul_f64 v[30:31], s[70:71], v[30:31]
	s_branch .LBB189_315
.LBB189_314:
	v_mov_b64_e32 v[30:31], 0
.LBB189_315:
	v_add_f64 v[28:29], v[28:29], v[30:31]
	v_lshl_add_u64 v[30:31], v[94:95], 3, v[64:65]
	global_store_dwordx2 v[30:31], v[28:29], off
	s_or_b64 exec, exec, s[2:3]
	s_and_b64 s[4:5], s[24:25], s[42:43]
	s_and_saveexec_b64 s[2:3], s[4:5]
	s_cbranch_execz .LBB189_230
.LBB189_316:
	s_and_b64 vcc, exec, s[0:1]
	s_cbranch_vccnz .LBB189_318
; %bb.317:
	v_lshl_add_u64 v[28:29], v[92:93], 3, v[130:131]
	flat_load_dwordx2 v[28:29], v[28:29]
	s_waitcnt vmcnt(0) lgkmcnt(0)
	v_mul_f64 v[28:29], s[70:71], v[28:29]
	s_branch .LBB189_319
.LBB189_318:
	v_mov_b64_e32 v[28:29], 0
.LBB189_319:
	v_add_f64 v[26:27], v[26:27], v[28:29]
	v_lshl_add_u64 v[28:29], v[92:93], 3, v[64:65]
	global_store_dwordx2 v[28:29], v[26:27], off
	s_or_b64 exec, exec, s[2:3]
	s_and_b64 s[4:5], s[24:25], s[44:45]
	s_and_saveexec_b64 s[2:3], s[4:5]
	s_cbranch_execz .LBB189_231
.LBB189_320:
	s_and_b64 vcc, exec, s[0:1]
	s_cbranch_vccnz .LBB189_322
; %bb.321:
	v_lshl_add_u64 v[26:27], v[90:91], 3, v[130:131]
	flat_load_dwordx2 v[26:27], v[26:27]
	s_waitcnt vmcnt(0) lgkmcnt(0)
	v_mul_f64 v[26:27], s[70:71], v[26:27]
	s_branch .LBB189_323
.LBB189_322:
	v_mov_b64_e32 v[26:27], 0
.LBB189_323:
	v_add_f64 v[24:25], v[24:25], v[26:27]
	v_lshl_add_u64 v[26:27], v[90:91], 3, v[64:65]
	global_store_dwordx2 v[26:27], v[24:25], off
	s_or_b64 exec, exec, s[2:3]
	s_and_b64 s[4:5], s[24:25], s[46:47]
	s_and_saveexec_b64 s[2:3], s[4:5]
	s_cbranch_execz .LBB189_232
.LBB189_324:
	s_and_b64 vcc, exec, s[0:1]
	s_cbranch_vccnz .LBB189_326
; %bb.325:
	v_lshl_add_u64 v[24:25], v[88:89], 3, v[130:131]
	flat_load_dwordx2 v[24:25], v[24:25]
	s_waitcnt vmcnt(0) lgkmcnt(0)
	v_mul_f64 v[24:25], s[70:71], v[24:25]
	s_branch .LBB189_327
.LBB189_326:
	v_mov_b64_e32 v[24:25], 0
.LBB189_327:
	v_add_f64 v[22:23], v[22:23], v[24:25]
	v_lshl_add_u64 v[24:25], v[88:89], 3, v[64:65]
	global_store_dwordx2 v[24:25], v[22:23], off
	s_or_b64 exec, exec, s[2:3]
	s_and_b64 s[4:5], s[24:25], s[48:49]
	s_and_saveexec_b64 s[2:3], s[4:5]
	s_cbranch_execz .LBB189_233
.LBB189_328:
	s_and_b64 vcc, exec, s[0:1]
	s_cbranch_vccnz .LBB189_330
; %bb.329:
	v_lshl_add_u64 v[22:23], v[86:87], 3, v[130:131]
	flat_load_dwordx2 v[22:23], v[22:23]
	s_waitcnt vmcnt(0) lgkmcnt(0)
	v_mul_f64 v[22:23], s[70:71], v[22:23]
	s_branch .LBB189_331
.LBB189_330:
	v_mov_b64_e32 v[22:23], 0
.LBB189_331:
	v_add_f64 v[20:21], v[20:21], v[22:23]
	v_lshl_add_u64 v[22:23], v[86:87], 3, v[64:65]
	global_store_dwordx2 v[22:23], v[20:21], off
	s_or_b64 exec, exec, s[2:3]
	s_and_b64 s[4:5], s[24:25], s[50:51]
	s_and_saveexec_b64 s[2:3], s[4:5]
	s_cbranch_execz .LBB189_234
.LBB189_332:
	s_and_b64 vcc, exec, s[0:1]
	s_cbranch_vccnz .LBB189_334
; %bb.333:
	v_lshl_add_u64 v[20:21], v[84:85], 3, v[130:131]
	flat_load_dwordx2 v[20:21], v[20:21]
	s_waitcnt vmcnt(0) lgkmcnt(0)
	v_mul_f64 v[20:21], s[70:71], v[20:21]
	s_branch .LBB189_335
.LBB189_334:
	v_mov_b64_e32 v[20:21], 0
.LBB189_335:
	v_add_f64 v[18:19], v[18:19], v[20:21]
	v_lshl_add_u64 v[20:21], v[84:85], 3, v[64:65]
	global_store_dwordx2 v[20:21], v[18:19], off
	s_or_b64 exec, exec, s[2:3]
	s_and_b64 s[4:5], s[24:25], s[52:53]
	s_and_saveexec_b64 s[2:3], s[4:5]
	s_cbranch_execz .LBB189_235
.LBB189_336:
	s_and_b64 vcc, exec, s[0:1]
	s_cbranch_vccnz .LBB189_338
; %bb.337:
	v_lshl_add_u64 v[18:19], v[82:83], 3, v[130:131]
	flat_load_dwordx2 v[18:19], v[18:19]
	s_waitcnt vmcnt(0) lgkmcnt(0)
	v_mul_f64 v[18:19], s[70:71], v[18:19]
	s_branch .LBB189_339
.LBB189_338:
	v_mov_b64_e32 v[18:19], 0
.LBB189_339:
	v_add_f64 v[16:17], v[16:17], v[18:19]
	v_lshl_add_u64 v[18:19], v[82:83], 3, v[64:65]
	global_store_dwordx2 v[18:19], v[16:17], off
	s_or_b64 exec, exec, s[2:3]
	s_and_b64 s[4:5], s[24:25], s[54:55]
	s_and_saveexec_b64 s[2:3], s[4:5]
	s_cbranch_execz .LBB189_236
.LBB189_340:
	s_and_b64 vcc, exec, s[0:1]
	s_cbranch_vccnz .LBB189_342
; %bb.341:
	v_lshl_add_u64 v[16:17], v[80:81], 3, v[130:131]
	flat_load_dwordx2 v[16:17], v[16:17]
	s_waitcnt vmcnt(0) lgkmcnt(0)
	v_mul_f64 v[16:17], s[70:71], v[16:17]
	s_branch .LBB189_343
.LBB189_342:
	v_mov_b64_e32 v[16:17], 0
.LBB189_343:
	v_add_f64 v[14:15], v[14:15], v[16:17]
	v_lshl_add_u64 v[16:17], v[80:81], 3, v[64:65]
	global_store_dwordx2 v[16:17], v[14:15], off
	s_or_b64 exec, exec, s[2:3]
	s_and_b64 s[4:5], s[24:25], s[56:57]
	s_and_saveexec_b64 s[2:3], s[4:5]
	s_cbranch_execz .LBB189_237
.LBB189_344:
	s_and_b64 vcc, exec, s[0:1]
	s_cbranch_vccnz .LBB189_346
; %bb.345:
	v_lshl_add_u64 v[14:15], v[78:79], 3, v[130:131]
	flat_load_dwordx2 v[14:15], v[14:15]
	s_waitcnt vmcnt(0) lgkmcnt(0)
	v_mul_f64 v[14:15], s[70:71], v[14:15]
	s_branch .LBB189_347
.LBB189_346:
	v_mov_b64_e32 v[14:15], 0
.LBB189_347:
	v_add_f64 v[12:13], v[12:13], v[14:15]
	v_lshl_add_u64 v[14:15], v[78:79], 3, v[64:65]
	global_store_dwordx2 v[14:15], v[12:13], off
	s_or_b64 exec, exec, s[2:3]
	s_and_b64 s[4:5], s[24:25], s[58:59]
	s_and_saveexec_b64 s[2:3], s[4:5]
	s_cbranch_execz .LBB189_238
.LBB189_348:
	s_and_b64 vcc, exec, s[0:1]
	s_cbranch_vccnz .LBB189_350
; %bb.349:
	v_lshl_add_u64 v[12:13], v[76:77], 3, v[130:131]
	flat_load_dwordx2 v[12:13], v[12:13]
	s_waitcnt vmcnt(0) lgkmcnt(0)
	v_mul_f64 v[12:13], s[70:71], v[12:13]
	s_branch .LBB189_351
.LBB189_350:
	v_mov_b64_e32 v[12:13], 0
.LBB189_351:
	v_add_f64 v[10:11], v[10:11], v[12:13]
	v_lshl_add_u64 v[12:13], v[76:77], 3, v[64:65]
	global_store_dwordx2 v[12:13], v[10:11], off
	s_or_b64 exec, exec, s[2:3]
	s_and_b64 s[4:5], s[24:25], s[60:61]
	s_and_saveexec_b64 s[2:3], s[4:5]
	s_cbranch_execz .LBB189_239
.LBB189_352:
	s_and_b64 vcc, exec, s[0:1]
	s_cbranch_vccnz .LBB189_354
; %bb.353:
	v_lshl_add_u64 v[10:11], v[74:75], 3, v[130:131]
	flat_load_dwordx2 v[10:11], v[10:11]
	s_waitcnt vmcnt(0) lgkmcnt(0)
	v_mul_f64 v[10:11], s[70:71], v[10:11]
	s_branch .LBB189_355
.LBB189_354:
	v_mov_b64_e32 v[10:11], 0
.LBB189_355:
	v_add_f64 v[8:9], v[8:9], v[10:11]
	v_lshl_add_u64 v[10:11], v[74:75], 3, v[64:65]
	global_store_dwordx2 v[10:11], v[8:9], off
	s_or_b64 exec, exec, s[2:3]
	s_and_b64 s[4:5], s[24:25], s[62:63]
	s_and_saveexec_b64 s[2:3], s[4:5]
	s_cbranch_execz .LBB189_240
.LBB189_356:
	s_and_b64 vcc, exec, s[0:1]
	s_cbranch_vccnz .LBB189_358
; %bb.357:
	v_lshl_add_u64 v[8:9], v[72:73], 3, v[130:131]
	flat_load_dwordx2 v[8:9], v[8:9]
	s_waitcnt vmcnt(0) lgkmcnt(0)
	v_mul_f64 v[8:9], s[70:71], v[8:9]
	s_branch .LBB189_359
.LBB189_358:
	v_mov_b64_e32 v[8:9], 0
.LBB189_359:
	v_add_f64 v[6:7], v[6:7], v[8:9]
	v_lshl_add_u64 v[8:9], v[72:73], 3, v[64:65]
	global_store_dwordx2 v[8:9], v[6:7], off
	s_or_b64 exec, exec, s[2:3]
	s_and_b64 s[4:5], s[24:25], s[64:65]
	s_and_saveexec_b64 s[2:3], s[4:5]
	s_cbranch_execz .LBB189_241
.LBB189_360:
	s_and_b64 vcc, exec, s[0:1]
	s_cbranch_vccnz .LBB189_362
; %bb.361:
	v_lshl_add_u64 v[6:7], v[70:71], 3, v[130:131]
	flat_load_dwordx2 v[6:7], v[6:7]
	s_waitcnt vmcnt(0) lgkmcnt(0)
	v_mul_f64 v[6:7], s[70:71], v[6:7]
	s_branch .LBB189_363
.LBB189_362:
	v_mov_b64_e32 v[6:7], 0
.LBB189_363:
	v_add_f64 v[4:5], v[4:5], v[6:7]
	v_lshl_add_u64 v[6:7], v[70:71], 3, v[64:65]
	global_store_dwordx2 v[6:7], v[4:5], off
	s_or_b64 exec, exec, s[2:3]
	s_and_b64 s[4:5], s[24:25], s[66:67]
	s_and_saveexec_b64 s[2:3], s[4:5]
	s_cbranch_execz .LBB189_242
.LBB189_364:
	s_and_b64 vcc, exec, s[0:1]
	s_cbranch_vccnz .LBB189_366
; %bb.365:
	v_lshl_add_u64 v[4:5], v[68:69], 3, v[130:131]
	flat_load_dwordx2 v[4:5], v[4:5]
	s_waitcnt vmcnt(0) lgkmcnt(0)
	v_mul_f64 v[4:5], s[70:71], v[4:5]
	s_branch .LBB189_367
.LBB189_366:
	v_mov_b64_e32 v[4:5], 0
.LBB189_367:
	v_add_f64 v[2:3], v[2:3], v[4:5]
	v_lshl_add_u64 v[4:5], v[68:69], 3, v[64:65]
	global_store_dwordx2 v[4:5], v[2:3], off
	s_or_b64 exec, exec, s[2:3]
	s_and_b64 s[2:3], s[24:25], s[68:69]
	s_and_saveexec_b64 s[4:5], s[2:3]
	s_cbranch_execz .LBB189_243
.LBB189_368:
	s_and_b64 vcc, exec, s[0:1]
	s_cbranch_vccnz .LBB189_370
; %bb.369:
	v_lshl_add_u64 v[2:3], v[66:67], 3, v[130:131]
	flat_load_dwordx2 v[2:3], v[2:3]
	s_waitcnt vmcnt(0) lgkmcnt(0)
	v_mul_f64 v[2:3], s[70:71], v[2:3]
	v_add_f64 v[0:1], v[0:1], v[2:3]
	v_lshl_add_u64 v[2:3], v[66:67], 3, v[64:65]
	global_store_dwordx2 v[2:3], v[0:1], off
	s_endpgm
.LBB189_370:
	v_mov_b64_e32 v[2:3], 0
	v_add_f64 v[0:1], v[0:1], v[2:3]
	v_lshl_add_u64 v[2:3], v[66:67], 3, v[64:65]
	global_store_dwordx2 v[2:3], v[0:1], off
	s_endpgm
	.section	.rodata,"a",@progbits
	.p2align	6, 0x0
	.amdhsa_kernel _ZN12_GLOBAL__N_120geam_min_plus_kernelIdddLi4ELi64ELi128ELi128ELi4ELi4ELi64ELi4ELi64ELc84ELc78ELb0ELb1ELb0EPKdS1_dEEviiiT16_PT17_ilS5_ilS3_S5_ilPT18_ili26rocblas_geam_ex_operation_
		.amdhsa_group_segment_fixed_size 16384
		.amdhsa_private_segment_fixed_size 0
		.amdhsa_kernarg_size 136
		.amdhsa_user_sgpr_count 2
		.amdhsa_user_sgpr_dispatch_ptr 0
		.amdhsa_user_sgpr_queue_ptr 0
		.amdhsa_user_sgpr_kernarg_segment_ptr 1
		.amdhsa_user_sgpr_dispatch_id 0
		.amdhsa_user_sgpr_kernarg_preload_length 0
		.amdhsa_user_sgpr_kernarg_preload_offset 0
		.amdhsa_user_sgpr_private_segment_size 0
		.amdhsa_uses_dynamic_stack 0
		.amdhsa_enable_private_segment 0
		.amdhsa_system_sgpr_workgroup_id_x 1
		.amdhsa_system_sgpr_workgroup_id_y 0
		.amdhsa_system_sgpr_workgroup_id_z 1
		.amdhsa_system_sgpr_workgroup_info 0
		.amdhsa_system_vgpr_workitem_id 1
		.amdhsa_next_free_vgpr 250
		.amdhsa_next_free_sgpr 82
		.amdhsa_accum_offset 252
		.amdhsa_reserve_vcc 1
		.amdhsa_float_round_mode_32 0
		.amdhsa_float_round_mode_16_64 0
		.amdhsa_float_denorm_mode_32 3
		.amdhsa_float_denorm_mode_16_64 3
		.amdhsa_dx10_clamp 1
		.amdhsa_ieee_mode 1
		.amdhsa_fp16_overflow 0
		.amdhsa_tg_split 0
		.amdhsa_exception_fp_ieee_invalid_op 0
		.amdhsa_exception_fp_denorm_src 0
		.amdhsa_exception_fp_ieee_div_zero 0
		.amdhsa_exception_fp_ieee_overflow 0
		.amdhsa_exception_fp_ieee_underflow 0
		.amdhsa_exception_fp_ieee_inexact 0
		.amdhsa_exception_int_div_zero 0
	.end_amdhsa_kernel
	.section	.text._ZN12_GLOBAL__N_120geam_min_plus_kernelIdddLi4ELi64ELi128ELi128ELi4ELi4ELi64ELi4ELi64ELc84ELc78ELb0ELb1ELb0EPKdS1_dEEviiiT16_PT17_ilS5_ilS3_S5_ilPT18_ili26rocblas_geam_ex_operation_,"axG",@progbits,_ZN12_GLOBAL__N_120geam_min_plus_kernelIdddLi4ELi64ELi128ELi128ELi4ELi4ELi64ELi4ELi64ELc84ELc78ELb0ELb1ELb0EPKdS1_dEEviiiT16_PT17_ilS5_ilS3_S5_ilPT18_ili26rocblas_geam_ex_operation_,comdat
.Lfunc_end189:
	.size	_ZN12_GLOBAL__N_120geam_min_plus_kernelIdddLi4ELi64ELi128ELi128ELi4ELi4ELi64ELi4ELi64ELc84ELc78ELb0ELb1ELb0EPKdS1_dEEviiiT16_PT17_ilS5_ilS3_S5_ilPT18_ili26rocblas_geam_ex_operation_, .Lfunc_end189-_ZN12_GLOBAL__N_120geam_min_plus_kernelIdddLi4ELi64ELi128ELi128ELi4ELi4ELi64ELi4ELi64ELc84ELc78ELb0ELb1ELb0EPKdS1_dEEviiiT16_PT17_ilS5_ilS3_S5_ilPT18_ili26rocblas_geam_ex_operation_
                                        ; -- End function
	.section	.AMDGPU.csdata,"",@progbits
; Kernel info:
; codeLenInByte = 14712
; NumSgprs: 88
; NumVgprs: 250
; NumAgprs: 0
; TotalNumVgprs: 250
; ScratchSize: 0
; MemoryBound: 0
; FloatMode: 240
; IeeeMode: 1
; LDSByteSize: 16384 bytes/workgroup (compile time only)
; SGPRBlocks: 10
; VGPRBlocks: 31
; NumSGPRsForWavesPerEU: 88
; NumVGPRsForWavesPerEU: 250
; AccumOffset: 252
; Occupancy: 2
; WaveLimiterHint : 0
; COMPUTE_PGM_RSRC2:SCRATCH_EN: 0
; COMPUTE_PGM_RSRC2:USER_SGPR: 2
; COMPUTE_PGM_RSRC2:TRAP_HANDLER: 0
; COMPUTE_PGM_RSRC2:TGID_X_EN: 1
; COMPUTE_PGM_RSRC2:TGID_Y_EN: 0
; COMPUTE_PGM_RSRC2:TGID_Z_EN: 1
; COMPUTE_PGM_RSRC2:TIDIG_COMP_CNT: 1
; COMPUTE_PGM_RSRC3_GFX90A:ACCUM_OFFSET: 62
; COMPUTE_PGM_RSRC3_GFX90A:TG_SPLIT: 0
	.section	.text._ZN12_GLOBAL__N_120geam_min_plus_kernelIdddLi4ELi64ELi128ELi128ELi4ELi4ELi64ELi4ELi64ELc84ELc78ELb1ELb1ELb0EdKddEEviiiT16_PT17_ilS4_ilS2_S4_ilPT18_ili26rocblas_geam_ex_operation_,"axG",@progbits,_ZN12_GLOBAL__N_120geam_min_plus_kernelIdddLi4ELi64ELi128ELi128ELi4ELi4ELi64ELi4ELi64ELc84ELc78ELb1ELb1ELb0EdKddEEviiiT16_PT17_ilS4_ilS2_S4_ilPT18_ili26rocblas_geam_ex_operation_,comdat
	.globl	_ZN12_GLOBAL__N_120geam_min_plus_kernelIdddLi4ELi64ELi128ELi128ELi4ELi4ELi64ELi4ELi64ELc84ELc78ELb1ELb1ELb0EdKddEEviiiT16_PT17_ilS4_ilS2_S4_ilPT18_ili26rocblas_geam_ex_operation_ ; -- Begin function _ZN12_GLOBAL__N_120geam_min_plus_kernelIdddLi4ELi64ELi128ELi128ELi4ELi4ELi64ELi4ELi64ELc84ELc78ELb1ELb1ELb0EdKddEEviiiT16_PT17_ilS4_ilS2_S4_ilPT18_ili26rocblas_geam_ex_operation_
	.p2align	8
	.type	_ZN12_GLOBAL__N_120geam_min_plus_kernelIdddLi4ELi64ELi128ELi128ELi4ELi4ELi64ELi4ELi64ELc84ELc78ELb1ELb1ELb0EdKddEEviiiT16_PT17_ilS4_ilS2_S4_ilPT18_ili26rocblas_geam_ex_operation_,@function
_ZN12_GLOBAL__N_120geam_min_plus_kernelIdddLi4ELi64ELi128ELi128ELi4ELi4ELi64ELi4ELi64ELc84ELc78ELb1ELb1ELb0EdKddEEviiiT16_PT17_ilS4_ilS2_S4_ilPT18_ili26rocblas_geam_ex_operation_: ; @_ZN12_GLOBAL__N_120geam_min_plus_kernelIdddLi4ELi64ELi128ELi128ELi4ELi4ELi64ELi4ELi64ELc84ELc78ELb1ELb1ELb0EdKddEEviiiT16_PT17_ilS4_ilS2_S4_ilPT18_ili26rocblas_geam_ex_operation_
; %bb.0:
	s_load_dwordx4 s[8:11], s[0:1], 0x10
	s_load_dwordx4 s[4:7], s[0:1], 0x28
	s_mov_b64 s[20:21], 0
	s_waitcnt lgkmcnt(0)
	v_cmp_eq_f64_e64 s[8:9], s[8:9], 0
	s_and_b64 vcc, exec, s[8:9]
	s_cbranch_vccnz .LBB190_2
; %bb.1:
	s_mul_i32 s5, s3, s5
	s_mul_hi_u32 s12, s3, s4
	s_add_i32 s5, s12, s5
	s_mul_i32 s4, s3, s4
	s_lshl_b64 s[4:5], s[4:5], 3
	s_add_u32 s20, s10, s4
	s_addc_u32 s21, s11, s5
.LBB190_2:
	s_load_dwordx4 s[68:71], s[0:1], 0x40
	s_load_dwordx2 s[4:5], s[0:1], 0x50
	s_andn2_b64 vcc, exec, s[8:9]
	s_cbranch_vccnz .LBB190_4
; %bb.3:
	s_mov_b32 s17, 0
	s_mov_b64 s[22:23], 0
	s_cbranch_execz .LBB190_5
	s_branch .LBB190_6
.LBB190_4:
                                        ; implicit-def: $sgpr22_sgpr23
                                        ; implicit-def: $sgpr16_sgpr17
.LBB190_5:
	s_waitcnt lgkmcnt(0)
	s_mul_i32 s8, s3, s69
	s_mul_hi_u32 s9, s3, s68
	s_add_i32 s9, s9, s8
	s_mul_i32 s8, s3, s68
	s_lshl_b64 s[8:9], s[8:9], 3
	s_add_u32 s22, s6, s8
	s_mov_b32 s17, 0
	s_addc_u32 s23, s7, s9
.LBB190_6:
	s_load_dwordx4 s[12:15], s[0:1], 0x60
	s_waitcnt lgkmcnt(0)
	v_cmp_eq_f64_e64 s[6:7], s[70:71], 0
	s_mov_b64 s[76:77], 0
	v_cmp_neq_f64_e64 s[18:19], s[70:71], 0
	s_and_b64 vcc, exec, s[6:7]
	s_cbranch_vccnz .LBB190_8
; %bb.7:
	s_mul_i32 s6, s3, s13
	s_mul_hi_u32 s7, s3, s12
	s_add_i32 s6, s7, s6
	s_mul_i32 s7, s17, s12
	s_add_i32 s7, s6, s7
	s_mul_i32 s6, s3, s12
	s_lshl_b64 s[6:7], s[6:7], 3
	s_add_u32 s76, s4, s6
	s_addc_u32 s77, s5, s7
.LBB190_8:
	s_load_dwordx4 s[72:75], s[0:1], 0x0
	s_load_dword s25, s[0:1], 0x20
	v_and_b32_e32 v154, 0x3ff, v0
	v_bfe_u32 v155, v0, 10, 10
	v_lshrrev_b32_e32 v0, 2, v154
	s_waitcnt lgkmcnt(0)
	s_add_i32 s4, s72, -1
	s_ashr_i32 s5, s4, 31
	s_lshr_b32 s5, s5, 25
	s_add_i32 s4, s4, s5
	s_ashr_i32 s4, s4, 7
	s_add_i32 s5, s4, 1
	v_cvt_f32_u32_e32 v2, s5
	s_not_b32 s4, s4
	v_add_u32_e32 v14, v0, v155
	v_and_b32_e32 v156, 3, v154
	v_rcp_iflag_f32_e32 v2, v2
	v_cmp_le_i32_e32 vcc, s74, v156
	v_mov_b32_e32 v1, 0
	v_lshlrev_b32_e32 v0, 3, v156
	v_mul_f32_e32 v2, 0x4f7ffffe, v2
	v_cvt_u32_f32_e32 v2, v2
	v_lshl_add_u64 v[6:7], s[20:21], 0, v[0:1]
	v_readfirstlane_b32 s6, v2
	s_mul_i32 s4, s4, s6
	s_mul_hi_u32 s4, s6, s4
	s_add_i32 s6, s6, s4
	s_mul_hi_u32 s4, s2, s6
	s_mul_i32 s6, s4, s5
	s_sub_i32 s6, s2, s6
	s_add_i32 s7, s4, 1
	s_sub_i32 s8, s6, s5
	s_cmp_ge_u32 s6, s5
	s_cselect_b32 s4, s7, s4
	s_cselect_b32 s6, s8, s6
	s_add_i32 s7, s4, 1
	s_cmp_ge_u32 s6, s5
	s_cselect_b32 s8, s7, s4
	s_mul_i32 s4, s8, s5
	s_sub_i32 s2, s2, s4
	s_lshl_b32 s2, s2, 7
	v_add_u32_e32 v136, s2, v14
	v_cmp_le_i32_e64 s[10:11], s72, v136
	s_or_b64 s[4:5], vcc, s[10:11]
	v_mov_b64_e32 v[2:3], 0
	s_xor_b64 s[6:7], s[4:5], -1
	v_mov_b64_e32 v[4:5], v[2:3]
	s_and_saveexec_b64 s[4:5], s[6:7]
	s_cbranch_execz .LBB190_10
; %bb.9:
	v_mad_i64_i32 v[4:5], s[6:7], v136, s25, 0
	v_lshl_add_u64 v[4:5], v[4:5], 3, v[6:7]
	flat_load_dwordx2 v[4:5], v[4:5]
.LBB190_10:
	s_or_b64 exec, exec, s[4:5]
	v_add_u32_e32 v137, 64, v136
	v_cmp_le_i32_e64 s[4:5], s72, v137
	s_or_b64 s[6:7], vcc, s[4:5]
	s_xor_b64 s[12:13], s[6:7], -1
	s_and_saveexec_b64 s[6:7], s[12:13]
	s_cbranch_execz .LBB190_12
; %bb.11:
	v_mad_i64_i32 v[2:3], s[12:13], v137, s25, 0
	v_lshl_add_u64 v[2:3], v[2:3], 3, v[6:7]
	flat_load_dwordx2 v[2:3], v[2:3]
.LBB190_12:
	s_or_b64 exec, exec, s[6:7]
	s_load_dword s26, s[0:1], 0x38
	s_lshl_b32 s16, s8, 7
	v_add_u32_e32 v138, s16, v14
	v_cmp_le_i32_e64 s[6:7], s73, v138
	v_mov_b32_e32 v1, 0
	s_or_b64 s[8:9], vcc, s[6:7]
	v_mov_b64_e32 v[10:11], 0
	v_lshl_add_u64 v[8:9], s[22:23], 0, v[0:1]
	s_xor_b64 s[12:13], s[8:9], -1
	v_mov_b64_e32 v[12:13], v[10:11]
	s_and_saveexec_b64 s[8:9], s[12:13]
	s_cbranch_execz .LBB190_14
; %bb.13:
	s_waitcnt lgkmcnt(0)
	v_mad_i64_i32 v[12:13], s[12:13], v138, s26, 0
	v_lshl_add_u64 v[12:13], v[12:13], 3, v[8:9]
	flat_load_dwordx2 v[12:13], v[12:13]
.LBB190_14:
	s_or_b64 exec, exec, s[8:9]
	v_add_u32_e32 v139, 64, v138
	v_cmp_le_i32_e64 s[8:9], s73, v139
	s_or_b64 s[12:13], vcc, s[8:9]
	s_xor_b64 s[28:29], s[12:13], -1
	s_and_saveexec_b64 s[12:13], s[28:29]
	s_cbranch_execz .LBB190_16
; %bb.15:
	s_waitcnt lgkmcnt(0)
	v_mad_i64_i32 v[10:11], s[28:29], v139, s26, 0
	v_lshl_add_u64 v[10:11], v[10:11], 3, v[8:9]
	flat_load_dwordx2 v[10:11], v[10:11]
.LBB190_16:
	s_or_b64 exec, exec, s[12:13]
	v_or_b32_e32 v1, 4, v156
	v_cmp_le_i32_e32 vcc, s74, v1
	s_or_b64 s[12:13], vcc, s[10:11]
	v_mov_b64_e32 v[128:129], 0
	s_xor_b64 s[28:29], s[12:13], -1
	v_mov_b64_e32 v[130:131], v[128:129]
	s_and_saveexec_b64 s[12:13], s[28:29]
	s_cbranch_execz .LBB190_18
; %bb.17:
	v_mad_i64_i32 v[16:17], s[28:29], v136, s25, 0
	v_lshl_add_u64 v[16:17], v[16:17], 3, v[6:7]
	flat_load_dwordx2 v[130:131], v[16:17] offset:32
.LBB190_18:
	s_or_b64 exec, exec, s[12:13]
	s_or_b64 s[12:13], vcc, s[4:5]
	s_xor_b64 s[28:29], s[12:13], -1
	s_and_saveexec_b64 s[12:13], s[28:29]
	s_cbranch_execz .LBB190_20
; %bb.19:
	v_mad_i64_i32 v[16:17], s[28:29], v137, s25, 0
	v_lshl_add_u64 v[6:7], v[16:17], 3, v[6:7]
	flat_load_dwordx2 v[128:129], v[6:7] offset:32
.LBB190_20:
	s_or_b64 exec, exec, s[12:13]
	s_or_b64 s[12:13], vcc, s[6:7]
	v_mov_b64_e32 v[132:133], 0
	s_xor_b64 s[28:29], s[12:13], -1
	v_mov_b64_e32 v[134:135], v[132:133]
	s_and_saveexec_b64 s[12:13], s[28:29]
	s_cbranch_execz .LBB190_22
; %bb.21:
	s_waitcnt lgkmcnt(0)
	v_mad_i64_i32 v[6:7], s[28:29], v138, s26, 0
	v_lshl_add_u64 v[6:7], v[6:7], 3, v[8:9]
	flat_load_dwordx2 v[134:135], v[6:7] offset:32
.LBB190_22:
	s_or_b64 exec, exec, s[12:13]
	s_or_b64 s[12:13], vcc, s[8:9]
	s_xor_b64 s[28:29], s[12:13], -1
	s_and_saveexec_b64 s[12:13], s[28:29]
	s_cbranch_execz .LBB190_24
; %bb.23:
	s_waitcnt lgkmcnt(0)
	v_mad_i64_i32 v[6:7], s[28:29], v139, s26, 0
	v_lshl_add_u64 v[6:7], v[6:7], 3, v[8:9]
	flat_load_dwordx2 v[132:133], v[6:7] offset:32
.LBB190_24:
	s_or_b64 exec, exec, s[12:13]
	v_lshl_or_b32 v157, v14, 5, v0
	v_lshlrev_b32_e32 v140, 5, v155
	v_mov_b64_e32 v[126:127], 0
	s_waitcnt vmcnt(0) lgkmcnt(0)
	ds_write2st64_b64 v157, v[4:5], v[2:3] offset1:4
	v_add_u32_e32 v158, 0x2000, v157
	ds_write2st64_b64 v157, v[12:13], v[10:11] offset0:16 offset1:20
	v_lshlrev_b32_e32 v159, 5, v154
	v_add_u32_e32 v160, 0x2000, v140
	s_mov_b32 s12, 0
	v_mov_b64_e32 v[124:125], v[126:127]
	v_mov_b64_e32 v[122:123], v[126:127]
	;; [unrolled: 1-line block ×63, first 2 shown]
	s_waitcnt lgkmcnt(0)
	s_barrier
.LBB190_25:                             ; =>This Inner Loop Header: Depth=1
	v_add_u32_e32 v141, s12, v159
	v_add_u32_e32 v161, s12, v160
	ds_read2_b64 v[142:145], v141 offset1:16
	ds_read2_b64 v[146:149], v141 offset0:32 offset1:48
	ds_read2_b64 v[150:153], v141 offset0:64 offset1:80
	;; [unrolled: 1-line block ×7, first 2 shown]
	ds_read2st64_b64 v[182:185], v161 offset1:4
	v_add_u32_e32 v141, 0x800, v141
	ds_read2_b64 v[186:189], v141 offset1:16
	ds_read2_b64 v[190:193], v141 offset0:32 offset1:48
	ds_read2_b64 v[194:197], v141 offset0:64 offset1:80
	;; [unrolled: 1-line block ×7, first 2 shown]
	s_waitcnt lgkmcnt(14)
	v_max_f64 v[142:143], v[142:143], v[142:143]
	v_max_f64 v[144:145], v[144:145], v[144:145]
	;; [unrolled: 1-line block ×6, first 2 shown]
	s_waitcnt lgkmcnt(13)
	v_max_f64 v[162:163], v[162:163], v[162:163]
	v_max_f64 v[164:165], v[164:165], v[164:165]
	s_waitcnt lgkmcnt(12)
	v_max_f64 v[166:167], v[166:167], v[166:167]
	v_max_f64 v[168:169], v[168:169], v[168:169]
	;; [unrolled: 3-line block ×14, first 2 shown]
	v_min_f64 v[218:219], v[142:143], v[182:183]
	v_min_f64 v[220:221], v[144:145], v[182:183]
	;; [unrolled: 1-line block ×32, first 2 shown]
	s_add_i32 s12, s12, 8
	v_add_f64 v[62:63], v[142:143], v[62:63]
	v_add_f64 v[60:61], v[144:145], v[60:61]
	;; [unrolled: 1-line block ×16, first 2 shown]
	v_min_f64 v[142:143], v[186:187], v[182:183]
	v_min_f64 v[144:145], v[188:189], v[182:183]
	v_min_f64 v[146:147], v[190:191], v[182:183]
	v_min_f64 v[148:149], v[192:193], v[182:183]
	v_min_f64 v[150:151], v[194:195], v[182:183]
	v_min_f64 v[152:153], v[196:197], v[182:183]
	v_min_f64 v[162:163], v[198:199], v[182:183]
	v_min_f64 v[164:165], v[200:201], v[182:183]
	v_min_f64 v[166:167], v[202:203], v[182:183]
	v_min_f64 v[168:169], v[204:205], v[182:183]
	v_min_f64 v[170:171], v[206:207], v[182:183]
	v_min_f64 v[172:173], v[208:209], v[182:183]
	v_min_f64 v[174:175], v[210:211], v[182:183]
	v_min_f64 v[176:177], v[212:213], v[182:183]
	v_min_f64 v[178:179], v[214:215], v[182:183]
	v_min_f64 v[180:181], v[216:217], v[182:183]
	v_min_f64 v[182:183], v[186:187], v[184:185]
	v_min_f64 v[186:187], v[188:189], v[184:185]
	v_min_f64 v[188:189], v[190:191], v[184:185]
	v_min_f64 v[190:191], v[192:193], v[184:185]
	v_min_f64 v[192:193], v[194:195], v[184:185]
	v_min_f64 v[194:195], v[196:197], v[184:185]
	v_min_f64 v[196:197], v[198:199], v[184:185]
	v_min_f64 v[198:199], v[200:201], v[184:185]
	v_min_f64 v[200:201], v[202:203], v[184:185]
	v_min_f64 v[202:203], v[204:205], v[184:185]
	v_min_f64 v[204:205], v[206:207], v[184:185]
	v_min_f64 v[206:207], v[208:209], v[184:185]
	v_min_f64 v[208:209], v[210:211], v[184:185]
	v_min_f64 v[210:211], v[212:213], v[184:185]
	v_min_f64 v[212:213], v[214:215], v[184:185]
	v_min_f64 v[184:185], v[216:217], v[184:185]
	s_cmp_eq_u32 s12, 32
	v_add_f64 v[126:127], v[218:219], v[126:127]
	v_add_f64 v[124:125], v[220:221], v[124:125]
	;; [unrolled: 1-line block ×48, first 2 shown]
	s_cbranch_scc0 .LBB190_25
; %bb.26:
	s_cmp_gt_i32 s74, 8
	ds_write2st64_b64 v157, v[130:131], v[128:129] offset0:8 offset1:12
	ds_write2st64_b64 v157, v[134:135], v[132:133] offset0:24 offset1:28
	s_waitcnt lgkmcnt(0)
	s_barrier
	s_cbranch_scc1 .LBB190_28
; %bb.27:
	v_add_u32_e32 v161, 0x1000, v159
	v_add_u32_e32 v162, 0x3000, v140
	s_cbranch_execz .LBB190_29
	s_branch .LBB190_51
.LBB190_28:
                                        ; implicit-def: $vgpr161
                                        ; implicit-def: $vgpr162
.LBB190_29:
	v_add_u32_e32 v163, 0x1000, v157
	v_add_u32_e32 v164, 0x3000, v157
	s_add_i32 s24, s74, -8
	v_mad_i64_i32 v[128:129], s[12:13], v136, s25, 0
	v_mad_i64_i32 v[130:131], s[12:13], v137, s25, 0
	;; [unrolled: 1-line block ×4, first 2 shown]
	v_add_u32_e32 v161, 0x1000, v159
	v_add_u32_e32 v162, 0x3000, v140
	s_mov_b32 s25, 8
	s_mov_b32 s26, 0
	v_mov_b32_e32 v137, 0
.LBB190_30:                             ; =>This Loop Header: Depth=1
                                        ;     Child Loop BB190_39 Depth 2
                                        ;     Child Loop BB190_49 Depth 2
	v_or_b32_e32 v136, s25, v156
	v_cmp_le_i32_e32 vcc, s74, v136
	v_lshl_add_u64 v[140:141], v[136:137], 3, s[20:21]
	s_or_b64 s[12:13], s[10:11], vcc
	v_mov_b64_e32 v[146:147], 0
	s_xor_b64 s[28:29], s[12:13], -1
	v_lshl_add_u64 v[138:139], v[128:129], 3, v[140:141]
	v_mov_b64_e32 v[148:149], v[146:147]
	s_and_saveexec_b64 s[12:13], s[28:29]
	s_cbranch_execz .LBB190_32
; %bb.31:                               ;   in Loop: Header=BB190_30 Depth=1
	flat_load_dwordx2 v[148:149], v[138:139]
.LBB190_32:                             ;   in Loop: Header=BB190_30 Depth=1
	s_or_b64 exec, exec, s[12:13]
	s_or_b64 s[12:13], s[4:5], vcc
	s_xor_b64 s[28:29], s[12:13], -1
	v_lshl_add_u64 v[140:141], v[130:131], 3, v[140:141]
	s_and_saveexec_b64 s[12:13], s[28:29]
	s_cbranch_execz .LBB190_34
; %bb.33:                               ;   in Loop: Header=BB190_30 Depth=1
	flat_load_dwordx2 v[146:147], v[140:141]
.LBB190_34:                             ;   in Loop: Header=BB190_30 Depth=1
	s_or_b64 exec, exec, s[12:13]
	v_lshl_add_u64 v[144:145], v[136:137], 3, s[22:23]
	s_or_b64 s[12:13], s[6:7], vcc
	v_mov_b64_e32 v[150:151], 0
	s_xor_b64 s[28:29], s[12:13], -1
	v_lshl_add_u64 v[142:143], v[132:133], 3, v[144:145]
	v_mov_b64_e32 v[152:153], v[150:151]
	s_and_saveexec_b64 s[12:13], s[28:29]
	s_cbranch_execz .LBB190_36
; %bb.35:                               ;   in Loop: Header=BB190_30 Depth=1
	flat_load_dwordx2 v[152:153], v[142:143]
.LBB190_36:                             ;   in Loop: Header=BB190_30 Depth=1
	s_or_b64 exec, exec, s[12:13]
	s_or_b64 s[12:13], s[8:9], vcc
	s_xor_b64 s[28:29], s[12:13], -1
	v_lshl_add_u64 v[144:145], v[134:135], 3, v[144:145]
	s_and_saveexec_b64 s[12:13], s[28:29]
	s_cbranch_execz .LBB190_38
; %bb.37:                               ;   in Loop: Header=BB190_30 Depth=1
	flat_load_dwordx2 v[150:151], v[144:145]
.LBB190_38:                             ;   in Loop: Header=BB190_30 Depth=1
	s_or_b64 exec, exec, s[12:13]
	s_mov_b32 s12, 0
.LBB190_39:                             ;   Parent Loop BB190_30 Depth=1
                                        ; =>  This Inner Loop Header: Depth=2
	v_add_u32_e32 v165, s12, v161
	ds_read2_b64 v[166:169], v165 offset1:16
	ds_read2_b64 v[170:173], v165 offset0:32 offset1:48
	ds_read2_b64 v[174:177], v165 offset0:64 offset1:80
	;; [unrolled: 1-line block ×7, first 2 shown]
	v_add_u32_e32 v165, 0x800, v165
	ds_read2_b64 v[198:201], v165 offset1:16
	ds_read2_b64 v[202:205], v165 offset0:32 offset1:48
	ds_read2_b64 v[206:209], v165 offset0:64 offset1:80
	;; [unrolled: 1-line block ×7, first 2 shown]
	v_add_u32_e32 v165, s12, v162
	ds_read2st64_b64 v[230:233], v165 offset1:4
	s_waitcnt lgkmcnt(0)
	v_max_f64 v[166:167], v[166:167], v[166:167]
	v_max_f64 v[168:169], v[168:169], v[168:169]
	;; [unrolled: 1-line block ×5, first 2 shown]
	v_min_f64 v[234:235], v[166:167], v[230:231]
	v_add_f64 v[126:127], v[234:235], v[126:127]
	v_min_f64 v[234:235], v[168:169], v[230:231]
	v_add_f64 v[124:125], v[234:235], v[124:125]
	v_min_f64 v[234:235], v[170:171], v[230:231]
	v_add_f64 v[122:123], v[234:235], v[122:123]
	v_min_f64 v[234:235], v[172:173], v[230:231]
	v_max_f64 v[174:175], v[174:175], v[174:175]
	v_add_f64 v[120:121], v[234:235], v[120:121]
	v_min_f64 v[234:235], v[174:175], v[230:231]
	v_max_f64 v[176:177], v[176:177], v[176:177]
	v_add_f64 v[118:119], v[234:235], v[118:119]
	;; [unrolled: 3-line block ×26, first 2 shown]
	v_min_f64 v[234:235], v[224:225], v[230:231]
	v_max_f64 v[226:227], v[226:227], v[226:227]
	v_max_f64 v[228:229], v[228:229], v[228:229]
	v_add_f64 v[68:69], v[234:235], v[68:69]
	v_min_f64 v[234:235], v[226:227], v[230:231]
	v_min_f64 v[230:231], v[228:229], v[230:231]
	v_add_f64 v[64:65], v[230:231], v[64:65]
	v_max_f64 v[230:231], v[232:233], v[232:233]
	v_min_f64 v[166:167], v[166:167], v[230:231]
	v_add_f64 v[62:63], v[166:167], v[62:63]
	v_min_f64 v[166:167], v[168:169], v[230:231]
	v_add_f64 v[60:61], v[166:167], v[60:61]
	;; [unrolled: 2-line block ×31, first 2 shown]
	v_min_f64 v[166:167], v[228:229], v[230:231]
	s_add_i32 s12, s12, 8
	v_add_f64 v[66:67], v[234:235], v[66:67]
	v_add_f64 v[0:1], v[166:167], v[0:1]
	s_cmp_eq_u32 s12, 32
	s_cbranch_scc0 .LBB190_39
; %bb.40:                               ;   in Loop: Header=BB190_30 Depth=1
	v_or_b32_e32 v136, 4, v136
	v_cmp_le_i32_e32 vcc, s74, v136
	s_waitcnt vmcnt(0)
	ds_write2st64_b64 v157, v[148:149], v[146:147] offset1:4
	ds_write2st64_b64 v158, v[152:153], v[150:151] offset1:4
	s_or_b64 s[12:13], s[10:11], vcc
	v_mov_b64_e32 v[146:147], 0
	s_xor_b64 s[28:29], s[12:13], -1
	v_mov_b64_e32 v[148:149], v[146:147]
	s_waitcnt lgkmcnt(0)
	s_barrier
	s_and_saveexec_b64 s[12:13], s[28:29]
	s_cbranch_execz .LBB190_42
; %bb.41:                               ;   in Loop: Header=BB190_30 Depth=1
	flat_load_dwordx2 v[148:149], v[138:139] offset:32
.LBB190_42:                             ;   in Loop: Header=BB190_30 Depth=1
	s_or_b64 exec, exec, s[12:13]
	s_or_b64 s[12:13], s[4:5], vcc
	s_xor_b64 s[28:29], s[12:13], -1
	s_and_saveexec_b64 s[12:13], s[28:29]
	s_cbranch_execz .LBB190_44
; %bb.43:                               ;   in Loop: Header=BB190_30 Depth=1
	flat_load_dwordx2 v[146:147], v[140:141] offset:32
.LBB190_44:                             ;   in Loop: Header=BB190_30 Depth=1
	s_or_b64 exec, exec, s[12:13]
	s_or_b64 s[12:13], s[6:7], vcc
	v_mov_b64_e32 v[138:139], 0
	s_xor_b64 s[28:29], s[12:13], -1
	v_mov_b64_e32 v[140:141], v[138:139]
	s_and_saveexec_b64 s[12:13], s[28:29]
	s_cbranch_execz .LBB190_46
; %bb.45:                               ;   in Loop: Header=BB190_30 Depth=1
	flat_load_dwordx2 v[140:141], v[142:143] offset:32
.LBB190_46:                             ;   in Loop: Header=BB190_30 Depth=1
	s_or_b64 exec, exec, s[12:13]
	s_or_b64 s[12:13], s[8:9], vcc
	s_xor_b64 s[28:29], s[12:13], -1
	s_and_saveexec_b64 s[12:13], s[28:29]
	s_cbranch_execz .LBB190_48
; %bb.47:                               ;   in Loop: Header=BB190_30 Depth=1
	flat_load_dwordx2 v[138:139], v[144:145] offset:32
.LBB190_48:                             ;   in Loop: Header=BB190_30 Depth=1
	s_or_b64 exec, exec, s[12:13]
	s_mov_b32 s12, 0
.LBB190_49:                             ;   Parent Loop BB190_30 Depth=1
                                        ; =>  This Inner Loop Header: Depth=2
	v_add_u32_e32 v136, s12, v159
	ds_read2_b64 v[142:145], v136 offset1:16
	ds_read2_b64 v[150:153], v136 offset0:32 offset1:48
	ds_read2_b64 v[166:169], v136 offset0:64 offset1:80
	;; [unrolled: 1-line block ×7, first 2 shown]
	v_add_u32_e32 v136, 0x800, v136
	ds_read2_b64 v[190:193], v136 offset1:16
	ds_read2_b64 v[194:197], v136 offset0:32 offset1:48
	ds_read2_b64 v[198:201], v136 offset0:64 offset1:80
	;; [unrolled: 1-line block ×7, first 2 shown]
	v_add_u32_e32 v136, s12, v160
	ds_read2st64_b64 v[222:225], v136 offset1:4
	s_waitcnt lgkmcnt(0)
	v_max_f64 v[142:143], v[142:143], v[142:143]
	v_max_f64 v[144:145], v[144:145], v[144:145]
	;; [unrolled: 1-line block ×5, first 2 shown]
	v_min_f64 v[226:227], v[142:143], v[222:223]
	v_add_f64 v[126:127], v[226:227], v[126:127]
	v_min_f64 v[226:227], v[144:145], v[222:223]
	v_add_f64 v[124:125], v[226:227], v[124:125]
	;; [unrolled: 2-line block ×3, first 2 shown]
	v_min_f64 v[226:227], v[152:153], v[222:223]
	v_max_f64 v[166:167], v[166:167], v[166:167]
	v_add_f64 v[120:121], v[226:227], v[120:121]
	v_min_f64 v[226:227], v[166:167], v[222:223]
	v_max_f64 v[168:169], v[168:169], v[168:169]
	v_add_f64 v[118:119], v[226:227], v[118:119]
	;; [unrolled: 3-line block ×26, first 2 shown]
	v_min_f64 v[226:227], v[216:217], v[222:223]
	v_max_f64 v[218:219], v[218:219], v[218:219]
	v_max_f64 v[220:221], v[220:221], v[220:221]
	v_add_f64 v[68:69], v[226:227], v[68:69]
	v_min_f64 v[226:227], v[218:219], v[222:223]
	v_min_f64 v[222:223], v[220:221], v[222:223]
	v_add_f64 v[64:65], v[222:223], v[64:65]
	v_max_f64 v[222:223], v[224:225], v[224:225]
	v_min_f64 v[142:143], v[142:143], v[222:223]
	v_add_f64 v[62:63], v[142:143], v[62:63]
	v_min_f64 v[142:143], v[144:145], v[222:223]
	v_add_f64 v[60:61], v[142:143], v[60:61]
	;; [unrolled: 2-line block ×31, first 2 shown]
	v_min_f64 v[142:143], v[220:221], v[222:223]
	s_add_i32 s12, s12, 8
	v_add_f64 v[66:67], v[226:227], v[66:67]
	v_add_f64 v[0:1], v[142:143], v[0:1]
	s_cmp_eq_u32 s12, 32
	s_cbranch_scc0 .LBB190_49
; %bb.50:                               ;   in Loop: Header=BB190_30 Depth=1
	s_add_i32 s25, s25, 8
	s_add_i32 s26, s26, 8
	s_cmp_ge_i32 s26, s24
	s_waitcnt vmcnt(0)
	ds_write2st64_b64 v163, v[148:149], v[146:147] offset1:4
	ds_write2st64_b64 v164, v[140:141], v[138:139] offset1:4
	s_waitcnt lgkmcnt(0)
	s_barrier
	s_cbranch_scc0 .LBB190_30
.LBB190_51:
	s_mov_b32 s4, 0
.LBB190_52:                             ; =>This Inner Loop Header: Depth=1
	v_add_u32_e32 v152, s4, v161
	v_add_u32_e32 v153, s4, v162
	ds_read2_b64 v[128:131], v152 offset1:16
	ds_read2_b64 v[132:135], v152 offset0:32 offset1:48
	ds_read2_b64 v[136:139], v152 offset0:64 offset1:80
	;; [unrolled: 1-line block ×7, first 2 shown]
	v_add_u32_e32 v152, 0x800, v152
	ds_read2st64_b64 v[168:171], v153 offset1:4
	ds_read2_b64 v[172:175], v152 offset1:16
	ds_read2_b64 v[176:179], v152 offset0:32 offset1:48
	ds_read2_b64 v[180:183], v152 offset0:64 offset1:80
	;; [unrolled: 1-line block ×7, first 2 shown]
	s_waitcnt lgkmcnt(14)
	v_max_f64 v[128:129], v[128:129], v[128:129]
	v_max_f64 v[130:131], v[130:131], v[130:131]
	;; [unrolled: 1-line block ×3, first 2 shown]
	s_waitcnt lgkmcnt(8)
	v_max_f64 v[152:153], v[168:169], v[168:169]
	v_max_f64 v[134:135], v[134:135], v[134:135]
	;; [unrolled: 1-line block ×15, first 2 shown]
	v_min_f64 v[170:171], v[128:129], v[152:153]
	v_min_f64 v[204:205], v[130:131], v[152:153]
	;; [unrolled: 1-line block ×16, first 2 shown]
	s_waitcnt lgkmcnt(7)
	v_max_f64 v[172:173], v[172:173], v[172:173]
	v_max_f64 v[174:175], v[174:175], v[174:175]
	s_waitcnt lgkmcnt(6)
	v_max_f64 v[176:177], v[176:177], v[176:177]
	v_max_f64 v[178:179], v[178:179], v[178:179]
	;; [unrolled: 3-line block ×8, first 2 shown]
	v_min_f64 v[128:129], v[128:129], v[168:169]
	v_min_f64 v[130:131], v[130:131], v[168:169]
	;; [unrolled: 1-line block ×16, first 2 shown]
	s_add_i32 s4, s4, 8
	v_add_f64 v[126:127], v[170:171], v[126:127]
	v_add_f64 v[124:125], v[204:205], v[124:125]
	;; [unrolled: 1-line block ×15, first 2 shown]
	v_min_f64 v[170:171], v[172:173], v[152:153]
	v_min_f64 v[204:205], v[174:175], v[152:153]
	;; [unrolled: 1-line block ×16, first 2 shown]
	v_add_f64 v[62:63], v[128:129], v[62:63]
	v_add_f64 v[60:61], v[130:131], v[60:61]
	;; [unrolled: 1-line block ×16, first 2 shown]
	v_min_f64 v[128:129], v[172:173], v[168:169]
	v_min_f64 v[130:131], v[174:175], v[168:169]
	;; [unrolled: 1-line block ×16, first 2 shown]
	s_cmp_eq_u32 s4, 32
	v_add_f64 v[96:97], v[232:233], v[96:97]
	v_add_f64 v[94:95], v[170:171], v[94:95]
	;; [unrolled: 1-line block ×33, first 2 shown]
	s_cbranch_scc0 .LBB190_52
; %bb.53:
	s_load_dwordx2 s[4:5], s[0:1], 0x78
	s_load_dword s78, s[0:1], 0x58
	s_load_dword s33, s[0:1], 0x70
	v_add_u32_e32 v136, s16, v155
	v_add_u32_e32 v128, s2, v154
	s_waitcnt lgkmcnt(0)
	s_mul_i32 s0, s3, s5
	s_mul_hi_u32 s1, s3, s4
	s_mul_i32 s5, s17, s4
	s_add_i32 s0, s1, s0
	s_add_i32 s1, s0, s5
	s_mul_i32 s0, s3, s4
	s_lshl_b64 s[0:1], s[0:1], 3
	s_add_u32 s74, s14, s0
	s_addc_u32 s75, s15, s1
	v_mad_i64_i32 v[130:131], s[0:1], v136, s78, 0
	v_cmp_gt_i32_e64 s[24:25], s73, v136
	v_lshl_add_u64 v[132:133], v[130:131], 3, s[76:77]
	v_mad_i64_i32 v[130:131], s[0:1], v136, s33, 0
	v_cmp_gt_i32_e64 s[2:3], s72, v128
	v_cndmask_b32_e64 v134, 0, 1, s[18:19]
	v_lshl_add_u64 v[130:131], v[130:131], 3, s[74:75]
	s_and_b64 s[6:7], s[24:25], s[2:3]
	v_ashrrev_i32_e32 v129, 31, v128
	v_cmp_ne_u32_e64 s[0:1], 1, v134
	s_and_saveexec_b64 s[4:5], s[6:7]
	s_cbranch_execz .LBB190_58
; %bb.54:
	s_and_b64 vcc, exec, s[0:1]
	s_cbranch_vccnz .LBB190_56
; %bb.55:
	v_lshl_add_u64 v[134:135], v[128:129], 3, v[132:133]
	flat_load_dwordx2 v[134:135], v[134:135]
	s_waitcnt vmcnt(0) lgkmcnt(0)
	v_mul_f64 v[134:135], v[134:135], s[70:71]
	s_branch .LBB190_57
.LBB190_56:
	v_mov_b64_e32 v[134:135], 0
.LBB190_57:
	v_add_f64 v[126:127], v[126:127], v[134:135]
	v_lshl_add_u64 v[134:135], v[128:129], 3, v[130:131]
	global_store_dwordx2 v[134:135], v[126:127], off
.LBB190_58:
	s_or_b64 exec, exec, s[4:5]
	v_add_u32_e32 v126, 4, v128
	v_cmp_gt_i32_e64 s[4:5], s72, v126
	s_and_b64 s[8:9], s[24:25], s[4:5]
	v_ashrrev_i32_e32 v127, 31, v126
	s_and_saveexec_b64 s[6:7], s[8:9]
	s_cbranch_execz .LBB190_63
; %bb.59:
	s_and_b64 vcc, exec, s[0:1]
	s_cbranch_vccnz .LBB190_61
; %bb.60:
	v_lshl_add_u64 v[134:135], v[126:127], 3, v[132:133]
	flat_load_dwordx2 v[134:135], v[134:135]
	s_waitcnt vmcnt(0) lgkmcnt(0)
	v_mul_f64 v[134:135], v[134:135], s[70:71]
	s_branch .LBB190_62
.LBB190_61:
	v_mov_b64_e32 v[134:135], 0
.LBB190_62:
	v_add_f64 v[124:125], v[124:125], v[134:135]
	v_lshl_add_u64 v[134:135], v[126:127], 3, v[130:131]
	global_store_dwordx2 v[134:135], v[124:125], off
.LBB190_63:
	s_or_b64 exec, exec, s[6:7]
	v_add_u32_e32 v124, 8, v128
	v_cmp_gt_i32_e64 s[6:7], s72, v124
	s_and_b64 s[10:11], s[24:25], s[6:7]
	v_ashrrev_i32_e32 v125, 31, v124
	;; [unrolled: 23-line block ×31, first 2 shown]
	s_and_saveexec_b64 s[24:25], s[80:81]
	s_cbranch_execz .LBB190_213
; %bb.209:
	s_and_b64 vcc, exec, s[0:1]
	s_cbranch_vccnz .LBB190_211
; %bb.210:
	v_lshl_add_u64 v[132:133], v[66:67], 3, v[132:133]
	flat_load_dwordx2 v[132:133], v[132:133]
	s_waitcnt vmcnt(0) lgkmcnt(0)
	v_mul_f64 v[132:133], v[132:133], s[70:71]
	s_branch .LBB190_212
.LBB190_211:
	v_mov_b64_e32 v[132:133], 0
.LBB190_212:
	v_add_f64 v[64:65], v[64:65], v[132:133]
	v_lshl_add_u64 v[130:131], v[66:67], 3, v[130:131]
	global_store_dwordx2 v[130:131], v[64:65], off
.LBB190_213:
	s_or_b64 exec, exec, s[24:25]
	v_add_u32_e32 v132, 64, v136
	v_cmp_gt_i32_e64 s[24:25], s73, v132
	v_mad_i64_i32 v[64:65], s[72:73], v132, s78, 0
	v_lshl_add_u64 v[130:131], v[64:65], 3, s[76:77]
	v_mad_i64_i32 v[64:65], s[72:73], v132, s33, 0
	v_lshl_add_u64 v[64:65], v[64:65], 3, s[74:75]
	s_and_b64 s[2:3], s[24:25], s[2:3]
	s_and_saveexec_b64 s[72:73], s[2:3]
	s_xor_b64 s[2:3], exec, s[72:73]
	s_cbranch_execnz .LBB190_246
; %bb.214:
	s_or_b64 exec, exec, s[2:3]
	s_and_b64 s[4:5], s[24:25], s[4:5]
	s_and_saveexec_b64 s[2:3], s[4:5]
	s_cbranch_execnz .LBB190_250
.LBB190_215:
	s_or_b64 exec, exec, s[2:3]
	s_and_b64 s[4:5], s[24:25], s[6:7]
	s_and_saveexec_b64 s[2:3], s[4:5]
	s_cbranch_execnz .LBB190_254
.LBB190_216:
	s_or_b64 exec, exec, s[2:3]
	s_and_b64 s[4:5], s[24:25], s[8:9]
	s_and_saveexec_b64 s[2:3], s[4:5]
	s_cbranch_execnz .LBB190_258
.LBB190_217:
	s_or_b64 exec, exec, s[2:3]
	s_and_b64 s[4:5], s[24:25], s[10:11]
	s_and_saveexec_b64 s[2:3], s[4:5]
	s_cbranch_execnz .LBB190_262
.LBB190_218:
	s_or_b64 exec, exec, s[2:3]
	s_and_b64 s[4:5], s[24:25], s[12:13]
	s_and_saveexec_b64 s[2:3], s[4:5]
	s_cbranch_execnz .LBB190_266
.LBB190_219:
	s_or_b64 exec, exec, s[2:3]
	s_and_b64 s[4:5], s[24:25], s[14:15]
	s_and_saveexec_b64 s[2:3], s[4:5]
	s_cbranch_execnz .LBB190_270
.LBB190_220:
	s_or_b64 exec, exec, s[2:3]
	s_and_b64 s[4:5], s[24:25], s[16:17]
	s_and_saveexec_b64 s[2:3], s[4:5]
	s_cbranch_execnz .LBB190_274
.LBB190_221:
	s_or_b64 exec, exec, s[2:3]
	s_and_b64 s[4:5], s[24:25], s[18:19]
	s_and_saveexec_b64 s[2:3], s[4:5]
	s_cbranch_execnz .LBB190_278
.LBB190_222:
	s_or_b64 exec, exec, s[2:3]
	s_and_b64 s[4:5], s[24:25], s[20:21]
	s_and_saveexec_b64 s[2:3], s[4:5]
	s_cbranch_execnz .LBB190_282
.LBB190_223:
	s_or_b64 exec, exec, s[2:3]
	s_and_b64 s[4:5], s[24:25], s[22:23]
	s_and_saveexec_b64 s[2:3], s[4:5]
	s_cbranch_execnz .LBB190_286
.LBB190_224:
	s_or_b64 exec, exec, s[2:3]
	s_and_b64 s[4:5], s[24:25], s[26:27]
	s_and_saveexec_b64 s[2:3], s[4:5]
	s_cbranch_execnz .LBB190_290
.LBB190_225:
	s_or_b64 exec, exec, s[2:3]
	s_and_b64 s[4:5], s[24:25], s[28:29]
	s_and_saveexec_b64 s[2:3], s[4:5]
	s_cbranch_execnz .LBB190_294
.LBB190_226:
	s_or_b64 exec, exec, s[2:3]
	s_and_b64 s[4:5], s[24:25], s[30:31]
	s_and_saveexec_b64 s[2:3], s[4:5]
	s_cbranch_execnz .LBB190_298
.LBB190_227:
	s_or_b64 exec, exec, s[2:3]
	s_and_b64 s[4:5], s[24:25], s[34:35]
	s_and_saveexec_b64 s[2:3], s[4:5]
	s_cbranch_execnz .LBB190_302
.LBB190_228:
	s_or_b64 exec, exec, s[2:3]
	s_and_b64 s[4:5], s[24:25], s[36:37]
	s_and_saveexec_b64 s[2:3], s[4:5]
	s_cbranch_execnz .LBB190_306
.LBB190_229:
	s_or_b64 exec, exec, s[2:3]
	s_and_b64 s[4:5], s[24:25], s[38:39]
	s_and_saveexec_b64 s[2:3], s[4:5]
	s_cbranch_execnz .LBB190_310
.LBB190_230:
	s_or_b64 exec, exec, s[2:3]
	s_and_b64 s[4:5], s[24:25], s[40:41]
	s_and_saveexec_b64 s[2:3], s[4:5]
	s_cbranch_execnz .LBB190_314
.LBB190_231:
	s_or_b64 exec, exec, s[2:3]
	s_and_b64 s[4:5], s[24:25], s[42:43]
	s_and_saveexec_b64 s[2:3], s[4:5]
	s_cbranch_execnz .LBB190_318
.LBB190_232:
	s_or_b64 exec, exec, s[2:3]
	s_and_b64 s[4:5], s[24:25], s[44:45]
	s_and_saveexec_b64 s[2:3], s[4:5]
	s_cbranch_execnz .LBB190_322
.LBB190_233:
	s_or_b64 exec, exec, s[2:3]
	s_and_b64 s[4:5], s[24:25], s[46:47]
	s_and_saveexec_b64 s[2:3], s[4:5]
	s_cbranch_execnz .LBB190_326
.LBB190_234:
	s_or_b64 exec, exec, s[2:3]
	s_and_b64 s[4:5], s[24:25], s[48:49]
	s_and_saveexec_b64 s[2:3], s[4:5]
	s_cbranch_execnz .LBB190_330
.LBB190_235:
	s_or_b64 exec, exec, s[2:3]
	s_and_b64 s[4:5], s[24:25], s[50:51]
	s_and_saveexec_b64 s[2:3], s[4:5]
	s_cbranch_execnz .LBB190_334
.LBB190_236:
	s_or_b64 exec, exec, s[2:3]
	s_and_b64 s[4:5], s[24:25], s[52:53]
	s_and_saveexec_b64 s[2:3], s[4:5]
	s_cbranch_execnz .LBB190_338
.LBB190_237:
	s_or_b64 exec, exec, s[2:3]
	s_and_b64 s[4:5], s[24:25], s[54:55]
	s_and_saveexec_b64 s[2:3], s[4:5]
	s_cbranch_execnz .LBB190_342
.LBB190_238:
	s_or_b64 exec, exec, s[2:3]
	s_and_b64 s[4:5], s[24:25], s[56:57]
	s_and_saveexec_b64 s[2:3], s[4:5]
	s_cbranch_execnz .LBB190_346
.LBB190_239:
	s_or_b64 exec, exec, s[2:3]
	s_and_b64 s[4:5], s[24:25], s[58:59]
	s_and_saveexec_b64 s[2:3], s[4:5]
	s_cbranch_execnz .LBB190_350
.LBB190_240:
	s_or_b64 exec, exec, s[2:3]
	s_and_b64 s[4:5], s[24:25], s[60:61]
	s_and_saveexec_b64 s[2:3], s[4:5]
	s_cbranch_execnz .LBB190_354
.LBB190_241:
	s_or_b64 exec, exec, s[2:3]
	s_and_b64 s[4:5], s[24:25], s[62:63]
	s_and_saveexec_b64 s[2:3], s[4:5]
	s_cbranch_execnz .LBB190_358
.LBB190_242:
	s_or_b64 exec, exec, s[2:3]
	s_and_b64 s[4:5], s[24:25], s[64:65]
	s_and_saveexec_b64 s[2:3], s[4:5]
	s_cbranch_execnz .LBB190_362
.LBB190_243:
	s_or_b64 exec, exec, s[2:3]
	s_and_b64 s[4:5], s[24:25], s[66:67]
	s_and_saveexec_b64 s[2:3], s[4:5]
	s_cbranch_execnz .LBB190_366
.LBB190_244:
	s_or_b64 exec, exec, s[2:3]
	s_and_b64 s[2:3], s[24:25], s[68:69]
	s_and_saveexec_b64 s[4:5], s[2:3]
	s_cbranch_execnz .LBB190_370
.LBB190_245:
	s_endpgm
.LBB190_246:
	s_and_b64 vcc, exec, s[0:1]
	s_cbranch_vccnz .LBB190_248
; %bb.247:
	v_lshl_add_u64 v[132:133], v[128:129], 3, v[130:131]
	flat_load_dwordx2 v[132:133], v[132:133]
	s_waitcnt vmcnt(0) lgkmcnt(0)
	v_mul_f64 v[132:133], v[132:133], s[70:71]
	s_branch .LBB190_249
.LBB190_248:
	v_mov_b64_e32 v[132:133], 0
.LBB190_249:
	v_add_f64 v[62:63], v[62:63], v[132:133]
	v_lshl_add_u64 v[128:129], v[128:129], 3, v[64:65]
	global_store_dwordx2 v[128:129], v[62:63], off
	s_or_b64 exec, exec, s[2:3]
	s_and_b64 s[4:5], s[24:25], s[4:5]
	s_and_saveexec_b64 s[2:3], s[4:5]
	s_cbranch_execz .LBB190_215
.LBB190_250:
	s_and_b64 vcc, exec, s[0:1]
	s_cbranch_vccnz .LBB190_252
; %bb.251:
	v_lshl_add_u64 v[62:63], v[126:127], 3, v[130:131]
	flat_load_dwordx2 v[62:63], v[62:63]
	s_waitcnt vmcnt(0) lgkmcnt(0)
	v_mul_f64 v[62:63], v[62:63], s[70:71]
	s_branch .LBB190_253
.LBB190_252:
	v_mov_b64_e32 v[62:63], 0
.LBB190_253:
	v_add_f64 v[60:61], v[60:61], v[62:63]
	v_lshl_add_u64 v[62:63], v[126:127], 3, v[64:65]
	global_store_dwordx2 v[62:63], v[60:61], off
	s_or_b64 exec, exec, s[2:3]
	s_and_b64 s[4:5], s[24:25], s[6:7]
	s_and_saveexec_b64 s[2:3], s[4:5]
	s_cbranch_execz .LBB190_216
.LBB190_254:
	s_and_b64 vcc, exec, s[0:1]
	s_cbranch_vccnz .LBB190_256
; %bb.255:
	v_lshl_add_u64 v[60:61], v[124:125], 3, v[130:131]
	flat_load_dwordx2 v[60:61], v[60:61]
	s_waitcnt vmcnt(0) lgkmcnt(0)
	v_mul_f64 v[60:61], v[60:61], s[70:71]
	s_branch .LBB190_257
.LBB190_256:
	v_mov_b64_e32 v[60:61], 0
.LBB190_257:
	v_add_f64 v[58:59], v[58:59], v[60:61]
	v_lshl_add_u64 v[60:61], v[124:125], 3, v[64:65]
	global_store_dwordx2 v[60:61], v[58:59], off
	s_or_b64 exec, exec, s[2:3]
	s_and_b64 s[4:5], s[24:25], s[8:9]
	s_and_saveexec_b64 s[2:3], s[4:5]
	s_cbranch_execz .LBB190_217
.LBB190_258:
	s_and_b64 vcc, exec, s[0:1]
	s_cbranch_vccnz .LBB190_260
; %bb.259:
	v_lshl_add_u64 v[58:59], v[122:123], 3, v[130:131]
	flat_load_dwordx2 v[58:59], v[58:59]
	s_waitcnt vmcnt(0) lgkmcnt(0)
	v_mul_f64 v[58:59], v[58:59], s[70:71]
	s_branch .LBB190_261
.LBB190_260:
	v_mov_b64_e32 v[58:59], 0
.LBB190_261:
	v_add_f64 v[56:57], v[56:57], v[58:59]
	v_lshl_add_u64 v[58:59], v[122:123], 3, v[64:65]
	global_store_dwordx2 v[58:59], v[56:57], off
	s_or_b64 exec, exec, s[2:3]
	s_and_b64 s[4:5], s[24:25], s[10:11]
	s_and_saveexec_b64 s[2:3], s[4:5]
	s_cbranch_execz .LBB190_218
.LBB190_262:
	s_and_b64 vcc, exec, s[0:1]
	s_cbranch_vccnz .LBB190_264
; %bb.263:
	v_lshl_add_u64 v[56:57], v[120:121], 3, v[130:131]
	flat_load_dwordx2 v[56:57], v[56:57]
	s_waitcnt vmcnt(0) lgkmcnt(0)
	v_mul_f64 v[56:57], v[56:57], s[70:71]
	s_branch .LBB190_265
.LBB190_264:
	v_mov_b64_e32 v[56:57], 0
.LBB190_265:
	v_add_f64 v[54:55], v[54:55], v[56:57]
	v_lshl_add_u64 v[56:57], v[120:121], 3, v[64:65]
	global_store_dwordx2 v[56:57], v[54:55], off
	s_or_b64 exec, exec, s[2:3]
	s_and_b64 s[4:5], s[24:25], s[12:13]
	s_and_saveexec_b64 s[2:3], s[4:5]
	s_cbranch_execz .LBB190_219
.LBB190_266:
	s_and_b64 vcc, exec, s[0:1]
	s_cbranch_vccnz .LBB190_268
; %bb.267:
	v_lshl_add_u64 v[54:55], v[118:119], 3, v[130:131]
	flat_load_dwordx2 v[54:55], v[54:55]
	s_waitcnt vmcnt(0) lgkmcnt(0)
	v_mul_f64 v[54:55], v[54:55], s[70:71]
	s_branch .LBB190_269
.LBB190_268:
	v_mov_b64_e32 v[54:55], 0
.LBB190_269:
	v_add_f64 v[52:53], v[52:53], v[54:55]
	v_lshl_add_u64 v[54:55], v[118:119], 3, v[64:65]
	global_store_dwordx2 v[54:55], v[52:53], off
	s_or_b64 exec, exec, s[2:3]
	s_and_b64 s[4:5], s[24:25], s[14:15]
	s_and_saveexec_b64 s[2:3], s[4:5]
	s_cbranch_execz .LBB190_220
.LBB190_270:
	s_and_b64 vcc, exec, s[0:1]
	s_cbranch_vccnz .LBB190_272
; %bb.271:
	v_lshl_add_u64 v[52:53], v[116:117], 3, v[130:131]
	flat_load_dwordx2 v[52:53], v[52:53]
	s_waitcnt vmcnt(0) lgkmcnt(0)
	v_mul_f64 v[52:53], v[52:53], s[70:71]
	s_branch .LBB190_273
.LBB190_272:
	v_mov_b64_e32 v[52:53], 0
.LBB190_273:
	v_add_f64 v[50:51], v[50:51], v[52:53]
	v_lshl_add_u64 v[52:53], v[116:117], 3, v[64:65]
	global_store_dwordx2 v[52:53], v[50:51], off
	s_or_b64 exec, exec, s[2:3]
	s_and_b64 s[4:5], s[24:25], s[16:17]
	s_and_saveexec_b64 s[2:3], s[4:5]
	s_cbranch_execz .LBB190_221
.LBB190_274:
	s_and_b64 vcc, exec, s[0:1]
	s_cbranch_vccnz .LBB190_276
; %bb.275:
	v_lshl_add_u64 v[50:51], v[114:115], 3, v[130:131]
	flat_load_dwordx2 v[50:51], v[50:51]
	s_waitcnt vmcnt(0) lgkmcnt(0)
	v_mul_f64 v[50:51], v[50:51], s[70:71]
	s_branch .LBB190_277
.LBB190_276:
	v_mov_b64_e32 v[50:51], 0
.LBB190_277:
	v_add_f64 v[48:49], v[48:49], v[50:51]
	v_lshl_add_u64 v[50:51], v[114:115], 3, v[64:65]
	global_store_dwordx2 v[50:51], v[48:49], off
	s_or_b64 exec, exec, s[2:3]
	s_and_b64 s[4:5], s[24:25], s[18:19]
	s_and_saveexec_b64 s[2:3], s[4:5]
	s_cbranch_execz .LBB190_222
.LBB190_278:
	s_and_b64 vcc, exec, s[0:1]
	s_cbranch_vccnz .LBB190_280
; %bb.279:
	v_lshl_add_u64 v[48:49], v[112:113], 3, v[130:131]
	flat_load_dwordx2 v[48:49], v[48:49]
	s_waitcnt vmcnt(0) lgkmcnt(0)
	v_mul_f64 v[48:49], v[48:49], s[70:71]
	s_branch .LBB190_281
.LBB190_280:
	v_mov_b64_e32 v[48:49], 0
.LBB190_281:
	v_add_f64 v[46:47], v[46:47], v[48:49]
	v_lshl_add_u64 v[48:49], v[112:113], 3, v[64:65]
	global_store_dwordx2 v[48:49], v[46:47], off
	s_or_b64 exec, exec, s[2:3]
	s_and_b64 s[4:5], s[24:25], s[20:21]
	s_and_saveexec_b64 s[2:3], s[4:5]
	s_cbranch_execz .LBB190_223
.LBB190_282:
	s_and_b64 vcc, exec, s[0:1]
	s_cbranch_vccnz .LBB190_284
; %bb.283:
	v_lshl_add_u64 v[46:47], v[110:111], 3, v[130:131]
	flat_load_dwordx2 v[46:47], v[46:47]
	s_waitcnt vmcnt(0) lgkmcnt(0)
	v_mul_f64 v[46:47], v[46:47], s[70:71]
	s_branch .LBB190_285
.LBB190_284:
	v_mov_b64_e32 v[46:47], 0
.LBB190_285:
	v_add_f64 v[44:45], v[44:45], v[46:47]
	v_lshl_add_u64 v[46:47], v[110:111], 3, v[64:65]
	global_store_dwordx2 v[46:47], v[44:45], off
	s_or_b64 exec, exec, s[2:3]
	s_and_b64 s[4:5], s[24:25], s[22:23]
	s_and_saveexec_b64 s[2:3], s[4:5]
	s_cbranch_execz .LBB190_224
.LBB190_286:
	s_and_b64 vcc, exec, s[0:1]
	s_cbranch_vccnz .LBB190_288
; %bb.287:
	v_lshl_add_u64 v[44:45], v[108:109], 3, v[130:131]
	flat_load_dwordx2 v[44:45], v[44:45]
	s_waitcnt vmcnt(0) lgkmcnt(0)
	v_mul_f64 v[44:45], v[44:45], s[70:71]
	s_branch .LBB190_289
.LBB190_288:
	v_mov_b64_e32 v[44:45], 0
.LBB190_289:
	v_add_f64 v[42:43], v[42:43], v[44:45]
	v_lshl_add_u64 v[44:45], v[108:109], 3, v[64:65]
	global_store_dwordx2 v[44:45], v[42:43], off
	s_or_b64 exec, exec, s[2:3]
	s_and_b64 s[4:5], s[24:25], s[26:27]
	s_and_saveexec_b64 s[2:3], s[4:5]
	s_cbranch_execz .LBB190_225
.LBB190_290:
	s_and_b64 vcc, exec, s[0:1]
	s_cbranch_vccnz .LBB190_292
; %bb.291:
	v_lshl_add_u64 v[42:43], v[106:107], 3, v[130:131]
	flat_load_dwordx2 v[42:43], v[42:43]
	s_waitcnt vmcnt(0) lgkmcnt(0)
	v_mul_f64 v[42:43], v[42:43], s[70:71]
	s_branch .LBB190_293
.LBB190_292:
	v_mov_b64_e32 v[42:43], 0
.LBB190_293:
	v_add_f64 v[40:41], v[40:41], v[42:43]
	v_lshl_add_u64 v[42:43], v[106:107], 3, v[64:65]
	global_store_dwordx2 v[42:43], v[40:41], off
	s_or_b64 exec, exec, s[2:3]
	s_and_b64 s[4:5], s[24:25], s[28:29]
	s_and_saveexec_b64 s[2:3], s[4:5]
	s_cbranch_execz .LBB190_226
.LBB190_294:
	s_and_b64 vcc, exec, s[0:1]
	s_cbranch_vccnz .LBB190_296
; %bb.295:
	v_lshl_add_u64 v[40:41], v[104:105], 3, v[130:131]
	flat_load_dwordx2 v[40:41], v[40:41]
	s_waitcnt vmcnt(0) lgkmcnt(0)
	v_mul_f64 v[40:41], v[40:41], s[70:71]
	s_branch .LBB190_297
.LBB190_296:
	v_mov_b64_e32 v[40:41], 0
.LBB190_297:
	v_add_f64 v[38:39], v[38:39], v[40:41]
	v_lshl_add_u64 v[40:41], v[104:105], 3, v[64:65]
	global_store_dwordx2 v[40:41], v[38:39], off
	s_or_b64 exec, exec, s[2:3]
	s_and_b64 s[4:5], s[24:25], s[30:31]
	s_and_saveexec_b64 s[2:3], s[4:5]
	s_cbranch_execz .LBB190_227
.LBB190_298:
	s_and_b64 vcc, exec, s[0:1]
	s_cbranch_vccnz .LBB190_300
; %bb.299:
	v_lshl_add_u64 v[38:39], v[102:103], 3, v[130:131]
	flat_load_dwordx2 v[38:39], v[38:39]
	s_waitcnt vmcnt(0) lgkmcnt(0)
	v_mul_f64 v[38:39], v[38:39], s[70:71]
	s_branch .LBB190_301
.LBB190_300:
	v_mov_b64_e32 v[38:39], 0
.LBB190_301:
	v_add_f64 v[36:37], v[36:37], v[38:39]
	v_lshl_add_u64 v[38:39], v[102:103], 3, v[64:65]
	global_store_dwordx2 v[38:39], v[36:37], off
	s_or_b64 exec, exec, s[2:3]
	s_and_b64 s[4:5], s[24:25], s[34:35]
	s_and_saveexec_b64 s[2:3], s[4:5]
	s_cbranch_execz .LBB190_228
.LBB190_302:
	s_and_b64 vcc, exec, s[0:1]
	s_cbranch_vccnz .LBB190_304
; %bb.303:
	v_lshl_add_u64 v[36:37], v[100:101], 3, v[130:131]
	flat_load_dwordx2 v[36:37], v[36:37]
	s_waitcnt vmcnt(0) lgkmcnt(0)
	v_mul_f64 v[36:37], v[36:37], s[70:71]
	s_branch .LBB190_305
.LBB190_304:
	v_mov_b64_e32 v[36:37], 0
.LBB190_305:
	v_add_f64 v[34:35], v[34:35], v[36:37]
	v_lshl_add_u64 v[36:37], v[100:101], 3, v[64:65]
	global_store_dwordx2 v[36:37], v[34:35], off
	s_or_b64 exec, exec, s[2:3]
	s_and_b64 s[4:5], s[24:25], s[36:37]
	s_and_saveexec_b64 s[2:3], s[4:5]
	s_cbranch_execz .LBB190_229
.LBB190_306:
	s_and_b64 vcc, exec, s[0:1]
	s_cbranch_vccnz .LBB190_308
; %bb.307:
	v_lshl_add_u64 v[34:35], v[98:99], 3, v[130:131]
	flat_load_dwordx2 v[34:35], v[34:35]
	s_waitcnt vmcnt(0) lgkmcnt(0)
	v_mul_f64 v[34:35], v[34:35], s[70:71]
	s_branch .LBB190_309
.LBB190_308:
	v_mov_b64_e32 v[34:35], 0
.LBB190_309:
	v_add_f64 v[32:33], v[32:33], v[34:35]
	v_lshl_add_u64 v[34:35], v[98:99], 3, v[64:65]
	global_store_dwordx2 v[34:35], v[32:33], off
	s_or_b64 exec, exec, s[2:3]
	s_and_b64 s[4:5], s[24:25], s[38:39]
	s_and_saveexec_b64 s[2:3], s[4:5]
	s_cbranch_execz .LBB190_230
.LBB190_310:
	s_and_b64 vcc, exec, s[0:1]
	s_cbranch_vccnz .LBB190_312
; %bb.311:
	v_lshl_add_u64 v[32:33], v[96:97], 3, v[130:131]
	flat_load_dwordx2 v[32:33], v[32:33]
	s_waitcnt vmcnt(0) lgkmcnt(0)
	v_mul_f64 v[32:33], v[32:33], s[70:71]
	s_branch .LBB190_313
.LBB190_312:
	v_mov_b64_e32 v[32:33], 0
.LBB190_313:
	v_add_f64 v[30:31], v[30:31], v[32:33]
	v_lshl_add_u64 v[32:33], v[96:97], 3, v[64:65]
	global_store_dwordx2 v[32:33], v[30:31], off
	s_or_b64 exec, exec, s[2:3]
	s_and_b64 s[4:5], s[24:25], s[40:41]
	s_and_saveexec_b64 s[2:3], s[4:5]
	s_cbranch_execz .LBB190_231
.LBB190_314:
	s_and_b64 vcc, exec, s[0:1]
	s_cbranch_vccnz .LBB190_316
; %bb.315:
	v_lshl_add_u64 v[30:31], v[94:95], 3, v[130:131]
	flat_load_dwordx2 v[30:31], v[30:31]
	s_waitcnt vmcnt(0) lgkmcnt(0)
	v_mul_f64 v[30:31], v[30:31], s[70:71]
	s_branch .LBB190_317
.LBB190_316:
	v_mov_b64_e32 v[30:31], 0
.LBB190_317:
	v_add_f64 v[28:29], v[28:29], v[30:31]
	v_lshl_add_u64 v[30:31], v[94:95], 3, v[64:65]
	global_store_dwordx2 v[30:31], v[28:29], off
	s_or_b64 exec, exec, s[2:3]
	s_and_b64 s[4:5], s[24:25], s[42:43]
	s_and_saveexec_b64 s[2:3], s[4:5]
	s_cbranch_execz .LBB190_232
.LBB190_318:
	s_and_b64 vcc, exec, s[0:1]
	s_cbranch_vccnz .LBB190_320
; %bb.319:
	v_lshl_add_u64 v[28:29], v[92:93], 3, v[130:131]
	flat_load_dwordx2 v[28:29], v[28:29]
	s_waitcnt vmcnt(0) lgkmcnt(0)
	v_mul_f64 v[28:29], v[28:29], s[70:71]
	s_branch .LBB190_321
.LBB190_320:
	v_mov_b64_e32 v[28:29], 0
.LBB190_321:
	v_add_f64 v[26:27], v[26:27], v[28:29]
	v_lshl_add_u64 v[28:29], v[92:93], 3, v[64:65]
	global_store_dwordx2 v[28:29], v[26:27], off
	s_or_b64 exec, exec, s[2:3]
	s_and_b64 s[4:5], s[24:25], s[44:45]
	s_and_saveexec_b64 s[2:3], s[4:5]
	s_cbranch_execz .LBB190_233
.LBB190_322:
	s_and_b64 vcc, exec, s[0:1]
	s_cbranch_vccnz .LBB190_324
; %bb.323:
	v_lshl_add_u64 v[26:27], v[90:91], 3, v[130:131]
	flat_load_dwordx2 v[26:27], v[26:27]
	s_waitcnt vmcnt(0) lgkmcnt(0)
	v_mul_f64 v[26:27], v[26:27], s[70:71]
	s_branch .LBB190_325
.LBB190_324:
	v_mov_b64_e32 v[26:27], 0
.LBB190_325:
	v_add_f64 v[24:25], v[24:25], v[26:27]
	v_lshl_add_u64 v[26:27], v[90:91], 3, v[64:65]
	global_store_dwordx2 v[26:27], v[24:25], off
	s_or_b64 exec, exec, s[2:3]
	s_and_b64 s[4:5], s[24:25], s[46:47]
	s_and_saveexec_b64 s[2:3], s[4:5]
	s_cbranch_execz .LBB190_234
.LBB190_326:
	s_and_b64 vcc, exec, s[0:1]
	s_cbranch_vccnz .LBB190_328
; %bb.327:
	v_lshl_add_u64 v[24:25], v[88:89], 3, v[130:131]
	flat_load_dwordx2 v[24:25], v[24:25]
	s_waitcnt vmcnt(0) lgkmcnt(0)
	v_mul_f64 v[24:25], v[24:25], s[70:71]
	s_branch .LBB190_329
.LBB190_328:
	v_mov_b64_e32 v[24:25], 0
.LBB190_329:
	v_add_f64 v[22:23], v[22:23], v[24:25]
	v_lshl_add_u64 v[24:25], v[88:89], 3, v[64:65]
	global_store_dwordx2 v[24:25], v[22:23], off
	s_or_b64 exec, exec, s[2:3]
	s_and_b64 s[4:5], s[24:25], s[48:49]
	s_and_saveexec_b64 s[2:3], s[4:5]
	s_cbranch_execz .LBB190_235
.LBB190_330:
	s_and_b64 vcc, exec, s[0:1]
	s_cbranch_vccnz .LBB190_332
; %bb.331:
	v_lshl_add_u64 v[22:23], v[86:87], 3, v[130:131]
	flat_load_dwordx2 v[22:23], v[22:23]
	s_waitcnt vmcnt(0) lgkmcnt(0)
	v_mul_f64 v[22:23], v[22:23], s[70:71]
	s_branch .LBB190_333
.LBB190_332:
	v_mov_b64_e32 v[22:23], 0
.LBB190_333:
	v_add_f64 v[20:21], v[20:21], v[22:23]
	v_lshl_add_u64 v[22:23], v[86:87], 3, v[64:65]
	global_store_dwordx2 v[22:23], v[20:21], off
	s_or_b64 exec, exec, s[2:3]
	s_and_b64 s[4:5], s[24:25], s[50:51]
	s_and_saveexec_b64 s[2:3], s[4:5]
	s_cbranch_execz .LBB190_236
.LBB190_334:
	s_and_b64 vcc, exec, s[0:1]
	s_cbranch_vccnz .LBB190_336
; %bb.335:
	v_lshl_add_u64 v[20:21], v[84:85], 3, v[130:131]
	flat_load_dwordx2 v[20:21], v[20:21]
	s_waitcnt vmcnt(0) lgkmcnt(0)
	v_mul_f64 v[20:21], v[20:21], s[70:71]
	s_branch .LBB190_337
.LBB190_336:
	v_mov_b64_e32 v[20:21], 0
.LBB190_337:
	v_add_f64 v[18:19], v[18:19], v[20:21]
	v_lshl_add_u64 v[20:21], v[84:85], 3, v[64:65]
	global_store_dwordx2 v[20:21], v[18:19], off
	s_or_b64 exec, exec, s[2:3]
	s_and_b64 s[4:5], s[24:25], s[52:53]
	s_and_saveexec_b64 s[2:3], s[4:5]
	s_cbranch_execz .LBB190_237
.LBB190_338:
	s_and_b64 vcc, exec, s[0:1]
	s_cbranch_vccnz .LBB190_340
; %bb.339:
	v_lshl_add_u64 v[18:19], v[82:83], 3, v[130:131]
	flat_load_dwordx2 v[18:19], v[18:19]
	s_waitcnt vmcnt(0) lgkmcnt(0)
	v_mul_f64 v[18:19], v[18:19], s[70:71]
	s_branch .LBB190_341
.LBB190_340:
	v_mov_b64_e32 v[18:19], 0
.LBB190_341:
	v_add_f64 v[16:17], v[16:17], v[18:19]
	v_lshl_add_u64 v[18:19], v[82:83], 3, v[64:65]
	global_store_dwordx2 v[18:19], v[16:17], off
	s_or_b64 exec, exec, s[2:3]
	s_and_b64 s[4:5], s[24:25], s[54:55]
	s_and_saveexec_b64 s[2:3], s[4:5]
	s_cbranch_execz .LBB190_238
.LBB190_342:
	s_and_b64 vcc, exec, s[0:1]
	s_cbranch_vccnz .LBB190_344
; %bb.343:
	v_lshl_add_u64 v[16:17], v[80:81], 3, v[130:131]
	flat_load_dwordx2 v[16:17], v[16:17]
	s_waitcnt vmcnt(0) lgkmcnt(0)
	v_mul_f64 v[16:17], v[16:17], s[70:71]
	s_branch .LBB190_345
.LBB190_344:
	v_mov_b64_e32 v[16:17], 0
.LBB190_345:
	v_add_f64 v[14:15], v[14:15], v[16:17]
	v_lshl_add_u64 v[16:17], v[80:81], 3, v[64:65]
	global_store_dwordx2 v[16:17], v[14:15], off
	s_or_b64 exec, exec, s[2:3]
	s_and_b64 s[4:5], s[24:25], s[56:57]
	s_and_saveexec_b64 s[2:3], s[4:5]
	s_cbranch_execz .LBB190_239
.LBB190_346:
	s_and_b64 vcc, exec, s[0:1]
	s_cbranch_vccnz .LBB190_348
; %bb.347:
	v_lshl_add_u64 v[14:15], v[78:79], 3, v[130:131]
	flat_load_dwordx2 v[14:15], v[14:15]
	s_waitcnt vmcnt(0) lgkmcnt(0)
	v_mul_f64 v[14:15], v[14:15], s[70:71]
	s_branch .LBB190_349
.LBB190_348:
	v_mov_b64_e32 v[14:15], 0
.LBB190_349:
	v_add_f64 v[12:13], v[12:13], v[14:15]
	v_lshl_add_u64 v[14:15], v[78:79], 3, v[64:65]
	global_store_dwordx2 v[14:15], v[12:13], off
	s_or_b64 exec, exec, s[2:3]
	s_and_b64 s[4:5], s[24:25], s[58:59]
	s_and_saveexec_b64 s[2:3], s[4:5]
	s_cbranch_execz .LBB190_240
.LBB190_350:
	s_and_b64 vcc, exec, s[0:1]
	s_cbranch_vccnz .LBB190_352
; %bb.351:
	v_lshl_add_u64 v[12:13], v[76:77], 3, v[130:131]
	flat_load_dwordx2 v[12:13], v[12:13]
	s_waitcnt vmcnt(0) lgkmcnt(0)
	v_mul_f64 v[12:13], v[12:13], s[70:71]
	s_branch .LBB190_353
.LBB190_352:
	v_mov_b64_e32 v[12:13], 0
.LBB190_353:
	v_add_f64 v[10:11], v[10:11], v[12:13]
	v_lshl_add_u64 v[12:13], v[76:77], 3, v[64:65]
	global_store_dwordx2 v[12:13], v[10:11], off
	s_or_b64 exec, exec, s[2:3]
	s_and_b64 s[4:5], s[24:25], s[60:61]
	s_and_saveexec_b64 s[2:3], s[4:5]
	s_cbranch_execz .LBB190_241
.LBB190_354:
	s_and_b64 vcc, exec, s[0:1]
	s_cbranch_vccnz .LBB190_356
; %bb.355:
	v_lshl_add_u64 v[10:11], v[74:75], 3, v[130:131]
	flat_load_dwordx2 v[10:11], v[10:11]
	s_waitcnt vmcnt(0) lgkmcnt(0)
	v_mul_f64 v[10:11], v[10:11], s[70:71]
	s_branch .LBB190_357
.LBB190_356:
	v_mov_b64_e32 v[10:11], 0
.LBB190_357:
	v_add_f64 v[8:9], v[8:9], v[10:11]
	v_lshl_add_u64 v[10:11], v[74:75], 3, v[64:65]
	global_store_dwordx2 v[10:11], v[8:9], off
	s_or_b64 exec, exec, s[2:3]
	s_and_b64 s[4:5], s[24:25], s[62:63]
	s_and_saveexec_b64 s[2:3], s[4:5]
	s_cbranch_execz .LBB190_242
.LBB190_358:
	s_and_b64 vcc, exec, s[0:1]
	s_cbranch_vccnz .LBB190_360
; %bb.359:
	v_lshl_add_u64 v[8:9], v[72:73], 3, v[130:131]
	flat_load_dwordx2 v[8:9], v[8:9]
	s_waitcnt vmcnt(0) lgkmcnt(0)
	v_mul_f64 v[8:9], v[8:9], s[70:71]
	s_branch .LBB190_361
.LBB190_360:
	v_mov_b64_e32 v[8:9], 0
.LBB190_361:
	v_add_f64 v[6:7], v[6:7], v[8:9]
	v_lshl_add_u64 v[8:9], v[72:73], 3, v[64:65]
	global_store_dwordx2 v[8:9], v[6:7], off
	s_or_b64 exec, exec, s[2:3]
	s_and_b64 s[4:5], s[24:25], s[64:65]
	s_and_saveexec_b64 s[2:3], s[4:5]
	s_cbranch_execz .LBB190_243
.LBB190_362:
	s_and_b64 vcc, exec, s[0:1]
	s_cbranch_vccnz .LBB190_364
; %bb.363:
	v_lshl_add_u64 v[6:7], v[70:71], 3, v[130:131]
	flat_load_dwordx2 v[6:7], v[6:7]
	s_waitcnt vmcnt(0) lgkmcnt(0)
	v_mul_f64 v[6:7], v[6:7], s[70:71]
	s_branch .LBB190_365
.LBB190_364:
	v_mov_b64_e32 v[6:7], 0
.LBB190_365:
	v_add_f64 v[4:5], v[4:5], v[6:7]
	v_lshl_add_u64 v[6:7], v[70:71], 3, v[64:65]
	global_store_dwordx2 v[6:7], v[4:5], off
	s_or_b64 exec, exec, s[2:3]
	s_and_b64 s[4:5], s[24:25], s[66:67]
	s_and_saveexec_b64 s[2:3], s[4:5]
	s_cbranch_execz .LBB190_244
.LBB190_366:
	s_and_b64 vcc, exec, s[0:1]
	s_cbranch_vccnz .LBB190_368
; %bb.367:
	v_lshl_add_u64 v[4:5], v[68:69], 3, v[130:131]
	flat_load_dwordx2 v[4:5], v[4:5]
	s_waitcnt vmcnt(0) lgkmcnt(0)
	v_mul_f64 v[4:5], v[4:5], s[70:71]
	s_branch .LBB190_369
.LBB190_368:
	v_mov_b64_e32 v[4:5], 0
.LBB190_369:
	v_add_f64 v[2:3], v[2:3], v[4:5]
	v_lshl_add_u64 v[4:5], v[68:69], 3, v[64:65]
	global_store_dwordx2 v[4:5], v[2:3], off
	s_or_b64 exec, exec, s[2:3]
	s_and_b64 s[2:3], s[24:25], s[68:69]
	s_and_saveexec_b64 s[4:5], s[2:3]
	s_cbranch_execz .LBB190_245
.LBB190_370:
	s_and_b64 vcc, exec, s[0:1]
	s_cbranch_vccnz .LBB190_372
; %bb.371:
	v_lshl_add_u64 v[2:3], v[66:67], 3, v[130:131]
	flat_load_dwordx2 v[2:3], v[2:3]
	s_waitcnt vmcnt(0) lgkmcnt(0)
	v_mul_f64 v[2:3], v[2:3], s[70:71]
	v_add_f64 v[0:1], v[0:1], v[2:3]
	v_lshl_add_u64 v[2:3], v[66:67], 3, v[64:65]
	global_store_dwordx2 v[2:3], v[0:1], off
	s_endpgm
.LBB190_372:
	v_mov_b64_e32 v[2:3], 0
	v_add_f64 v[0:1], v[0:1], v[2:3]
	v_lshl_add_u64 v[2:3], v[66:67], 3, v[64:65]
	global_store_dwordx2 v[2:3], v[0:1], off
	s_endpgm
	.section	.rodata,"a",@progbits
	.p2align	6, 0x0
	.amdhsa_kernel _ZN12_GLOBAL__N_120geam_min_plus_kernelIdddLi4ELi64ELi128ELi128ELi4ELi4ELi64ELi4ELi64ELc84ELc78ELb1ELb1ELb0EdKddEEviiiT16_PT17_ilS4_ilS2_S4_ilPT18_ili26rocblas_geam_ex_operation_
		.amdhsa_group_segment_fixed_size 16384
		.amdhsa_private_segment_fixed_size 0
		.amdhsa_kernarg_size 136
		.amdhsa_user_sgpr_count 2
		.amdhsa_user_sgpr_dispatch_ptr 0
		.amdhsa_user_sgpr_queue_ptr 0
		.amdhsa_user_sgpr_kernarg_segment_ptr 1
		.amdhsa_user_sgpr_dispatch_id 0
		.amdhsa_user_sgpr_kernarg_preload_length 0
		.amdhsa_user_sgpr_kernarg_preload_offset 0
		.amdhsa_user_sgpr_private_segment_size 0
		.amdhsa_uses_dynamic_stack 0
		.amdhsa_enable_private_segment 0
		.amdhsa_system_sgpr_workgroup_id_x 1
		.amdhsa_system_sgpr_workgroup_id_y 0
		.amdhsa_system_sgpr_workgroup_id_z 1
		.amdhsa_system_sgpr_workgroup_info 0
		.amdhsa_system_vgpr_workitem_id 1
		.amdhsa_next_free_vgpr 250
		.amdhsa_next_free_sgpr 82
		.amdhsa_accum_offset 252
		.amdhsa_reserve_vcc 1
		.amdhsa_float_round_mode_32 0
		.amdhsa_float_round_mode_16_64 0
		.amdhsa_float_denorm_mode_32 3
		.amdhsa_float_denorm_mode_16_64 3
		.amdhsa_dx10_clamp 1
		.amdhsa_ieee_mode 1
		.amdhsa_fp16_overflow 0
		.amdhsa_tg_split 0
		.amdhsa_exception_fp_ieee_invalid_op 0
		.amdhsa_exception_fp_denorm_src 0
		.amdhsa_exception_fp_ieee_div_zero 0
		.amdhsa_exception_fp_ieee_overflow 0
		.amdhsa_exception_fp_ieee_underflow 0
		.amdhsa_exception_fp_ieee_inexact 0
		.amdhsa_exception_int_div_zero 0
	.end_amdhsa_kernel
	.section	.text._ZN12_GLOBAL__N_120geam_min_plus_kernelIdddLi4ELi64ELi128ELi128ELi4ELi4ELi64ELi4ELi64ELc84ELc78ELb1ELb1ELb0EdKddEEviiiT16_PT17_ilS4_ilS2_S4_ilPT18_ili26rocblas_geam_ex_operation_,"axG",@progbits,_ZN12_GLOBAL__N_120geam_min_plus_kernelIdddLi4ELi64ELi128ELi128ELi4ELi4ELi64ELi4ELi64ELc84ELc78ELb1ELb1ELb0EdKddEEviiiT16_PT17_ilS4_ilS2_S4_ilPT18_ili26rocblas_geam_ex_operation_,comdat
.Lfunc_end190:
	.size	_ZN12_GLOBAL__N_120geam_min_plus_kernelIdddLi4ELi64ELi128ELi128ELi4ELi4ELi64ELi4ELi64ELc84ELc78ELb1ELb1ELb0EdKddEEviiiT16_PT17_ilS4_ilS2_S4_ilPT18_ili26rocblas_geam_ex_operation_, .Lfunc_end190-_ZN12_GLOBAL__N_120geam_min_plus_kernelIdddLi4ELi64ELi128ELi128ELi4ELi4ELi64ELi4ELi64ELc84ELc78ELb1ELb1ELb0EdKddEEviiiT16_PT17_ilS4_ilS2_S4_ilPT18_ili26rocblas_geam_ex_operation_
                                        ; -- End function
	.section	.AMDGPU.csdata,"",@progbits
; Kernel info:
; codeLenInByte = 14340
; NumSgprs: 88
; NumVgprs: 250
; NumAgprs: 0
; TotalNumVgprs: 250
; ScratchSize: 0
; MemoryBound: 0
; FloatMode: 240
; IeeeMode: 1
; LDSByteSize: 16384 bytes/workgroup (compile time only)
; SGPRBlocks: 10
; VGPRBlocks: 31
; NumSGPRsForWavesPerEU: 88
; NumVGPRsForWavesPerEU: 250
; AccumOffset: 252
; Occupancy: 2
; WaveLimiterHint : 0
; COMPUTE_PGM_RSRC2:SCRATCH_EN: 0
; COMPUTE_PGM_RSRC2:USER_SGPR: 2
; COMPUTE_PGM_RSRC2:TRAP_HANDLER: 0
; COMPUTE_PGM_RSRC2:TGID_X_EN: 1
; COMPUTE_PGM_RSRC2:TGID_Y_EN: 0
; COMPUTE_PGM_RSRC2:TGID_Z_EN: 1
; COMPUTE_PGM_RSRC2:TIDIG_COMP_CNT: 1
; COMPUTE_PGM_RSRC3_GFX90A:ACCUM_OFFSET: 62
; COMPUTE_PGM_RSRC3_GFX90A:TG_SPLIT: 0
	.section	.text._ZN12_GLOBAL__N_120geam_min_plus_kernelIdddLi4ELi64ELi128ELi128ELi4ELi4ELi64ELi4ELi64ELc84ELc78ELb0ELb1ELb0EdKddEEviiiT16_PT17_ilS4_ilS2_S4_ilPT18_ili26rocblas_geam_ex_operation_,"axG",@progbits,_ZN12_GLOBAL__N_120geam_min_plus_kernelIdddLi4ELi64ELi128ELi128ELi4ELi4ELi64ELi4ELi64ELc84ELc78ELb0ELb1ELb0EdKddEEviiiT16_PT17_ilS4_ilS2_S4_ilPT18_ili26rocblas_geam_ex_operation_,comdat
	.globl	_ZN12_GLOBAL__N_120geam_min_plus_kernelIdddLi4ELi64ELi128ELi128ELi4ELi4ELi64ELi4ELi64ELc84ELc78ELb0ELb1ELb0EdKddEEviiiT16_PT17_ilS4_ilS2_S4_ilPT18_ili26rocblas_geam_ex_operation_ ; -- Begin function _ZN12_GLOBAL__N_120geam_min_plus_kernelIdddLi4ELi64ELi128ELi128ELi4ELi4ELi64ELi4ELi64ELc84ELc78ELb0ELb1ELb0EdKddEEviiiT16_PT17_ilS4_ilS2_S4_ilPT18_ili26rocblas_geam_ex_operation_
	.p2align	8
	.type	_ZN12_GLOBAL__N_120geam_min_plus_kernelIdddLi4ELi64ELi128ELi128ELi4ELi4ELi64ELi4ELi64ELc84ELc78ELb0ELb1ELb0EdKddEEviiiT16_PT17_ilS4_ilS2_S4_ilPT18_ili26rocblas_geam_ex_operation_,@function
_ZN12_GLOBAL__N_120geam_min_plus_kernelIdddLi4ELi64ELi128ELi128ELi4ELi4ELi64ELi4ELi64ELc84ELc78ELb0ELb1ELb0EdKddEEviiiT16_PT17_ilS4_ilS2_S4_ilPT18_ili26rocblas_geam_ex_operation_: ; @_ZN12_GLOBAL__N_120geam_min_plus_kernelIdddLi4ELi64ELi128ELi128ELi4ELi4ELi64ELi4ELi64ELc84ELc78ELb0ELb1ELb0EdKddEEviiiT16_PT17_ilS4_ilS2_S4_ilPT18_ili26rocblas_geam_ex_operation_
; %bb.0:
	s_load_dwordx4 s[16:19], s[0:1], 0x10
	s_load_dwordx4 s[4:7], s[0:1], 0x28
	s_mov_b64 s[22:23], 0
	s_waitcnt lgkmcnt(0)
	v_cmp_eq_f64_e64 s[8:9], s[16:17], 0
	s_and_b64 vcc, exec, s[8:9]
	s_cbranch_vccnz .LBB191_2
; %bb.1:
	s_mul_i32 s5, s3, s5
	s_mul_hi_u32 s10, s3, s4
	s_add_i32 s5, s10, s5
	s_mul_i32 s4, s3, s4
	s_lshl_b64 s[4:5], s[4:5], 3
	s_add_u32 s22, s18, s4
	s_addc_u32 s23, s19, s5
.LBB191_2:
	s_load_dwordx4 s[68:71], s[0:1], 0x40
	s_load_dwordx2 s[4:5], s[0:1], 0x50
	s_andn2_b64 vcc, exec, s[8:9]
	s_cbranch_vccnz .LBB191_4
; %bb.3:
	s_mov_b32 s19, 0
	s_mov_b64 s[24:25], 0
	s_cbranch_execz .LBB191_5
	s_branch .LBB191_6
.LBB191_4:
                                        ; implicit-def: $sgpr24_sgpr25
                                        ; implicit-def: $sgpr18_sgpr19
.LBB191_5:
	s_waitcnt lgkmcnt(0)
	s_mul_i32 s8, s3, s69
	s_mul_hi_u32 s9, s3, s68
	s_add_i32 s9, s9, s8
	s_mul_i32 s8, s3, s68
	s_lshl_b64 s[8:9], s[8:9], 3
	s_add_u32 s24, s6, s8
	s_mov_b32 s19, 0
	s_addc_u32 s25, s7, s9
.LBB191_6:
	s_load_dwordx4 s[12:15], s[0:1], 0x60
	s_waitcnt lgkmcnt(0)
	v_cmp_eq_f64_e64 s[6:7], s[70:71], 0
	s_mov_b64 s[76:77], 0
	v_cmp_neq_f64_e64 s[20:21], s[70:71], 0
	s_and_b64 vcc, exec, s[6:7]
	s_cbranch_vccnz .LBB191_8
; %bb.7:
	s_mul_i32 s6, s3, s13
	s_mul_hi_u32 s7, s3, s12
	s_add_i32 s6, s7, s6
	s_mul_i32 s7, s19, s12
	s_add_i32 s7, s6, s7
	s_mul_i32 s6, s3, s12
	s_lshl_b64 s[6:7], s[6:7], 3
	s_add_u32 s76, s4, s6
	s_addc_u32 s77, s5, s7
.LBB191_8:
	s_load_dwordx4 s[72:75], s[0:1], 0x0
	s_load_dword s30, s[0:1], 0x20
	v_and_b32_e32 v146, 0x3ff, v0
	v_bfe_u32 v147, v0, 10, 10
	v_lshrrev_b32_e32 v3, 2, v146
	s_waitcnt lgkmcnt(0)
	s_add_i32 s4, s72, -1
	s_ashr_i32 s5, s4, 31
	s_lshr_b32 s5, s5, 25
	s_add_i32 s4, s4, s5
	s_ashr_i32 s4, s4, 7
	s_add_i32 s5, s4, 1
	v_cvt_f32_u32_e32 v1, s5
	s_not_b32 s4, s4
	v_add_u32_e32 v12, v3, v147
	v_and_b32_e32 v148, 3, v146
	v_rcp_iflag_f32_e32 v2, v1
	v_cmp_le_i32_e32 vcc, s74, v148
	v_cmp_eq_f64_e64 s[12:13], s[16:17], 0
	v_mov_b64_e32 v[0:1], 0
	v_mul_f32_e32 v2, 0x4f7ffffe, v2
	v_cvt_u32_f32_e32 v2, v2
	s_nop 0
	v_readfirstlane_b32 s6, v2
	s_mul_i32 s4, s4, s6
	s_mul_hi_u32 s4, s6, s4
	s_add_i32 s6, s6, s4
	s_mul_hi_u32 s4, s2, s6
	s_mul_i32 s6, s4, s5
	s_sub_i32 s6, s2, s6
	s_add_i32 s7, s4, 1
	s_sub_i32 s8, s6, s5
	s_cmp_ge_u32 s6, s5
	s_cselect_b32 s4, s7, s4
	s_cselect_b32 s6, s8, s6
	s_add_i32 s7, s4, 1
	s_cmp_ge_u32 s6, s5
	s_cselect_b32 s8, s7, s4
	s_mul_i32 s4, s8, s5
	s_sub_i32 s2, s2, s4
	s_lshl_b32 s2, s2, 7
	v_add_u32_e32 v136, s2, v12
	s_add_i32 s28, s74, -1
	v_cmp_le_i32_e64 s[10:11], s72, v136
	v_min_i32_e32 v6, s28, v148
	s_or_b64 s[4:5], vcc, s[10:11]
	v_ashrrev_i32_e32 v7, 31, v6
	s_or_b64 s[4:5], s[12:13], s[4:5]
	v_lshl_add_u64 v[8:9], v[6:7], 3, s[22:23]
	s_xor_b64 s[6:7], s[4:5], -1
	v_mov_b64_e32 v[2:3], v[0:1]
	s_and_saveexec_b64 s[4:5], s[6:7]
	s_cbranch_execz .LBB191_10
; %bb.9:
	v_mad_i64_i32 v[2:3], s[6:7], v136, s30, 0
	v_lshl_add_u64 v[2:3], v[2:3], 3, v[8:9]
	flat_load_dwordx2 v[2:3], v[2:3]
	s_waitcnt vmcnt(0) lgkmcnt(0)
	v_mul_f64 v[2:3], v[2:3], s[16:17]
.LBB191_10:
	s_or_b64 exec, exec, s[4:5]
	v_add_u32_e32 v137, 64, v136
	v_cmp_le_i32_e64 s[4:5], s72, v137
	s_or_b64 s[6:7], vcc, s[4:5]
	s_or_b64 s[6:7], s[12:13], s[6:7]
	s_xor_b64 s[26:27], s[6:7], -1
	v_mov_b64_e32 v[4:5], v[0:1]
	s_and_saveexec_b64 s[6:7], s[26:27]
	s_cbranch_execz .LBB191_12
; %bb.11:
	v_mad_i64_i32 v[4:5], s[26:27], v137, s30, 0
	v_lshl_add_u64 v[4:5], v[4:5], 3, v[8:9]
	flat_load_dwordx2 v[4:5], v[4:5]
	s_waitcnt vmcnt(0) lgkmcnt(0)
	v_mul_f64 v[4:5], v[4:5], s[16:17]
.LBB191_12:
	s_or_b64 exec, exec, s[6:7]
	s_lshl_b32 s18, s8, 7
	s_load_dword s31, s[0:1], 0x38
	v_add_u32_e32 v138, s18, v12
	v_cmp_le_i32_e64 s[6:7], s73, v138
	s_or_b64 s[8:9], vcc, s[6:7]
	s_or_b64 s[8:9], s[12:13], s[8:9]
	v_lshl_add_u64 v[8:9], v[6:7], 3, s[24:25]
	s_xor_b64 s[26:27], s[8:9], -1
	s_and_saveexec_b64 s[8:9], s[26:27]
	s_cbranch_execz .LBB191_14
; %bb.13:
	s_waitcnt lgkmcnt(0)
	v_mad_i64_i32 v[0:1], s[26:27], v138, s31, 0
	v_lshl_add_u64 v[0:1], v[0:1], 3, v[8:9]
	flat_load_dwordx2 v[0:1], v[0:1]
	s_waitcnt vmcnt(0) lgkmcnt(0)
	v_mul_f64 v[0:1], v[0:1], s[16:17]
.LBB191_14:
	s_or_b64 exec, exec, s[8:9]
	v_add_u32_e32 v139, 64, v138
	v_cmp_le_i32_e64 s[8:9], s73, v139
	s_or_b64 s[26:27], vcc, s[8:9]
	s_or_b64 s[26:27], s[12:13], s[26:27]
	v_mov_b64_e32 v[128:129], 0
	s_xor_b64 s[34:35], s[26:27], -1
	v_mov_b64_e32 v[6:7], v[128:129]
	s_and_saveexec_b64 s[26:27], s[34:35]
	s_cbranch_execz .LBB191_16
; %bb.15:
	s_waitcnt lgkmcnt(0)
	v_mad_i64_i32 v[6:7], s[34:35], v139, s31, 0
	v_lshl_add_u64 v[6:7], v[6:7], 3, v[8:9]
	flat_load_dwordx2 v[6:7], v[6:7]
	s_waitcnt vmcnt(0) lgkmcnt(0)
	v_mul_f64 v[6:7], v[6:7], s[16:17]
.LBB191_16:
	s_or_b64 exec, exec, s[26:27]
	v_or_b32_e32 v8, 4, v148
	v_cmp_le_i32_e32 vcc, s74, v8
	v_min_i32_e32 v8, s28, v8
	s_or_b64 s[26:27], vcc, s[10:11]
	v_ashrrev_i32_e32 v9, 31, v8
	s_or_b64 s[26:27], s[12:13], s[26:27]
	v_lshl_add_u64 v[10:11], v[8:9], 3, s[22:23]
	s_xor_b64 s[34:35], s[26:27], -1
	s_and_saveexec_b64 s[26:27], s[34:35]
	s_cbranch_execz .LBB191_18
; %bb.17:
	v_mad_i64_i32 v[14:15], s[34:35], v136, s30, 0
	v_lshl_add_u64 v[14:15], v[14:15], 3, v[10:11]
	flat_load_dwordx2 v[14:15], v[14:15]
	s_waitcnt vmcnt(0) lgkmcnt(0)
	v_mul_f64 v[128:129], v[14:15], s[16:17]
.LBB191_18:
	s_or_b64 exec, exec, s[26:27]
	s_or_b64 s[26:27], vcc, s[4:5]
	s_or_b64 s[26:27], s[12:13], s[26:27]
	v_mov_b64_e32 v[130:131], 0
	s_xor_b64 s[34:35], s[26:27], -1
	v_mov_b64_e32 v[132:133], v[130:131]
	s_and_saveexec_b64 s[26:27], s[34:35]
	s_cbranch_execz .LBB191_20
; %bb.19:
	v_mad_i64_i32 v[14:15], s[34:35], v137, s30, 0
	v_lshl_add_u64 v[10:11], v[14:15], 3, v[10:11]
	flat_load_dwordx2 v[10:11], v[10:11]
	s_waitcnt vmcnt(0) lgkmcnt(0)
	v_mul_f64 v[132:133], v[10:11], s[16:17]
.LBB191_20:
	s_or_b64 exec, exec, s[26:27]
	s_or_b64 s[26:27], vcc, s[6:7]
	s_or_b64 s[26:27], s[12:13], s[26:27]
	v_lshl_add_u64 v[8:9], v[8:9], 3, s[24:25]
	s_xor_b64 s[34:35], s[26:27], -1
	s_and_saveexec_b64 s[26:27], s[34:35]
	s_cbranch_execz .LBB191_22
; %bb.21:
	s_waitcnt lgkmcnt(0)
	v_mad_i64_i32 v[10:11], s[34:35], v138, s31, 0
	v_lshl_add_u64 v[10:11], v[10:11], 3, v[8:9]
	flat_load_dwordx2 v[10:11], v[10:11]
	s_waitcnt vmcnt(0) lgkmcnt(0)
	v_mul_f64 v[130:131], v[10:11], s[16:17]
.LBB191_22:
	s_or_b64 exec, exec, s[26:27]
	s_or_b64 s[26:27], vcc, s[8:9]
	s_or_b64 s[26:27], s[12:13], s[26:27]
	v_mov_b64_e32 v[126:127], 0
	s_xor_b64 s[34:35], s[26:27], -1
	v_mov_b64_e32 v[134:135], v[126:127]
	s_and_saveexec_b64 s[26:27], s[34:35]
	s_cbranch_execz .LBB191_24
; %bb.23:
	s_waitcnt lgkmcnt(0)
	v_mad_i64_i32 v[10:11], s[34:35], v139, s31, 0
	v_lshl_add_u64 v[8:9], v[10:11], 3, v[8:9]
	flat_load_dwordx2 v[8:9], v[8:9]
	s_waitcnt vmcnt(0) lgkmcnt(0)
	v_mul_f64 v[134:135], v[8:9], s[16:17]
.LBB191_24:
	s_or_b64 exec, exec, s[26:27]
	v_lshlrev_b32_e32 v8, 3, v148
	v_lshl_or_b32 v149, v12, 5, v8
	v_lshlrev_b32_e32 v140, 5, v147
	ds_write2st64_b64 v149, v[2:3], v[4:5] offset1:4
	v_add_u32_e32 v150, 0x2000, v149
	ds_write2st64_b64 v149, v[0:1], v[6:7] offset0:16 offset1:20
	v_lshlrev_b32_e32 v151, 5, v146
	v_add_u32_e32 v152, 0x2000, v140
	s_mov_b32 s26, 0
	v_mov_b64_e32 v[124:125], v[126:127]
	v_mov_b64_e32 v[122:123], v[126:127]
	;; [unrolled: 1-line block ×63, first 2 shown]
	s_waitcnt lgkmcnt(0)
	s_barrier
.LBB191_25:                             ; =>This Inner Loop Header: Depth=1
	v_add_u32_e32 v141, s26, v151
	v_add_u32_e32 v153, s26, v152
	ds_read2_b64 v[142:145], v141 offset1:16
	ds_read2_b64 v[154:157], v141 offset0:32 offset1:48
	ds_read2_b64 v[158:161], v141 offset0:64 offset1:80
	;; [unrolled: 1-line block ×7, first 2 shown]
	ds_read2st64_b64 v[182:185], v153 offset1:4
	v_add_u32_e32 v141, 0x800, v141
	ds_read2_b64 v[186:189], v141 offset1:16
	ds_read2_b64 v[190:193], v141 offset0:32 offset1:48
	ds_read2_b64 v[194:197], v141 offset0:64 offset1:80
	;; [unrolled: 1-line block ×7, first 2 shown]
	s_waitcnt lgkmcnt(14)
	v_max_f64 v[142:143], v[142:143], v[142:143]
	v_max_f64 v[144:145], v[144:145], v[144:145]
	;; [unrolled: 1-line block ×6, first 2 shown]
	s_waitcnt lgkmcnt(13)
	v_max_f64 v[162:163], v[162:163], v[162:163]
	v_max_f64 v[164:165], v[164:165], v[164:165]
	s_waitcnt lgkmcnt(12)
	v_max_f64 v[166:167], v[166:167], v[166:167]
	v_max_f64 v[168:169], v[168:169], v[168:169]
	;; [unrolled: 3-line block ×14, first 2 shown]
	v_min_f64 v[218:219], v[142:143], v[182:183]
	v_min_f64 v[220:221], v[144:145], v[182:183]
	;; [unrolled: 1-line block ×32, first 2 shown]
	s_add_i32 s26, s26, 8
	v_add_f64 v[62:63], v[142:143], v[62:63]
	v_add_f64 v[60:61], v[144:145], v[60:61]
	;; [unrolled: 1-line block ×16, first 2 shown]
	v_min_f64 v[142:143], v[186:187], v[182:183]
	v_min_f64 v[144:145], v[188:189], v[182:183]
	;; [unrolled: 1-line block ×32, first 2 shown]
	s_cmp_eq_u32 s26, 32
	v_add_f64 v[126:127], v[218:219], v[126:127]
	v_add_f64 v[124:125], v[220:221], v[124:125]
	;; [unrolled: 1-line block ×48, first 2 shown]
	s_cbranch_scc0 .LBB191_25
; %bb.26:
	s_cmp_gt_i32 s74, 8
	ds_write2st64_b64 v149, v[128:129], v[132:133] offset0:8 offset1:12
	ds_write2st64_b64 v149, v[130:131], v[134:135] offset0:24 offset1:28
	s_waitcnt lgkmcnt(0)
	s_barrier
	s_cbranch_scc1 .LBB191_28
; %bb.27:
	v_add_u32_e32 v153, 0x1000, v151
	v_add_u32_e32 v154, 0x3000, v140
	s_cbranch_execz .LBB191_29
	s_branch .LBB191_51
.LBB191_28:
                                        ; implicit-def: $vgpr153
                                        ; implicit-def: $vgpr154
.LBB191_29:
	v_add_u32_e32 v155, 0x1000, v149
	v_add_u32_e32 v156, 0x3000, v149
	s_add_i32 s29, s74, -8
	v_mad_i64_i32 v[128:129], s[26:27], v136, s30, 0
	v_mad_i64_i32 v[130:131], s[26:27], v137, s30, 0
	;; [unrolled: 1-line block ×4, first 2 shown]
	v_add_u32_e32 v153, 0x1000, v151
	v_add_u32_e32 v154, 0x3000, v140
	s_mov_b32 s30, 8
	s_mov_b32 s31, 0
.LBB191_30:                             ; =>This Loop Header: Depth=1
                                        ;     Child Loop BB191_39 Depth 2
                                        ;     Child Loop BB191_49 Depth 2
	v_or_b32_e32 v157, s30, v148
	v_cmp_le_i32_e32 vcc, s74, v157
	v_min_i32_e32 v140, s28, v157
	s_or_b64 s[26:27], s[10:11], vcc
	v_ashrrev_i32_e32 v141, 31, v140
	s_or_b64 s[26:27], s[12:13], s[26:27]
	v_mov_b64_e32 v[136:137], 0
	v_lshl_add_u64 v[142:143], v[140:141], 3, s[22:23]
	s_xor_b64 s[34:35], s[26:27], -1
	v_mov_b64_e32 v[138:139], v[136:137]
	s_and_saveexec_b64 s[26:27], s[34:35]
	s_cbranch_execz .LBB191_32
; %bb.31:                               ;   in Loop: Header=BB191_30 Depth=1
	v_lshl_add_u64 v[138:139], v[128:129], 3, v[142:143]
	flat_load_dwordx2 v[138:139], v[138:139]
	s_waitcnt vmcnt(0) lgkmcnt(0)
	v_mul_f64 v[138:139], v[138:139], s[16:17]
.LBB191_32:                             ;   in Loop: Header=BB191_30 Depth=1
	s_or_b64 exec, exec, s[26:27]
	s_or_b64 s[26:27], s[4:5], vcc
	s_or_b64 s[26:27], s[12:13], s[26:27]
	s_xor_b64 s[34:35], s[26:27], -1
	s_and_saveexec_b64 s[26:27], s[34:35]
	s_cbranch_execz .LBB191_34
; %bb.33:                               ;   in Loop: Header=BB191_30 Depth=1
	v_lshl_add_u64 v[136:137], v[130:131], 3, v[142:143]
	flat_load_dwordx2 v[136:137], v[136:137]
	s_waitcnt vmcnt(0) lgkmcnt(0)
	v_mul_f64 v[136:137], v[136:137], s[16:17]
.LBB191_34:                             ;   in Loop: Header=BB191_30 Depth=1
	s_or_b64 exec, exec, s[26:27]
	s_or_b64 s[26:27], s[6:7], vcc
	v_lshl_add_u64 v[144:145], v[140:141], 3, s[24:25]
	s_or_b64 s[26:27], s[12:13], s[26:27]
	v_mov_b64_e32 v[140:141], 0
	s_xor_b64 s[34:35], s[26:27], -1
	v_mov_b64_e32 v[142:143], v[140:141]
	s_and_saveexec_b64 s[26:27], s[34:35]
	s_cbranch_execz .LBB191_36
; %bb.35:                               ;   in Loop: Header=BB191_30 Depth=1
	v_lshl_add_u64 v[142:143], v[132:133], 3, v[144:145]
	flat_load_dwordx2 v[142:143], v[142:143]
	s_waitcnt vmcnt(0) lgkmcnt(0)
	v_mul_f64 v[142:143], v[142:143], s[16:17]
.LBB191_36:                             ;   in Loop: Header=BB191_30 Depth=1
	s_or_b64 exec, exec, s[26:27]
	s_or_b64 s[26:27], s[8:9], vcc
	s_or_b64 s[26:27], s[12:13], s[26:27]
	s_xor_b64 s[34:35], s[26:27], -1
	s_and_saveexec_b64 s[26:27], s[34:35]
	s_cbranch_execz .LBB191_38
; %bb.37:                               ;   in Loop: Header=BB191_30 Depth=1
	v_lshl_add_u64 v[140:141], v[134:135], 3, v[144:145]
	flat_load_dwordx2 v[140:141], v[140:141]
	s_waitcnt vmcnt(0) lgkmcnt(0)
	v_mul_f64 v[140:141], v[140:141], s[16:17]
.LBB191_38:                             ;   in Loop: Header=BB191_30 Depth=1
	s_or_b64 exec, exec, s[26:27]
	s_mov_b32 s26, 0
.LBB191_39:                             ;   Parent Loop BB191_30 Depth=1
                                        ; =>  This Inner Loop Header: Depth=2
	v_add_u32_e32 v144, s26, v153
	ds_read2_b64 v[158:161], v144 offset1:16
	ds_read2_b64 v[162:165], v144 offset0:32 offset1:48
	ds_read2_b64 v[166:169], v144 offset0:64 offset1:80
	ds_read2_b64 v[170:173], v144 offset0:96 offset1:112
	ds_read2_b64 v[174:177], v144 offset0:128 offset1:144
	ds_read2_b64 v[178:181], v144 offset0:160 offset1:176
	ds_read2_b64 v[182:185], v144 offset0:192 offset1:208
	ds_read2_b64 v[186:189], v144 offset0:224 offset1:240
	v_add_u32_e32 v144, 0x800, v144
	ds_read2_b64 v[190:193], v144 offset1:16
	ds_read2_b64 v[194:197], v144 offset0:32 offset1:48
	ds_read2_b64 v[198:201], v144 offset0:64 offset1:80
	;; [unrolled: 1-line block ×7, first 2 shown]
	v_add_u32_e32 v144, s26, v154
	ds_read2st64_b64 v[222:225], v144 offset1:4
	s_waitcnt lgkmcnt(14)
	v_max_f64 v[158:159], v[158:159], v[158:159]
	v_max_f64 v[160:161], v[160:161], v[160:161]
	;; [unrolled: 1-line block ×4, first 2 shown]
	s_waitcnt lgkmcnt(0)
	v_max_f64 v[144:145], v[222:223], v[222:223]
	v_min_f64 v[222:223], v[158:159], v[144:145]
	v_add_f64 v[126:127], v[222:223], v[126:127]
	v_min_f64 v[222:223], v[160:161], v[144:145]
	v_add_f64 v[124:125], v[222:223], v[124:125]
	;; [unrolled: 2-line block ×3, first 2 shown]
	v_min_f64 v[222:223], v[164:165], v[144:145]
	v_max_f64 v[166:167], v[166:167], v[166:167]
	v_add_f64 v[120:121], v[222:223], v[120:121]
	v_min_f64 v[222:223], v[166:167], v[144:145]
	v_max_f64 v[168:169], v[168:169], v[168:169]
	v_add_f64 v[118:119], v[222:223], v[118:119]
	;; [unrolled: 3-line block ×26, first 2 shown]
	v_min_f64 v[222:223], v[216:217], v[144:145]
	v_max_f64 v[218:219], v[218:219], v[218:219]
	v_max_f64 v[220:221], v[220:221], v[220:221]
	v_add_f64 v[68:69], v[222:223], v[68:69]
	v_min_f64 v[222:223], v[218:219], v[144:145]
	v_min_f64 v[144:145], v[220:221], v[144:145]
	v_add_f64 v[64:65], v[144:145], v[64:65]
	v_max_f64 v[144:145], v[224:225], v[224:225]
	v_min_f64 v[158:159], v[158:159], v[144:145]
	v_add_f64 v[62:63], v[158:159], v[62:63]
	v_min_f64 v[158:159], v[160:161], v[144:145]
	v_add_f64 v[60:61], v[158:159], v[60:61]
	;; [unrolled: 2-line block ×30, first 2 shown]
	v_min_f64 v[158:159], v[218:219], v[144:145]
	v_min_f64 v[144:145], v[220:221], v[144:145]
	s_add_i32 s26, s26, 8
	v_add_f64 v[66:67], v[222:223], v[66:67]
	v_add_f64 v[2:3], v[158:159], v[2:3]
	;; [unrolled: 1-line block ×3, first 2 shown]
	s_cmp_eq_u32 s26, 32
	s_cbranch_scc0 .LBB191_39
; %bb.40:                               ;   in Loop: Header=BB191_30 Depth=1
	ds_write2st64_b64 v149, v[138:139], v[136:137] offset1:4
	ds_write2st64_b64 v150, v[142:143], v[140:141] offset1:4
	v_or_b32_e32 v136, 4, v157
	v_cmp_le_i32_e32 vcc, s74, v136
	v_min_i32_e32 v140, s28, v136
	s_or_b64 s[26:27], s[10:11], vcc
	v_ashrrev_i32_e32 v141, 31, v140
	s_or_b64 s[26:27], s[12:13], s[26:27]
	v_mov_b64_e32 v[136:137], 0
	v_lshl_add_u64 v[142:143], v[140:141], 3, s[22:23]
	s_xor_b64 s[34:35], s[26:27], -1
	v_mov_b64_e32 v[138:139], v[136:137]
	s_waitcnt lgkmcnt(0)
	s_barrier
	s_and_saveexec_b64 s[26:27], s[34:35]
	s_cbranch_execz .LBB191_42
; %bb.41:                               ;   in Loop: Header=BB191_30 Depth=1
	v_lshl_add_u64 v[138:139], v[128:129], 3, v[142:143]
	flat_load_dwordx2 v[138:139], v[138:139]
	s_waitcnt vmcnt(0) lgkmcnt(0)
	v_mul_f64 v[138:139], v[138:139], s[16:17]
.LBB191_42:                             ;   in Loop: Header=BB191_30 Depth=1
	s_or_b64 exec, exec, s[26:27]
	s_or_b64 s[26:27], s[4:5], vcc
	s_or_b64 s[26:27], s[12:13], s[26:27]
	s_xor_b64 s[34:35], s[26:27], -1
	s_and_saveexec_b64 s[26:27], s[34:35]
	s_cbranch_execz .LBB191_44
; %bb.43:                               ;   in Loop: Header=BB191_30 Depth=1
	v_lshl_add_u64 v[136:137], v[130:131], 3, v[142:143]
	flat_load_dwordx2 v[136:137], v[136:137]
	s_waitcnt vmcnt(0) lgkmcnt(0)
	v_mul_f64 v[136:137], v[136:137], s[16:17]
.LBB191_44:                             ;   in Loop: Header=BB191_30 Depth=1
	s_or_b64 exec, exec, s[26:27]
	s_or_b64 s[26:27], s[6:7], vcc
	v_lshl_add_u64 v[144:145], v[140:141], 3, s[24:25]
	s_or_b64 s[26:27], s[12:13], s[26:27]
	v_mov_b64_e32 v[140:141], 0
	s_xor_b64 s[34:35], s[26:27], -1
	v_mov_b64_e32 v[142:143], v[140:141]
	s_and_saveexec_b64 s[26:27], s[34:35]
	s_cbranch_execz .LBB191_46
; %bb.45:                               ;   in Loop: Header=BB191_30 Depth=1
	v_lshl_add_u64 v[142:143], v[132:133], 3, v[144:145]
	flat_load_dwordx2 v[142:143], v[142:143]
	s_waitcnt vmcnt(0) lgkmcnt(0)
	v_mul_f64 v[142:143], v[142:143], s[16:17]
.LBB191_46:                             ;   in Loop: Header=BB191_30 Depth=1
	s_or_b64 exec, exec, s[26:27]
	s_or_b64 s[26:27], s[8:9], vcc
	s_or_b64 s[26:27], s[12:13], s[26:27]
	s_xor_b64 s[34:35], s[26:27], -1
	s_and_saveexec_b64 s[26:27], s[34:35]
	s_cbranch_execz .LBB191_48
; %bb.47:                               ;   in Loop: Header=BB191_30 Depth=1
	v_lshl_add_u64 v[140:141], v[134:135], 3, v[144:145]
	flat_load_dwordx2 v[140:141], v[140:141]
	s_waitcnt vmcnt(0) lgkmcnt(0)
	v_mul_f64 v[140:141], v[140:141], s[16:17]
.LBB191_48:                             ;   in Loop: Header=BB191_30 Depth=1
	s_or_b64 exec, exec, s[26:27]
	s_mov_b32 s26, 0
.LBB191_49:                             ;   Parent Loop BB191_30 Depth=1
                                        ; =>  This Inner Loop Header: Depth=2
	v_add_u32_e32 v144, s26, v151
	ds_read2_b64 v[158:161], v144 offset1:16
	ds_read2_b64 v[162:165], v144 offset0:32 offset1:48
	ds_read2_b64 v[166:169], v144 offset0:64 offset1:80
	;; [unrolled: 1-line block ×7, first 2 shown]
	v_add_u32_e32 v144, 0x800, v144
	ds_read2_b64 v[190:193], v144 offset1:16
	ds_read2_b64 v[194:197], v144 offset0:32 offset1:48
	ds_read2_b64 v[198:201], v144 offset0:64 offset1:80
	;; [unrolled: 1-line block ×7, first 2 shown]
	v_add_u32_e32 v144, s26, v152
	ds_read2st64_b64 v[222:225], v144 offset1:4
	s_waitcnt lgkmcnt(14)
	v_max_f64 v[158:159], v[158:159], v[158:159]
	v_max_f64 v[160:161], v[160:161], v[160:161]
	;; [unrolled: 1-line block ×4, first 2 shown]
	s_waitcnt lgkmcnt(0)
	v_max_f64 v[144:145], v[222:223], v[222:223]
	v_min_f64 v[222:223], v[158:159], v[144:145]
	v_add_f64 v[126:127], v[222:223], v[126:127]
	v_min_f64 v[222:223], v[160:161], v[144:145]
	v_add_f64 v[124:125], v[222:223], v[124:125]
	;; [unrolled: 2-line block ×3, first 2 shown]
	v_min_f64 v[222:223], v[164:165], v[144:145]
	v_max_f64 v[166:167], v[166:167], v[166:167]
	v_add_f64 v[120:121], v[222:223], v[120:121]
	v_min_f64 v[222:223], v[166:167], v[144:145]
	v_max_f64 v[168:169], v[168:169], v[168:169]
	v_add_f64 v[118:119], v[222:223], v[118:119]
	;; [unrolled: 3-line block ×26, first 2 shown]
	v_min_f64 v[222:223], v[216:217], v[144:145]
	v_max_f64 v[218:219], v[218:219], v[218:219]
	v_max_f64 v[220:221], v[220:221], v[220:221]
	v_add_f64 v[68:69], v[222:223], v[68:69]
	v_min_f64 v[222:223], v[218:219], v[144:145]
	v_min_f64 v[144:145], v[220:221], v[144:145]
	v_add_f64 v[64:65], v[144:145], v[64:65]
	v_max_f64 v[144:145], v[224:225], v[224:225]
	v_min_f64 v[158:159], v[158:159], v[144:145]
	v_add_f64 v[62:63], v[158:159], v[62:63]
	v_min_f64 v[158:159], v[160:161], v[144:145]
	v_add_f64 v[60:61], v[158:159], v[60:61]
	;; [unrolled: 2-line block ×30, first 2 shown]
	v_min_f64 v[158:159], v[218:219], v[144:145]
	v_min_f64 v[144:145], v[220:221], v[144:145]
	s_add_i32 s26, s26, 8
	v_add_f64 v[66:67], v[222:223], v[66:67]
	v_add_f64 v[2:3], v[158:159], v[2:3]
	;; [unrolled: 1-line block ×3, first 2 shown]
	s_cmp_eq_u32 s26, 32
	s_cbranch_scc0 .LBB191_49
; %bb.50:                               ;   in Loop: Header=BB191_30 Depth=1
	s_add_i32 s30, s30, 8
	s_add_i32 s31, s31, 8
	s_cmp_ge_i32 s31, s29
	ds_write2st64_b64 v155, v[138:139], v[136:137] offset1:4
	ds_write2st64_b64 v156, v[142:143], v[140:141] offset1:4
	s_waitcnt lgkmcnt(0)
	s_barrier
	s_cbranch_scc0 .LBB191_30
.LBB191_51:
	s_mov_b32 s4, 0
.LBB191_52:                             ; =>This Inner Loop Header: Depth=1
	v_add_u32_e32 v144, s4, v153
	v_add_u32_e32 v145, s4, v154
	ds_read2_b64 v[128:131], v144 offset1:16
	ds_read2_b64 v[132:135], v144 offset0:32 offset1:48
	ds_read2_b64 v[136:139], v144 offset0:64 offset1:80
	;; [unrolled: 1-line block ×7, first 2 shown]
	v_add_u32_e32 v144, 0x800, v144
	ds_read2st64_b64 v[168:171], v145 offset1:4
	ds_read2_b64 v[172:175], v144 offset1:16
	ds_read2_b64 v[176:179], v144 offset0:32 offset1:48
	ds_read2_b64 v[180:183], v144 offset0:64 offset1:80
	;; [unrolled: 1-line block ×7, first 2 shown]
	s_waitcnt lgkmcnt(14)
	v_max_f64 v[128:129], v[128:129], v[128:129]
	v_max_f64 v[130:131], v[130:131], v[130:131]
	;; [unrolled: 1-line block ×3, first 2 shown]
	s_waitcnt lgkmcnt(8)
	v_max_f64 v[144:145], v[168:169], v[168:169]
	v_max_f64 v[134:135], v[134:135], v[134:135]
	;; [unrolled: 1-line block ×15, first 2 shown]
	v_min_f64 v[170:171], v[128:129], v[144:145]
	v_min_f64 v[204:205], v[130:131], v[144:145]
	v_min_f64 v[206:207], v[132:133], v[144:145]
	v_min_f64 v[208:209], v[134:135], v[144:145]
	v_min_f64 v[210:211], v[136:137], v[144:145]
	v_min_f64 v[212:213], v[138:139], v[144:145]
	v_min_f64 v[214:215], v[140:141], v[144:145]
	v_min_f64 v[216:217], v[142:143], v[144:145]
	v_min_f64 v[218:219], v[148:149], v[144:145]
	v_min_f64 v[220:221], v[150:151], v[144:145]
	v_min_f64 v[222:223], v[156:157], v[144:145]
	v_min_f64 v[224:225], v[158:159], v[144:145]
	v_min_f64 v[226:227], v[160:161], v[144:145]
	v_min_f64 v[228:229], v[162:163], v[144:145]
	v_min_f64 v[230:231], v[164:165], v[144:145]
	v_min_f64 v[232:233], v[166:167], v[144:145]
	s_waitcnt lgkmcnt(7)
	v_max_f64 v[172:173], v[172:173], v[172:173]
	v_max_f64 v[174:175], v[174:175], v[174:175]
	s_waitcnt lgkmcnt(6)
	v_max_f64 v[176:177], v[176:177], v[176:177]
	v_max_f64 v[178:179], v[178:179], v[178:179]
	;; [unrolled: 3-line block ×8, first 2 shown]
	v_min_f64 v[128:129], v[128:129], v[168:169]
	v_min_f64 v[130:131], v[130:131], v[168:169]
	;; [unrolled: 1-line block ×16, first 2 shown]
	s_add_i32 s4, s4, 8
	v_add_f64 v[126:127], v[170:171], v[126:127]
	v_add_f64 v[124:125], v[204:205], v[124:125]
	;; [unrolled: 1-line block ×15, first 2 shown]
	v_min_f64 v[170:171], v[172:173], v[144:145]
	v_min_f64 v[204:205], v[174:175], v[144:145]
	;; [unrolled: 1-line block ×16, first 2 shown]
	v_add_f64 v[62:63], v[128:129], v[62:63]
	v_add_f64 v[60:61], v[130:131], v[60:61]
	;; [unrolled: 1-line block ×16, first 2 shown]
	v_min_f64 v[128:129], v[172:173], v[168:169]
	v_min_f64 v[130:131], v[174:175], v[168:169]
	;; [unrolled: 1-line block ×16, first 2 shown]
	s_cmp_eq_u32 s4, 32
	v_add_f64 v[96:97], v[232:233], v[96:97]
	v_add_f64 v[94:95], v[170:171], v[94:95]
	;; [unrolled: 1-line block ×33, first 2 shown]
	s_cbranch_scc0 .LBB191_52
; %bb.53:
	s_load_dwordx2 s[4:5], s[0:1], 0x78
	s_load_dword s78, s[0:1], 0x58
	s_load_dword s33, s[0:1], 0x70
	v_add_u32_e32 v136, s18, v147
	v_add_u32_e32 v128, s2, v146
	s_waitcnt lgkmcnt(0)
	s_mul_i32 s0, s3, s5
	s_mul_hi_u32 s1, s3, s4
	s_mul_i32 s5, s19, s4
	s_add_i32 s0, s1, s0
	s_add_i32 s1, s0, s5
	s_mul_i32 s0, s3, s4
	s_lshl_b64 s[0:1], s[0:1], 3
	s_add_u32 s74, s14, s0
	s_addc_u32 s75, s15, s1
	v_mad_i64_i32 v[130:131], s[0:1], v136, s78, 0
	v_cmp_gt_i32_e64 s[24:25], s73, v136
	v_lshl_add_u64 v[132:133], v[130:131], 3, s[76:77]
	v_mad_i64_i32 v[130:131], s[0:1], v136, s33, 0
	v_cmp_gt_i32_e64 s[2:3], s72, v128
	v_cndmask_b32_e64 v134, 0, 1, s[20:21]
	v_lshl_add_u64 v[130:131], v[130:131], 3, s[74:75]
	s_and_b64 s[6:7], s[24:25], s[2:3]
	v_ashrrev_i32_e32 v129, 31, v128
	v_cmp_ne_u32_e64 s[0:1], 1, v134
	s_and_saveexec_b64 s[4:5], s[6:7]
	s_cbranch_execz .LBB191_58
; %bb.54:
	s_and_b64 vcc, exec, s[0:1]
	s_cbranch_vccnz .LBB191_56
; %bb.55:
	v_lshl_add_u64 v[134:135], v[128:129], 3, v[132:133]
	flat_load_dwordx2 v[134:135], v[134:135]
	s_waitcnt vmcnt(0) lgkmcnt(0)
	v_mul_f64 v[134:135], v[134:135], s[70:71]
	s_branch .LBB191_57
.LBB191_56:
	v_mov_b64_e32 v[134:135], 0
.LBB191_57:
	v_add_f64 v[126:127], v[126:127], v[134:135]
	v_lshl_add_u64 v[134:135], v[128:129], 3, v[130:131]
	global_store_dwordx2 v[134:135], v[126:127], off
.LBB191_58:
	s_or_b64 exec, exec, s[4:5]
	v_add_u32_e32 v126, 4, v128
	v_cmp_gt_i32_e64 s[4:5], s72, v126
	s_and_b64 s[8:9], s[24:25], s[4:5]
	v_ashrrev_i32_e32 v127, 31, v126
	s_and_saveexec_b64 s[6:7], s[8:9]
	s_cbranch_execz .LBB191_63
; %bb.59:
	s_and_b64 vcc, exec, s[0:1]
	s_cbranch_vccnz .LBB191_61
; %bb.60:
	v_lshl_add_u64 v[134:135], v[126:127], 3, v[132:133]
	flat_load_dwordx2 v[134:135], v[134:135]
	s_waitcnt vmcnt(0) lgkmcnt(0)
	v_mul_f64 v[134:135], v[134:135], s[70:71]
	s_branch .LBB191_62
.LBB191_61:
	v_mov_b64_e32 v[134:135], 0
.LBB191_62:
	v_add_f64 v[124:125], v[124:125], v[134:135]
	v_lshl_add_u64 v[134:135], v[126:127], 3, v[130:131]
	global_store_dwordx2 v[134:135], v[124:125], off
.LBB191_63:
	s_or_b64 exec, exec, s[6:7]
	v_add_u32_e32 v124, 8, v128
	v_cmp_gt_i32_e64 s[6:7], s72, v124
	s_and_b64 s[10:11], s[24:25], s[6:7]
	v_ashrrev_i32_e32 v125, 31, v124
	;; [unrolled: 23-line block ×31, first 2 shown]
	s_and_saveexec_b64 s[24:25], s[80:81]
	s_cbranch_execz .LBB191_213
; %bb.209:
	s_and_b64 vcc, exec, s[0:1]
	s_cbranch_vccnz .LBB191_211
; %bb.210:
	v_lshl_add_u64 v[132:133], v[66:67], 3, v[132:133]
	flat_load_dwordx2 v[132:133], v[132:133]
	s_waitcnt vmcnt(0) lgkmcnt(0)
	v_mul_f64 v[132:133], v[132:133], s[70:71]
	s_branch .LBB191_212
.LBB191_211:
	v_mov_b64_e32 v[132:133], 0
.LBB191_212:
	v_add_f64 v[64:65], v[64:65], v[132:133]
	v_lshl_add_u64 v[130:131], v[66:67], 3, v[130:131]
	global_store_dwordx2 v[130:131], v[64:65], off
.LBB191_213:
	s_or_b64 exec, exec, s[24:25]
	v_add_u32_e32 v132, 64, v136
	v_cmp_gt_i32_e64 s[24:25], s73, v132
	v_mad_i64_i32 v[64:65], s[72:73], v132, s78, 0
	v_lshl_add_u64 v[130:131], v[64:65], 3, s[76:77]
	v_mad_i64_i32 v[64:65], s[72:73], v132, s33, 0
	v_lshl_add_u64 v[64:65], v[64:65], 3, s[74:75]
	s_and_b64 s[2:3], s[24:25], s[2:3]
	s_and_saveexec_b64 s[72:73], s[2:3]
	s_xor_b64 s[2:3], exec, s[72:73]
	s_cbranch_execnz .LBB191_246
; %bb.214:
	s_or_b64 exec, exec, s[2:3]
	s_and_b64 s[4:5], s[24:25], s[4:5]
	s_and_saveexec_b64 s[2:3], s[4:5]
	s_cbranch_execnz .LBB191_250
.LBB191_215:
	s_or_b64 exec, exec, s[2:3]
	s_and_b64 s[4:5], s[24:25], s[6:7]
	s_and_saveexec_b64 s[2:3], s[4:5]
	s_cbranch_execnz .LBB191_254
.LBB191_216:
	s_or_b64 exec, exec, s[2:3]
	s_and_b64 s[4:5], s[24:25], s[8:9]
	s_and_saveexec_b64 s[2:3], s[4:5]
	s_cbranch_execnz .LBB191_258
.LBB191_217:
	s_or_b64 exec, exec, s[2:3]
	s_and_b64 s[4:5], s[24:25], s[10:11]
	s_and_saveexec_b64 s[2:3], s[4:5]
	s_cbranch_execnz .LBB191_262
.LBB191_218:
	s_or_b64 exec, exec, s[2:3]
	s_and_b64 s[4:5], s[24:25], s[12:13]
	s_and_saveexec_b64 s[2:3], s[4:5]
	s_cbranch_execnz .LBB191_266
.LBB191_219:
	s_or_b64 exec, exec, s[2:3]
	s_and_b64 s[4:5], s[24:25], s[14:15]
	s_and_saveexec_b64 s[2:3], s[4:5]
	s_cbranch_execnz .LBB191_270
.LBB191_220:
	s_or_b64 exec, exec, s[2:3]
	s_and_b64 s[4:5], s[24:25], s[16:17]
	s_and_saveexec_b64 s[2:3], s[4:5]
	s_cbranch_execnz .LBB191_274
.LBB191_221:
	s_or_b64 exec, exec, s[2:3]
	s_and_b64 s[4:5], s[24:25], s[18:19]
	s_and_saveexec_b64 s[2:3], s[4:5]
	s_cbranch_execnz .LBB191_278
.LBB191_222:
	s_or_b64 exec, exec, s[2:3]
	s_and_b64 s[4:5], s[24:25], s[20:21]
	s_and_saveexec_b64 s[2:3], s[4:5]
	s_cbranch_execnz .LBB191_282
.LBB191_223:
	s_or_b64 exec, exec, s[2:3]
	s_and_b64 s[4:5], s[24:25], s[22:23]
	s_and_saveexec_b64 s[2:3], s[4:5]
	s_cbranch_execnz .LBB191_286
.LBB191_224:
	s_or_b64 exec, exec, s[2:3]
	s_and_b64 s[4:5], s[24:25], s[26:27]
	s_and_saveexec_b64 s[2:3], s[4:5]
	s_cbranch_execnz .LBB191_290
.LBB191_225:
	s_or_b64 exec, exec, s[2:3]
	s_and_b64 s[4:5], s[24:25], s[28:29]
	s_and_saveexec_b64 s[2:3], s[4:5]
	s_cbranch_execnz .LBB191_294
.LBB191_226:
	s_or_b64 exec, exec, s[2:3]
	s_and_b64 s[4:5], s[24:25], s[30:31]
	s_and_saveexec_b64 s[2:3], s[4:5]
	s_cbranch_execnz .LBB191_298
.LBB191_227:
	s_or_b64 exec, exec, s[2:3]
	s_and_b64 s[4:5], s[24:25], s[34:35]
	s_and_saveexec_b64 s[2:3], s[4:5]
	s_cbranch_execnz .LBB191_302
.LBB191_228:
	s_or_b64 exec, exec, s[2:3]
	s_and_b64 s[4:5], s[24:25], s[36:37]
	s_and_saveexec_b64 s[2:3], s[4:5]
	s_cbranch_execnz .LBB191_306
.LBB191_229:
	s_or_b64 exec, exec, s[2:3]
	s_and_b64 s[4:5], s[24:25], s[38:39]
	s_and_saveexec_b64 s[2:3], s[4:5]
	s_cbranch_execnz .LBB191_310
.LBB191_230:
	s_or_b64 exec, exec, s[2:3]
	s_and_b64 s[4:5], s[24:25], s[40:41]
	s_and_saveexec_b64 s[2:3], s[4:5]
	s_cbranch_execnz .LBB191_314
.LBB191_231:
	s_or_b64 exec, exec, s[2:3]
	s_and_b64 s[4:5], s[24:25], s[42:43]
	s_and_saveexec_b64 s[2:3], s[4:5]
	s_cbranch_execnz .LBB191_318
.LBB191_232:
	s_or_b64 exec, exec, s[2:3]
	s_and_b64 s[4:5], s[24:25], s[44:45]
	s_and_saveexec_b64 s[2:3], s[4:5]
	s_cbranch_execnz .LBB191_322
.LBB191_233:
	s_or_b64 exec, exec, s[2:3]
	s_and_b64 s[4:5], s[24:25], s[46:47]
	s_and_saveexec_b64 s[2:3], s[4:5]
	s_cbranch_execnz .LBB191_326
.LBB191_234:
	s_or_b64 exec, exec, s[2:3]
	s_and_b64 s[4:5], s[24:25], s[48:49]
	s_and_saveexec_b64 s[2:3], s[4:5]
	s_cbranch_execnz .LBB191_330
.LBB191_235:
	s_or_b64 exec, exec, s[2:3]
	s_and_b64 s[4:5], s[24:25], s[50:51]
	s_and_saveexec_b64 s[2:3], s[4:5]
	s_cbranch_execnz .LBB191_334
.LBB191_236:
	s_or_b64 exec, exec, s[2:3]
	s_and_b64 s[4:5], s[24:25], s[52:53]
	s_and_saveexec_b64 s[2:3], s[4:5]
	s_cbranch_execnz .LBB191_338
.LBB191_237:
	s_or_b64 exec, exec, s[2:3]
	s_and_b64 s[4:5], s[24:25], s[54:55]
	s_and_saveexec_b64 s[2:3], s[4:5]
	s_cbranch_execnz .LBB191_342
.LBB191_238:
	s_or_b64 exec, exec, s[2:3]
	s_and_b64 s[4:5], s[24:25], s[56:57]
	s_and_saveexec_b64 s[2:3], s[4:5]
	s_cbranch_execnz .LBB191_346
.LBB191_239:
	s_or_b64 exec, exec, s[2:3]
	s_and_b64 s[4:5], s[24:25], s[58:59]
	s_and_saveexec_b64 s[2:3], s[4:5]
	s_cbranch_execnz .LBB191_350
.LBB191_240:
	s_or_b64 exec, exec, s[2:3]
	s_and_b64 s[4:5], s[24:25], s[60:61]
	s_and_saveexec_b64 s[2:3], s[4:5]
	s_cbranch_execnz .LBB191_354
.LBB191_241:
	s_or_b64 exec, exec, s[2:3]
	s_and_b64 s[4:5], s[24:25], s[62:63]
	s_and_saveexec_b64 s[2:3], s[4:5]
	s_cbranch_execnz .LBB191_358
.LBB191_242:
	s_or_b64 exec, exec, s[2:3]
	s_and_b64 s[4:5], s[24:25], s[64:65]
	s_and_saveexec_b64 s[2:3], s[4:5]
	s_cbranch_execnz .LBB191_362
.LBB191_243:
	s_or_b64 exec, exec, s[2:3]
	s_and_b64 s[4:5], s[24:25], s[66:67]
	s_and_saveexec_b64 s[2:3], s[4:5]
	s_cbranch_execnz .LBB191_366
.LBB191_244:
	s_or_b64 exec, exec, s[2:3]
	s_and_b64 s[2:3], s[24:25], s[68:69]
	s_and_saveexec_b64 s[4:5], s[2:3]
	s_cbranch_execnz .LBB191_370
.LBB191_245:
	s_endpgm
.LBB191_246:
	s_and_b64 vcc, exec, s[0:1]
	s_cbranch_vccnz .LBB191_248
; %bb.247:
	v_lshl_add_u64 v[132:133], v[128:129], 3, v[130:131]
	flat_load_dwordx2 v[132:133], v[132:133]
	s_waitcnt vmcnt(0) lgkmcnt(0)
	v_mul_f64 v[132:133], v[132:133], s[70:71]
	s_branch .LBB191_249
.LBB191_248:
	v_mov_b64_e32 v[132:133], 0
.LBB191_249:
	v_add_f64 v[62:63], v[62:63], v[132:133]
	v_lshl_add_u64 v[128:129], v[128:129], 3, v[64:65]
	global_store_dwordx2 v[128:129], v[62:63], off
	s_or_b64 exec, exec, s[2:3]
	s_and_b64 s[4:5], s[24:25], s[4:5]
	s_and_saveexec_b64 s[2:3], s[4:5]
	s_cbranch_execz .LBB191_215
.LBB191_250:
	s_and_b64 vcc, exec, s[0:1]
	s_cbranch_vccnz .LBB191_252
; %bb.251:
	v_lshl_add_u64 v[62:63], v[126:127], 3, v[130:131]
	flat_load_dwordx2 v[62:63], v[62:63]
	s_waitcnt vmcnt(0) lgkmcnt(0)
	v_mul_f64 v[62:63], v[62:63], s[70:71]
	s_branch .LBB191_253
.LBB191_252:
	v_mov_b64_e32 v[62:63], 0
.LBB191_253:
	v_add_f64 v[60:61], v[60:61], v[62:63]
	v_lshl_add_u64 v[62:63], v[126:127], 3, v[64:65]
	global_store_dwordx2 v[62:63], v[60:61], off
	s_or_b64 exec, exec, s[2:3]
	s_and_b64 s[4:5], s[24:25], s[6:7]
	s_and_saveexec_b64 s[2:3], s[4:5]
	s_cbranch_execz .LBB191_216
.LBB191_254:
	s_and_b64 vcc, exec, s[0:1]
	s_cbranch_vccnz .LBB191_256
; %bb.255:
	v_lshl_add_u64 v[60:61], v[124:125], 3, v[130:131]
	flat_load_dwordx2 v[60:61], v[60:61]
	s_waitcnt vmcnt(0) lgkmcnt(0)
	v_mul_f64 v[60:61], v[60:61], s[70:71]
	s_branch .LBB191_257
.LBB191_256:
	v_mov_b64_e32 v[60:61], 0
.LBB191_257:
	v_add_f64 v[58:59], v[58:59], v[60:61]
	v_lshl_add_u64 v[60:61], v[124:125], 3, v[64:65]
	global_store_dwordx2 v[60:61], v[58:59], off
	s_or_b64 exec, exec, s[2:3]
	s_and_b64 s[4:5], s[24:25], s[8:9]
	s_and_saveexec_b64 s[2:3], s[4:5]
	s_cbranch_execz .LBB191_217
.LBB191_258:
	s_and_b64 vcc, exec, s[0:1]
	s_cbranch_vccnz .LBB191_260
; %bb.259:
	v_lshl_add_u64 v[58:59], v[122:123], 3, v[130:131]
	flat_load_dwordx2 v[58:59], v[58:59]
	s_waitcnt vmcnt(0) lgkmcnt(0)
	v_mul_f64 v[58:59], v[58:59], s[70:71]
	s_branch .LBB191_261
.LBB191_260:
	v_mov_b64_e32 v[58:59], 0
.LBB191_261:
	v_add_f64 v[56:57], v[56:57], v[58:59]
	v_lshl_add_u64 v[58:59], v[122:123], 3, v[64:65]
	global_store_dwordx2 v[58:59], v[56:57], off
	s_or_b64 exec, exec, s[2:3]
	s_and_b64 s[4:5], s[24:25], s[10:11]
	s_and_saveexec_b64 s[2:3], s[4:5]
	s_cbranch_execz .LBB191_218
.LBB191_262:
	s_and_b64 vcc, exec, s[0:1]
	s_cbranch_vccnz .LBB191_264
; %bb.263:
	v_lshl_add_u64 v[56:57], v[120:121], 3, v[130:131]
	flat_load_dwordx2 v[56:57], v[56:57]
	s_waitcnt vmcnt(0) lgkmcnt(0)
	v_mul_f64 v[56:57], v[56:57], s[70:71]
	s_branch .LBB191_265
.LBB191_264:
	v_mov_b64_e32 v[56:57], 0
.LBB191_265:
	v_add_f64 v[54:55], v[54:55], v[56:57]
	v_lshl_add_u64 v[56:57], v[120:121], 3, v[64:65]
	global_store_dwordx2 v[56:57], v[54:55], off
	s_or_b64 exec, exec, s[2:3]
	s_and_b64 s[4:5], s[24:25], s[12:13]
	s_and_saveexec_b64 s[2:3], s[4:5]
	s_cbranch_execz .LBB191_219
.LBB191_266:
	s_and_b64 vcc, exec, s[0:1]
	s_cbranch_vccnz .LBB191_268
; %bb.267:
	v_lshl_add_u64 v[54:55], v[118:119], 3, v[130:131]
	flat_load_dwordx2 v[54:55], v[54:55]
	s_waitcnt vmcnt(0) lgkmcnt(0)
	v_mul_f64 v[54:55], v[54:55], s[70:71]
	s_branch .LBB191_269
.LBB191_268:
	v_mov_b64_e32 v[54:55], 0
.LBB191_269:
	v_add_f64 v[52:53], v[52:53], v[54:55]
	v_lshl_add_u64 v[54:55], v[118:119], 3, v[64:65]
	global_store_dwordx2 v[54:55], v[52:53], off
	s_or_b64 exec, exec, s[2:3]
	s_and_b64 s[4:5], s[24:25], s[14:15]
	s_and_saveexec_b64 s[2:3], s[4:5]
	s_cbranch_execz .LBB191_220
.LBB191_270:
	s_and_b64 vcc, exec, s[0:1]
	s_cbranch_vccnz .LBB191_272
; %bb.271:
	v_lshl_add_u64 v[52:53], v[116:117], 3, v[130:131]
	flat_load_dwordx2 v[52:53], v[52:53]
	s_waitcnt vmcnt(0) lgkmcnt(0)
	v_mul_f64 v[52:53], v[52:53], s[70:71]
	s_branch .LBB191_273
.LBB191_272:
	v_mov_b64_e32 v[52:53], 0
.LBB191_273:
	v_add_f64 v[50:51], v[50:51], v[52:53]
	v_lshl_add_u64 v[52:53], v[116:117], 3, v[64:65]
	global_store_dwordx2 v[52:53], v[50:51], off
	s_or_b64 exec, exec, s[2:3]
	s_and_b64 s[4:5], s[24:25], s[16:17]
	s_and_saveexec_b64 s[2:3], s[4:5]
	s_cbranch_execz .LBB191_221
.LBB191_274:
	s_and_b64 vcc, exec, s[0:1]
	s_cbranch_vccnz .LBB191_276
; %bb.275:
	v_lshl_add_u64 v[50:51], v[114:115], 3, v[130:131]
	flat_load_dwordx2 v[50:51], v[50:51]
	s_waitcnt vmcnt(0) lgkmcnt(0)
	v_mul_f64 v[50:51], v[50:51], s[70:71]
	s_branch .LBB191_277
.LBB191_276:
	v_mov_b64_e32 v[50:51], 0
.LBB191_277:
	v_add_f64 v[48:49], v[48:49], v[50:51]
	v_lshl_add_u64 v[50:51], v[114:115], 3, v[64:65]
	global_store_dwordx2 v[50:51], v[48:49], off
	s_or_b64 exec, exec, s[2:3]
	s_and_b64 s[4:5], s[24:25], s[18:19]
	s_and_saveexec_b64 s[2:3], s[4:5]
	s_cbranch_execz .LBB191_222
.LBB191_278:
	s_and_b64 vcc, exec, s[0:1]
	s_cbranch_vccnz .LBB191_280
; %bb.279:
	v_lshl_add_u64 v[48:49], v[112:113], 3, v[130:131]
	flat_load_dwordx2 v[48:49], v[48:49]
	s_waitcnt vmcnt(0) lgkmcnt(0)
	v_mul_f64 v[48:49], v[48:49], s[70:71]
	s_branch .LBB191_281
.LBB191_280:
	v_mov_b64_e32 v[48:49], 0
.LBB191_281:
	v_add_f64 v[46:47], v[46:47], v[48:49]
	v_lshl_add_u64 v[48:49], v[112:113], 3, v[64:65]
	global_store_dwordx2 v[48:49], v[46:47], off
	s_or_b64 exec, exec, s[2:3]
	s_and_b64 s[4:5], s[24:25], s[20:21]
	s_and_saveexec_b64 s[2:3], s[4:5]
	s_cbranch_execz .LBB191_223
.LBB191_282:
	s_and_b64 vcc, exec, s[0:1]
	s_cbranch_vccnz .LBB191_284
; %bb.283:
	v_lshl_add_u64 v[46:47], v[110:111], 3, v[130:131]
	flat_load_dwordx2 v[46:47], v[46:47]
	s_waitcnt vmcnt(0) lgkmcnt(0)
	v_mul_f64 v[46:47], v[46:47], s[70:71]
	s_branch .LBB191_285
.LBB191_284:
	v_mov_b64_e32 v[46:47], 0
.LBB191_285:
	v_add_f64 v[44:45], v[44:45], v[46:47]
	v_lshl_add_u64 v[46:47], v[110:111], 3, v[64:65]
	global_store_dwordx2 v[46:47], v[44:45], off
	s_or_b64 exec, exec, s[2:3]
	s_and_b64 s[4:5], s[24:25], s[22:23]
	s_and_saveexec_b64 s[2:3], s[4:5]
	s_cbranch_execz .LBB191_224
.LBB191_286:
	s_and_b64 vcc, exec, s[0:1]
	s_cbranch_vccnz .LBB191_288
; %bb.287:
	v_lshl_add_u64 v[44:45], v[108:109], 3, v[130:131]
	flat_load_dwordx2 v[44:45], v[44:45]
	s_waitcnt vmcnt(0) lgkmcnt(0)
	v_mul_f64 v[44:45], v[44:45], s[70:71]
	s_branch .LBB191_289
.LBB191_288:
	v_mov_b64_e32 v[44:45], 0
.LBB191_289:
	v_add_f64 v[42:43], v[42:43], v[44:45]
	v_lshl_add_u64 v[44:45], v[108:109], 3, v[64:65]
	global_store_dwordx2 v[44:45], v[42:43], off
	s_or_b64 exec, exec, s[2:3]
	s_and_b64 s[4:5], s[24:25], s[26:27]
	s_and_saveexec_b64 s[2:3], s[4:5]
	s_cbranch_execz .LBB191_225
.LBB191_290:
	s_and_b64 vcc, exec, s[0:1]
	s_cbranch_vccnz .LBB191_292
; %bb.291:
	v_lshl_add_u64 v[42:43], v[106:107], 3, v[130:131]
	flat_load_dwordx2 v[42:43], v[42:43]
	s_waitcnt vmcnt(0) lgkmcnt(0)
	v_mul_f64 v[42:43], v[42:43], s[70:71]
	s_branch .LBB191_293
.LBB191_292:
	v_mov_b64_e32 v[42:43], 0
.LBB191_293:
	v_add_f64 v[40:41], v[40:41], v[42:43]
	v_lshl_add_u64 v[42:43], v[106:107], 3, v[64:65]
	global_store_dwordx2 v[42:43], v[40:41], off
	s_or_b64 exec, exec, s[2:3]
	s_and_b64 s[4:5], s[24:25], s[28:29]
	s_and_saveexec_b64 s[2:3], s[4:5]
	s_cbranch_execz .LBB191_226
.LBB191_294:
	s_and_b64 vcc, exec, s[0:1]
	s_cbranch_vccnz .LBB191_296
; %bb.295:
	v_lshl_add_u64 v[40:41], v[104:105], 3, v[130:131]
	flat_load_dwordx2 v[40:41], v[40:41]
	s_waitcnt vmcnt(0) lgkmcnt(0)
	v_mul_f64 v[40:41], v[40:41], s[70:71]
	s_branch .LBB191_297
.LBB191_296:
	v_mov_b64_e32 v[40:41], 0
.LBB191_297:
	v_add_f64 v[38:39], v[38:39], v[40:41]
	v_lshl_add_u64 v[40:41], v[104:105], 3, v[64:65]
	global_store_dwordx2 v[40:41], v[38:39], off
	s_or_b64 exec, exec, s[2:3]
	s_and_b64 s[4:5], s[24:25], s[30:31]
	s_and_saveexec_b64 s[2:3], s[4:5]
	s_cbranch_execz .LBB191_227
.LBB191_298:
	s_and_b64 vcc, exec, s[0:1]
	s_cbranch_vccnz .LBB191_300
; %bb.299:
	v_lshl_add_u64 v[38:39], v[102:103], 3, v[130:131]
	flat_load_dwordx2 v[38:39], v[38:39]
	s_waitcnt vmcnt(0) lgkmcnt(0)
	v_mul_f64 v[38:39], v[38:39], s[70:71]
	s_branch .LBB191_301
.LBB191_300:
	v_mov_b64_e32 v[38:39], 0
.LBB191_301:
	v_add_f64 v[36:37], v[36:37], v[38:39]
	v_lshl_add_u64 v[38:39], v[102:103], 3, v[64:65]
	global_store_dwordx2 v[38:39], v[36:37], off
	s_or_b64 exec, exec, s[2:3]
	s_and_b64 s[4:5], s[24:25], s[34:35]
	s_and_saveexec_b64 s[2:3], s[4:5]
	s_cbranch_execz .LBB191_228
.LBB191_302:
	s_and_b64 vcc, exec, s[0:1]
	s_cbranch_vccnz .LBB191_304
; %bb.303:
	v_lshl_add_u64 v[36:37], v[100:101], 3, v[130:131]
	flat_load_dwordx2 v[36:37], v[36:37]
	s_waitcnt vmcnt(0) lgkmcnt(0)
	v_mul_f64 v[36:37], v[36:37], s[70:71]
	s_branch .LBB191_305
.LBB191_304:
	v_mov_b64_e32 v[36:37], 0
.LBB191_305:
	v_add_f64 v[34:35], v[34:35], v[36:37]
	v_lshl_add_u64 v[36:37], v[100:101], 3, v[64:65]
	global_store_dwordx2 v[36:37], v[34:35], off
	s_or_b64 exec, exec, s[2:3]
	s_and_b64 s[4:5], s[24:25], s[36:37]
	s_and_saveexec_b64 s[2:3], s[4:5]
	s_cbranch_execz .LBB191_229
.LBB191_306:
	s_and_b64 vcc, exec, s[0:1]
	s_cbranch_vccnz .LBB191_308
; %bb.307:
	v_lshl_add_u64 v[34:35], v[98:99], 3, v[130:131]
	flat_load_dwordx2 v[34:35], v[34:35]
	s_waitcnt vmcnt(0) lgkmcnt(0)
	v_mul_f64 v[34:35], v[34:35], s[70:71]
	s_branch .LBB191_309
.LBB191_308:
	v_mov_b64_e32 v[34:35], 0
.LBB191_309:
	v_add_f64 v[32:33], v[32:33], v[34:35]
	v_lshl_add_u64 v[34:35], v[98:99], 3, v[64:65]
	global_store_dwordx2 v[34:35], v[32:33], off
	s_or_b64 exec, exec, s[2:3]
	s_and_b64 s[4:5], s[24:25], s[38:39]
	s_and_saveexec_b64 s[2:3], s[4:5]
	s_cbranch_execz .LBB191_230
.LBB191_310:
	s_and_b64 vcc, exec, s[0:1]
	s_cbranch_vccnz .LBB191_312
; %bb.311:
	v_lshl_add_u64 v[32:33], v[96:97], 3, v[130:131]
	flat_load_dwordx2 v[32:33], v[32:33]
	s_waitcnt vmcnt(0) lgkmcnt(0)
	v_mul_f64 v[32:33], v[32:33], s[70:71]
	s_branch .LBB191_313
.LBB191_312:
	v_mov_b64_e32 v[32:33], 0
.LBB191_313:
	v_add_f64 v[30:31], v[30:31], v[32:33]
	v_lshl_add_u64 v[32:33], v[96:97], 3, v[64:65]
	global_store_dwordx2 v[32:33], v[30:31], off
	s_or_b64 exec, exec, s[2:3]
	s_and_b64 s[4:5], s[24:25], s[40:41]
	s_and_saveexec_b64 s[2:3], s[4:5]
	s_cbranch_execz .LBB191_231
.LBB191_314:
	s_and_b64 vcc, exec, s[0:1]
	s_cbranch_vccnz .LBB191_316
; %bb.315:
	v_lshl_add_u64 v[30:31], v[94:95], 3, v[130:131]
	flat_load_dwordx2 v[30:31], v[30:31]
	s_waitcnt vmcnt(0) lgkmcnt(0)
	v_mul_f64 v[30:31], v[30:31], s[70:71]
	s_branch .LBB191_317
.LBB191_316:
	v_mov_b64_e32 v[30:31], 0
.LBB191_317:
	v_add_f64 v[28:29], v[28:29], v[30:31]
	v_lshl_add_u64 v[30:31], v[94:95], 3, v[64:65]
	global_store_dwordx2 v[30:31], v[28:29], off
	s_or_b64 exec, exec, s[2:3]
	s_and_b64 s[4:5], s[24:25], s[42:43]
	s_and_saveexec_b64 s[2:3], s[4:5]
	s_cbranch_execz .LBB191_232
.LBB191_318:
	s_and_b64 vcc, exec, s[0:1]
	s_cbranch_vccnz .LBB191_320
; %bb.319:
	v_lshl_add_u64 v[28:29], v[92:93], 3, v[130:131]
	flat_load_dwordx2 v[28:29], v[28:29]
	s_waitcnt vmcnt(0) lgkmcnt(0)
	v_mul_f64 v[28:29], v[28:29], s[70:71]
	s_branch .LBB191_321
.LBB191_320:
	v_mov_b64_e32 v[28:29], 0
.LBB191_321:
	v_add_f64 v[26:27], v[26:27], v[28:29]
	v_lshl_add_u64 v[28:29], v[92:93], 3, v[64:65]
	global_store_dwordx2 v[28:29], v[26:27], off
	s_or_b64 exec, exec, s[2:3]
	s_and_b64 s[4:5], s[24:25], s[44:45]
	s_and_saveexec_b64 s[2:3], s[4:5]
	s_cbranch_execz .LBB191_233
.LBB191_322:
	s_and_b64 vcc, exec, s[0:1]
	s_cbranch_vccnz .LBB191_324
; %bb.323:
	v_lshl_add_u64 v[26:27], v[90:91], 3, v[130:131]
	flat_load_dwordx2 v[26:27], v[26:27]
	s_waitcnt vmcnt(0) lgkmcnt(0)
	v_mul_f64 v[26:27], v[26:27], s[70:71]
	s_branch .LBB191_325
.LBB191_324:
	v_mov_b64_e32 v[26:27], 0
.LBB191_325:
	v_add_f64 v[24:25], v[24:25], v[26:27]
	v_lshl_add_u64 v[26:27], v[90:91], 3, v[64:65]
	global_store_dwordx2 v[26:27], v[24:25], off
	s_or_b64 exec, exec, s[2:3]
	s_and_b64 s[4:5], s[24:25], s[46:47]
	s_and_saveexec_b64 s[2:3], s[4:5]
	s_cbranch_execz .LBB191_234
.LBB191_326:
	s_and_b64 vcc, exec, s[0:1]
	s_cbranch_vccnz .LBB191_328
; %bb.327:
	v_lshl_add_u64 v[24:25], v[88:89], 3, v[130:131]
	flat_load_dwordx2 v[24:25], v[24:25]
	s_waitcnt vmcnt(0) lgkmcnt(0)
	v_mul_f64 v[24:25], v[24:25], s[70:71]
	s_branch .LBB191_329
.LBB191_328:
	v_mov_b64_e32 v[24:25], 0
.LBB191_329:
	v_add_f64 v[22:23], v[22:23], v[24:25]
	v_lshl_add_u64 v[24:25], v[88:89], 3, v[64:65]
	global_store_dwordx2 v[24:25], v[22:23], off
	s_or_b64 exec, exec, s[2:3]
	s_and_b64 s[4:5], s[24:25], s[48:49]
	s_and_saveexec_b64 s[2:3], s[4:5]
	s_cbranch_execz .LBB191_235
.LBB191_330:
	s_and_b64 vcc, exec, s[0:1]
	s_cbranch_vccnz .LBB191_332
; %bb.331:
	v_lshl_add_u64 v[22:23], v[86:87], 3, v[130:131]
	flat_load_dwordx2 v[22:23], v[22:23]
	s_waitcnt vmcnt(0) lgkmcnt(0)
	v_mul_f64 v[22:23], v[22:23], s[70:71]
	s_branch .LBB191_333
.LBB191_332:
	v_mov_b64_e32 v[22:23], 0
.LBB191_333:
	v_add_f64 v[20:21], v[20:21], v[22:23]
	v_lshl_add_u64 v[22:23], v[86:87], 3, v[64:65]
	global_store_dwordx2 v[22:23], v[20:21], off
	s_or_b64 exec, exec, s[2:3]
	s_and_b64 s[4:5], s[24:25], s[50:51]
	s_and_saveexec_b64 s[2:3], s[4:5]
	s_cbranch_execz .LBB191_236
.LBB191_334:
	s_and_b64 vcc, exec, s[0:1]
	s_cbranch_vccnz .LBB191_336
; %bb.335:
	v_lshl_add_u64 v[20:21], v[84:85], 3, v[130:131]
	flat_load_dwordx2 v[20:21], v[20:21]
	s_waitcnt vmcnt(0) lgkmcnt(0)
	v_mul_f64 v[20:21], v[20:21], s[70:71]
	s_branch .LBB191_337
.LBB191_336:
	v_mov_b64_e32 v[20:21], 0
.LBB191_337:
	v_add_f64 v[18:19], v[18:19], v[20:21]
	v_lshl_add_u64 v[20:21], v[84:85], 3, v[64:65]
	global_store_dwordx2 v[20:21], v[18:19], off
	s_or_b64 exec, exec, s[2:3]
	s_and_b64 s[4:5], s[24:25], s[52:53]
	s_and_saveexec_b64 s[2:3], s[4:5]
	s_cbranch_execz .LBB191_237
.LBB191_338:
	s_and_b64 vcc, exec, s[0:1]
	s_cbranch_vccnz .LBB191_340
; %bb.339:
	v_lshl_add_u64 v[18:19], v[82:83], 3, v[130:131]
	flat_load_dwordx2 v[18:19], v[18:19]
	s_waitcnt vmcnt(0) lgkmcnt(0)
	v_mul_f64 v[18:19], v[18:19], s[70:71]
	s_branch .LBB191_341
.LBB191_340:
	v_mov_b64_e32 v[18:19], 0
.LBB191_341:
	v_add_f64 v[16:17], v[16:17], v[18:19]
	v_lshl_add_u64 v[18:19], v[82:83], 3, v[64:65]
	global_store_dwordx2 v[18:19], v[16:17], off
	s_or_b64 exec, exec, s[2:3]
	s_and_b64 s[4:5], s[24:25], s[54:55]
	s_and_saveexec_b64 s[2:3], s[4:5]
	s_cbranch_execz .LBB191_238
.LBB191_342:
	s_and_b64 vcc, exec, s[0:1]
	s_cbranch_vccnz .LBB191_344
; %bb.343:
	v_lshl_add_u64 v[16:17], v[80:81], 3, v[130:131]
	flat_load_dwordx2 v[16:17], v[16:17]
	s_waitcnt vmcnt(0) lgkmcnt(0)
	v_mul_f64 v[16:17], v[16:17], s[70:71]
	s_branch .LBB191_345
.LBB191_344:
	v_mov_b64_e32 v[16:17], 0
.LBB191_345:
	v_add_f64 v[14:15], v[14:15], v[16:17]
	v_lshl_add_u64 v[16:17], v[80:81], 3, v[64:65]
	global_store_dwordx2 v[16:17], v[14:15], off
	s_or_b64 exec, exec, s[2:3]
	s_and_b64 s[4:5], s[24:25], s[56:57]
	s_and_saveexec_b64 s[2:3], s[4:5]
	s_cbranch_execz .LBB191_239
.LBB191_346:
	s_and_b64 vcc, exec, s[0:1]
	s_cbranch_vccnz .LBB191_348
; %bb.347:
	v_lshl_add_u64 v[14:15], v[78:79], 3, v[130:131]
	flat_load_dwordx2 v[14:15], v[14:15]
	s_waitcnt vmcnt(0) lgkmcnt(0)
	v_mul_f64 v[14:15], v[14:15], s[70:71]
	s_branch .LBB191_349
.LBB191_348:
	v_mov_b64_e32 v[14:15], 0
.LBB191_349:
	v_add_f64 v[12:13], v[12:13], v[14:15]
	v_lshl_add_u64 v[14:15], v[78:79], 3, v[64:65]
	global_store_dwordx2 v[14:15], v[12:13], off
	s_or_b64 exec, exec, s[2:3]
	s_and_b64 s[4:5], s[24:25], s[58:59]
	s_and_saveexec_b64 s[2:3], s[4:5]
	s_cbranch_execz .LBB191_240
.LBB191_350:
	s_and_b64 vcc, exec, s[0:1]
	s_cbranch_vccnz .LBB191_352
; %bb.351:
	v_lshl_add_u64 v[12:13], v[76:77], 3, v[130:131]
	flat_load_dwordx2 v[12:13], v[12:13]
	s_waitcnt vmcnt(0) lgkmcnt(0)
	v_mul_f64 v[12:13], v[12:13], s[70:71]
	s_branch .LBB191_353
.LBB191_352:
	v_mov_b64_e32 v[12:13], 0
.LBB191_353:
	v_add_f64 v[10:11], v[10:11], v[12:13]
	v_lshl_add_u64 v[12:13], v[76:77], 3, v[64:65]
	global_store_dwordx2 v[12:13], v[10:11], off
	s_or_b64 exec, exec, s[2:3]
	s_and_b64 s[4:5], s[24:25], s[60:61]
	s_and_saveexec_b64 s[2:3], s[4:5]
	s_cbranch_execz .LBB191_241
.LBB191_354:
	s_and_b64 vcc, exec, s[0:1]
	s_cbranch_vccnz .LBB191_356
; %bb.355:
	v_lshl_add_u64 v[10:11], v[74:75], 3, v[130:131]
	flat_load_dwordx2 v[10:11], v[10:11]
	s_waitcnt vmcnt(0) lgkmcnt(0)
	v_mul_f64 v[10:11], v[10:11], s[70:71]
	s_branch .LBB191_357
.LBB191_356:
	v_mov_b64_e32 v[10:11], 0
.LBB191_357:
	v_add_f64 v[8:9], v[8:9], v[10:11]
	v_lshl_add_u64 v[10:11], v[74:75], 3, v[64:65]
	global_store_dwordx2 v[10:11], v[8:9], off
	s_or_b64 exec, exec, s[2:3]
	s_and_b64 s[4:5], s[24:25], s[62:63]
	s_and_saveexec_b64 s[2:3], s[4:5]
	s_cbranch_execz .LBB191_242
.LBB191_358:
	s_and_b64 vcc, exec, s[0:1]
	s_cbranch_vccnz .LBB191_360
; %bb.359:
	v_lshl_add_u64 v[8:9], v[72:73], 3, v[130:131]
	flat_load_dwordx2 v[8:9], v[8:9]
	s_waitcnt vmcnt(0) lgkmcnt(0)
	v_mul_f64 v[8:9], v[8:9], s[70:71]
	s_branch .LBB191_361
.LBB191_360:
	v_mov_b64_e32 v[8:9], 0
.LBB191_361:
	v_add_f64 v[6:7], v[6:7], v[8:9]
	v_lshl_add_u64 v[8:9], v[72:73], 3, v[64:65]
	global_store_dwordx2 v[8:9], v[6:7], off
	s_or_b64 exec, exec, s[2:3]
	s_and_b64 s[4:5], s[24:25], s[64:65]
	s_and_saveexec_b64 s[2:3], s[4:5]
	s_cbranch_execz .LBB191_243
.LBB191_362:
	s_and_b64 vcc, exec, s[0:1]
	s_cbranch_vccnz .LBB191_364
; %bb.363:
	v_lshl_add_u64 v[6:7], v[70:71], 3, v[130:131]
	flat_load_dwordx2 v[6:7], v[6:7]
	s_waitcnt vmcnt(0) lgkmcnt(0)
	v_mul_f64 v[6:7], v[6:7], s[70:71]
	s_branch .LBB191_365
.LBB191_364:
	v_mov_b64_e32 v[6:7], 0
.LBB191_365:
	v_add_f64 v[4:5], v[4:5], v[6:7]
	v_lshl_add_u64 v[6:7], v[70:71], 3, v[64:65]
	global_store_dwordx2 v[6:7], v[4:5], off
	s_or_b64 exec, exec, s[2:3]
	s_and_b64 s[4:5], s[24:25], s[66:67]
	s_and_saveexec_b64 s[2:3], s[4:5]
	s_cbranch_execz .LBB191_244
.LBB191_366:
	s_and_b64 vcc, exec, s[0:1]
	s_cbranch_vccnz .LBB191_368
; %bb.367:
	v_lshl_add_u64 v[4:5], v[68:69], 3, v[130:131]
	flat_load_dwordx2 v[4:5], v[4:5]
	s_waitcnt vmcnt(0) lgkmcnt(0)
	v_mul_f64 v[4:5], v[4:5], s[70:71]
	s_branch .LBB191_369
.LBB191_368:
	v_mov_b64_e32 v[4:5], 0
.LBB191_369:
	v_add_f64 v[2:3], v[2:3], v[4:5]
	v_lshl_add_u64 v[4:5], v[68:69], 3, v[64:65]
	global_store_dwordx2 v[4:5], v[2:3], off
	s_or_b64 exec, exec, s[2:3]
	s_and_b64 s[2:3], s[24:25], s[68:69]
	s_and_saveexec_b64 s[4:5], s[2:3]
	s_cbranch_execz .LBB191_245
.LBB191_370:
	s_and_b64 vcc, exec, s[0:1]
	s_cbranch_vccnz .LBB191_372
; %bb.371:
	v_lshl_add_u64 v[2:3], v[66:67], 3, v[130:131]
	flat_load_dwordx2 v[2:3], v[2:3]
	s_waitcnt vmcnt(0) lgkmcnt(0)
	v_mul_f64 v[2:3], v[2:3], s[70:71]
	v_add_f64 v[0:1], v[0:1], v[2:3]
	v_lshl_add_u64 v[2:3], v[66:67], 3, v[64:65]
	global_store_dwordx2 v[2:3], v[0:1], off
	s_endpgm
.LBB191_372:
	v_mov_b64_e32 v[2:3], 0
	v_add_f64 v[0:1], v[0:1], v[2:3]
	v_lshl_add_u64 v[2:3], v[66:67], 3, v[64:65]
	global_store_dwordx2 v[2:3], v[0:1], off
	s_endpgm
	.section	.rodata,"a",@progbits
	.p2align	6, 0x0
	.amdhsa_kernel _ZN12_GLOBAL__N_120geam_min_plus_kernelIdddLi4ELi64ELi128ELi128ELi4ELi4ELi64ELi4ELi64ELc84ELc78ELb0ELb1ELb0EdKddEEviiiT16_PT17_ilS4_ilS2_S4_ilPT18_ili26rocblas_geam_ex_operation_
		.amdhsa_group_segment_fixed_size 16384
		.amdhsa_private_segment_fixed_size 0
		.amdhsa_kernarg_size 136
		.amdhsa_user_sgpr_count 2
		.amdhsa_user_sgpr_dispatch_ptr 0
		.amdhsa_user_sgpr_queue_ptr 0
		.amdhsa_user_sgpr_kernarg_segment_ptr 1
		.amdhsa_user_sgpr_dispatch_id 0
		.amdhsa_user_sgpr_kernarg_preload_length 0
		.amdhsa_user_sgpr_kernarg_preload_offset 0
		.amdhsa_user_sgpr_private_segment_size 0
		.amdhsa_uses_dynamic_stack 0
		.amdhsa_enable_private_segment 0
		.amdhsa_system_sgpr_workgroup_id_x 1
		.amdhsa_system_sgpr_workgroup_id_y 0
		.amdhsa_system_sgpr_workgroup_id_z 1
		.amdhsa_system_sgpr_workgroup_info 0
		.amdhsa_system_vgpr_workitem_id 1
		.amdhsa_next_free_vgpr 250
		.amdhsa_next_free_sgpr 82
		.amdhsa_accum_offset 252
		.amdhsa_reserve_vcc 1
		.amdhsa_float_round_mode_32 0
		.amdhsa_float_round_mode_16_64 0
		.amdhsa_float_denorm_mode_32 3
		.amdhsa_float_denorm_mode_16_64 3
		.amdhsa_dx10_clamp 1
		.amdhsa_ieee_mode 1
		.amdhsa_fp16_overflow 0
		.amdhsa_tg_split 0
		.amdhsa_exception_fp_ieee_invalid_op 0
		.amdhsa_exception_fp_denorm_src 0
		.amdhsa_exception_fp_ieee_div_zero 0
		.amdhsa_exception_fp_ieee_overflow 0
		.amdhsa_exception_fp_ieee_underflow 0
		.amdhsa_exception_fp_ieee_inexact 0
		.amdhsa_exception_int_div_zero 0
	.end_amdhsa_kernel
	.section	.text._ZN12_GLOBAL__N_120geam_min_plus_kernelIdddLi4ELi64ELi128ELi128ELi4ELi4ELi64ELi4ELi64ELc84ELc78ELb0ELb1ELb0EdKddEEviiiT16_PT17_ilS4_ilS2_S4_ilPT18_ili26rocblas_geam_ex_operation_,"axG",@progbits,_ZN12_GLOBAL__N_120geam_min_plus_kernelIdddLi4ELi64ELi128ELi128ELi4ELi4ELi64ELi4ELi64ELc84ELc78ELb0ELb1ELb0EdKddEEviiiT16_PT17_ilS4_ilS2_S4_ilPT18_ili26rocblas_geam_ex_operation_,comdat
.Lfunc_end191:
	.size	_ZN12_GLOBAL__N_120geam_min_plus_kernelIdddLi4ELi64ELi128ELi128ELi4ELi4ELi64ELi4ELi64ELc84ELc78ELb0ELb1ELb0EdKddEEviiiT16_PT17_ilS4_ilS2_S4_ilPT18_ili26rocblas_geam_ex_operation_, .Lfunc_end191-_ZN12_GLOBAL__N_120geam_min_plus_kernelIdddLi4ELi64ELi128ELi128ELi4ELi4ELi64ELi4ELi64ELc84ELc78ELb0ELb1ELb0EdKddEEviiiT16_PT17_ilS4_ilS2_S4_ilPT18_ili26rocblas_geam_ex_operation_
                                        ; -- End function
	.section	.AMDGPU.csdata,"",@progbits
; Kernel info:
; codeLenInByte = 14692
; NumSgprs: 88
; NumVgprs: 250
; NumAgprs: 0
; TotalNumVgprs: 250
; ScratchSize: 0
; MemoryBound: 0
; FloatMode: 240
; IeeeMode: 1
; LDSByteSize: 16384 bytes/workgroup (compile time only)
; SGPRBlocks: 10
; VGPRBlocks: 31
; NumSGPRsForWavesPerEU: 88
; NumVGPRsForWavesPerEU: 250
; AccumOffset: 252
; Occupancy: 2
; WaveLimiterHint : 0
; COMPUTE_PGM_RSRC2:SCRATCH_EN: 0
; COMPUTE_PGM_RSRC2:USER_SGPR: 2
; COMPUTE_PGM_RSRC2:TRAP_HANDLER: 0
; COMPUTE_PGM_RSRC2:TGID_X_EN: 1
; COMPUTE_PGM_RSRC2:TGID_Y_EN: 0
; COMPUTE_PGM_RSRC2:TGID_Z_EN: 1
; COMPUTE_PGM_RSRC2:TIDIG_COMP_CNT: 1
; COMPUTE_PGM_RSRC3_GFX90A:ACCUM_OFFSET: 62
; COMPUTE_PGM_RSRC3_GFX90A:TG_SPLIT: 0
	.section	.text._ZN12_GLOBAL__N_120geam_min_plus_kernelIdddLi4ELi64ELi128ELi128ELi4ELi64ELi4ELi64ELi4ELc78ELc84ELb0ELb0ELb0EPKdS1_dEEviiiT16_PT17_ilS5_ilS3_S5_ilPT18_ili26rocblas_geam_ex_operation_,"axG",@progbits,_ZN12_GLOBAL__N_120geam_min_plus_kernelIdddLi4ELi64ELi128ELi128ELi4ELi64ELi4ELi64ELi4ELc78ELc84ELb0ELb0ELb0EPKdS1_dEEviiiT16_PT17_ilS5_ilS3_S5_ilPT18_ili26rocblas_geam_ex_operation_,comdat
	.globl	_ZN12_GLOBAL__N_120geam_min_plus_kernelIdddLi4ELi64ELi128ELi128ELi4ELi64ELi4ELi64ELi4ELc78ELc84ELb0ELb0ELb0EPKdS1_dEEviiiT16_PT17_ilS5_ilS3_S5_ilPT18_ili26rocblas_geam_ex_operation_ ; -- Begin function _ZN12_GLOBAL__N_120geam_min_plus_kernelIdddLi4ELi64ELi128ELi128ELi4ELi64ELi4ELi64ELi4ELc78ELc84ELb0ELb0ELb0EPKdS1_dEEviiiT16_PT17_ilS5_ilS3_S5_ilPT18_ili26rocblas_geam_ex_operation_
	.p2align	8
	.type	_ZN12_GLOBAL__N_120geam_min_plus_kernelIdddLi4ELi64ELi128ELi128ELi4ELi64ELi4ELi64ELi4ELc78ELc84ELb0ELb0ELb0EPKdS1_dEEviiiT16_PT17_ilS5_ilS3_S5_ilPT18_ili26rocblas_geam_ex_operation_,@function
_ZN12_GLOBAL__N_120geam_min_plus_kernelIdddLi4ELi64ELi128ELi128ELi4ELi64ELi4ELi64ELi4ELc78ELc84ELb0ELb0ELb0EPKdS1_dEEviiiT16_PT17_ilS5_ilS3_S5_ilPT18_ili26rocblas_geam_ex_operation_: ; @_ZN12_GLOBAL__N_120geam_min_plus_kernelIdddLi4ELi64ELi128ELi128ELi4ELi64ELi4ELi64ELi4ELc78ELc84ELb0ELb0ELb0EPKdS1_dEEviiiT16_PT17_ilS5_ilS3_S5_ilPT18_ili26rocblas_geam_ex_operation_
; %bb.0:
	s_load_dwordx4 s[12:15], s[0:1], 0x10
	s_load_dwordx4 s[4:7], s[0:1], 0x28
	s_mov_b32 s16, s3
	s_mov_b32 s17, 0
	s_lshl_b64 s[20:21], s[16:17], 3
	s_waitcnt lgkmcnt(0)
	s_add_u32 s12, s12, s20
	s_load_dwordx4 s[8:11], s[0:1], 0x40
	s_addc_u32 s13, s13, s21
	s_load_dwordx2 s[18:19], s[12:13], 0x0
	s_load_dwordx2 s[24:25], s[0:1], 0x50
	s_mov_b64 s[22:23], 0
	s_waitcnt lgkmcnt(0)
	s_add_u32 s10, s10, s20
	v_cmp_eq_f64_e64 s[12:13], s[18:19], 0
	s_addc_u32 s11, s11, s21
	s_mov_b64 s[20:21], 0
	v_cmp_neq_f64_e64 s[26:27], s[18:19], 0
	s_and_b64 vcc, exec, s[12:13]
	s_cbranch_vccnz .LBB192_2
; %bb.1:
	s_mul_i32 s3, s16, s5
	s_mul_hi_u32 s5, s16, s4
	s_add_i32 s5, s5, s3
	s_mul_i32 s4, s16, s4
	s_lshl_b64 s[4:5], s[4:5], 3
	s_add_u32 s22, s14, s4
	s_addc_u32 s23, s15, s5
.LBB192_2:
	s_load_dwordx2 s[12:13], s[10:11], 0x0
	v_cndmask_b32_e64 v1, 0, 1, s[26:27]
	v_cmp_ne_u32_e64 s[4:5], 1, v1
	s_andn2_b64 vcc, exec, s[26:27]
	s_cbranch_vccnz .LBB192_4
; %bb.3:
	s_mul_i32 s3, s16, s9
	s_mul_hi_u32 s9, s16, s8
	s_add_i32 s9, s9, s3
	s_mul_i32 s8, s16, s8
	s_lshl_b64 s[8:9], s[8:9], 3
	s_add_u32 s20, s6, s8
	s_addc_u32 s21, s7, s9
.LBB192_4:
	s_load_dwordx4 s[8:11], s[0:1], 0x60
	s_waitcnt lgkmcnt(0)
	v_cmp_eq_f64_e64 s[6:7], s[12:13], 0
	s_and_b64 s[6:7], exec, s[6:7]
	s_mov_b64 s[14:15], 0
	s_mov_b64 vcc, s[6:7]
	s_cbranch_vccnz .LBB192_6
; %bb.5:
	s_mul_i32 s3, s16, s9
	s_mul_hi_u32 s9, s16, s8
	s_add_i32 s9, s9, s3
	s_mul_i32 s8, s16, s8
	s_lshl_b64 s[8:9], s[8:9], 3
	s_add_u32 s14, s24, s8
	s_addc_u32 s15, s25, s9
.LBB192_6:
	s_load_dword s3, s[0:1], 0x0
	s_load_dword s17, s[0:1], 0x20
	v_and_b32_e32 v140, 0x3ff, v0
	v_bfe_u32 v141, v0, 10, 10
	v_lshl_add_u32 v0, v141, 2, v140
	s_waitcnt lgkmcnt(0)
	s_add_i32 s3, s3, -1
	s_ashr_i32 s8, s3, 31
	s_lshr_b32 s8, s8, 25
	s_add_i32 s3, s3, s8
	s_ashr_i32 s3, s3, 7
	s_add_i32 s8, s3, 1
	v_cvt_f32_u32_e32 v1, s8
	s_not_b32 s3, s3
	s_ashr_i32 s24, s17, 31
	v_and_b32_e32 v148, 63, v0
	v_rcp_iflag_f32_e32 v1, v1
	v_lshrrev_b32_e32 v142, 6, v0
	v_mul_f32_e32 v1, 0x4f7ffffe, v1
	v_cvt_u32_f32_e32 v1, v1
	s_nop 0
	v_readfirstlane_b32 s9, v1
	s_mul_i32 s3, s3, s9
	s_mul_hi_u32 s3, s9, s3
	s_add_i32 s9, s9, s3
	s_mul_hi_u32 s3, s2, s9
	s_mul_i32 s9, s3, s8
	s_sub_i32 s9, s2, s9
	s_add_i32 s25, s3, 1
	s_sub_i32 s26, s9, s8
	s_cmp_ge_u32 s9, s8
	s_cselect_b32 s3, s25, s3
	s_cselect_b32 s9, s26, s9
	s_add_i32 s25, s3, 1
	s_cmp_ge_u32 s9, s8
	s_cselect_b32 s3, s25, s3
	s_mul_i32 s8, s3, s8
	s_sub_i32 s2, s2, s8
	s_lshl_b32 s8, s2, 7
	v_or_b32_e32 v128, s8, v148
	s_and_b64 vcc, exec, s[4:5]
	v_ashrrev_i32_e32 v129, 31, v128
	s_cbranch_vccnz .LBB192_8
; %bb.7:
	v_mad_i64_i32 v[0:1], s[26:27], s17, v142, 0
	v_lshl_add_u64 v[0:1], v[0:1], 3, s[22:23]
	v_lshl_add_u64 v[0:1], v[128:129], 3, v[0:1]
	flat_load_dwordx2 v[2:3], v[0:1]
	flat_load_dwordx2 v[4:5], v[0:1] offset:512
	s_waitcnt vmcnt(0) lgkmcnt(0)
	v_mul_f64 v[0:1], s[18:19], v[2:3]
	v_mul_f64 v[2:3], s[18:19], v[4:5]
	s_branch .LBB192_9
.LBB192_8:
	v_mov_b64_e32 v[0:1], 0
	v_mov_b64_e32 v[2:3], 0
.LBB192_9:
	s_load_dword s25, s[0:1], 0x38
	s_lshl_b32 s9, s3, 7
	v_or_b32_e32 v130, s9, v148
	s_and_b64 vcc, exec, s[4:5]
	v_ashrrev_i32_e32 v131, 31, v130
	s_waitcnt lgkmcnt(0)
	s_ashr_i32 s26, s25, 31
	s_cbranch_vccnz .LBB192_13
; %bb.10:
	v_mad_i64_i32 v[4:5], s[2:3], s25, v142, 0
	v_lshl_add_u64 v[4:5], v[4:5], 3, s[20:21]
	v_lshl_add_u64 v[4:5], v[130:131], 3, v[4:5]
	flat_load_dwordx2 v[6:7], v[4:5]
	flat_load_dwordx2 v[8:9], v[4:5] offset:512
	s_waitcnt vmcnt(0) lgkmcnt(0)
	v_mul_f64 v[4:5], s[18:19], v[6:7]
	v_mul_f64 v[6:7], s[18:19], v[8:9]
	s_and_b64 vcc, exec, s[4:5]
	v_add_u32_e32 v143, 4, v142
	s_cbranch_vccnz .LBB192_14
.LBB192_11:
	v_mad_i64_i32 v[8:9], s[2:3], s17, v143, 0
	v_lshl_add_u64 v[8:9], v[8:9], 3, s[22:23]
	v_lshl_add_u64 v[8:9], v[128:129], 3, v[8:9]
	flat_load_dwordx2 v[10:11], v[8:9]
	flat_load_dwordx2 v[12:13], v[8:9] offset:512
	s_waitcnt vmcnt(0) lgkmcnt(0)
	v_mul_f64 v[132:133], s[18:19], v[10:11]
	v_mul_f64 v[134:135], s[18:19], v[12:13]
	s_and_b64 vcc, exec, s[4:5]
	s_cbranch_vccnz .LBB192_15
.LBB192_12:
	v_mad_i64_i32 v[8:9], s[2:3], s25, v143, 0
	v_lshl_add_u64 v[8:9], v[8:9], 3, s[20:21]
	v_lshl_add_u64 v[8:9], v[130:131], 3, v[8:9]
	flat_load_dwordx2 v[10:11], v[8:9]
	flat_load_dwordx2 v[12:13], v[8:9] offset:512
	s_waitcnt vmcnt(0) lgkmcnt(0)
	v_mul_f64 v[136:137], s[18:19], v[10:11]
	v_mul_f64 v[138:139], s[18:19], v[12:13]
	s_branch .LBB192_16
.LBB192_13:
	v_mov_b64_e32 v[4:5], 0
	v_mov_b64_e32 v[6:7], 0
	s_and_b64 vcc, exec, s[4:5]
	v_add_u32_e32 v143, 4, v142
	s_cbranch_vccz .LBB192_11
.LBB192_14:
	v_mov_b64_e32 v[132:133], 0
	v_mov_b64_e32 v[134:135], 0
	s_and_b64 vcc, exec, s[4:5]
	s_cbranch_vccz .LBB192_12
.LBB192_15:
	v_mov_b64_e32 v[136:137], 0
	v_mov_b64_e32 v[138:139], 0
.LBB192_16:
	v_lshlrev_b32_e32 v8, 3, v142
	v_lshl_add_u32 v144, v148, 5, v8
	v_lshlrev_b32_e32 v152, 5, v141
	ds_write2st64_b64 v144, v[0:1], v[2:3] offset1:4
	v_or_b32_e32 v145, 0x2000, v144
	ds_write2st64_b64 v144, v[4:5], v[6:7] offset0:16 offset1:20
	v_lshlrev_b32_e32 v146, 5, v140
	v_add_u32_e32 v147, 0x2000, v152
	s_mov_b32 s2, 0
	v_mov_b64_e32 v[126:127], 0
	v_mov_b64_e32 v[124:125], 0
	;; [unrolled: 1-line block ×64, first 2 shown]
	s_waitcnt lgkmcnt(0)
	s_barrier
.LBB192_17:                             ; =>This Inner Loop Header: Depth=1
	v_add_u32_e32 v149, s2, v146
	v_add_u32_e32 v150, s2, v147
	ds_read2_b64 v[154:157], v149 offset1:16
	ds_read2_b64 v[158:161], v149 offset0:32 offset1:48
	ds_read2_b64 v[162:165], v149 offset0:64 offset1:80
	;; [unrolled: 1-line block ×7, first 2 shown]
	ds_read2st64_b64 v[186:189], v150 offset1:4
	v_add_u32_e32 v149, 0x800, v149
	ds_read2_b64 v[190:193], v149 offset1:16
	ds_read2_b64 v[194:197], v149 offset0:32 offset1:48
	ds_read2_b64 v[198:201], v149 offset0:64 offset1:80
	ds_read2_b64 v[202:205], v149 offset0:96 offset1:112
	ds_read2_b64 v[206:209], v149 offset0:128 offset1:144
	ds_read2_b64 v[210:213], v149 offset0:160 offset1:176
	ds_read2_b64 v[214:217], v149 offset0:192 offset1:208
	ds_read2_b64 v[218:221], v149 offset0:224 offset1:240
	s_waitcnt lgkmcnt(14)
	v_max_f64 v[150:151], v[154:155], v[154:155]
	v_max_f64 v[154:155], v[156:157], v[156:157]
	;; [unrolled: 1-line block ×6, first 2 shown]
	s_waitcnt lgkmcnt(13)
	v_max_f64 v[164:165], v[166:167], v[166:167]
	v_max_f64 v[166:167], v[168:169], v[168:169]
	s_waitcnt lgkmcnt(12)
	v_max_f64 v[168:169], v[170:171], v[170:171]
	v_max_f64 v[170:171], v[172:173], v[172:173]
	;; [unrolled: 3-line block ×14, first 2 shown]
	v_min_f64 v[220:221], v[150:151], v[184:185]
	v_min_f64 v[222:223], v[154:155], v[184:185]
	;; [unrolled: 1-line block ×32, first 2 shown]
	s_add_i32 s2, s2, 8
	v_add_f64 v[62:63], v[150:151], v[62:63]
	v_add_f64 v[60:61], v[154:155], v[60:61]
	;; [unrolled: 1-line block ×16, first 2 shown]
	v_min_f64 v[150:151], v[188:189], v[184:185]
	v_min_f64 v[154:155], v[190:191], v[184:185]
	;; [unrolled: 1-line block ×32, first 2 shown]
	s_cmp_eq_u32 s2, 32
	v_add_f64 v[126:127], v[220:221], v[126:127]
	v_add_f64 v[124:125], v[222:223], v[124:125]
	;; [unrolled: 1-line block ×48, first 2 shown]
	s_cbranch_scc0 .LBB192_17
; %bb.18:
	s_load_dword s27, s[0:1], 0x8
	v_lshlrev_b32_e32 v148, 5, v148
	v_lshl_add_u32 v151, v142, 3, v148
	ds_write2st64_b64 v151, v[132:133], v[134:135] offset0:8 offset1:12
	ds_write2st64_b64 v151, v[136:137], v[138:139] offset0:24 offset1:28
	s_waitcnt lgkmcnt(0)
	s_cmp_gt_i32 s27, 8
	s_barrier
	s_cbranch_scc1 .LBB192_20
; %bb.19:
	v_add_u32_e32 v148, 0x1000, v146
	v_add_u32_e32 v149, 0x3000, v152
	s_cbranch_execz .LBB192_21
	s_branch .LBB192_37
.LBB192_20:
                                        ; implicit-def: $vgpr148
                                        ; implicit-def: $vgpr149
.LBB192_21:
	v_or_b32_e32 v150, 0x1000, v151
	v_or_b32_e32 v151, 0x3000, v151
	s_add_i32 s2, s27, -8
	v_lshl_add_u64 v[128:129], v[128:129], 3, s[22:23]
	v_lshl_add_u64 v[130:131], v[130:131], 3, s[20:21]
	v_add_u32_e32 v148, 0x1000, v146
	v_add_u32_e32 v149, 0x3000, v152
	s_mov_b32 s3, 8
	s_mov_b32 s20, 0
.LBB192_22:                             ; =>This Loop Header: Depth=1
                                        ;     Child Loop BB192_28 Depth 2
                                        ;     Child Loop BB192_35 Depth 2
	s_and_b64 vcc, exec, s[4:5]
	v_add_u32_e32 v136, s3, v142
	s_cbranch_vccnz .LBB192_25
; %bb.23:                               ;   in Loop: Header=BB192_22 Depth=1
	v_mad_u64_u32 v[132:133], s[22:23], v136, s17, 0
	v_mov_b32_e32 v134, v133
	v_mad_u64_u32 v[134:135], s[22:23], v136, s24, v[134:135]
	v_mov_b32_e32 v133, v134
	v_lshl_add_u64 v[132:133], v[132:133], 3, v[128:129]
	flat_load_dwordx2 v[134:135], v[132:133]
	flat_load_dwordx2 v[138:139], v[132:133] offset:512
	s_waitcnt vmcnt(0) lgkmcnt(0)
	v_mul_f64 v[132:133], s[18:19], v[134:135]
	v_mul_f64 v[134:135], s[18:19], v[138:139]
	s_and_b64 vcc, exec, s[4:5]
	s_cbranch_vccnz .LBB192_26
.LBB192_24:                             ;   in Loop: Header=BB192_22 Depth=1
	v_mad_u64_u32 v[138:139], s[22:23], v136, s25, 0
	v_mov_b32_e32 v152, v139
	v_mad_u64_u32 v[136:137], s[22:23], v136, s26, v[152:153]
	v_mov_b32_e32 v139, v136
	v_lshl_add_u64 v[136:137], v[138:139], 3, v[130:131]
	flat_load_dwordx2 v[138:139], v[136:137]
	flat_load_dwordx2 v[152:153], v[136:137] offset:512
	s_waitcnt vmcnt(0) lgkmcnt(0)
	v_mul_f64 v[136:137], s[18:19], v[138:139]
	v_mul_f64 v[138:139], s[18:19], v[152:153]
	s_branch .LBB192_27
.LBB192_25:                             ;   in Loop: Header=BB192_22 Depth=1
	v_mov_b64_e32 v[132:133], 0
	v_mov_b64_e32 v[134:135], 0
	s_and_b64 vcc, exec, s[4:5]
	s_cbranch_vccz .LBB192_24
.LBB192_26:                             ;   in Loop: Header=BB192_22 Depth=1
	v_mov_b64_e32 v[136:137], 0
	v_mov_b64_e32 v[138:139], 0
.LBB192_27:                             ;   in Loop: Header=BB192_22 Depth=1
	s_mov_b32 s21, 0
.LBB192_28:                             ;   Parent Loop BB192_22 Depth=1
                                        ; =>  This Inner Loop Header: Depth=2
	v_add_u32_e32 v184, s21, v148
	v_add_u32_e32 v185, s21, v149
	ds_read2_b64 v[152:155], v184 offset1:16
	ds_read2_b64 v[156:159], v184 offset0:32 offset1:48
	ds_read2_b64 v[160:163], v184 offset0:64 offset1:80
	;; [unrolled: 1-line block ×7, first 2 shown]
	v_add_u32_e32 v216, 0x800, v184
	ds_read2st64_b64 v[184:187], v185 offset1:4
	ds_read2_b64 v[188:191], v216 offset1:16
	ds_read2_b64 v[192:195], v216 offset0:32 offset1:48
	ds_read2_b64 v[196:199], v216 offset0:64 offset1:80
	;; [unrolled: 1-line block ×7, first 2 shown]
	s_waitcnt lgkmcnt(14)
	v_max_f64 v[152:153], v[152:153], v[152:153]
	v_max_f64 v[154:155], v[154:155], v[154:155]
	;; [unrolled: 1-line block ×3, first 2 shown]
	s_waitcnt lgkmcnt(8)
	v_max_f64 v[184:185], v[184:185], v[184:185]
	v_max_f64 v[158:159], v[158:159], v[158:159]
	;; [unrolled: 1-line block ×15, first 2 shown]
	v_min_f64 v[220:221], v[152:153], v[184:185]
	v_min_f64 v[222:223], v[154:155], v[184:185]
	;; [unrolled: 1-line block ×16, first 2 shown]
	s_waitcnt lgkmcnt(7)
	v_max_f64 v[188:189], v[188:189], v[188:189]
	v_max_f64 v[190:191], v[190:191], v[190:191]
	s_waitcnt lgkmcnt(6)
	v_max_f64 v[192:193], v[192:193], v[192:193]
	v_max_f64 v[194:195], v[194:195], v[194:195]
	;; [unrolled: 3-line block ×8, first 2 shown]
	v_min_f64 v[152:153], v[152:153], v[186:187]
	v_min_f64 v[154:155], v[154:155], v[186:187]
	;; [unrolled: 1-line block ×16, first 2 shown]
	s_add_i32 s21, s21, 8
	v_add_f64 v[126:127], v[220:221], v[126:127]
	v_add_f64 v[124:125], v[222:223], v[124:125]
	;; [unrolled: 1-line block ×15, first 2 shown]
	v_min_f64 v[220:221], v[188:189], v[184:185]
	v_min_f64 v[222:223], v[190:191], v[184:185]
	;; [unrolled: 1-line block ×16, first 2 shown]
	v_add_f64 v[62:63], v[152:153], v[62:63]
	v_add_f64 v[60:61], v[154:155], v[60:61]
	;; [unrolled: 1-line block ×16, first 2 shown]
	v_min_f64 v[152:153], v[188:189], v[186:187]
	v_min_f64 v[154:155], v[190:191], v[186:187]
	;; [unrolled: 1-line block ×16, first 2 shown]
	s_cmp_eq_u32 s21, 32
	v_add_f64 v[96:97], v[250:251], v[96:97]
	v_add_f64 v[94:95], v[220:221], v[94:95]
	;; [unrolled: 1-line block ×33, first 2 shown]
	s_cbranch_scc0 .LBB192_28
; %bb.29:                               ;   in Loop: Header=BB192_22 Depth=1
	ds_write2st64_b64 v144, v[132:133], v[134:135] offset1:4
	ds_write2st64_b64 v145, v[136:137], v[138:139] offset1:4
	s_and_b64 vcc, exec, s[4:5]
	v_add_u32_e32 v136, s3, v143
	s_waitcnt lgkmcnt(0)
	s_barrier
	s_cbranch_vccnz .LBB192_32
; %bb.30:                               ;   in Loop: Header=BB192_22 Depth=1
	v_mad_u64_u32 v[132:133], s[22:23], v136, s17, 0
	v_mov_b32_e32 v134, v133
	v_mad_u64_u32 v[134:135], s[22:23], v136, s24, v[134:135]
	v_mov_b32_e32 v133, v134
	v_lshl_add_u64 v[132:133], v[132:133], 3, v[128:129]
	flat_load_dwordx2 v[134:135], v[132:133]
	flat_load_dwordx2 v[138:139], v[132:133] offset:512
	s_waitcnt vmcnt(0) lgkmcnt(0)
	v_mul_f64 v[132:133], s[18:19], v[134:135]
	v_mul_f64 v[134:135], s[18:19], v[138:139]
	s_and_b64 vcc, exec, s[4:5]
	s_cbranch_vccnz .LBB192_33
.LBB192_31:                             ;   in Loop: Header=BB192_22 Depth=1
	v_mad_u64_u32 v[138:139], s[22:23], v136, s25, 0
	v_mov_b32_e32 v152, v139
	v_mad_u64_u32 v[136:137], s[22:23], v136, s26, v[152:153]
	v_mov_b32_e32 v139, v136
	v_lshl_add_u64 v[136:137], v[138:139], 3, v[130:131]
	flat_load_dwordx2 v[138:139], v[136:137]
	flat_load_dwordx2 v[152:153], v[136:137] offset:512
	s_waitcnt vmcnt(0) lgkmcnt(0)
	v_mul_f64 v[136:137], s[18:19], v[138:139]
	v_mul_f64 v[138:139], s[18:19], v[152:153]
	s_branch .LBB192_34
.LBB192_32:                             ;   in Loop: Header=BB192_22 Depth=1
	v_mov_b64_e32 v[132:133], 0
	v_mov_b64_e32 v[134:135], 0
	s_and_b64 vcc, exec, s[4:5]
	s_cbranch_vccz .LBB192_31
.LBB192_33:                             ;   in Loop: Header=BB192_22 Depth=1
	v_mov_b64_e32 v[136:137], 0
	v_mov_b64_e32 v[138:139], 0
.LBB192_34:                             ;   in Loop: Header=BB192_22 Depth=1
	s_mov_b32 s21, 0
.LBB192_35:                             ;   Parent Loop BB192_22 Depth=1
                                        ; =>  This Inner Loop Header: Depth=2
	v_add_u32_e32 v184, s21, v146
	v_add_u32_e32 v185, s21, v147
	ds_read2_b64 v[152:155], v184 offset1:16
	ds_read2_b64 v[156:159], v184 offset0:32 offset1:48
	ds_read2_b64 v[160:163], v184 offset0:64 offset1:80
	;; [unrolled: 1-line block ×7, first 2 shown]
	v_add_u32_e32 v216, 0x800, v184
	ds_read2st64_b64 v[184:187], v185 offset1:4
	ds_read2_b64 v[188:191], v216 offset1:16
	ds_read2_b64 v[192:195], v216 offset0:32 offset1:48
	ds_read2_b64 v[196:199], v216 offset0:64 offset1:80
	;; [unrolled: 1-line block ×7, first 2 shown]
	s_waitcnt lgkmcnt(14)
	v_max_f64 v[152:153], v[152:153], v[152:153]
	v_max_f64 v[154:155], v[154:155], v[154:155]
	;; [unrolled: 1-line block ×3, first 2 shown]
	s_waitcnt lgkmcnt(8)
	v_max_f64 v[184:185], v[184:185], v[184:185]
	v_max_f64 v[158:159], v[158:159], v[158:159]
	;; [unrolled: 1-line block ×15, first 2 shown]
	v_min_f64 v[220:221], v[152:153], v[184:185]
	v_min_f64 v[222:223], v[154:155], v[184:185]
	v_min_f64 v[224:225], v[156:157], v[184:185]
	v_min_f64 v[226:227], v[158:159], v[184:185]
	v_min_f64 v[228:229], v[160:161], v[184:185]
	v_min_f64 v[230:231], v[162:163], v[184:185]
	v_min_f64 v[232:233], v[164:165], v[184:185]
	v_min_f64 v[234:235], v[166:167], v[184:185]
	v_min_f64 v[236:237], v[168:169], v[184:185]
	v_min_f64 v[238:239], v[170:171], v[184:185]
	v_min_f64 v[240:241], v[172:173], v[184:185]
	v_min_f64 v[242:243], v[174:175], v[184:185]
	v_min_f64 v[244:245], v[176:177], v[184:185]
	v_min_f64 v[246:247], v[178:179], v[184:185]
	v_min_f64 v[248:249], v[180:181], v[184:185]
	v_min_f64 v[250:251], v[182:183], v[184:185]
	s_waitcnt lgkmcnt(7)
	v_max_f64 v[188:189], v[188:189], v[188:189]
	v_max_f64 v[190:191], v[190:191], v[190:191]
	s_waitcnt lgkmcnt(6)
	v_max_f64 v[192:193], v[192:193], v[192:193]
	v_max_f64 v[194:195], v[194:195], v[194:195]
	s_waitcnt lgkmcnt(5)
	v_max_f64 v[196:197], v[196:197], v[196:197]
	v_max_f64 v[198:199], v[198:199], v[198:199]
	s_waitcnt lgkmcnt(4)
	v_max_f64 v[200:201], v[200:201], v[200:201]
	v_max_f64 v[202:203], v[202:203], v[202:203]
	s_waitcnt lgkmcnt(3)
	v_max_f64 v[204:205], v[204:205], v[204:205]
	v_max_f64 v[206:207], v[206:207], v[206:207]
	s_waitcnt lgkmcnt(2)
	v_max_f64 v[208:209], v[208:209], v[208:209]
	v_max_f64 v[210:211], v[210:211], v[210:211]
	s_waitcnt lgkmcnt(1)
	v_max_f64 v[212:213], v[212:213], v[212:213]
	v_max_f64 v[214:215], v[214:215], v[214:215]
	s_waitcnt lgkmcnt(0)
	v_max_f64 v[216:217], v[216:217], v[216:217]
	v_max_f64 v[218:219], v[218:219], v[218:219]
	v_min_f64 v[152:153], v[152:153], v[186:187]
	v_min_f64 v[154:155], v[154:155], v[186:187]
	;; [unrolled: 1-line block ×16, first 2 shown]
	s_add_i32 s21, s21, 8
	v_add_f64 v[126:127], v[220:221], v[126:127]
	v_add_f64 v[124:125], v[222:223], v[124:125]
	v_add_f64 v[122:123], v[224:225], v[122:123]
	v_add_f64 v[120:121], v[226:227], v[120:121]
	v_add_f64 v[118:119], v[228:229], v[118:119]
	v_add_f64 v[116:117], v[230:231], v[116:117]
	v_add_f64 v[114:115], v[232:233], v[114:115]
	v_add_f64 v[112:113], v[234:235], v[112:113]
	v_add_f64 v[110:111], v[236:237], v[110:111]
	v_add_f64 v[108:109], v[238:239], v[108:109]
	v_add_f64 v[106:107], v[240:241], v[106:107]
	v_add_f64 v[104:105], v[242:243], v[104:105]
	v_add_f64 v[102:103], v[244:245], v[102:103]
	v_add_f64 v[100:101], v[246:247], v[100:101]
	v_add_f64 v[98:99], v[248:249], v[98:99]
	v_min_f64 v[220:221], v[188:189], v[184:185]
	v_min_f64 v[222:223], v[190:191], v[184:185]
	;; [unrolled: 1-line block ×16, first 2 shown]
	v_add_f64 v[62:63], v[152:153], v[62:63]
	v_add_f64 v[60:61], v[154:155], v[60:61]
	;; [unrolled: 1-line block ×16, first 2 shown]
	v_min_f64 v[152:153], v[188:189], v[186:187]
	v_min_f64 v[154:155], v[190:191], v[186:187]
	;; [unrolled: 1-line block ×16, first 2 shown]
	s_cmp_eq_u32 s21, 32
	v_add_f64 v[96:97], v[250:251], v[96:97]
	v_add_f64 v[94:95], v[220:221], v[94:95]
	;; [unrolled: 1-line block ×33, first 2 shown]
	s_cbranch_scc0 .LBB192_35
; %bb.36:                               ;   in Loop: Header=BB192_22 Depth=1
	s_add_i32 s3, s3, 8
	s_add_i32 s20, s20, 8
	s_cmp_ge_i32 s20, s2
	ds_write2st64_b64 v150, v[132:133], v[134:135] offset1:4
	ds_write2st64_b64 v151, v[136:137], v[138:139] offset1:4
	s_waitcnt lgkmcnt(0)
	s_barrier
	s_cbranch_scc0 .LBB192_22
.LBB192_37:
	s_mov_b32 s2, 0
.LBB192_38:                             ; =>This Inner Loop Header: Depth=1
	v_add_u32_e32 v146, s2, v148
	v_add_u32_e32 v147, s2, v149
	ds_read2_b64 v[128:131], v146 offset1:16
	ds_read2_b64 v[132:135], v146 offset0:32 offset1:48
	ds_read2_b64 v[136:139], v146 offset0:64 offset1:80
	;; [unrolled: 1-line block ×7, first 2 shown]
	v_add_u32_e32 v146, 0x800, v146
	ds_read2st64_b64 v[166:169], v147 offset1:4
	ds_read2_b64 v[170:173], v146 offset1:16
	ds_read2_b64 v[174:177], v146 offset0:32 offset1:48
	ds_read2_b64 v[178:181], v146 offset0:64 offset1:80
	;; [unrolled: 1-line block ×7, first 2 shown]
	s_waitcnt lgkmcnt(14)
	v_max_f64 v[128:129], v[128:129], v[128:129]
	v_max_f64 v[130:131], v[130:131], v[130:131]
	;; [unrolled: 1-line block ×3, first 2 shown]
	s_waitcnt lgkmcnt(8)
	v_max_f64 v[146:147], v[166:167], v[166:167]
	v_max_f64 v[134:135], v[134:135], v[134:135]
	;; [unrolled: 1-line block ×15, first 2 shown]
	v_min_f64 v[168:169], v[128:129], v[146:147]
	v_min_f64 v[202:203], v[130:131], v[146:147]
	;; [unrolled: 1-line block ×16, first 2 shown]
	s_waitcnt lgkmcnt(7)
	v_max_f64 v[170:171], v[170:171], v[170:171]
	v_max_f64 v[172:173], v[172:173], v[172:173]
	s_waitcnt lgkmcnt(6)
	v_max_f64 v[174:175], v[174:175], v[174:175]
	v_max_f64 v[176:177], v[176:177], v[176:177]
	;; [unrolled: 3-line block ×8, first 2 shown]
	v_min_f64 v[128:129], v[128:129], v[166:167]
	v_min_f64 v[130:131], v[130:131], v[166:167]
	;; [unrolled: 1-line block ×16, first 2 shown]
	s_add_i32 s2, s2, 8
	v_add_f64 v[126:127], v[168:169], v[126:127]
	v_add_f64 v[124:125], v[202:203], v[124:125]
	v_add_f64 v[122:123], v[204:205], v[122:123]
	v_add_f64 v[120:121], v[206:207], v[120:121]
	v_add_f64 v[118:119], v[208:209], v[118:119]
	v_add_f64 v[116:117], v[210:211], v[116:117]
	v_add_f64 v[114:115], v[212:213], v[114:115]
	v_add_f64 v[112:113], v[214:215], v[112:113]
	v_add_f64 v[110:111], v[216:217], v[110:111]
	v_add_f64 v[108:109], v[218:219], v[108:109]
	v_add_f64 v[106:107], v[220:221], v[106:107]
	v_add_f64 v[104:105], v[222:223], v[104:105]
	v_add_f64 v[102:103], v[224:225], v[102:103]
	v_add_f64 v[100:101], v[226:227], v[100:101]
	v_add_f64 v[98:99], v[228:229], v[98:99]
	v_min_f64 v[168:169], v[170:171], v[146:147]
	v_min_f64 v[202:203], v[172:173], v[146:147]
	;; [unrolled: 1-line block ×16, first 2 shown]
	v_add_f64 v[62:63], v[128:129], v[62:63]
	v_add_f64 v[60:61], v[130:131], v[60:61]
	;; [unrolled: 1-line block ×16, first 2 shown]
	v_min_f64 v[128:129], v[170:171], v[166:167]
	v_min_f64 v[130:131], v[172:173], v[166:167]
	;; [unrolled: 1-line block ×16, first 2 shown]
	s_cmp_eq_u32 s2, 32
	v_add_f64 v[96:97], v[230:231], v[96:97]
	v_add_f64 v[94:95], v[168:169], v[94:95]
	;; [unrolled: 1-line block ×33, first 2 shown]
	s_cbranch_scc0 .LBB192_38
; %bb.39:
	s_load_dwordx2 s[2:3], s[0:1], 0x78
	s_load_dword s4, s[0:1], 0x58
	s_load_dword s5, s[0:1], 0x70
	v_add_u32_e32 v130, s8, v140
	v_add_u32_e32 v170, s9, v141
	s_waitcnt lgkmcnt(0)
	s_mul_i32 s1, s16, s3
	s_mul_hi_u32 s3, s16, s2
	s_mul_i32 s0, s16, s2
	s_add_i32 s1, s3, s1
	s_lshl_b64 s[0:1], s[0:1], 3
	s_add_u32 s0, s10, s0
	s_addc_u32 s1, s11, s1
	v_add_u32_e32 v128, 4, v130
	v_mad_i64_i32 v[132:133], s[2:3], v170, s5, 0
	v_ashrrev_i32_e32 v131, 31, v130
	v_ashrrev_i32_e32 v129, 31, v128
	v_lshl_add_u64 v[138:139], v[132:133], 3, s[0:1]
	v_mad_i64_i32 v[132:133], s[2:3], v170, s4, 0
	s_mov_b64 vcc, s[6:7]
	s_cbranch_vccz .LBB192_42
; %bb.40:
	v_add_f64 v[134:135], v[126:127], 0
	v_lshl_add_u64 v[136:137], v[130:131], 3, v[138:139]
	s_mov_b64 s[2:3], 0
	global_store_dwordx2 v[136:137], v[134:135], off
	v_lshl_add_u64 v[146:147], v[132:133], 3, s[14:15]
	v_lshlrev_b64 v[134:135], 3, v[130:131]
	s_cbranch_execz .LBB192_43
; %bb.41:
	v_mov_b64_e32 v[136:137], s[2:3]
	s_branch .LBB192_44
.LBB192_42:
	s_mov_b64 s[2:3], -1
	v_lshl_add_u64 v[146:147], v[132:133], 3, s[14:15]
	v_lshlrev_b64 v[134:135], 3, v[130:131]
.LBB192_43:
	v_lshl_add_u64 v[132:133], v[146:147], 0, v[134:135]
	flat_load_dwordx2 v[132:133], v[132:133]
	v_lshl_add_u64 v[136:137], v[138:139], 0, v[134:135]
	s_waitcnt vmcnt(0) lgkmcnt(0)
	v_fmac_f64_e32 v[126:127], s[12:13], v[132:133]
	global_store_dwordx2 v[136:137], v[126:127], off
	v_lshl_add_u64 v[126:127], v[128:129], 3, v[146:147]
	flat_load_dwordx2 v[126:127], v[126:127]
	s_waitcnt vmcnt(0) lgkmcnt(0)
	v_mul_f64 v[136:137], s[12:13], v[126:127]
.LBB192_44:
	v_add_u32_e32 v132, 8, v130
	v_add_u32_e32 v126, 12, v130
	v_ashrrev_i32_e32 v133, 31, v132
	v_ashrrev_i32_e32 v127, 31, v126
	v_add_f64 v[124:125], v[124:125], v[136:137]
	v_lshl_add_u64 v[136:137], v[128:129], 3, v[138:139]
	s_mov_b64 vcc, s[6:7]
	global_store_dwordx2 v[136:137], v[124:125], off
	s_cbranch_vccz .LBB192_47
; %bb.45:
	v_add_f64 v[124:125], v[122:123], 0
	v_lshl_add_u64 v[136:137], v[132:133], 3, v[138:139]
	s_mov_b64 s[2:3], 0
	global_store_dwordx2 v[136:137], v[124:125], off
	v_lshlrev_b64 v[136:137], 3, v[132:133]
	s_cbranch_execz .LBB192_48
; %bb.46:
	v_mov_b64_e32 v[140:141], s[2:3]
	s_branch .LBB192_49
.LBB192_47:
	s_mov_b64 s[2:3], -1
	v_lshlrev_b64 v[136:137], 3, v[132:133]
.LBB192_48:
	v_lshl_add_u64 v[124:125], v[146:147], 0, v[136:137]
	flat_load_dwordx2 v[124:125], v[124:125]
	v_lshl_add_u64 v[140:141], v[138:139], 0, v[136:137]
	s_waitcnt vmcnt(0) lgkmcnt(0)
	v_fmac_f64_e32 v[122:123], s[12:13], v[124:125]
	global_store_dwordx2 v[140:141], v[122:123], off
	v_lshl_add_u64 v[122:123], v[126:127], 3, v[146:147]
	flat_load_dwordx2 v[122:123], v[122:123]
	s_waitcnt vmcnt(0) lgkmcnt(0)
	v_mul_f64 v[140:141], s[12:13], v[122:123]
.LBB192_49:
	v_add_u32_e32 v124, 16, v130
	v_add_u32_e32 v122, 20, v130
	v_ashrrev_i32_e32 v125, 31, v124
	v_ashrrev_i32_e32 v123, 31, v122
	v_add_f64 v[120:121], v[120:121], v[140:141]
	v_lshl_add_u64 v[140:141], v[126:127], 3, v[138:139]
	s_mov_b64 vcc, s[6:7]
	global_store_dwordx2 v[140:141], v[120:121], off
	s_cbranch_vccz .LBB192_52
; %bb.50:
	v_add_f64 v[120:121], v[118:119], 0
	v_lshl_add_u64 v[140:141], v[124:125], 3, v[138:139]
	s_mov_b64 s[2:3], 0
	global_store_dwordx2 v[140:141], v[120:121], off
	v_lshlrev_b64 v[140:141], 3, v[124:125]
	s_cbranch_execz .LBB192_53
; %bb.51:
	v_mov_b64_e32 v[142:143], s[2:3]
	s_branch .LBB192_54
.LBB192_52:
	s_mov_b64 s[2:3], -1
	v_lshlrev_b64 v[140:141], 3, v[124:125]
.LBB192_53:
	v_lshl_add_u64 v[120:121], v[146:147], 0, v[140:141]
	flat_load_dwordx2 v[120:121], v[120:121]
	v_lshl_add_u64 v[142:143], v[138:139], 0, v[140:141]
	s_waitcnt vmcnt(0) lgkmcnt(0)
	v_fmac_f64_e32 v[118:119], s[12:13], v[120:121]
	global_store_dwordx2 v[142:143], v[118:119], off
	v_lshl_add_u64 v[118:119], v[122:123], 3, v[146:147]
	flat_load_dwordx2 v[118:119], v[118:119]
	s_waitcnt vmcnt(0) lgkmcnt(0)
	v_mul_f64 v[142:143], s[12:13], v[118:119]
.LBB192_54:
	v_add_u32_e32 v120, 24, v130
	v_add_u32_e32 v118, 28, v130
	v_ashrrev_i32_e32 v121, 31, v120
	v_ashrrev_i32_e32 v119, 31, v118
	v_add_f64 v[116:117], v[116:117], v[142:143]
	v_lshl_add_u64 v[142:143], v[122:123], 3, v[138:139]
	s_mov_b64 vcc, s[6:7]
	global_store_dwordx2 v[142:143], v[116:117], off
	s_cbranch_vccz .LBB192_57
; %bb.55:
	v_add_f64 v[116:117], v[114:115], 0
	v_lshl_add_u64 v[142:143], v[120:121], 3, v[138:139]
	s_mov_b64 s[2:3], 0
	global_store_dwordx2 v[142:143], v[116:117], off
	v_lshlrev_b64 v[142:143], 3, v[120:121]
	s_cbranch_execz .LBB192_58
; %bb.56:
	v_mov_b64_e32 v[144:145], s[2:3]
	s_branch .LBB192_59
.LBB192_57:
	s_mov_b64 s[2:3], -1
	v_lshlrev_b64 v[142:143], 3, v[120:121]
.LBB192_58:
	v_lshl_add_u64 v[116:117], v[146:147], 0, v[142:143]
	flat_load_dwordx2 v[116:117], v[116:117]
	v_lshl_add_u64 v[144:145], v[138:139], 0, v[142:143]
	s_waitcnt vmcnt(0) lgkmcnt(0)
	v_fmac_f64_e32 v[114:115], s[12:13], v[116:117]
	global_store_dwordx2 v[144:145], v[114:115], off
	v_lshl_add_u64 v[114:115], v[118:119], 3, v[146:147]
	flat_load_dwordx2 v[114:115], v[114:115]
	s_waitcnt vmcnt(0) lgkmcnt(0)
	v_mul_f64 v[144:145], s[12:13], v[114:115]
.LBB192_59:
	v_add_u32_e32 v116, 32, v130
	v_add_u32_e32 v114, 36, v130
	v_ashrrev_i32_e32 v117, 31, v116
	v_ashrrev_i32_e32 v115, 31, v114
	v_add_f64 v[112:113], v[112:113], v[144:145]
	v_lshl_add_u64 v[144:145], v[118:119], 3, v[138:139]
	s_mov_b64 vcc, s[6:7]
	global_store_dwordx2 v[144:145], v[112:113], off
	s_cbranch_vccz .LBB192_62
; %bb.60:
	v_add_f64 v[112:113], v[110:111], 0
	v_lshl_add_u64 v[144:145], v[116:117], 3, v[138:139]
	s_mov_b64 s[2:3], 0
	global_store_dwordx2 v[144:145], v[112:113], off
	v_lshlrev_b64 v[144:145], 3, v[116:117]
	s_cbranch_execz .LBB192_63
; %bb.61:
	v_mov_b64_e32 v[148:149], s[2:3]
	s_branch .LBB192_64
.LBB192_62:
	s_mov_b64 s[2:3], -1
	v_lshlrev_b64 v[144:145], 3, v[116:117]
.LBB192_63:
	v_lshl_add_u64 v[112:113], v[146:147], 0, v[144:145]
	flat_load_dwordx2 v[112:113], v[112:113]
	v_lshl_add_u64 v[148:149], v[138:139], 0, v[144:145]
	s_waitcnt vmcnt(0) lgkmcnt(0)
	v_fmac_f64_e32 v[110:111], s[12:13], v[112:113]
	global_store_dwordx2 v[148:149], v[110:111], off
	v_lshl_add_u64 v[110:111], v[114:115], 3, v[146:147]
	flat_load_dwordx2 v[110:111], v[110:111]
	s_waitcnt vmcnt(0) lgkmcnt(0)
	v_mul_f64 v[148:149], s[12:13], v[110:111]
.LBB192_64:
	v_add_u32_e32 v112, 40, v130
	v_add_u32_e32 v110, 44, v130
	v_ashrrev_i32_e32 v113, 31, v112
	v_ashrrev_i32_e32 v111, 31, v110
	v_add_f64 v[108:109], v[108:109], v[148:149]
	v_lshl_add_u64 v[148:149], v[114:115], 3, v[138:139]
	s_mov_b64 vcc, s[6:7]
	global_store_dwordx2 v[148:149], v[108:109], off
	s_cbranch_vccz .LBB192_67
; %bb.65:
	v_add_f64 v[108:109], v[106:107], 0
	v_lshl_add_u64 v[148:149], v[112:113], 3, v[138:139]
	s_mov_b64 s[2:3], 0
	global_store_dwordx2 v[148:149], v[108:109], off
	v_lshlrev_b64 v[148:149], 3, v[112:113]
	s_cbranch_execz .LBB192_68
; %bb.66:
	v_mov_b64_e32 v[150:151], s[2:3]
	s_branch .LBB192_69
.LBB192_67:
	s_mov_b64 s[2:3], -1
	v_lshlrev_b64 v[148:149], 3, v[112:113]
.LBB192_68:
	v_lshl_add_u64 v[108:109], v[146:147], 0, v[148:149]
	flat_load_dwordx2 v[108:109], v[108:109]
	v_lshl_add_u64 v[150:151], v[138:139], 0, v[148:149]
	s_waitcnt vmcnt(0) lgkmcnt(0)
	v_fmac_f64_e32 v[106:107], s[12:13], v[108:109]
	global_store_dwordx2 v[150:151], v[106:107], off
	v_lshl_add_u64 v[106:107], v[110:111], 3, v[146:147]
	flat_load_dwordx2 v[106:107], v[106:107]
	s_waitcnt vmcnt(0) lgkmcnt(0)
	v_mul_f64 v[150:151], s[12:13], v[106:107]
.LBB192_69:
	v_add_u32_e32 v108, 48, v130
	v_add_u32_e32 v106, 52, v130
	v_ashrrev_i32_e32 v109, 31, v108
	v_ashrrev_i32_e32 v107, 31, v106
	v_add_f64 v[104:105], v[104:105], v[150:151]
	v_lshl_add_u64 v[150:151], v[110:111], 3, v[138:139]
	s_mov_b64 vcc, s[6:7]
	global_store_dwordx2 v[150:151], v[104:105], off
	s_cbranch_vccz .LBB192_72
; %bb.70:
	v_add_f64 v[104:105], v[102:103], 0
	v_lshl_add_u64 v[150:151], v[108:109], 3, v[138:139]
	s_mov_b64 s[2:3], 0
	global_store_dwordx2 v[150:151], v[104:105], off
	v_lshlrev_b64 v[150:151], 3, v[108:109]
	s_cbranch_execz .LBB192_73
; %bb.71:
	v_mov_b64_e32 v[152:153], s[2:3]
	s_branch .LBB192_74
.LBB192_72:
	s_mov_b64 s[2:3], -1
	v_lshlrev_b64 v[150:151], 3, v[108:109]
.LBB192_73:
	v_lshl_add_u64 v[104:105], v[146:147], 0, v[150:151]
	flat_load_dwordx2 v[104:105], v[104:105]
	v_lshl_add_u64 v[152:153], v[138:139], 0, v[150:151]
	s_waitcnt vmcnt(0) lgkmcnt(0)
	v_fmac_f64_e32 v[102:103], s[12:13], v[104:105]
	global_store_dwordx2 v[152:153], v[102:103], off
	v_lshl_add_u64 v[102:103], v[106:107], 3, v[146:147]
	flat_load_dwordx2 v[102:103], v[102:103]
	s_waitcnt vmcnt(0) lgkmcnt(0)
	v_mul_f64 v[152:153], s[12:13], v[102:103]
.LBB192_74:
	v_add_u32_e32 v104, 56, v130
	v_add_u32_e32 v102, 60, v130
	v_ashrrev_i32_e32 v105, 31, v104
	v_ashrrev_i32_e32 v103, 31, v102
	v_add_f64 v[100:101], v[100:101], v[152:153]
	v_lshl_add_u64 v[152:153], v[106:107], 3, v[138:139]
	s_mov_b64 vcc, s[6:7]
	global_store_dwordx2 v[152:153], v[100:101], off
	s_cbranch_vccz .LBB192_77
; %bb.75:
	v_add_f64 v[100:101], v[98:99], 0
	v_lshl_add_u64 v[152:153], v[104:105], 3, v[138:139]
	s_mov_b64 s[2:3], 0
	global_store_dwordx2 v[152:153], v[100:101], off
	v_lshlrev_b64 v[152:153], 3, v[104:105]
	s_cbranch_execz .LBB192_78
; %bb.76:
	v_mov_b64_e32 v[154:155], s[2:3]
	s_branch .LBB192_79
.LBB192_77:
	s_mov_b64 s[2:3], -1
	v_lshlrev_b64 v[152:153], 3, v[104:105]
.LBB192_78:
	v_lshl_add_u64 v[100:101], v[146:147], 0, v[152:153]
	flat_load_dwordx2 v[100:101], v[100:101]
	v_lshl_add_u64 v[154:155], v[138:139], 0, v[152:153]
	s_waitcnt vmcnt(0) lgkmcnt(0)
	v_fmac_f64_e32 v[98:99], s[12:13], v[100:101]
	global_store_dwordx2 v[154:155], v[98:99], off
	v_lshl_add_u64 v[98:99], v[102:103], 3, v[146:147]
	flat_load_dwordx2 v[98:99], v[98:99]
	s_waitcnt vmcnt(0) lgkmcnt(0)
	v_mul_f64 v[154:155], s[12:13], v[98:99]
.LBB192_79:
	v_add_u32_e32 v100, 64, v130
	v_add_u32_e32 v98, 0x44, v130
	v_ashrrev_i32_e32 v101, 31, v100
	v_ashrrev_i32_e32 v99, 31, v98
	v_add_f64 v[96:97], v[96:97], v[154:155]
	v_lshl_add_u64 v[154:155], v[102:103], 3, v[138:139]
	s_mov_b64 vcc, s[6:7]
	global_store_dwordx2 v[154:155], v[96:97], off
	s_cbranch_vccz .LBB192_82
; %bb.80:
	v_add_f64 v[96:97], v[94:95], 0
	v_lshl_add_u64 v[154:155], v[100:101], 3, v[138:139]
	s_mov_b64 s[2:3], 0
	global_store_dwordx2 v[154:155], v[96:97], off
	v_lshlrev_b64 v[154:155], 3, v[100:101]
	s_cbranch_execz .LBB192_83
; %bb.81:
	v_mov_b64_e32 v[156:157], s[2:3]
	s_branch .LBB192_84
.LBB192_82:
	s_mov_b64 s[2:3], -1
	v_lshlrev_b64 v[154:155], 3, v[100:101]
.LBB192_83:
	v_lshl_add_u64 v[96:97], v[146:147], 0, v[154:155]
	flat_load_dwordx2 v[96:97], v[96:97]
	v_lshl_add_u64 v[156:157], v[138:139], 0, v[154:155]
	s_waitcnt vmcnt(0) lgkmcnt(0)
	v_fmac_f64_e32 v[94:95], s[12:13], v[96:97]
	global_store_dwordx2 v[156:157], v[94:95], off
	v_lshl_add_u64 v[94:95], v[98:99], 3, v[146:147]
	flat_load_dwordx2 v[94:95], v[94:95]
	s_waitcnt vmcnt(0) lgkmcnt(0)
	v_mul_f64 v[156:157], s[12:13], v[94:95]
.LBB192_84:
	v_add_u32_e32 v96, 0x48, v130
	v_add_u32_e32 v94, 0x4c, v130
	v_ashrrev_i32_e32 v97, 31, v96
	v_ashrrev_i32_e32 v95, 31, v94
	v_add_f64 v[92:93], v[92:93], v[156:157]
	v_lshl_add_u64 v[156:157], v[98:99], 3, v[138:139]
	s_mov_b64 vcc, s[6:7]
	global_store_dwordx2 v[156:157], v[92:93], off
	s_cbranch_vccz .LBB192_87
; %bb.85:
	v_add_f64 v[92:93], v[90:91], 0
	v_lshl_add_u64 v[156:157], v[96:97], 3, v[138:139]
	s_mov_b64 s[2:3], 0
	global_store_dwordx2 v[156:157], v[92:93], off
	v_lshlrev_b64 v[156:157], 3, v[96:97]
	s_cbranch_execz .LBB192_88
; %bb.86:
	v_mov_b64_e32 v[158:159], s[2:3]
	s_branch .LBB192_89
.LBB192_87:
	s_mov_b64 s[2:3], -1
	v_lshlrev_b64 v[156:157], 3, v[96:97]
.LBB192_88:
	v_lshl_add_u64 v[92:93], v[146:147], 0, v[156:157]
	flat_load_dwordx2 v[92:93], v[92:93]
	v_lshl_add_u64 v[158:159], v[138:139], 0, v[156:157]
	s_waitcnt vmcnt(0) lgkmcnt(0)
	v_fmac_f64_e32 v[90:91], s[12:13], v[92:93]
	global_store_dwordx2 v[158:159], v[90:91], off
	v_lshl_add_u64 v[90:91], v[94:95], 3, v[146:147]
	flat_load_dwordx2 v[90:91], v[90:91]
	s_waitcnt vmcnt(0) lgkmcnt(0)
	v_mul_f64 v[158:159], s[12:13], v[90:91]
.LBB192_89:
	v_add_u32_e32 v92, 0x50, v130
	v_add_u32_e32 v90, 0x54, v130
	v_ashrrev_i32_e32 v93, 31, v92
	v_ashrrev_i32_e32 v91, 31, v90
	v_add_f64 v[88:89], v[88:89], v[158:159]
	v_lshl_add_u64 v[158:159], v[94:95], 3, v[138:139]
	s_mov_b64 vcc, s[6:7]
	global_store_dwordx2 v[158:159], v[88:89], off
	s_cbranch_vccz .LBB192_92
; %bb.90:
	v_add_f64 v[88:89], v[86:87], 0
	v_lshl_add_u64 v[158:159], v[92:93], 3, v[138:139]
	s_mov_b64 s[2:3], 0
	global_store_dwordx2 v[158:159], v[88:89], off
	v_lshlrev_b64 v[158:159], 3, v[92:93]
	s_cbranch_execz .LBB192_93
; %bb.91:
	v_mov_b64_e32 v[160:161], s[2:3]
	s_branch .LBB192_94
.LBB192_92:
	s_mov_b64 s[2:3], -1
	v_lshlrev_b64 v[158:159], 3, v[92:93]
.LBB192_93:
	v_lshl_add_u64 v[88:89], v[146:147], 0, v[158:159]
	flat_load_dwordx2 v[88:89], v[88:89]
	v_lshl_add_u64 v[160:161], v[138:139], 0, v[158:159]
	s_waitcnt vmcnt(0) lgkmcnt(0)
	v_fmac_f64_e32 v[86:87], s[12:13], v[88:89]
	global_store_dwordx2 v[160:161], v[86:87], off
	v_lshl_add_u64 v[86:87], v[90:91], 3, v[146:147]
	flat_load_dwordx2 v[86:87], v[86:87]
	s_waitcnt vmcnt(0) lgkmcnt(0)
	v_mul_f64 v[160:161], s[12:13], v[86:87]
.LBB192_94:
	v_add_u32_e32 v88, 0x58, v130
	v_add_u32_e32 v86, 0x5c, v130
	v_ashrrev_i32_e32 v89, 31, v88
	v_ashrrev_i32_e32 v87, 31, v86
	v_add_f64 v[84:85], v[84:85], v[160:161]
	v_lshl_add_u64 v[160:161], v[90:91], 3, v[138:139]
	s_mov_b64 vcc, s[6:7]
	global_store_dwordx2 v[160:161], v[84:85], off
	s_cbranch_vccz .LBB192_97
; %bb.95:
	v_add_f64 v[84:85], v[82:83], 0
	v_lshl_add_u64 v[160:161], v[88:89], 3, v[138:139]
	s_mov_b64 s[2:3], 0
	global_store_dwordx2 v[160:161], v[84:85], off
	v_lshlrev_b64 v[160:161], 3, v[88:89]
	s_cbranch_execz .LBB192_98
; %bb.96:
	v_mov_b64_e32 v[162:163], s[2:3]
	s_branch .LBB192_99
.LBB192_97:
	s_mov_b64 s[2:3], -1
	v_lshlrev_b64 v[160:161], 3, v[88:89]
.LBB192_98:
	v_lshl_add_u64 v[84:85], v[146:147], 0, v[160:161]
	flat_load_dwordx2 v[84:85], v[84:85]
	v_lshl_add_u64 v[162:163], v[138:139], 0, v[160:161]
	s_waitcnt vmcnt(0) lgkmcnt(0)
	v_fmac_f64_e32 v[82:83], s[12:13], v[84:85]
	global_store_dwordx2 v[162:163], v[82:83], off
	v_lshl_add_u64 v[82:83], v[86:87], 3, v[146:147]
	flat_load_dwordx2 v[82:83], v[82:83]
	s_waitcnt vmcnt(0) lgkmcnt(0)
	v_mul_f64 v[162:163], s[12:13], v[82:83]
.LBB192_99:
	v_add_u32_e32 v84, 0x60, v130
	v_add_u32_e32 v82, 0x64, v130
	v_ashrrev_i32_e32 v85, 31, v84
	v_ashrrev_i32_e32 v83, 31, v82
	v_add_f64 v[80:81], v[80:81], v[162:163]
	v_lshl_add_u64 v[162:163], v[86:87], 3, v[138:139]
	s_mov_b64 vcc, s[6:7]
	global_store_dwordx2 v[162:163], v[80:81], off
	s_cbranch_vccz .LBB192_102
; %bb.100:
	v_add_f64 v[80:81], v[78:79], 0
	v_lshl_add_u64 v[162:163], v[84:85], 3, v[138:139]
	s_mov_b64 s[2:3], 0
	global_store_dwordx2 v[162:163], v[80:81], off
	v_lshlrev_b64 v[162:163], 3, v[84:85]
	s_cbranch_execz .LBB192_103
; %bb.101:
	v_mov_b64_e32 v[164:165], s[2:3]
	s_branch .LBB192_104
.LBB192_102:
	s_mov_b64 s[2:3], -1
	v_lshlrev_b64 v[162:163], 3, v[84:85]
.LBB192_103:
	v_lshl_add_u64 v[80:81], v[146:147], 0, v[162:163]
	flat_load_dwordx2 v[80:81], v[80:81]
	v_lshl_add_u64 v[164:165], v[138:139], 0, v[162:163]
	s_waitcnt vmcnt(0) lgkmcnt(0)
	v_fmac_f64_e32 v[78:79], s[12:13], v[80:81]
	global_store_dwordx2 v[164:165], v[78:79], off
	v_lshl_add_u64 v[78:79], v[82:83], 3, v[146:147]
	flat_load_dwordx2 v[78:79], v[78:79]
	s_waitcnt vmcnt(0) lgkmcnt(0)
	v_mul_f64 v[164:165], s[12:13], v[78:79]
.LBB192_104:
	v_add_u32_e32 v80, 0x68, v130
	v_add_u32_e32 v78, 0x6c, v130
	v_ashrrev_i32_e32 v81, 31, v80
	v_ashrrev_i32_e32 v79, 31, v78
	v_add_f64 v[76:77], v[76:77], v[164:165]
	v_lshl_add_u64 v[164:165], v[82:83], 3, v[138:139]
	s_mov_b64 vcc, s[6:7]
	global_store_dwordx2 v[164:165], v[76:77], off
	s_cbranch_vccz .LBB192_107
; %bb.105:
	v_add_f64 v[76:77], v[74:75], 0
	v_lshl_add_u64 v[164:165], v[80:81], 3, v[138:139]
	s_mov_b64 s[2:3], 0
	global_store_dwordx2 v[164:165], v[76:77], off
	v_lshlrev_b64 v[164:165], 3, v[80:81]
	s_cbranch_execz .LBB192_108
; %bb.106:
	v_mov_b64_e32 v[166:167], s[2:3]
	s_branch .LBB192_109
.LBB192_107:
	s_mov_b64 s[2:3], -1
	v_lshlrev_b64 v[164:165], 3, v[80:81]
.LBB192_108:
	v_lshl_add_u64 v[76:77], v[146:147], 0, v[164:165]
	flat_load_dwordx2 v[76:77], v[76:77]
	v_lshl_add_u64 v[166:167], v[138:139], 0, v[164:165]
	s_waitcnt vmcnt(0) lgkmcnt(0)
	v_fmac_f64_e32 v[74:75], s[12:13], v[76:77]
	global_store_dwordx2 v[166:167], v[74:75], off
	v_lshl_add_u64 v[74:75], v[78:79], 3, v[146:147]
	flat_load_dwordx2 v[74:75], v[74:75]
	s_waitcnt vmcnt(0) lgkmcnt(0)
	v_mul_f64 v[166:167], s[12:13], v[74:75]
.LBB192_109:
	v_add_u32_e32 v76, 0x70, v130
	v_add_u32_e32 v74, 0x74, v130
	v_ashrrev_i32_e32 v77, 31, v76
	v_ashrrev_i32_e32 v75, 31, v74
	v_add_f64 v[72:73], v[72:73], v[166:167]
	v_lshl_add_u64 v[166:167], v[78:79], 3, v[138:139]
	s_mov_b64 vcc, s[6:7]
	global_store_dwordx2 v[166:167], v[72:73], off
	s_cbranch_vccz .LBB192_112
; %bb.110:
	v_add_f64 v[72:73], v[70:71], 0
	v_lshl_add_u64 v[166:167], v[76:77], 3, v[138:139]
	s_mov_b64 s[2:3], 0
	global_store_dwordx2 v[166:167], v[72:73], off
	v_lshlrev_b64 v[166:167], 3, v[76:77]
	s_cbranch_execz .LBB192_113
; %bb.111:
	v_mov_b64_e32 v[168:169], s[2:3]
	s_branch .LBB192_114
.LBB192_112:
	s_mov_b64 s[2:3], -1
	v_lshlrev_b64 v[166:167], 3, v[76:77]
.LBB192_113:
	v_lshl_add_u64 v[72:73], v[146:147], 0, v[166:167]
	flat_load_dwordx2 v[72:73], v[72:73]
	v_lshl_add_u64 v[168:169], v[138:139], 0, v[166:167]
	s_waitcnt vmcnt(0) lgkmcnt(0)
	v_fmac_f64_e32 v[70:71], s[12:13], v[72:73]
	global_store_dwordx2 v[168:169], v[70:71], off
	v_lshl_add_u64 v[70:71], v[74:75], 3, v[146:147]
	flat_load_dwordx2 v[70:71], v[70:71]
	s_waitcnt vmcnt(0) lgkmcnt(0)
	v_mul_f64 v[168:169], s[12:13], v[70:71]
.LBB192_114:
	v_add_u32_e32 v72, 0x78, v130
	v_add_u32_e32 v70, 0x7c, v130
	v_ashrrev_i32_e32 v73, 31, v72
	v_ashrrev_i32_e32 v71, 31, v70
	v_add_f64 v[68:69], v[68:69], v[168:169]
	v_lshl_add_u64 v[168:169], v[74:75], 3, v[138:139]
	s_mov_b64 vcc, s[6:7]
	global_store_dwordx2 v[168:169], v[68:69], off
	s_cbranch_vccz .LBB192_117
; %bb.115:
	v_add_f64 v[68:69], v[66:67], 0
	v_lshl_add_u64 v[168:169], v[72:73], 3, v[138:139]
	s_mov_b64 s[2:3], 0
	global_store_dwordx2 v[168:169], v[68:69], off
	v_lshlrev_b64 v[68:69], 3, v[72:73]
	s_cbranch_execz .LBB192_118
; %bb.116:
	v_mov_b64_e32 v[66:67], s[2:3]
	s_branch .LBB192_119
.LBB192_117:
	s_mov_b64 s[2:3], -1
	v_lshlrev_b64 v[68:69], 3, v[72:73]
.LBB192_118:
	v_lshl_add_u64 v[168:169], v[146:147], 0, v[68:69]
	flat_load_dwordx2 v[168:169], v[168:169]
	v_lshl_add_u64 v[172:173], v[138:139], 0, v[68:69]
	s_waitcnt vmcnt(0) lgkmcnt(0)
	v_fmac_f64_e32 v[66:67], s[12:13], v[168:169]
	global_store_dwordx2 v[172:173], v[66:67], off
	v_lshl_add_u64 v[66:67], v[70:71], 3, v[146:147]
	flat_load_dwordx2 v[66:67], v[66:67]
	s_waitcnt vmcnt(0) lgkmcnt(0)
	v_mul_f64 v[66:67], s[12:13], v[66:67]
.LBB192_119:
	v_add_f64 v[64:65], v[64:65], v[66:67]
	v_lshl_add_u64 v[66:67], v[70:71], 3, v[138:139]
	global_store_dwordx2 v[66:67], v[64:65], off
	v_add_u32_e32 v66, 64, v170
	v_mad_i64_i32 v[64:65], s[2:3], v66, s5, 0
	v_lshl_add_u64 v[64:65], v[64:65], 3, s[0:1]
	v_mad_i64_i32 v[66:67], s[0:1], v66, s4, 0
	s_mov_b64 vcc, s[6:7]
	s_cbranch_vccz .LBB192_122
; %bb.120:
	v_add_f64 v[138:139], v[62:63], 0
	v_lshl_add_u64 v[130:131], v[130:131], 3, v[64:65]
	s_mov_b64 s[0:1], 0
	global_store_dwordx2 v[130:131], v[138:139], off
	v_lshl_add_u64 v[66:67], v[66:67], 3, s[14:15]
	s_cbranch_execz .LBB192_123
; %bb.121:
	v_mov_b64_e32 v[62:63], s[0:1]
	s_branch .LBB192_124
.LBB192_122:
	s_mov_b64 s[0:1], -1
	v_lshl_add_u64 v[66:67], v[66:67], 3, s[14:15]
.LBB192_123:
	v_lshl_add_u64 v[130:131], v[66:67], 0, v[134:135]
	flat_load_dwordx2 v[130:131], v[130:131]
	v_lshl_add_u64 v[134:135], v[64:65], 0, v[134:135]
	s_waitcnt vmcnt(0) lgkmcnt(0)
	v_fmac_f64_e32 v[62:63], s[12:13], v[130:131]
	global_store_dwordx2 v[134:135], v[62:63], off
	v_lshl_add_u64 v[62:63], v[128:129], 3, v[66:67]
	flat_load_dwordx2 v[62:63], v[62:63]
	s_waitcnt vmcnt(0) lgkmcnt(0)
	v_mul_f64 v[62:63], s[12:13], v[62:63]
.LBB192_124:
	v_add_f64 v[60:61], v[60:61], v[62:63]
	v_lshl_add_u64 v[62:63], v[128:129], 3, v[64:65]
	s_mov_b64 vcc, s[6:7]
	global_store_dwordx2 v[62:63], v[60:61], off
	s_cbranch_vccz .LBB192_127
; %bb.125:
	v_add_f64 v[60:61], v[58:59], 0
	v_lshl_add_u64 v[62:63], v[132:133], 3, v[64:65]
	s_mov_b64 s[0:1], 0
	global_store_dwordx2 v[62:63], v[60:61], off
	s_cbranch_execz .LBB192_128
; %bb.126:
	v_mov_b64_e32 v[58:59], s[0:1]
	s_branch .LBB192_129
.LBB192_127:
	s_mov_b64 s[0:1], -1
.LBB192_128:
	v_lshl_add_u64 v[60:61], v[66:67], 0, v[136:137]
	flat_load_dwordx2 v[60:61], v[60:61]
	v_lshl_add_u64 v[62:63], v[64:65], 0, v[136:137]
	s_waitcnt vmcnt(0) lgkmcnt(0)
	v_fmac_f64_e32 v[58:59], s[12:13], v[60:61]
	global_store_dwordx2 v[62:63], v[58:59], off
	v_lshl_add_u64 v[58:59], v[126:127], 3, v[66:67]
	flat_load_dwordx2 v[58:59], v[58:59]
	s_waitcnt vmcnt(0) lgkmcnt(0)
	v_mul_f64 v[58:59], s[12:13], v[58:59]
.LBB192_129:
	v_add_f64 v[56:57], v[56:57], v[58:59]
	v_lshl_add_u64 v[58:59], v[126:127], 3, v[64:65]
	s_mov_b64 vcc, s[6:7]
	global_store_dwordx2 v[58:59], v[56:57], off
	s_cbranch_vccz .LBB192_132
; %bb.130:
	v_add_f64 v[56:57], v[54:55], 0
	v_lshl_add_u64 v[58:59], v[124:125], 3, v[64:65]
	s_mov_b64 s[0:1], 0
	global_store_dwordx2 v[58:59], v[56:57], off
	s_cbranch_execz .LBB192_133
; %bb.131:
	v_mov_b64_e32 v[54:55], s[0:1]
	s_branch .LBB192_134
.LBB192_132:
	s_mov_b64 s[0:1], -1
.LBB192_133:
	v_lshl_add_u64 v[56:57], v[66:67], 0, v[140:141]
	flat_load_dwordx2 v[56:57], v[56:57]
	v_lshl_add_u64 v[58:59], v[64:65], 0, v[140:141]
	s_waitcnt vmcnt(0) lgkmcnt(0)
	v_fmac_f64_e32 v[54:55], s[12:13], v[56:57]
	global_store_dwordx2 v[58:59], v[54:55], off
	v_lshl_add_u64 v[54:55], v[122:123], 3, v[66:67]
	flat_load_dwordx2 v[54:55], v[54:55]
	s_waitcnt vmcnt(0) lgkmcnt(0)
	v_mul_f64 v[54:55], s[12:13], v[54:55]
.LBB192_134:
	v_add_f64 v[52:53], v[52:53], v[54:55]
	v_lshl_add_u64 v[54:55], v[122:123], 3, v[64:65]
	s_mov_b64 vcc, s[6:7]
	global_store_dwordx2 v[54:55], v[52:53], off
	s_cbranch_vccz .LBB192_137
; %bb.135:
	v_add_f64 v[52:53], v[50:51], 0
	v_lshl_add_u64 v[54:55], v[120:121], 3, v[64:65]
	s_mov_b64 s[0:1], 0
	global_store_dwordx2 v[54:55], v[52:53], off
	s_cbranch_execz .LBB192_138
; %bb.136:
	v_mov_b64_e32 v[50:51], s[0:1]
	s_branch .LBB192_139
.LBB192_137:
	s_mov_b64 s[0:1], -1
.LBB192_138:
	v_lshl_add_u64 v[52:53], v[66:67], 0, v[142:143]
	flat_load_dwordx2 v[52:53], v[52:53]
	v_lshl_add_u64 v[54:55], v[64:65], 0, v[142:143]
	s_waitcnt vmcnt(0) lgkmcnt(0)
	v_fmac_f64_e32 v[50:51], s[12:13], v[52:53]
	global_store_dwordx2 v[54:55], v[50:51], off
	v_lshl_add_u64 v[50:51], v[118:119], 3, v[66:67]
	flat_load_dwordx2 v[50:51], v[50:51]
	s_waitcnt vmcnt(0) lgkmcnt(0)
	v_mul_f64 v[50:51], s[12:13], v[50:51]
.LBB192_139:
	v_add_f64 v[48:49], v[48:49], v[50:51]
	v_lshl_add_u64 v[50:51], v[118:119], 3, v[64:65]
	s_mov_b64 vcc, s[6:7]
	global_store_dwordx2 v[50:51], v[48:49], off
	s_cbranch_vccz .LBB192_142
; %bb.140:
	v_add_f64 v[48:49], v[46:47], 0
	v_lshl_add_u64 v[50:51], v[116:117], 3, v[64:65]
	s_mov_b64 s[0:1], 0
	global_store_dwordx2 v[50:51], v[48:49], off
	s_cbranch_execz .LBB192_143
; %bb.141:
	v_mov_b64_e32 v[46:47], s[0:1]
	s_branch .LBB192_144
.LBB192_142:
	s_mov_b64 s[0:1], -1
.LBB192_143:
	v_lshl_add_u64 v[48:49], v[66:67], 0, v[144:145]
	flat_load_dwordx2 v[48:49], v[48:49]
	v_lshl_add_u64 v[50:51], v[64:65], 0, v[144:145]
	s_waitcnt vmcnt(0) lgkmcnt(0)
	v_fmac_f64_e32 v[46:47], s[12:13], v[48:49]
	global_store_dwordx2 v[50:51], v[46:47], off
	v_lshl_add_u64 v[46:47], v[114:115], 3, v[66:67]
	flat_load_dwordx2 v[46:47], v[46:47]
	s_waitcnt vmcnt(0) lgkmcnt(0)
	v_mul_f64 v[46:47], s[12:13], v[46:47]
.LBB192_144:
	v_add_f64 v[44:45], v[44:45], v[46:47]
	v_lshl_add_u64 v[46:47], v[114:115], 3, v[64:65]
	s_mov_b64 vcc, s[6:7]
	global_store_dwordx2 v[46:47], v[44:45], off
	s_cbranch_vccz .LBB192_147
; %bb.145:
	v_add_f64 v[44:45], v[42:43], 0
	v_lshl_add_u64 v[46:47], v[112:113], 3, v[64:65]
	s_mov_b64 s[0:1], 0
	global_store_dwordx2 v[46:47], v[44:45], off
	s_cbranch_execz .LBB192_148
; %bb.146:
	v_mov_b64_e32 v[42:43], s[0:1]
	s_branch .LBB192_149
.LBB192_147:
	s_mov_b64 s[0:1], -1
.LBB192_148:
	v_lshl_add_u64 v[44:45], v[66:67], 0, v[148:149]
	flat_load_dwordx2 v[44:45], v[44:45]
	v_lshl_add_u64 v[46:47], v[64:65], 0, v[148:149]
	s_waitcnt vmcnt(0) lgkmcnt(0)
	v_fmac_f64_e32 v[42:43], s[12:13], v[44:45]
	global_store_dwordx2 v[46:47], v[42:43], off
	v_lshl_add_u64 v[42:43], v[110:111], 3, v[66:67]
	flat_load_dwordx2 v[42:43], v[42:43]
	s_waitcnt vmcnt(0) lgkmcnt(0)
	v_mul_f64 v[42:43], s[12:13], v[42:43]
.LBB192_149:
	v_add_f64 v[40:41], v[40:41], v[42:43]
	v_lshl_add_u64 v[42:43], v[110:111], 3, v[64:65]
	s_mov_b64 vcc, s[6:7]
	global_store_dwordx2 v[42:43], v[40:41], off
	s_cbranch_vccz .LBB192_152
; %bb.150:
	v_add_f64 v[40:41], v[38:39], 0
	v_lshl_add_u64 v[42:43], v[108:109], 3, v[64:65]
	s_mov_b64 s[0:1], 0
	global_store_dwordx2 v[42:43], v[40:41], off
	s_cbranch_execz .LBB192_153
; %bb.151:
	v_mov_b64_e32 v[38:39], s[0:1]
	s_branch .LBB192_154
.LBB192_152:
	s_mov_b64 s[0:1], -1
.LBB192_153:
	v_lshl_add_u64 v[40:41], v[66:67], 0, v[150:151]
	flat_load_dwordx2 v[40:41], v[40:41]
	v_lshl_add_u64 v[42:43], v[64:65], 0, v[150:151]
	s_waitcnt vmcnt(0) lgkmcnt(0)
	v_fmac_f64_e32 v[38:39], s[12:13], v[40:41]
	global_store_dwordx2 v[42:43], v[38:39], off
	v_lshl_add_u64 v[38:39], v[106:107], 3, v[66:67]
	flat_load_dwordx2 v[38:39], v[38:39]
	s_waitcnt vmcnt(0) lgkmcnt(0)
	v_mul_f64 v[38:39], s[12:13], v[38:39]
.LBB192_154:
	v_add_f64 v[36:37], v[36:37], v[38:39]
	v_lshl_add_u64 v[38:39], v[106:107], 3, v[64:65]
	s_mov_b64 vcc, s[6:7]
	global_store_dwordx2 v[38:39], v[36:37], off
	s_cbranch_vccz .LBB192_157
; %bb.155:
	v_add_f64 v[36:37], v[34:35], 0
	v_lshl_add_u64 v[38:39], v[104:105], 3, v[64:65]
	s_mov_b64 s[0:1], 0
	global_store_dwordx2 v[38:39], v[36:37], off
	s_cbranch_execz .LBB192_158
; %bb.156:
	v_mov_b64_e32 v[34:35], s[0:1]
	s_branch .LBB192_159
.LBB192_157:
	s_mov_b64 s[0:1], -1
.LBB192_158:
	v_lshl_add_u64 v[36:37], v[66:67], 0, v[152:153]
	flat_load_dwordx2 v[36:37], v[36:37]
	v_lshl_add_u64 v[38:39], v[64:65], 0, v[152:153]
	s_waitcnt vmcnt(0) lgkmcnt(0)
	v_fmac_f64_e32 v[34:35], s[12:13], v[36:37]
	global_store_dwordx2 v[38:39], v[34:35], off
	v_lshl_add_u64 v[34:35], v[102:103], 3, v[66:67]
	flat_load_dwordx2 v[34:35], v[34:35]
	s_waitcnt vmcnt(0) lgkmcnt(0)
	v_mul_f64 v[34:35], s[12:13], v[34:35]
.LBB192_159:
	v_add_f64 v[32:33], v[32:33], v[34:35]
	v_lshl_add_u64 v[34:35], v[102:103], 3, v[64:65]
	s_mov_b64 vcc, s[6:7]
	global_store_dwordx2 v[34:35], v[32:33], off
	s_cbranch_vccz .LBB192_162
; %bb.160:
	v_add_f64 v[32:33], v[30:31], 0
	v_lshl_add_u64 v[34:35], v[100:101], 3, v[64:65]
	s_mov_b64 s[0:1], 0
	global_store_dwordx2 v[34:35], v[32:33], off
	s_cbranch_execz .LBB192_163
; %bb.161:
	v_mov_b64_e32 v[30:31], s[0:1]
	s_branch .LBB192_164
.LBB192_162:
	s_mov_b64 s[0:1], -1
.LBB192_163:
	v_lshl_add_u64 v[32:33], v[66:67], 0, v[154:155]
	flat_load_dwordx2 v[32:33], v[32:33]
	v_lshl_add_u64 v[34:35], v[64:65], 0, v[154:155]
	s_waitcnt vmcnt(0) lgkmcnt(0)
	v_fmac_f64_e32 v[30:31], s[12:13], v[32:33]
	global_store_dwordx2 v[34:35], v[30:31], off
	v_lshl_add_u64 v[30:31], v[98:99], 3, v[66:67]
	flat_load_dwordx2 v[30:31], v[30:31]
	s_waitcnt vmcnt(0) lgkmcnt(0)
	v_mul_f64 v[30:31], s[12:13], v[30:31]
.LBB192_164:
	v_add_f64 v[28:29], v[28:29], v[30:31]
	v_lshl_add_u64 v[30:31], v[98:99], 3, v[64:65]
	s_mov_b64 vcc, s[6:7]
	global_store_dwordx2 v[30:31], v[28:29], off
	s_cbranch_vccz .LBB192_167
; %bb.165:
	v_add_f64 v[28:29], v[26:27], 0
	v_lshl_add_u64 v[30:31], v[96:97], 3, v[64:65]
	s_mov_b64 s[0:1], 0
	global_store_dwordx2 v[30:31], v[28:29], off
	s_cbranch_execz .LBB192_168
; %bb.166:
	v_mov_b64_e32 v[26:27], s[0:1]
	s_branch .LBB192_169
.LBB192_167:
	s_mov_b64 s[0:1], -1
.LBB192_168:
	v_lshl_add_u64 v[28:29], v[66:67], 0, v[156:157]
	flat_load_dwordx2 v[28:29], v[28:29]
	v_lshl_add_u64 v[30:31], v[64:65], 0, v[156:157]
	s_waitcnt vmcnt(0) lgkmcnt(0)
	v_fmac_f64_e32 v[26:27], s[12:13], v[28:29]
	global_store_dwordx2 v[30:31], v[26:27], off
	v_lshl_add_u64 v[26:27], v[94:95], 3, v[66:67]
	flat_load_dwordx2 v[26:27], v[26:27]
	s_waitcnt vmcnt(0) lgkmcnt(0)
	v_mul_f64 v[26:27], s[12:13], v[26:27]
.LBB192_169:
	v_add_f64 v[24:25], v[24:25], v[26:27]
	v_lshl_add_u64 v[26:27], v[94:95], 3, v[64:65]
	s_mov_b64 vcc, s[6:7]
	global_store_dwordx2 v[26:27], v[24:25], off
	s_cbranch_vccz .LBB192_172
; %bb.170:
	v_add_f64 v[24:25], v[22:23], 0
	v_lshl_add_u64 v[26:27], v[92:93], 3, v[64:65]
	s_mov_b64 s[0:1], 0
	global_store_dwordx2 v[26:27], v[24:25], off
	s_cbranch_execz .LBB192_173
; %bb.171:
	v_mov_b64_e32 v[22:23], s[0:1]
	s_branch .LBB192_174
.LBB192_172:
	s_mov_b64 s[0:1], -1
.LBB192_173:
	v_lshl_add_u64 v[24:25], v[66:67], 0, v[158:159]
	flat_load_dwordx2 v[24:25], v[24:25]
	v_lshl_add_u64 v[26:27], v[64:65], 0, v[158:159]
	s_waitcnt vmcnt(0) lgkmcnt(0)
	v_fmac_f64_e32 v[22:23], s[12:13], v[24:25]
	global_store_dwordx2 v[26:27], v[22:23], off
	v_lshl_add_u64 v[22:23], v[90:91], 3, v[66:67]
	flat_load_dwordx2 v[22:23], v[22:23]
	s_waitcnt vmcnt(0) lgkmcnt(0)
	v_mul_f64 v[22:23], s[12:13], v[22:23]
.LBB192_174:
	v_add_f64 v[20:21], v[20:21], v[22:23]
	v_lshl_add_u64 v[22:23], v[90:91], 3, v[64:65]
	s_mov_b64 vcc, s[6:7]
	global_store_dwordx2 v[22:23], v[20:21], off
	s_cbranch_vccz .LBB192_177
; %bb.175:
	v_add_f64 v[20:21], v[18:19], 0
	v_lshl_add_u64 v[22:23], v[88:89], 3, v[64:65]
	s_mov_b64 s[0:1], 0
	global_store_dwordx2 v[22:23], v[20:21], off
	s_cbranch_execz .LBB192_178
; %bb.176:
	v_mov_b64_e32 v[18:19], s[0:1]
	s_branch .LBB192_179
.LBB192_177:
	s_mov_b64 s[0:1], -1
.LBB192_178:
	v_lshl_add_u64 v[20:21], v[66:67], 0, v[160:161]
	flat_load_dwordx2 v[20:21], v[20:21]
	v_lshl_add_u64 v[22:23], v[64:65], 0, v[160:161]
	s_waitcnt vmcnt(0) lgkmcnt(0)
	v_fmac_f64_e32 v[18:19], s[12:13], v[20:21]
	global_store_dwordx2 v[22:23], v[18:19], off
	v_lshl_add_u64 v[18:19], v[86:87], 3, v[66:67]
	flat_load_dwordx2 v[18:19], v[18:19]
	s_waitcnt vmcnt(0) lgkmcnt(0)
	v_mul_f64 v[18:19], s[12:13], v[18:19]
.LBB192_179:
	v_add_f64 v[16:17], v[16:17], v[18:19]
	v_lshl_add_u64 v[18:19], v[86:87], 3, v[64:65]
	s_mov_b64 vcc, s[6:7]
	global_store_dwordx2 v[18:19], v[16:17], off
	s_cbranch_vccz .LBB192_182
; %bb.180:
	v_add_f64 v[16:17], v[14:15], 0
	v_lshl_add_u64 v[18:19], v[84:85], 3, v[64:65]
	s_mov_b64 s[0:1], 0
	global_store_dwordx2 v[18:19], v[16:17], off
	s_cbranch_execz .LBB192_183
; %bb.181:
	v_mov_b64_e32 v[14:15], s[0:1]
	s_branch .LBB192_184
.LBB192_182:
	s_mov_b64 s[0:1], -1
.LBB192_183:
	v_lshl_add_u64 v[16:17], v[66:67], 0, v[162:163]
	flat_load_dwordx2 v[16:17], v[16:17]
	v_lshl_add_u64 v[18:19], v[64:65], 0, v[162:163]
	s_waitcnt vmcnt(0) lgkmcnt(0)
	v_fmac_f64_e32 v[14:15], s[12:13], v[16:17]
	global_store_dwordx2 v[18:19], v[14:15], off
	v_lshl_add_u64 v[14:15], v[82:83], 3, v[66:67]
	flat_load_dwordx2 v[14:15], v[14:15]
	s_waitcnt vmcnt(0) lgkmcnt(0)
	v_mul_f64 v[14:15], s[12:13], v[14:15]
.LBB192_184:
	v_add_f64 v[12:13], v[12:13], v[14:15]
	v_lshl_add_u64 v[14:15], v[82:83], 3, v[64:65]
	s_mov_b64 vcc, s[6:7]
	global_store_dwordx2 v[14:15], v[12:13], off
	s_cbranch_vccz .LBB192_187
; %bb.185:
	v_add_f64 v[12:13], v[10:11], 0
	v_lshl_add_u64 v[14:15], v[80:81], 3, v[64:65]
	s_mov_b64 s[0:1], 0
	global_store_dwordx2 v[14:15], v[12:13], off
	s_cbranch_execz .LBB192_188
; %bb.186:
	v_mov_b64_e32 v[10:11], s[0:1]
	s_branch .LBB192_189
.LBB192_187:
	s_mov_b64 s[0:1], -1
.LBB192_188:
	v_lshl_add_u64 v[12:13], v[66:67], 0, v[164:165]
	flat_load_dwordx2 v[12:13], v[12:13]
	v_lshl_add_u64 v[14:15], v[64:65], 0, v[164:165]
	s_waitcnt vmcnt(0) lgkmcnt(0)
	v_fmac_f64_e32 v[10:11], s[12:13], v[12:13]
	global_store_dwordx2 v[14:15], v[10:11], off
	v_lshl_add_u64 v[10:11], v[78:79], 3, v[66:67]
	flat_load_dwordx2 v[10:11], v[10:11]
	s_waitcnt vmcnt(0) lgkmcnt(0)
	v_mul_f64 v[10:11], s[12:13], v[10:11]
.LBB192_189:
	v_add_f64 v[8:9], v[8:9], v[10:11]
	v_lshl_add_u64 v[10:11], v[78:79], 3, v[64:65]
	s_mov_b64 vcc, s[6:7]
	global_store_dwordx2 v[10:11], v[8:9], off
	s_cbranch_vccz .LBB192_192
; %bb.190:
	v_add_f64 v[8:9], v[6:7], 0
	v_lshl_add_u64 v[10:11], v[76:77], 3, v[64:65]
	s_mov_b64 s[0:1], 0
	global_store_dwordx2 v[10:11], v[8:9], off
	s_cbranch_execz .LBB192_193
; %bb.191:
	v_mov_b64_e32 v[6:7], s[0:1]
	s_branch .LBB192_194
.LBB192_192:
	s_mov_b64 s[0:1], -1
.LBB192_193:
	v_lshl_add_u64 v[8:9], v[66:67], 0, v[166:167]
	flat_load_dwordx2 v[8:9], v[8:9]
	v_lshl_add_u64 v[10:11], v[64:65], 0, v[166:167]
	s_waitcnt vmcnt(0) lgkmcnt(0)
	v_fmac_f64_e32 v[6:7], s[12:13], v[8:9]
	global_store_dwordx2 v[10:11], v[6:7], off
	v_lshl_add_u64 v[6:7], v[74:75], 3, v[66:67]
	flat_load_dwordx2 v[6:7], v[6:7]
	s_waitcnt vmcnt(0) lgkmcnt(0)
	v_mul_f64 v[6:7], s[12:13], v[6:7]
.LBB192_194:
	v_add_f64 v[4:5], v[4:5], v[6:7]
	v_lshl_add_u64 v[6:7], v[74:75], 3, v[64:65]
	s_mov_b64 vcc, s[6:7]
	global_store_dwordx2 v[6:7], v[4:5], off
	s_cbranch_vccz .LBB192_197
; %bb.195:
	v_add_f64 v[4:5], v[2:3], 0
	v_lshl_add_u64 v[6:7], v[72:73], 3, v[64:65]
	s_mov_b64 s[0:1], 0
	global_store_dwordx2 v[6:7], v[4:5], off
	s_cbranch_execz .LBB192_198
; %bb.196:
	v_mov_b64_e32 v[2:3], s[0:1]
	v_add_f64 v[0:1], v[0:1], v[2:3]
	v_lshl_add_u64 v[2:3], v[70:71], 3, v[64:65]
	global_store_dwordx2 v[2:3], v[0:1], off
	s_endpgm
.LBB192_197:
	s_mov_b64 s[0:1], -1
.LBB192_198:
	v_lshl_add_u64 v[4:5], v[66:67], 0, v[68:69]
	flat_load_dwordx2 v[4:5], v[4:5]
	v_lshl_add_u64 v[6:7], v[64:65], 0, v[68:69]
	s_waitcnt vmcnt(0) lgkmcnt(0)
	v_fmac_f64_e32 v[2:3], s[12:13], v[4:5]
	global_store_dwordx2 v[6:7], v[2:3], off
	v_lshl_add_u64 v[2:3], v[70:71], 3, v[66:67]
	flat_load_dwordx2 v[2:3], v[2:3]
	s_waitcnt vmcnt(0) lgkmcnt(0)
	v_mul_f64 v[2:3], s[12:13], v[2:3]
	v_add_f64 v[0:1], v[0:1], v[2:3]
	v_lshl_add_u64 v[2:3], v[70:71], 3, v[64:65]
	global_store_dwordx2 v[2:3], v[0:1], off
	s_endpgm
	.section	.rodata,"a",@progbits
	.p2align	6, 0x0
	.amdhsa_kernel _ZN12_GLOBAL__N_120geam_min_plus_kernelIdddLi4ELi64ELi128ELi128ELi4ELi64ELi4ELi64ELi4ELc78ELc84ELb0ELb0ELb0EPKdS1_dEEviiiT16_PT17_ilS5_ilS3_S5_ilPT18_ili26rocblas_geam_ex_operation_
		.amdhsa_group_segment_fixed_size 16384
		.amdhsa_private_segment_fixed_size 0
		.amdhsa_kernarg_size 136
		.amdhsa_user_sgpr_count 2
		.amdhsa_user_sgpr_dispatch_ptr 0
		.amdhsa_user_sgpr_queue_ptr 0
		.amdhsa_user_sgpr_kernarg_segment_ptr 1
		.amdhsa_user_sgpr_dispatch_id 0
		.amdhsa_user_sgpr_kernarg_preload_length 0
		.amdhsa_user_sgpr_kernarg_preload_offset 0
		.amdhsa_user_sgpr_private_segment_size 0
		.amdhsa_uses_dynamic_stack 0
		.amdhsa_enable_private_segment 0
		.amdhsa_system_sgpr_workgroup_id_x 1
		.amdhsa_system_sgpr_workgroup_id_y 0
		.amdhsa_system_sgpr_workgroup_id_z 1
		.amdhsa_system_sgpr_workgroup_info 0
		.amdhsa_system_vgpr_workitem_id 1
		.amdhsa_next_free_vgpr 252
		.amdhsa_next_free_sgpr 28
		.amdhsa_accum_offset 252
		.amdhsa_reserve_vcc 1
		.amdhsa_float_round_mode_32 0
		.amdhsa_float_round_mode_16_64 0
		.amdhsa_float_denorm_mode_32 3
		.amdhsa_float_denorm_mode_16_64 3
		.amdhsa_dx10_clamp 1
		.amdhsa_ieee_mode 1
		.amdhsa_fp16_overflow 0
		.amdhsa_tg_split 0
		.amdhsa_exception_fp_ieee_invalid_op 0
		.amdhsa_exception_fp_denorm_src 0
		.amdhsa_exception_fp_ieee_div_zero 0
		.amdhsa_exception_fp_ieee_overflow 0
		.amdhsa_exception_fp_ieee_underflow 0
		.amdhsa_exception_fp_ieee_inexact 0
		.amdhsa_exception_int_div_zero 0
	.end_amdhsa_kernel
	.section	.text._ZN12_GLOBAL__N_120geam_min_plus_kernelIdddLi4ELi64ELi128ELi128ELi4ELi64ELi4ELi64ELi4ELc78ELc84ELb0ELb0ELb0EPKdS1_dEEviiiT16_PT17_ilS5_ilS3_S5_ilPT18_ili26rocblas_geam_ex_operation_,"axG",@progbits,_ZN12_GLOBAL__N_120geam_min_plus_kernelIdddLi4ELi64ELi128ELi128ELi4ELi64ELi4ELi64ELi4ELc78ELc84ELb0ELb0ELb0EPKdS1_dEEviiiT16_PT17_ilS5_ilS3_S5_ilPT18_ili26rocblas_geam_ex_operation_,comdat
.Lfunc_end192:
	.size	_ZN12_GLOBAL__N_120geam_min_plus_kernelIdddLi4ELi64ELi128ELi128ELi4ELi64ELi4ELi64ELi4ELc78ELc84ELb0ELb0ELb0EPKdS1_dEEviiiT16_PT17_ilS5_ilS3_S5_ilPT18_ili26rocblas_geam_ex_operation_, .Lfunc_end192-_ZN12_GLOBAL__N_120geam_min_plus_kernelIdddLi4ELi64ELi128ELi128ELi4ELi64ELi4ELi64ELi4ELc78ELc84ELb0ELb0ELb0EPKdS1_dEEviiiT16_PT17_ilS5_ilS3_S5_ilPT18_ili26rocblas_geam_ex_operation_
                                        ; -- End function
	.section	.AMDGPU.csdata,"",@progbits
; Kernel info:
; codeLenInByte = 13084
; NumSgprs: 34
; NumVgprs: 252
; NumAgprs: 0
; TotalNumVgprs: 252
; ScratchSize: 0
; MemoryBound: 0
; FloatMode: 240
; IeeeMode: 1
; LDSByteSize: 16384 bytes/workgroup (compile time only)
; SGPRBlocks: 4
; VGPRBlocks: 31
; NumSGPRsForWavesPerEU: 34
; NumVGPRsForWavesPerEU: 252
; AccumOffset: 252
; Occupancy: 2
; WaveLimiterHint : 1
; COMPUTE_PGM_RSRC2:SCRATCH_EN: 0
; COMPUTE_PGM_RSRC2:USER_SGPR: 2
; COMPUTE_PGM_RSRC2:TRAP_HANDLER: 0
; COMPUTE_PGM_RSRC2:TGID_X_EN: 1
; COMPUTE_PGM_RSRC2:TGID_Y_EN: 0
; COMPUTE_PGM_RSRC2:TGID_Z_EN: 1
; COMPUTE_PGM_RSRC2:TIDIG_COMP_CNT: 1
; COMPUTE_PGM_RSRC3_GFX90A:ACCUM_OFFSET: 62
; COMPUTE_PGM_RSRC3_GFX90A:TG_SPLIT: 0
	.section	.text._ZN12_GLOBAL__N_120geam_min_plus_kernelIdddLi4ELi64ELi128ELi128ELi4ELi64ELi4ELi64ELi4ELc78ELc84ELb1ELb0ELb0EdKddEEviiiT16_PT17_ilS4_ilS2_S4_ilPT18_ili26rocblas_geam_ex_operation_,"axG",@progbits,_ZN12_GLOBAL__N_120geam_min_plus_kernelIdddLi4ELi64ELi128ELi128ELi4ELi64ELi4ELi64ELi4ELc78ELc84ELb1ELb0ELb0EdKddEEviiiT16_PT17_ilS4_ilS2_S4_ilPT18_ili26rocblas_geam_ex_operation_,comdat
	.globl	_ZN12_GLOBAL__N_120geam_min_plus_kernelIdddLi4ELi64ELi128ELi128ELi4ELi64ELi4ELi64ELi4ELc78ELc84ELb1ELb0ELb0EdKddEEviiiT16_PT17_ilS4_ilS2_S4_ilPT18_ili26rocblas_geam_ex_operation_ ; -- Begin function _ZN12_GLOBAL__N_120geam_min_plus_kernelIdddLi4ELi64ELi128ELi128ELi4ELi64ELi4ELi64ELi4ELc78ELc84ELb1ELb0ELb0EdKddEEviiiT16_PT17_ilS4_ilS2_S4_ilPT18_ili26rocblas_geam_ex_operation_
	.p2align	8
	.type	_ZN12_GLOBAL__N_120geam_min_plus_kernelIdddLi4ELi64ELi128ELi128ELi4ELi64ELi4ELi64ELi4ELc78ELc84ELb1ELb0ELb0EdKddEEviiiT16_PT17_ilS4_ilS2_S4_ilPT18_ili26rocblas_geam_ex_operation_,@function
_ZN12_GLOBAL__N_120geam_min_plus_kernelIdddLi4ELi64ELi128ELi128ELi4ELi64ELi4ELi64ELi4ELc78ELc84ELb1ELb0ELb0EdKddEEviiiT16_PT17_ilS4_ilS2_S4_ilPT18_ili26rocblas_geam_ex_operation_: ; @_ZN12_GLOBAL__N_120geam_min_plus_kernelIdddLi4ELi64ELi128ELi128ELi4ELi64ELi4ELi64ELi4ELc78ELc84ELb1ELb0ELb0EdKddEEviiiT16_PT17_ilS4_ilS2_S4_ilPT18_ili26rocblas_geam_ex_operation_
; %bb.0:
	s_load_dwordx4 s[4:7], s[0:1], 0x10
	s_load_dwordx4 s[8:11], s[0:1], 0x28
	s_mov_b64 s[16:17], 0
	s_waitcnt lgkmcnt(0)
	v_cmp_eq_f64_e64 s[12:13], s[4:5], 0
	s_and_b64 vcc, exec, s[12:13]
	s_cbranch_vccnz .LBB193_2
; %bb.1:
	s_mul_i32 s4, s3, s9
	s_mul_hi_u32 s5, s3, s8
	s_add_i32 s5, s5, s4
	s_mul_i32 s4, s3, s8
	s_lshl_b64 s[4:5], s[4:5], 3
	s_add_u32 s16, s6, s4
	s_addc_u32 s17, s7, s5
.LBB193_2:
	s_load_dwordx4 s[4:7], s[0:1], 0x40
	s_load_dwordx2 s[20:21], s[0:1], 0x50
	s_andn2_b64 vcc, exec, s[12:13]
	s_cbranch_vccnz .LBB193_4
; %bb.3:
	s_mov_b32 s15, 0
	s_mov_b64 s[18:19], 0
	s_cbranch_execz .LBB193_5
	s_branch .LBB193_6
.LBB193_4:
                                        ; implicit-def: $sgpr18_sgpr19
                                        ; implicit-def: $sgpr14_sgpr15
.LBB193_5:
	s_waitcnt lgkmcnt(0)
	s_mul_i32 s5, s3, s5
	s_mul_hi_u32 s8, s3, s4
	s_add_i32 s5, s8, s5
	s_mul_i32 s4, s3, s4
	s_lshl_b64 s[4:5], s[4:5], 3
	s_add_u32 s18, s10, s4
	s_mov_b32 s15, 0
	s_addc_u32 s19, s11, s5
.LBB193_6:
	s_load_dwordx4 s[8:11], s[0:1], 0x60
	s_waitcnt lgkmcnt(0)
	v_cmp_eq_f64_e64 s[4:5], s[6:7], 0
	s_and_b64 s[4:5], exec, s[4:5]
	s_mov_b64 s[12:13], 0
	s_mov_b64 vcc, s[4:5]
	s_cbranch_vccnz .LBB193_8
; %bb.7:
	s_mul_i32 s9, s3, s9
	s_mul_hi_u32 s12, s3, s8
	s_add_i32 s9, s12, s9
	s_mul_i32 s12, s15, s8
	s_add_i32 s9, s9, s12
	s_mul_i32 s8, s3, s8
	s_lshl_b64 s[8:9], s[8:9], 3
	s_add_u32 s12, s20, s8
	s_addc_u32 s13, s21, s9
.LBB193_8:
	s_load_dword s8, s[0:1], 0x0
	s_load_dword s20, s[0:1], 0x20
	;; [unrolled: 1-line block ×3, first 2 shown]
	v_and_b32_e32 v140, 0x3ff, v0
	v_bfe_u32 v141, v0, 10, 10
	s_waitcnt lgkmcnt(0)
	s_add_i32 s8, s8, -1
	s_ashr_i32 s9, s8, 31
	s_lshr_b32 s9, s9, 25
	s_add_i32 s8, s8, s9
	s_ashr_i32 s8, s8, 7
	s_add_i32 s9, s8, 1
	v_cvt_f32_u32_e32 v1, s9
	s_not_b32 s8, s8
	s_ashr_i32 s22, s20, 31
	s_ashr_i32 s23, s21, 31
	v_rcp_iflag_f32_e32 v0, v1
	v_lshl_add_u32 v1, v141, 2, v140
	v_and_b32_e32 v148, 63, v1
	v_lshrrev_b32_e32 v142, 6, v1
	v_mul_f32_e32 v0, 0x4f7ffffe, v0
	v_cvt_u32_f32_e32 v0, v0
	v_add_u32_e32 v143, 4, v142
	v_lshlrev_b32_e32 v152, 5, v141
	v_mov_b64_e32 v[126:127], 0
	v_readfirstlane_b32 s14, v0
	s_mul_i32 s8, s8, s14
	s_mul_hi_u32 s8, s14, s8
	s_add_i32 s14, s14, s8
	s_mul_hi_u32 s8, s2, s14
	s_mul_i32 s14, s8, s9
	s_sub_i32 s14, s2, s14
	s_add_i32 s24, s8, 1
	s_sub_i32 s25, s14, s9
	s_cmp_ge_u32 s14, s9
	s_cselect_b32 s8, s24, s8
	s_cselect_b32 s14, s25, s14
	s_add_i32 s24, s8, 1
	s_cmp_ge_u32 s14, s9
	s_cselect_b32 s8, s24, s8
	s_mul_i32 s9, s8, s9
	s_sub_i32 s2, s2, s9
	s_lshl_b32 s14, s8, 7
	s_lshl_b32 s2, s2, 7
	v_or_b32_e32 v128, s2, v148
	v_or_b32_e32 v130, s14, v148
	v_mad_i64_i32 v[0:1], s[8:9], s20, v142, 0
	v_ashrrev_i32_e32 v129, 31, v128
	v_mad_i64_i32 v[4:5], s[8:9], s21, v142, 0
	v_ashrrev_i32_e32 v131, 31, v130
	v_lshl_add_u64 v[0:1], v[0:1], 3, s[16:17]
	v_lshlrev_b64 v[2:3], 3, v[128:129]
	v_lshl_add_u64 v[4:5], v[4:5], 3, s[18:19]
	v_lshlrev_b64 v[6:7], 3, v[130:131]
	v_lshl_add_u64 v[0:1], v[0:1], 0, v[2:3]
	v_lshl_add_u64 v[4:5], v[4:5], 0, v[6:7]
	flat_load_dwordx2 v[8:9], v[4:5]
	flat_load_dwordx2 v[10:11], v[4:5] offset:512
	flat_load_dwordx2 v[12:13], v[0:1]
	flat_load_dwordx2 v[14:15], v[0:1] offset:512
	v_mad_i64_i32 v[0:1], s[8:9], s20, v143, 0
	v_mad_i64_i32 v[4:5], s[8:9], s21, v143, 0
	v_lshl_add_u64 v[0:1], v[0:1], 3, s[16:17]
	v_lshl_add_u64 v[4:5], v[4:5], 3, s[18:19]
	;; [unrolled: 1-line block ×4, first 2 shown]
	flat_load_dwordx2 v[132:133], v[4:5]
	flat_load_dwordx2 v[134:135], v[4:5] offset:512
	flat_load_dwordx2 v[136:137], v[0:1]
	flat_load_dwordx2 v[138:139], v[0:1] offset:512
	v_lshlrev_b32_e32 v0, 3, v142
	v_lshl_add_u32 v146, v148, 5, v0
	s_mov_b32 s8, 0
	v_mov_b64_e32 v[124:125], 0
	v_mov_b64_e32 v[122:123], 0
	;; [unrolled: 1-line block ×41, first 2 shown]
	v_lshlrev_b32_e32 v144, 5, v140
	v_add_u32_e32 v145, 0x2000, v152
	v_or_b32_e32 v147, 0x2000, v146
	v_mov_b64_e32 v[42:43], 0
	v_mov_b64_e32 v[40:41], 0
	;; [unrolled: 1-line block ×8, first 2 shown]
	s_waitcnt vmcnt(0) lgkmcnt(0)
	ds_write2st64_b64 v146, v[8:9], v[10:11] offset0:16 offset1:20
	ds_write2st64_b64 v146, v[12:13], v[14:15] offset1:4
	v_mov_b64_e32 v[26:27], 0
	v_mov_b64_e32 v[24:25], 0
	;; [unrolled: 1-line block ×14, first 2 shown]
	s_waitcnt lgkmcnt(0)
	s_barrier
.LBB193_9:                              ; =>This Inner Loop Header: Depth=1
	v_add_u32_e32 v149, s8, v144
	v_add_u32_e32 v150, s8, v145
	ds_read2_b64 v[154:157], v149 offset1:16
	ds_read2_b64 v[158:161], v149 offset0:32 offset1:48
	ds_read2_b64 v[162:165], v149 offset0:64 offset1:80
	;; [unrolled: 1-line block ×7, first 2 shown]
	ds_read2st64_b64 v[186:189], v150 offset1:4
	v_add_u32_e32 v149, 0x800, v149
	ds_read2_b64 v[190:193], v149 offset1:16
	ds_read2_b64 v[194:197], v149 offset0:32 offset1:48
	ds_read2_b64 v[198:201], v149 offset0:64 offset1:80
	;; [unrolled: 1-line block ×7, first 2 shown]
	s_waitcnt lgkmcnt(14)
	v_max_f64 v[150:151], v[154:155], v[154:155]
	v_max_f64 v[154:155], v[156:157], v[156:157]
	;; [unrolled: 1-line block ×6, first 2 shown]
	s_waitcnt lgkmcnt(13)
	v_max_f64 v[164:165], v[166:167], v[166:167]
	v_max_f64 v[166:167], v[168:169], v[168:169]
	s_waitcnt lgkmcnt(12)
	v_max_f64 v[168:169], v[170:171], v[170:171]
	v_max_f64 v[170:171], v[172:173], v[172:173]
	;; [unrolled: 3-line block ×14, first 2 shown]
	v_min_f64 v[220:221], v[150:151], v[184:185]
	v_min_f64 v[222:223], v[154:155], v[184:185]
	;; [unrolled: 1-line block ×32, first 2 shown]
	s_add_i32 s8, s8, 8
	v_add_f64 v[62:63], v[150:151], v[62:63]
	v_add_f64 v[60:61], v[154:155], v[60:61]
	v_add_f64 v[58:59], v[156:157], v[58:59]
	v_add_f64 v[56:57], v[158:159], v[56:57]
	v_add_f64 v[54:55], v[160:161], v[54:55]
	v_add_f64 v[52:53], v[162:163], v[52:53]
	v_add_f64 v[50:51], v[164:165], v[50:51]
	v_add_f64 v[48:49], v[166:167], v[48:49]
	v_add_f64 v[46:47], v[168:169], v[46:47]
	v_add_f64 v[44:45], v[170:171], v[44:45]
	v_add_f64 v[42:43], v[172:173], v[42:43]
	v_add_f64 v[40:41], v[174:175], v[40:41]
	v_add_f64 v[38:39], v[176:177], v[38:39]
	v_add_f64 v[36:37], v[178:179], v[36:37]
	v_add_f64 v[34:35], v[180:181], v[34:35]
	v_add_f64 v[32:33], v[182:183], v[32:33]
	v_min_f64 v[150:151], v[188:189], v[184:185]
	v_min_f64 v[154:155], v[190:191], v[184:185]
	;; [unrolled: 1-line block ×32, first 2 shown]
	s_cmp_eq_u32 s8, 32
	v_add_f64 v[126:127], v[220:221], v[126:127]
	v_add_f64 v[124:125], v[222:223], v[124:125]
	;; [unrolled: 1-line block ×48, first 2 shown]
	s_cbranch_scc0 .LBB193_9
; %bb.10:
	s_load_dword s24, s[0:1], 0x8
	v_lshlrev_b32_e32 v148, 5, v148
	v_lshl_add_u32 v151, v142, 3, v148
	ds_write2st64_b64 v151, v[136:137], v[138:139] offset0:8 offset1:12
	ds_write2st64_b64 v151, v[132:133], v[134:135] offset0:24 offset1:28
	s_waitcnt lgkmcnt(0)
	s_cmp_gt_i32 s24, 8
	s_barrier
	s_cbranch_scc1 .LBB193_12
; %bb.11:
	v_add_u32_e32 v148, 0x1000, v144
	v_add_u32_e32 v149, 0x3000, v152
	s_cbranch_execz .LBB193_13
	s_branch .LBB193_19
.LBB193_12:
                                        ; implicit-def: $vgpr148
                                        ; implicit-def: $vgpr149
.LBB193_13:
	v_or_b32_e32 v150, 0x1000, v151
	v_or_b32_e32 v151, 0x3000, v151
	s_add_i32 s8, s24, -8
	v_lshl_add_u64 v[128:129], v[128:129], 3, s[16:17]
	v_lshl_add_u64 v[130:131], v[130:131], 3, s[18:19]
	v_add_u32_e32 v148, 0x1000, v144
	v_add_u32_e32 v149, 0x3000, v152
	s_mov_b32 s9, 8
	s_mov_b32 s16, 0
.LBB193_14:                             ; =>This Loop Header: Depth=1
                                        ;     Child Loop BB193_15 Depth 2
                                        ;     Child Loop BB193_17 Depth 2
	v_add_u32_e32 v139, s9, v142
	v_mad_u64_u32 v[132:133], s[18:19], v139, s20, 0
	v_mad_u64_u32 v[136:137], s[18:19], v139, s21, 0
	v_mov_b32_e32 v134, v133
	v_mov_b32_e32 v138, v137
	v_mad_u64_u32 v[134:135], s[18:19], v139, s22, v[134:135]
	v_mad_u64_u32 v[138:139], s[18:19], v139, s23, v[138:139]
	v_mov_b32_e32 v133, v134
	v_mov_b32_e32 v137, v138
	v_lshl_add_u64 v[134:135], v[132:133], 3, v[128:129]
	v_lshl_add_u64 v[138:139], v[136:137], 3, v[130:131]
	flat_load_dwordx2 v[132:133], v[134:135]
	s_nop 0
	flat_load_dwordx2 v[134:135], v[134:135] offset:512
	s_nop 0
	flat_load_dwordx2 v[136:137], v[138:139]
	s_nop 0
	flat_load_dwordx2 v[138:139], v[138:139] offset:512
	s_mov_b32 s17, 0
.LBB193_15:                             ;   Parent Loop BB193_14 Depth=1
                                        ; =>  This Inner Loop Header: Depth=2
	v_add_u32_e32 v184, s17, v148
	v_add_u32_e32 v185, s17, v149
	ds_read2_b64 v[152:155], v184 offset1:16
	ds_read2_b64 v[156:159], v184 offset0:32 offset1:48
	ds_read2_b64 v[160:163], v184 offset0:64 offset1:80
	;; [unrolled: 1-line block ×7, first 2 shown]
	v_add_u32_e32 v216, 0x800, v184
	ds_read2st64_b64 v[184:187], v185 offset1:4
	ds_read2_b64 v[188:191], v216 offset1:16
	ds_read2_b64 v[192:195], v216 offset0:32 offset1:48
	ds_read2_b64 v[196:199], v216 offset0:64 offset1:80
	;; [unrolled: 1-line block ×7, first 2 shown]
	s_waitcnt lgkmcnt(0)
	v_max_f64 v[152:153], v[152:153], v[152:153]
	v_max_f64 v[154:155], v[154:155], v[154:155]
	;; [unrolled: 1-line block ×18, first 2 shown]
	v_min_f64 v[220:221], v[152:153], v[184:185]
	v_min_f64 v[222:223], v[154:155], v[184:185]
	;; [unrolled: 1-line block ×16, first 2 shown]
	v_max_f64 v[188:189], v[188:189], v[188:189]
	v_max_f64 v[190:191], v[190:191], v[190:191]
	;; [unrolled: 1-line block ×16, first 2 shown]
	v_min_f64 v[152:153], v[152:153], v[186:187]
	v_min_f64 v[154:155], v[154:155], v[186:187]
	;; [unrolled: 1-line block ×16, first 2 shown]
	s_add_i32 s17, s17, 8
	v_add_f64 v[126:127], v[220:221], v[126:127]
	v_add_f64 v[124:125], v[222:223], v[124:125]
	;; [unrolled: 1-line block ×15, first 2 shown]
	v_min_f64 v[220:221], v[188:189], v[184:185]
	v_min_f64 v[222:223], v[190:191], v[184:185]
	;; [unrolled: 1-line block ×16, first 2 shown]
	v_add_f64 v[62:63], v[152:153], v[62:63]
	v_add_f64 v[60:61], v[154:155], v[60:61]
	;; [unrolled: 1-line block ×16, first 2 shown]
	v_min_f64 v[152:153], v[188:189], v[186:187]
	v_min_f64 v[154:155], v[190:191], v[186:187]
	;; [unrolled: 1-line block ×16, first 2 shown]
	s_cmp_eq_u32 s17, 32
	v_add_f64 v[96:97], v[250:251], v[96:97]
	v_add_f64 v[94:95], v[220:221], v[94:95]
	;; [unrolled: 1-line block ×33, first 2 shown]
	s_cbranch_scc0 .LBB193_15
; %bb.16:                               ;   in Loop: Header=BB193_14 Depth=1
	s_waitcnt vmcnt(0)
	ds_write2st64_b64 v146, v[132:133], v[134:135] offset1:4
	ds_write2st64_b64 v147, v[136:137], v[138:139] offset1:4
	v_add_u32_e32 v139, s9, v143
	v_mad_u64_u32 v[132:133], s[18:19], v139, s20, 0
	v_mad_u64_u32 v[136:137], s[18:19], v139, s21, 0
	v_mov_b32_e32 v134, v133
	v_mov_b32_e32 v138, v137
	v_mad_u64_u32 v[134:135], s[18:19], v139, s22, v[134:135]
	v_mad_u64_u32 v[138:139], s[18:19], v139, s23, v[138:139]
	v_mov_b32_e32 v133, v134
	v_mov_b32_e32 v137, v138
	v_lshl_add_u64 v[134:135], v[132:133], 3, v[128:129]
	v_lshl_add_u64 v[138:139], v[136:137], 3, v[130:131]
	s_waitcnt lgkmcnt(0)
	s_barrier
	flat_load_dwordx2 v[132:133], v[134:135]
	s_nop 0
	flat_load_dwordx2 v[134:135], v[134:135] offset:512
	s_nop 0
	flat_load_dwordx2 v[136:137], v[138:139]
	s_nop 0
	flat_load_dwordx2 v[138:139], v[138:139] offset:512
	s_mov_b32 s17, 0
.LBB193_17:                             ;   Parent Loop BB193_14 Depth=1
                                        ; =>  This Inner Loop Header: Depth=2
	v_add_u32_e32 v184, s17, v144
	v_add_u32_e32 v185, s17, v145
	ds_read2_b64 v[152:155], v184 offset1:16
	ds_read2_b64 v[156:159], v184 offset0:32 offset1:48
	ds_read2_b64 v[160:163], v184 offset0:64 offset1:80
	;; [unrolled: 1-line block ×7, first 2 shown]
	v_add_u32_e32 v216, 0x800, v184
	ds_read2st64_b64 v[184:187], v185 offset1:4
	ds_read2_b64 v[188:191], v216 offset1:16
	ds_read2_b64 v[192:195], v216 offset0:32 offset1:48
	ds_read2_b64 v[196:199], v216 offset0:64 offset1:80
	;; [unrolled: 1-line block ×7, first 2 shown]
	s_waitcnt lgkmcnt(0)
	v_max_f64 v[152:153], v[152:153], v[152:153]
	v_max_f64 v[154:155], v[154:155], v[154:155]
	;; [unrolled: 1-line block ×18, first 2 shown]
	v_min_f64 v[220:221], v[152:153], v[184:185]
	v_min_f64 v[222:223], v[154:155], v[184:185]
	;; [unrolled: 1-line block ×16, first 2 shown]
	v_max_f64 v[188:189], v[188:189], v[188:189]
	v_max_f64 v[190:191], v[190:191], v[190:191]
	;; [unrolled: 1-line block ×16, first 2 shown]
	v_min_f64 v[152:153], v[152:153], v[186:187]
	v_min_f64 v[154:155], v[154:155], v[186:187]
	;; [unrolled: 1-line block ×16, first 2 shown]
	s_add_i32 s17, s17, 8
	v_add_f64 v[126:127], v[220:221], v[126:127]
	v_add_f64 v[124:125], v[222:223], v[124:125]
	;; [unrolled: 1-line block ×15, first 2 shown]
	v_min_f64 v[220:221], v[188:189], v[184:185]
	v_min_f64 v[222:223], v[190:191], v[184:185]
	;; [unrolled: 1-line block ×16, first 2 shown]
	v_add_f64 v[62:63], v[152:153], v[62:63]
	v_add_f64 v[60:61], v[154:155], v[60:61]
	;; [unrolled: 1-line block ×16, first 2 shown]
	v_min_f64 v[152:153], v[188:189], v[186:187]
	v_min_f64 v[154:155], v[190:191], v[186:187]
	;; [unrolled: 1-line block ×16, first 2 shown]
	s_cmp_eq_u32 s17, 32
	v_add_f64 v[96:97], v[250:251], v[96:97]
	v_add_f64 v[94:95], v[220:221], v[94:95]
	;; [unrolled: 1-line block ×33, first 2 shown]
	s_cbranch_scc0 .LBB193_17
; %bb.18:                               ;   in Loop: Header=BB193_14 Depth=1
	s_add_i32 s9, s9, 8
	s_add_i32 s16, s16, 8
	s_cmp_ge_i32 s16, s8
	s_waitcnt vmcnt(0)
	ds_write2st64_b64 v150, v[132:133], v[134:135] offset1:4
	ds_write2st64_b64 v151, v[136:137], v[138:139] offset1:4
	s_waitcnt lgkmcnt(0)
	s_barrier
	s_cbranch_scc0 .LBB193_14
.LBB193_19:
	s_mov_b32 s8, 0
.LBB193_20:                             ; =>This Inner Loop Header: Depth=1
	v_add_u32_e32 v146, s8, v148
	v_add_u32_e32 v147, s8, v149
	ds_read2_b64 v[128:131], v146 offset1:16
	ds_read2_b64 v[132:135], v146 offset0:32 offset1:48
	ds_read2_b64 v[136:139], v146 offset0:64 offset1:80
	;; [unrolled: 1-line block ×7, first 2 shown]
	v_add_u32_e32 v146, 0x800, v146
	ds_read2st64_b64 v[166:169], v147 offset1:4
	ds_read2_b64 v[170:173], v146 offset1:16
	ds_read2_b64 v[174:177], v146 offset0:32 offset1:48
	ds_read2_b64 v[178:181], v146 offset0:64 offset1:80
	;; [unrolled: 1-line block ×7, first 2 shown]
	s_waitcnt lgkmcnt(14)
	v_max_f64 v[128:129], v[128:129], v[128:129]
	v_max_f64 v[130:131], v[130:131], v[130:131]
	;; [unrolled: 1-line block ×3, first 2 shown]
	s_waitcnt lgkmcnt(8)
	v_max_f64 v[146:147], v[166:167], v[166:167]
	v_max_f64 v[134:135], v[134:135], v[134:135]
	v_max_f64 v[136:137], v[136:137], v[136:137]
	v_max_f64 v[138:139], v[138:139], v[138:139]
	v_max_f64 v[142:143], v[142:143], v[142:143]
	v_max_f64 v[144:145], v[144:145], v[144:145]
	v_max_f64 v[150:151], v[150:151], v[150:151]
	v_max_f64 v[152:153], v[152:153], v[152:153]
	v_max_f64 v[154:155], v[154:155], v[154:155]
	v_max_f64 v[156:157], v[156:157], v[156:157]
	v_max_f64 v[158:159], v[158:159], v[158:159]
	v_max_f64 v[160:161], v[160:161], v[160:161]
	v_max_f64 v[162:163], v[162:163], v[162:163]
	v_max_f64 v[164:165], v[164:165], v[164:165]
	v_max_f64 v[166:167], v[168:169], v[168:169]
	v_min_f64 v[168:169], v[128:129], v[146:147]
	v_min_f64 v[202:203], v[130:131], v[146:147]
	;; [unrolled: 1-line block ×16, first 2 shown]
	s_waitcnt lgkmcnt(7)
	v_max_f64 v[170:171], v[170:171], v[170:171]
	v_max_f64 v[172:173], v[172:173], v[172:173]
	s_waitcnt lgkmcnt(6)
	v_max_f64 v[174:175], v[174:175], v[174:175]
	v_max_f64 v[176:177], v[176:177], v[176:177]
	;; [unrolled: 3-line block ×8, first 2 shown]
	v_min_f64 v[128:129], v[128:129], v[166:167]
	v_min_f64 v[130:131], v[130:131], v[166:167]
	;; [unrolled: 1-line block ×16, first 2 shown]
	s_add_i32 s8, s8, 8
	v_add_f64 v[126:127], v[168:169], v[126:127]
	v_add_f64 v[124:125], v[202:203], v[124:125]
	;; [unrolled: 1-line block ×15, first 2 shown]
	v_min_f64 v[168:169], v[170:171], v[146:147]
	v_min_f64 v[202:203], v[172:173], v[146:147]
	;; [unrolled: 1-line block ×16, first 2 shown]
	v_add_f64 v[62:63], v[128:129], v[62:63]
	v_add_f64 v[60:61], v[130:131], v[60:61]
	;; [unrolled: 1-line block ×16, first 2 shown]
	v_min_f64 v[128:129], v[170:171], v[166:167]
	v_min_f64 v[130:131], v[172:173], v[166:167]
	v_min_f64 v[132:133], v[174:175], v[166:167]
	v_min_f64 v[134:135], v[176:177], v[166:167]
	v_min_f64 v[136:137], v[178:179], v[166:167]
	v_min_f64 v[138:139], v[180:181], v[166:167]
	v_min_f64 v[142:143], v[182:183], v[166:167]
	v_min_f64 v[144:145], v[184:185], v[166:167]
	v_min_f64 v[150:151], v[186:187], v[166:167]
	v_min_f64 v[152:153], v[188:189], v[166:167]
	v_min_f64 v[154:155], v[190:191], v[166:167]
	v_min_f64 v[156:157], v[192:193], v[166:167]
	v_min_f64 v[158:159], v[194:195], v[166:167]
	v_min_f64 v[160:161], v[196:197], v[166:167]
	v_min_f64 v[162:163], v[198:199], v[166:167]
	v_min_f64 v[164:165], v[200:201], v[166:167]
	s_cmp_eq_u32 s8, 32
	v_add_f64 v[96:97], v[230:231], v[96:97]
	v_add_f64 v[94:95], v[168:169], v[94:95]
	v_add_f64 v[92:93], v[202:203], v[92:93]
	v_add_f64 v[90:91], v[204:205], v[90:91]
	v_add_f64 v[88:89], v[206:207], v[88:89]
	v_add_f64 v[86:87], v[208:209], v[86:87]
	v_add_f64 v[84:85], v[210:211], v[84:85]
	v_add_f64 v[82:83], v[212:213], v[82:83]
	v_add_f64 v[80:81], v[214:215], v[80:81]
	v_add_f64 v[78:79], v[216:217], v[78:79]
	v_add_f64 v[76:77], v[218:219], v[76:77]
	v_add_f64 v[74:75], v[220:221], v[74:75]
	v_add_f64 v[72:73], v[222:223], v[72:73]
	v_add_f64 v[70:71], v[224:225], v[70:71]
	v_add_f64 v[68:69], v[226:227], v[68:69]
	v_add_f64 v[66:67], v[228:229], v[66:67]
	v_add_f64 v[64:65], v[146:147], v[64:65]
	v_add_f64 v[30:31], v[128:129], v[30:31]
	v_add_f64 v[28:29], v[130:131], v[28:29]
	v_add_f64 v[26:27], v[132:133], v[26:27]
	v_add_f64 v[24:25], v[134:135], v[24:25]
	v_add_f64 v[22:23], v[136:137], v[22:23]
	v_add_f64 v[20:21], v[138:139], v[20:21]
	v_add_f64 v[18:19], v[142:143], v[18:19]
	v_add_f64 v[16:17], v[144:145], v[16:17]
	v_add_f64 v[14:15], v[150:151], v[14:15]
	v_add_f64 v[12:13], v[152:153], v[12:13]
	v_add_f64 v[10:11], v[154:155], v[10:11]
	v_add_f64 v[8:9], v[156:157], v[8:9]
	v_add_f64 v[6:7], v[158:159], v[6:7]
	v_add_f64 v[4:5], v[160:161], v[4:5]
	v_add_f64 v[2:3], v[162:163], v[2:3]
	v_add_f64 v[0:1], v[164:165], v[0:1]
	s_cbranch_scc0 .LBB193_20
; %bb.21:
	s_load_dwordx2 s[16:17], s[0:1], 0x78
	s_load_dword s8, s[0:1], 0x58
	s_load_dword s9, s[0:1], 0x70
	v_add_u32_e32 v130, s2, v140
	v_add_u32_e32 v170, s14, v141
	s_waitcnt lgkmcnt(0)
	s_mul_i32 s0, s3, s17
	s_mul_hi_u32 s1, s3, s16
	s_mul_i32 s15, s15, s16
	s_add_i32 s0, s1, s0
	s_add_i32 s1, s0, s15
	s_mul_i32 s0, s3, s16
	s_lshl_b64 s[0:1], s[0:1], 3
	s_add_u32 s0, s10, s0
	s_addc_u32 s1, s11, s1
	v_add_u32_e32 v128, 4, v130
	v_mad_i64_i32 v[132:133], s[2:3], v170, s9, 0
	v_ashrrev_i32_e32 v131, 31, v130
	v_ashrrev_i32_e32 v129, 31, v128
	v_lshl_add_u64 v[138:139], v[132:133], 3, s[0:1]
	v_mad_i64_i32 v[132:133], s[2:3], v170, s8, 0
	s_mov_b64 vcc, s[4:5]
	s_cbranch_vccz .LBB193_24
; %bb.22:
	v_add_f64 v[134:135], v[126:127], 0
	v_lshl_add_u64 v[136:137], v[130:131], 3, v[138:139]
	s_mov_b64 s[2:3], 0
	global_store_dwordx2 v[136:137], v[134:135], off
	v_lshl_add_u64 v[146:147], v[132:133], 3, s[12:13]
	v_lshlrev_b64 v[134:135], 3, v[130:131]
	s_cbranch_execz .LBB193_25
; %bb.23:
	v_mov_b64_e32 v[136:137], s[2:3]
	s_branch .LBB193_26
.LBB193_24:
	s_mov_b64 s[2:3], -1
	v_lshl_add_u64 v[146:147], v[132:133], 3, s[12:13]
	v_lshlrev_b64 v[134:135], 3, v[130:131]
.LBB193_25:
	v_lshl_add_u64 v[132:133], v[146:147], 0, v[134:135]
	flat_load_dwordx2 v[132:133], v[132:133]
	v_lshl_add_u64 v[136:137], v[138:139], 0, v[134:135]
	s_waitcnt vmcnt(0) lgkmcnt(0)
	v_fmac_f64_e32 v[126:127], s[6:7], v[132:133]
	global_store_dwordx2 v[136:137], v[126:127], off
	v_lshl_add_u64 v[126:127], v[128:129], 3, v[146:147]
	flat_load_dwordx2 v[126:127], v[126:127]
	s_waitcnt vmcnt(0) lgkmcnt(0)
	v_mul_f64 v[136:137], v[126:127], s[6:7]
.LBB193_26:
	v_add_u32_e32 v132, 8, v130
	v_add_u32_e32 v126, 12, v130
	v_ashrrev_i32_e32 v133, 31, v132
	v_ashrrev_i32_e32 v127, 31, v126
	v_add_f64 v[124:125], v[124:125], v[136:137]
	v_lshl_add_u64 v[136:137], v[128:129], 3, v[138:139]
	s_mov_b64 vcc, s[4:5]
	global_store_dwordx2 v[136:137], v[124:125], off
	s_cbranch_vccz .LBB193_29
; %bb.27:
	v_add_f64 v[124:125], v[122:123], 0
	v_lshl_add_u64 v[136:137], v[132:133], 3, v[138:139]
	s_mov_b64 s[2:3], 0
	global_store_dwordx2 v[136:137], v[124:125], off
	v_lshlrev_b64 v[136:137], 3, v[132:133]
	s_cbranch_execz .LBB193_30
; %bb.28:
	v_mov_b64_e32 v[140:141], s[2:3]
	s_branch .LBB193_31
.LBB193_29:
	s_mov_b64 s[2:3], -1
	v_lshlrev_b64 v[136:137], 3, v[132:133]
.LBB193_30:
	v_lshl_add_u64 v[124:125], v[146:147], 0, v[136:137]
	flat_load_dwordx2 v[124:125], v[124:125]
	v_lshl_add_u64 v[140:141], v[138:139], 0, v[136:137]
	s_waitcnt vmcnt(0) lgkmcnt(0)
	v_fmac_f64_e32 v[122:123], s[6:7], v[124:125]
	global_store_dwordx2 v[140:141], v[122:123], off
	v_lshl_add_u64 v[122:123], v[126:127], 3, v[146:147]
	flat_load_dwordx2 v[122:123], v[122:123]
	s_waitcnt vmcnt(0) lgkmcnt(0)
	v_mul_f64 v[140:141], v[122:123], s[6:7]
.LBB193_31:
	v_add_u32_e32 v124, 16, v130
	v_add_u32_e32 v122, 20, v130
	v_ashrrev_i32_e32 v125, 31, v124
	v_ashrrev_i32_e32 v123, 31, v122
	v_add_f64 v[120:121], v[120:121], v[140:141]
	v_lshl_add_u64 v[140:141], v[126:127], 3, v[138:139]
	s_mov_b64 vcc, s[4:5]
	global_store_dwordx2 v[140:141], v[120:121], off
	s_cbranch_vccz .LBB193_34
; %bb.32:
	v_add_f64 v[120:121], v[118:119], 0
	v_lshl_add_u64 v[140:141], v[124:125], 3, v[138:139]
	s_mov_b64 s[2:3], 0
	global_store_dwordx2 v[140:141], v[120:121], off
	v_lshlrev_b64 v[140:141], 3, v[124:125]
	s_cbranch_execz .LBB193_35
; %bb.33:
	v_mov_b64_e32 v[142:143], s[2:3]
	s_branch .LBB193_36
.LBB193_34:
	s_mov_b64 s[2:3], -1
	v_lshlrev_b64 v[140:141], 3, v[124:125]
.LBB193_35:
	v_lshl_add_u64 v[120:121], v[146:147], 0, v[140:141]
	flat_load_dwordx2 v[120:121], v[120:121]
	v_lshl_add_u64 v[142:143], v[138:139], 0, v[140:141]
	s_waitcnt vmcnt(0) lgkmcnt(0)
	v_fmac_f64_e32 v[118:119], s[6:7], v[120:121]
	global_store_dwordx2 v[142:143], v[118:119], off
	v_lshl_add_u64 v[118:119], v[122:123], 3, v[146:147]
	flat_load_dwordx2 v[118:119], v[118:119]
	s_waitcnt vmcnt(0) lgkmcnt(0)
	v_mul_f64 v[142:143], v[118:119], s[6:7]
.LBB193_36:
	;; [unrolled: 34-line block ×15, first 2 shown]
	v_add_f64 v[64:65], v[64:65], v[66:67]
	v_lshl_add_u64 v[66:67], v[70:71], 3, v[138:139]
	global_store_dwordx2 v[66:67], v[64:65], off
	v_add_u32_e32 v66, 64, v170
	v_mad_i64_i32 v[64:65], s[2:3], v66, s9, 0
	v_lshl_add_u64 v[64:65], v[64:65], 3, s[0:1]
	v_mad_i64_i32 v[66:67], s[0:1], v66, s8, 0
	s_mov_b64 vcc, s[4:5]
	s_cbranch_vccz .LBB193_104
; %bb.102:
	v_add_f64 v[138:139], v[62:63], 0
	v_lshl_add_u64 v[130:131], v[130:131], 3, v[64:65]
	s_mov_b64 s[0:1], 0
	global_store_dwordx2 v[130:131], v[138:139], off
	v_lshl_add_u64 v[66:67], v[66:67], 3, s[12:13]
	s_cbranch_execz .LBB193_105
; %bb.103:
	v_mov_b64_e32 v[62:63], s[0:1]
	s_branch .LBB193_106
.LBB193_104:
	s_mov_b64 s[0:1], -1
	v_lshl_add_u64 v[66:67], v[66:67], 3, s[12:13]
.LBB193_105:
	v_lshl_add_u64 v[130:131], v[66:67], 0, v[134:135]
	flat_load_dwordx2 v[130:131], v[130:131]
	v_lshl_add_u64 v[134:135], v[64:65], 0, v[134:135]
	s_waitcnt vmcnt(0) lgkmcnt(0)
	v_fmac_f64_e32 v[62:63], s[6:7], v[130:131]
	global_store_dwordx2 v[134:135], v[62:63], off
	v_lshl_add_u64 v[62:63], v[128:129], 3, v[66:67]
	flat_load_dwordx2 v[62:63], v[62:63]
	s_waitcnt vmcnt(0) lgkmcnt(0)
	v_mul_f64 v[62:63], v[62:63], s[6:7]
.LBB193_106:
	v_add_f64 v[60:61], v[60:61], v[62:63]
	v_lshl_add_u64 v[62:63], v[128:129], 3, v[64:65]
	s_mov_b64 vcc, s[4:5]
	global_store_dwordx2 v[62:63], v[60:61], off
	s_cbranch_vccz .LBB193_109
; %bb.107:
	v_add_f64 v[60:61], v[58:59], 0
	v_lshl_add_u64 v[62:63], v[132:133], 3, v[64:65]
	s_mov_b64 s[0:1], 0
	global_store_dwordx2 v[62:63], v[60:61], off
	s_cbranch_execz .LBB193_110
; %bb.108:
	v_mov_b64_e32 v[58:59], s[0:1]
	s_branch .LBB193_111
.LBB193_109:
	s_mov_b64 s[0:1], -1
.LBB193_110:
	v_lshl_add_u64 v[60:61], v[66:67], 0, v[136:137]
	flat_load_dwordx2 v[60:61], v[60:61]
	v_lshl_add_u64 v[62:63], v[64:65], 0, v[136:137]
	s_waitcnt vmcnt(0) lgkmcnt(0)
	v_fmac_f64_e32 v[58:59], s[6:7], v[60:61]
	global_store_dwordx2 v[62:63], v[58:59], off
	v_lshl_add_u64 v[58:59], v[126:127], 3, v[66:67]
	flat_load_dwordx2 v[58:59], v[58:59]
	s_waitcnt vmcnt(0) lgkmcnt(0)
	v_mul_f64 v[58:59], v[58:59], s[6:7]
.LBB193_111:
	v_add_f64 v[56:57], v[56:57], v[58:59]
	v_lshl_add_u64 v[58:59], v[126:127], 3, v[64:65]
	s_mov_b64 vcc, s[4:5]
	global_store_dwordx2 v[58:59], v[56:57], off
	s_cbranch_vccz .LBB193_114
; %bb.112:
	v_add_f64 v[56:57], v[54:55], 0
	v_lshl_add_u64 v[58:59], v[124:125], 3, v[64:65]
	s_mov_b64 s[0:1], 0
	global_store_dwordx2 v[58:59], v[56:57], off
	s_cbranch_execz .LBB193_115
; %bb.113:
	v_mov_b64_e32 v[54:55], s[0:1]
	s_branch .LBB193_116
.LBB193_114:
	s_mov_b64 s[0:1], -1
.LBB193_115:
	v_lshl_add_u64 v[56:57], v[66:67], 0, v[140:141]
	flat_load_dwordx2 v[56:57], v[56:57]
	v_lshl_add_u64 v[58:59], v[64:65], 0, v[140:141]
	s_waitcnt vmcnt(0) lgkmcnt(0)
	v_fmac_f64_e32 v[54:55], s[6:7], v[56:57]
	global_store_dwordx2 v[58:59], v[54:55], off
	v_lshl_add_u64 v[54:55], v[122:123], 3, v[66:67]
	flat_load_dwordx2 v[54:55], v[54:55]
	s_waitcnt vmcnt(0) lgkmcnt(0)
	v_mul_f64 v[54:55], v[54:55], s[6:7]
.LBB193_116:
	;; [unrolled: 28-line block ×14, first 2 shown]
	v_add_f64 v[4:5], v[4:5], v[6:7]
	v_lshl_add_u64 v[6:7], v[74:75], 3, v[64:65]
	s_mov_b64 vcc, s[4:5]
	global_store_dwordx2 v[6:7], v[4:5], off
	s_cbranch_vccz .LBB193_179
; %bb.177:
	v_add_f64 v[4:5], v[2:3], 0
	v_lshl_add_u64 v[6:7], v[72:73], 3, v[64:65]
	s_mov_b64 s[0:1], 0
	global_store_dwordx2 v[6:7], v[4:5], off
	s_cbranch_execz .LBB193_180
; %bb.178:
	v_mov_b64_e32 v[2:3], s[0:1]
	v_add_f64 v[0:1], v[0:1], v[2:3]
	v_lshl_add_u64 v[2:3], v[70:71], 3, v[64:65]
	global_store_dwordx2 v[2:3], v[0:1], off
	s_endpgm
.LBB193_179:
	s_mov_b64 s[0:1], -1
.LBB193_180:
	v_lshl_add_u64 v[4:5], v[66:67], 0, v[68:69]
	flat_load_dwordx2 v[4:5], v[4:5]
	v_lshl_add_u64 v[6:7], v[64:65], 0, v[68:69]
	s_waitcnt vmcnt(0) lgkmcnt(0)
	v_fmac_f64_e32 v[2:3], s[6:7], v[4:5]
	global_store_dwordx2 v[6:7], v[2:3], off
	v_lshl_add_u64 v[2:3], v[70:71], 3, v[66:67]
	flat_load_dwordx2 v[2:3], v[2:3]
	s_waitcnt vmcnt(0) lgkmcnt(0)
	v_mul_f64 v[2:3], v[2:3], s[6:7]
	v_add_f64 v[0:1], v[0:1], v[2:3]
	v_lshl_add_u64 v[2:3], v[70:71], 3, v[64:65]
	global_store_dwordx2 v[2:3], v[0:1], off
	s_endpgm
	.section	.rodata,"a",@progbits
	.p2align	6, 0x0
	.amdhsa_kernel _ZN12_GLOBAL__N_120geam_min_plus_kernelIdddLi4ELi64ELi128ELi128ELi4ELi64ELi4ELi64ELi4ELc78ELc84ELb1ELb0ELb0EdKddEEviiiT16_PT17_ilS4_ilS2_S4_ilPT18_ili26rocblas_geam_ex_operation_
		.amdhsa_group_segment_fixed_size 16384
		.amdhsa_private_segment_fixed_size 0
		.amdhsa_kernarg_size 136
		.amdhsa_user_sgpr_count 2
		.amdhsa_user_sgpr_dispatch_ptr 0
		.amdhsa_user_sgpr_queue_ptr 0
		.amdhsa_user_sgpr_kernarg_segment_ptr 1
		.amdhsa_user_sgpr_dispatch_id 0
		.amdhsa_user_sgpr_kernarg_preload_length 0
		.amdhsa_user_sgpr_kernarg_preload_offset 0
		.amdhsa_user_sgpr_private_segment_size 0
		.amdhsa_uses_dynamic_stack 0
		.amdhsa_enable_private_segment 0
		.amdhsa_system_sgpr_workgroup_id_x 1
		.amdhsa_system_sgpr_workgroup_id_y 0
		.amdhsa_system_sgpr_workgroup_id_z 1
		.amdhsa_system_sgpr_workgroup_info 0
		.amdhsa_system_vgpr_workitem_id 1
		.amdhsa_next_free_vgpr 252
		.amdhsa_next_free_sgpr 26
		.amdhsa_accum_offset 252
		.amdhsa_reserve_vcc 1
		.amdhsa_float_round_mode_32 0
		.amdhsa_float_round_mode_16_64 0
		.amdhsa_float_denorm_mode_32 3
		.amdhsa_float_denorm_mode_16_64 3
		.amdhsa_dx10_clamp 1
		.amdhsa_ieee_mode 1
		.amdhsa_fp16_overflow 0
		.amdhsa_tg_split 0
		.amdhsa_exception_fp_ieee_invalid_op 0
		.amdhsa_exception_fp_denorm_src 0
		.amdhsa_exception_fp_ieee_div_zero 0
		.amdhsa_exception_fp_ieee_overflow 0
		.amdhsa_exception_fp_ieee_underflow 0
		.amdhsa_exception_fp_ieee_inexact 0
		.amdhsa_exception_int_div_zero 0
	.end_amdhsa_kernel
	.section	.text._ZN12_GLOBAL__N_120geam_min_plus_kernelIdddLi4ELi64ELi128ELi128ELi4ELi64ELi4ELi64ELi4ELc78ELc84ELb1ELb0ELb0EdKddEEviiiT16_PT17_ilS4_ilS2_S4_ilPT18_ili26rocblas_geam_ex_operation_,"axG",@progbits,_ZN12_GLOBAL__N_120geam_min_plus_kernelIdddLi4ELi64ELi128ELi128ELi4ELi64ELi4ELi64ELi4ELc78ELc84ELb1ELb0ELb0EdKddEEviiiT16_PT17_ilS4_ilS2_S4_ilPT18_ili26rocblas_geam_ex_operation_,comdat
.Lfunc_end193:
	.size	_ZN12_GLOBAL__N_120geam_min_plus_kernelIdddLi4ELi64ELi128ELi128ELi4ELi64ELi4ELi64ELi4ELc78ELc84ELb1ELb0ELb0EdKddEEviiiT16_PT17_ilS4_ilS2_S4_ilPT18_ili26rocblas_geam_ex_operation_, .Lfunc_end193-_ZN12_GLOBAL__N_120geam_min_plus_kernelIdddLi4ELi64ELi128ELi128ELi4ELi64ELi4ELi64ELi4ELc78ELc84ELb1ELb0ELb0EdKddEEviiiT16_PT17_ilS4_ilS2_S4_ilPT18_ili26rocblas_geam_ex_operation_
                                        ; -- End function
	.section	.AMDGPU.csdata,"",@progbits
; Kernel info:
; codeLenInByte = 12680
; NumSgprs: 32
; NumVgprs: 252
; NumAgprs: 0
; TotalNumVgprs: 252
; ScratchSize: 0
; MemoryBound: 0
; FloatMode: 240
; IeeeMode: 1
; LDSByteSize: 16384 bytes/workgroup (compile time only)
; SGPRBlocks: 3
; VGPRBlocks: 31
; NumSGPRsForWavesPerEU: 32
; NumVGPRsForWavesPerEU: 252
; AccumOffset: 252
; Occupancy: 2
; WaveLimiterHint : 1
; COMPUTE_PGM_RSRC2:SCRATCH_EN: 0
; COMPUTE_PGM_RSRC2:USER_SGPR: 2
; COMPUTE_PGM_RSRC2:TRAP_HANDLER: 0
; COMPUTE_PGM_RSRC2:TGID_X_EN: 1
; COMPUTE_PGM_RSRC2:TGID_Y_EN: 0
; COMPUTE_PGM_RSRC2:TGID_Z_EN: 1
; COMPUTE_PGM_RSRC2:TIDIG_COMP_CNT: 1
; COMPUTE_PGM_RSRC3_GFX90A:ACCUM_OFFSET: 62
; COMPUTE_PGM_RSRC3_GFX90A:TG_SPLIT: 0
	.section	.text._ZN12_GLOBAL__N_120geam_min_plus_kernelIdddLi4ELi64ELi128ELi128ELi4ELi64ELi4ELi64ELi4ELc78ELc84ELb0ELb0ELb0EdKddEEviiiT16_PT17_ilS4_ilS2_S4_ilPT18_ili26rocblas_geam_ex_operation_,"axG",@progbits,_ZN12_GLOBAL__N_120geam_min_plus_kernelIdddLi4ELi64ELi128ELi128ELi4ELi64ELi4ELi64ELi4ELc78ELc84ELb0ELb0ELb0EdKddEEviiiT16_PT17_ilS4_ilS2_S4_ilPT18_ili26rocblas_geam_ex_operation_,comdat
	.globl	_ZN12_GLOBAL__N_120geam_min_plus_kernelIdddLi4ELi64ELi128ELi128ELi4ELi64ELi4ELi64ELi4ELc78ELc84ELb0ELb0ELb0EdKddEEviiiT16_PT17_ilS4_ilS2_S4_ilPT18_ili26rocblas_geam_ex_operation_ ; -- Begin function _ZN12_GLOBAL__N_120geam_min_plus_kernelIdddLi4ELi64ELi128ELi128ELi4ELi64ELi4ELi64ELi4ELc78ELc84ELb0ELb0ELb0EdKddEEviiiT16_PT17_ilS4_ilS2_S4_ilPT18_ili26rocblas_geam_ex_operation_
	.p2align	8
	.type	_ZN12_GLOBAL__N_120geam_min_plus_kernelIdddLi4ELi64ELi128ELi128ELi4ELi64ELi4ELi64ELi4ELc78ELc84ELb0ELb0ELb0EdKddEEviiiT16_PT17_ilS4_ilS2_S4_ilPT18_ili26rocblas_geam_ex_operation_,@function
_ZN12_GLOBAL__N_120geam_min_plus_kernelIdddLi4ELi64ELi128ELi128ELi4ELi64ELi4ELi64ELi4ELc78ELc84ELb0ELb0ELb0EdKddEEviiiT16_PT17_ilS4_ilS2_S4_ilPT18_ili26rocblas_geam_ex_operation_: ; @_ZN12_GLOBAL__N_120geam_min_plus_kernelIdddLi4ELi64ELi128ELi128ELi4ELi64ELi4ELi64ELi4ELc78ELc84ELb0ELb0ELb0EdKddEEviiiT16_PT17_ilS4_ilS2_S4_ilPT18_ili26rocblas_geam_ex_operation_
; %bb.0:
	s_load_dwordx4 s[16:19], s[0:1], 0x10
	s_load_dwordx4 s[4:7], s[0:1], 0x28
	s_mov_b64 s[20:21], 0
	s_waitcnt lgkmcnt(0)
	v_cmp_eq_f64_e64 s[12:13], s[16:17], 0
	s_and_b64 vcc, exec, s[12:13]
	s_cbranch_vccnz .LBB194_2
; %bb.1:
	s_mul_i32 s5, s3, s5
	s_mul_hi_u32 s8, s3, s4
	s_add_i32 s5, s8, s5
	s_mul_i32 s4, s3, s4
	s_lshl_b64 s[4:5], s[4:5], 3
	s_add_u32 s20, s18, s4
	s_addc_u32 s21, s19, s5
.LBB194_2:
	s_load_dwordx4 s[8:11], s[0:1], 0x40
	s_load_dwordx2 s[4:5], s[0:1], 0x50
	s_andn2_b64 vcc, exec, s[12:13]
	s_cbranch_vccnz .LBB194_4
; %bb.3:
	s_mov_b32 s19, 0
	s_mov_b64 s[22:23], 0
	s_cbranch_execz .LBB194_5
	s_branch .LBB194_6
.LBB194_4:
                                        ; implicit-def: $sgpr22_sgpr23
                                        ; implicit-def: $sgpr18_sgpr19
.LBB194_5:
	s_waitcnt lgkmcnt(0)
	s_mul_i32 s9, s3, s9
	s_mul_hi_u32 s12, s3, s8
	s_add_i32 s9, s12, s9
	s_mul_i32 s8, s3, s8
	s_lshl_b64 s[8:9], s[8:9], 3
	s_add_u32 s22, s6, s8
	s_mov_b32 s19, 0
	s_addc_u32 s23, s7, s9
.LBB194_6:
	s_load_dwordx4 s[12:15], s[0:1], 0x60
	s_waitcnt lgkmcnt(0)
	v_cmp_eq_f64_e64 s[6:7], s[10:11], 0
	s_and_b64 s[6:7], exec, s[6:7]
	v_cmp_neq_f64_e64 s[24:25], s[16:17], 0
	s_mov_b64 s[8:9], 0
	s_mov_b64 vcc, s[6:7]
	s_cbranch_vccnz .LBB194_8
; %bb.7:
	s_mul_i32 s8, s3, s13
	s_mul_hi_u32 s9, s3, s12
	s_add_i32 s8, s9, s8
	s_mul_i32 s9, s19, s12
	s_add_i32 s9, s8, s9
	s_mul_i32 s8, s3, s12
	s_lshl_b64 s[8:9], s[8:9], 3
	s_add_u32 s8, s4, s8
	s_addc_u32 s9, s5, s9
.LBB194_8:
	s_load_dword s4, s[0:1], 0x0
	s_load_dword s26, s[0:1], 0x20
	v_and_b32_e32 v140, 0x3ff, v0
	v_bfe_u32 v141, v0, 10, 10
	v_cndmask_b32_e64 v0, 0, 1, s[24:25]
	s_waitcnt lgkmcnt(0)
	s_add_i32 s4, s4, -1
	s_ashr_i32 s5, s4, 31
	s_lshr_b32 s5, s5, 25
	s_add_i32 s4, s4, s5
	s_ashr_i32 s12, s4, 7
	s_add_i32 s13, s12, 1
	v_cvt_f32_u32_e32 v1, s13
	v_cmp_ne_u32_e64 s[4:5], 1, v0
	s_not_b32 s12, s12
	s_ashr_i32 s27, s26, 31
	v_rcp_iflag_f32_e32 v1, v1
	v_lshl_add_u32 v2, v141, 2, v140
	v_and_b32_e32 v148, 63, v2
	v_lshrrev_b32_e32 v142, 6, v2
	v_mul_f32_e32 v0, 0x4f7ffffe, v1
	v_cvt_u32_f32_e32 v0, v0
	s_nop 0
	v_readfirstlane_b32 s18, v0
	s_mul_i32 s12, s12, s18
	s_mul_hi_u32 s12, s18, s12
	s_add_i32 s18, s18, s12
	s_mul_hi_u32 s12, s2, s18
	s_mul_i32 s18, s12, s13
	s_sub_i32 s18, s2, s18
	s_add_i32 s28, s12, 1
	s_sub_i32 s29, s18, s13
	s_cmp_ge_u32 s18, s13
	s_cselect_b32 s12, s28, s12
	s_cselect_b32 s18, s29, s18
	s_add_i32 s28, s12, 1
	s_cmp_ge_u32 s18, s13
	s_cselect_b32 s12, s28, s12
	s_mul_i32 s13, s12, s13
	s_sub_i32 s2, s2, s13
	s_lshl_b32 s2, s2, 7
	v_or_b32_e32 v128, s2, v148
	s_andn2_b64 vcc, exec, s[24:25]
	v_ashrrev_i32_e32 v129, 31, v128
	s_cbranch_vccnz .LBB194_10
; %bb.9:
	v_mad_i64_i32 v[0:1], s[24:25], s26, v142, 0
	v_lshl_add_u64 v[0:1], v[0:1], 3, s[20:21]
	v_lshl_add_u64 v[0:1], v[128:129], 3, v[0:1]
	flat_load_dwordx2 v[2:3], v[0:1]
	flat_load_dwordx2 v[4:5], v[0:1] offset:512
	s_waitcnt vmcnt(0) lgkmcnt(0)
	v_mul_f64 v[0:1], v[2:3], s[16:17]
	v_mul_f64 v[2:3], v[4:5], s[16:17]
	s_branch .LBB194_11
.LBB194_10:
	v_mov_b64_e32 v[0:1], 0
	v_mov_b64_e32 v[2:3], 0
.LBB194_11:
	s_load_dword s24, s[0:1], 0x38
	s_lshl_b32 s18, s12, 7
	v_or_b32_e32 v130, s18, v148
	s_and_b64 vcc, exec, s[4:5]
	v_ashrrev_i32_e32 v131, 31, v130
	s_waitcnt lgkmcnt(0)
	s_ashr_i32 s25, s24, 31
	s_cbranch_vccnz .LBB194_15
; %bb.12:
	v_mad_i64_i32 v[4:5], s[12:13], s24, v142, 0
	v_lshl_add_u64 v[4:5], v[4:5], 3, s[22:23]
	v_lshl_add_u64 v[4:5], v[130:131], 3, v[4:5]
	flat_load_dwordx2 v[6:7], v[4:5]
	flat_load_dwordx2 v[8:9], v[4:5] offset:512
	s_waitcnt vmcnt(0) lgkmcnt(0)
	v_mul_f64 v[4:5], v[6:7], s[16:17]
	v_mul_f64 v[6:7], v[8:9], s[16:17]
	s_and_b64 vcc, exec, s[4:5]
	v_add_u32_e32 v143, 4, v142
	s_cbranch_vccnz .LBB194_16
.LBB194_13:
	v_mad_i64_i32 v[8:9], s[12:13], s26, v143, 0
	v_lshl_add_u64 v[8:9], v[8:9], 3, s[20:21]
	v_lshl_add_u64 v[8:9], v[128:129], 3, v[8:9]
	flat_load_dwordx2 v[10:11], v[8:9]
	flat_load_dwordx2 v[12:13], v[8:9] offset:512
	s_waitcnt vmcnt(0) lgkmcnt(0)
	v_mul_f64 v[132:133], v[10:11], s[16:17]
	v_mul_f64 v[134:135], v[12:13], s[16:17]
	s_and_b64 vcc, exec, s[4:5]
	s_cbranch_vccnz .LBB194_17
.LBB194_14:
	v_mad_i64_i32 v[8:9], s[12:13], s24, v143, 0
	v_lshl_add_u64 v[8:9], v[8:9], 3, s[22:23]
	v_lshl_add_u64 v[8:9], v[130:131], 3, v[8:9]
	flat_load_dwordx2 v[10:11], v[8:9]
	flat_load_dwordx2 v[12:13], v[8:9] offset:512
	s_waitcnt vmcnt(0) lgkmcnt(0)
	v_mul_f64 v[136:137], v[10:11], s[16:17]
	v_mul_f64 v[138:139], v[12:13], s[16:17]
	s_branch .LBB194_18
.LBB194_15:
	v_mov_b64_e32 v[4:5], 0
	v_mov_b64_e32 v[6:7], 0
	s_and_b64 vcc, exec, s[4:5]
	v_add_u32_e32 v143, 4, v142
	s_cbranch_vccz .LBB194_13
.LBB194_16:
	v_mov_b64_e32 v[132:133], 0
	v_mov_b64_e32 v[134:135], 0
	s_and_b64 vcc, exec, s[4:5]
	s_cbranch_vccz .LBB194_14
.LBB194_17:
	v_mov_b64_e32 v[136:137], 0
	v_mov_b64_e32 v[138:139], 0
.LBB194_18:
	v_lshlrev_b32_e32 v8, 3, v142
	v_lshl_add_u32 v144, v148, 5, v8
	v_lshlrev_b32_e32 v152, 5, v141
	ds_write2st64_b64 v144, v[0:1], v[2:3] offset1:4
	v_or_b32_e32 v145, 0x2000, v144
	ds_write2st64_b64 v144, v[4:5], v[6:7] offset0:16 offset1:20
	v_lshlrev_b32_e32 v146, 5, v140
	v_add_u32_e32 v147, 0x2000, v152
	s_mov_b32 s12, 0
	v_mov_b64_e32 v[126:127], 0
	v_mov_b64_e32 v[124:125], 0
	;; [unrolled: 1-line block ×64, first 2 shown]
	s_waitcnt lgkmcnt(0)
	s_barrier
.LBB194_19:                             ; =>This Inner Loop Header: Depth=1
	v_add_u32_e32 v149, s12, v146
	v_add_u32_e32 v150, s12, v147
	ds_read2_b64 v[154:157], v149 offset1:16
	ds_read2_b64 v[158:161], v149 offset0:32 offset1:48
	ds_read2_b64 v[162:165], v149 offset0:64 offset1:80
	;; [unrolled: 1-line block ×7, first 2 shown]
	ds_read2st64_b64 v[186:189], v150 offset1:4
	v_add_u32_e32 v149, 0x800, v149
	ds_read2_b64 v[190:193], v149 offset1:16
	ds_read2_b64 v[194:197], v149 offset0:32 offset1:48
	ds_read2_b64 v[198:201], v149 offset0:64 offset1:80
	;; [unrolled: 1-line block ×7, first 2 shown]
	s_waitcnt lgkmcnt(14)
	v_max_f64 v[150:151], v[154:155], v[154:155]
	v_max_f64 v[154:155], v[156:157], v[156:157]
	;; [unrolled: 1-line block ×6, first 2 shown]
	s_waitcnt lgkmcnt(13)
	v_max_f64 v[164:165], v[166:167], v[166:167]
	v_max_f64 v[166:167], v[168:169], v[168:169]
	s_waitcnt lgkmcnt(12)
	v_max_f64 v[168:169], v[170:171], v[170:171]
	v_max_f64 v[170:171], v[172:173], v[172:173]
	;; [unrolled: 3-line block ×14, first 2 shown]
	v_min_f64 v[220:221], v[150:151], v[184:185]
	v_min_f64 v[222:223], v[154:155], v[184:185]
	;; [unrolled: 1-line block ×32, first 2 shown]
	s_add_i32 s12, s12, 8
	v_add_f64 v[62:63], v[150:151], v[62:63]
	v_add_f64 v[60:61], v[154:155], v[60:61]
	v_add_f64 v[58:59], v[156:157], v[58:59]
	v_add_f64 v[56:57], v[158:159], v[56:57]
	v_add_f64 v[54:55], v[160:161], v[54:55]
	v_add_f64 v[52:53], v[162:163], v[52:53]
	v_add_f64 v[50:51], v[164:165], v[50:51]
	v_add_f64 v[48:49], v[166:167], v[48:49]
	v_add_f64 v[46:47], v[168:169], v[46:47]
	v_add_f64 v[44:45], v[170:171], v[44:45]
	v_add_f64 v[42:43], v[172:173], v[42:43]
	v_add_f64 v[40:41], v[174:175], v[40:41]
	v_add_f64 v[38:39], v[176:177], v[38:39]
	v_add_f64 v[36:37], v[178:179], v[36:37]
	v_add_f64 v[34:35], v[180:181], v[34:35]
	v_add_f64 v[32:33], v[182:183], v[32:33]
	v_min_f64 v[150:151], v[188:189], v[184:185]
	v_min_f64 v[154:155], v[190:191], v[184:185]
	;; [unrolled: 1-line block ×32, first 2 shown]
	s_cmp_eq_u32 s12, 32
	v_add_f64 v[126:127], v[220:221], v[126:127]
	v_add_f64 v[124:125], v[222:223], v[124:125]
	;; [unrolled: 1-line block ×48, first 2 shown]
	s_cbranch_scc0 .LBB194_19
; %bb.20:
	s_load_dword s28, s[0:1], 0x8
	v_lshlrev_b32_e32 v148, 5, v148
	v_lshl_add_u32 v151, v142, 3, v148
	ds_write2st64_b64 v151, v[132:133], v[134:135] offset0:8 offset1:12
	ds_write2st64_b64 v151, v[136:137], v[138:139] offset0:24 offset1:28
	s_waitcnt lgkmcnt(0)
	s_cmp_gt_i32 s28, 8
	s_barrier
	s_cbranch_scc1 .LBB194_22
; %bb.21:
	v_add_u32_e32 v148, 0x1000, v146
	v_add_u32_e32 v149, 0x3000, v152
	s_cbranch_execz .LBB194_23
	s_branch .LBB194_39
.LBB194_22:
                                        ; implicit-def: $vgpr148
                                        ; implicit-def: $vgpr149
.LBB194_23:
	v_or_b32_e32 v150, 0x1000, v151
	v_or_b32_e32 v151, 0x3000, v151
	s_add_i32 s12, s28, -8
	v_lshl_add_u64 v[128:129], v[128:129], 3, s[20:21]
	v_lshl_add_u64 v[130:131], v[130:131], 3, s[22:23]
	v_add_u32_e32 v148, 0x1000, v146
	v_add_u32_e32 v149, 0x3000, v152
	s_mov_b32 s13, 8
	s_mov_b32 s20, 0
.LBB194_24:                             ; =>This Loop Header: Depth=1
                                        ;     Child Loop BB194_30 Depth 2
                                        ;     Child Loop BB194_37 Depth 2
	s_and_b64 vcc, exec, s[4:5]
	v_add_u32_e32 v136, s13, v142
	s_cbranch_vccnz .LBB194_27
; %bb.25:                               ;   in Loop: Header=BB194_24 Depth=1
	v_mad_u64_u32 v[132:133], s[22:23], v136, s26, 0
	v_mov_b32_e32 v134, v133
	v_mad_u64_u32 v[134:135], s[22:23], v136, s27, v[134:135]
	v_mov_b32_e32 v133, v134
	v_lshl_add_u64 v[132:133], v[132:133], 3, v[128:129]
	flat_load_dwordx2 v[134:135], v[132:133]
	flat_load_dwordx2 v[138:139], v[132:133] offset:512
	s_waitcnt vmcnt(0) lgkmcnt(0)
	v_mul_f64 v[132:133], v[134:135], s[16:17]
	v_mul_f64 v[134:135], v[138:139], s[16:17]
	s_and_b64 vcc, exec, s[4:5]
	s_cbranch_vccnz .LBB194_28
.LBB194_26:                             ;   in Loop: Header=BB194_24 Depth=1
	v_mad_u64_u32 v[138:139], s[22:23], v136, s24, 0
	v_mov_b32_e32 v152, v139
	v_mad_u64_u32 v[136:137], s[22:23], v136, s25, v[152:153]
	v_mov_b32_e32 v139, v136
	v_lshl_add_u64 v[136:137], v[138:139], 3, v[130:131]
	flat_load_dwordx2 v[138:139], v[136:137]
	flat_load_dwordx2 v[152:153], v[136:137] offset:512
	s_waitcnt vmcnt(0) lgkmcnt(0)
	v_mul_f64 v[136:137], v[138:139], s[16:17]
	v_mul_f64 v[138:139], v[152:153], s[16:17]
	s_branch .LBB194_29
.LBB194_27:                             ;   in Loop: Header=BB194_24 Depth=1
	v_mov_b64_e32 v[132:133], 0
	v_mov_b64_e32 v[134:135], 0
	s_and_b64 vcc, exec, s[4:5]
	s_cbranch_vccz .LBB194_26
.LBB194_28:                             ;   in Loop: Header=BB194_24 Depth=1
	v_mov_b64_e32 v[136:137], 0
	v_mov_b64_e32 v[138:139], 0
.LBB194_29:                             ;   in Loop: Header=BB194_24 Depth=1
	s_mov_b32 s21, 0
.LBB194_30:                             ;   Parent Loop BB194_24 Depth=1
                                        ; =>  This Inner Loop Header: Depth=2
	v_add_u32_e32 v184, s21, v148
	v_add_u32_e32 v185, s21, v149
	ds_read2_b64 v[152:155], v184 offset1:16
	ds_read2_b64 v[156:159], v184 offset0:32 offset1:48
	ds_read2_b64 v[160:163], v184 offset0:64 offset1:80
	;; [unrolled: 1-line block ×7, first 2 shown]
	v_add_u32_e32 v216, 0x800, v184
	ds_read2st64_b64 v[184:187], v185 offset1:4
	ds_read2_b64 v[188:191], v216 offset1:16
	ds_read2_b64 v[192:195], v216 offset0:32 offset1:48
	ds_read2_b64 v[196:199], v216 offset0:64 offset1:80
	ds_read2_b64 v[200:203], v216 offset0:96 offset1:112
	ds_read2_b64 v[204:207], v216 offset0:128 offset1:144
	ds_read2_b64 v[208:211], v216 offset0:160 offset1:176
	ds_read2_b64 v[212:215], v216 offset0:192 offset1:208
	ds_read2_b64 v[216:219], v216 offset0:224 offset1:240
	s_waitcnt lgkmcnt(14)
	v_max_f64 v[152:153], v[152:153], v[152:153]
	v_max_f64 v[154:155], v[154:155], v[154:155]
	;; [unrolled: 1-line block ×3, first 2 shown]
	s_waitcnt lgkmcnt(8)
	v_max_f64 v[184:185], v[184:185], v[184:185]
	v_max_f64 v[158:159], v[158:159], v[158:159]
	v_max_f64 v[160:161], v[160:161], v[160:161]
	v_max_f64 v[162:163], v[162:163], v[162:163]
	v_max_f64 v[164:165], v[164:165], v[164:165]
	v_max_f64 v[166:167], v[166:167], v[166:167]
	v_max_f64 v[168:169], v[168:169], v[168:169]
	v_max_f64 v[170:171], v[170:171], v[170:171]
	v_max_f64 v[172:173], v[172:173], v[172:173]
	v_max_f64 v[174:175], v[174:175], v[174:175]
	v_max_f64 v[176:177], v[176:177], v[176:177]
	v_max_f64 v[178:179], v[178:179], v[178:179]
	v_max_f64 v[180:181], v[180:181], v[180:181]
	v_max_f64 v[182:183], v[182:183], v[182:183]
	v_max_f64 v[186:187], v[186:187], v[186:187]
	v_min_f64 v[220:221], v[152:153], v[184:185]
	v_min_f64 v[222:223], v[154:155], v[184:185]
	;; [unrolled: 1-line block ×16, first 2 shown]
	s_waitcnt lgkmcnt(7)
	v_max_f64 v[188:189], v[188:189], v[188:189]
	v_max_f64 v[190:191], v[190:191], v[190:191]
	s_waitcnt lgkmcnt(6)
	v_max_f64 v[192:193], v[192:193], v[192:193]
	v_max_f64 v[194:195], v[194:195], v[194:195]
	s_waitcnt lgkmcnt(5)
	v_max_f64 v[196:197], v[196:197], v[196:197]
	v_max_f64 v[198:199], v[198:199], v[198:199]
	s_waitcnt lgkmcnt(4)
	v_max_f64 v[200:201], v[200:201], v[200:201]
	v_max_f64 v[202:203], v[202:203], v[202:203]
	s_waitcnt lgkmcnt(3)
	v_max_f64 v[204:205], v[204:205], v[204:205]
	v_max_f64 v[206:207], v[206:207], v[206:207]
	s_waitcnt lgkmcnt(2)
	v_max_f64 v[208:209], v[208:209], v[208:209]
	v_max_f64 v[210:211], v[210:211], v[210:211]
	s_waitcnt lgkmcnt(1)
	v_max_f64 v[212:213], v[212:213], v[212:213]
	v_max_f64 v[214:215], v[214:215], v[214:215]
	s_waitcnt lgkmcnt(0)
	v_max_f64 v[216:217], v[216:217], v[216:217]
	v_max_f64 v[218:219], v[218:219], v[218:219]
	v_min_f64 v[152:153], v[152:153], v[186:187]
	v_min_f64 v[154:155], v[154:155], v[186:187]
	;; [unrolled: 1-line block ×16, first 2 shown]
	s_add_i32 s21, s21, 8
	v_add_f64 v[126:127], v[220:221], v[126:127]
	v_add_f64 v[124:125], v[222:223], v[124:125]
	;; [unrolled: 1-line block ×15, first 2 shown]
	v_min_f64 v[220:221], v[188:189], v[184:185]
	v_min_f64 v[222:223], v[190:191], v[184:185]
	;; [unrolled: 1-line block ×16, first 2 shown]
	v_add_f64 v[62:63], v[152:153], v[62:63]
	v_add_f64 v[60:61], v[154:155], v[60:61]
	;; [unrolled: 1-line block ×16, first 2 shown]
	v_min_f64 v[152:153], v[188:189], v[186:187]
	v_min_f64 v[154:155], v[190:191], v[186:187]
	;; [unrolled: 1-line block ×16, first 2 shown]
	s_cmp_eq_u32 s21, 32
	v_add_f64 v[96:97], v[250:251], v[96:97]
	v_add_f64 v[94:95], v[220:221], v[94:95]
	;; [unrolled: 1-line block ×33, first 2 shown]
	s_cbranch_scc0 .LBB194_30
; %bb.31:                               ;   in Loop: Header=BB194_24 Depth=1
	ds_write2st64_b64 v144, v[132:133], v[134:135] offset1:4
	ds_write2st64_b64 v145, v[136:137], v[138:139] offset1:4
	s_and_b64 vcc, exec, s[4:5]
	v_add_u32_e32 v136, s13, v143
	s_waitcnt lgkmcnt(0)
	s_barrier
	s_cbranch_vccnz .LBB194_34
; %bb.32:                               ;   in Loop: Header=BB194_24 Depth=1
	v_mad_u64_u32 v[132:133], s[22:23], v136, s26, 0
	v_mov_b32_e32 v134, v133
	v_mad_u64_u32 v[134:135], s[22:23], v136, s27, v[134:135]
	v_mov_b32_e32 v133, v134
	v_lshl_add_u64 v[132:133], v[132:133], 3, v[128:129]
	flat_load_dwordx2 v[134:135], v[132:133]
	flat_load_dwordx2 v[138:139], v[132:133] offset:512
	s_waitcnt vmcnt(0) lgkmcnt(0)
	v_mul_f64 v[132:133], v[134:135], s[16:17]
	v_mul_f64 v[134:135], v[138:139], s[16:17]
	s_and_b64 vcc, exec, s[4:5]
	s_cbranch_vccnz .LBB194_35
.LBB194_33:                             ;   in Loop: Header=BB194_24 Depth=1
	v_mad_u64_u32 v[138:139], s[22:23], v136, s24, 0
	v_mov_b32_e32 v152, v139
	v_mad_u64_u32 v[136:137], s[22:23], v136, s25, v[152:153]
	v_mov_b32_e32 v139, v136
	v_lshl_add_u64 v[136:137], v[138:139], 3, v[130:131]
	flat_load_dwordx2 v[138:139], v[136:137]
	flat_load_dwordx2 v[152:153], v[136:137] offset:512
	s_waitcnt vmcnt(0) lgkmcnt(0)
	v_mul_f64 v[136:137], v[138:139], s[16:17]
	v_mul_f64 v[138:139], v[152:153], s[16:17]
	s_branch .LBB194_36
.LBB194_34:                             ;   in Loop: Header=BB194_24 Depth=1
	v_mov_b64_e32 v[132:133], 0
	v_mov_b64_e32 v[134:135], 0
	s_and_b64 vcc, exec, s[4:5]
	s_cbranch_vccz .LBB194_33
.LBB194_35:                             ;   in Loop: Header=BB194_24 Depth=1
	v_mov_b64_e32 v[136:137], 0
	v_mov_b64_e32 v[138:139], 0
.LBB194_36:                             ;   in Loop: Header=BB194_24 Depth=1
	s_mov_b32 s21, 0
.LBB194_37:                             ;   Parent Loop BB194_24 Depth=1
                                        ; =>  This Inner Loop Header: Depth=2
	v_add_u32_e32 v184, s21, v146
	v_add_u32_e32 v185, s21, v147
	ds_read2_b64 v[152:155], v184 offset1:16
	ds_read2_b64 v[156:159], v184 offset0:32 offset1:48
	ds_read2_b64 v[160:163], v184 offset0:64 offset1:80
	;; [unrolled: 1-line block ×7, first 2 shown]
	v_add_u32_e32 v216, 0x800, v184
	ds_read2st64_b64 v[184:187], v185 offset1:4
	ds_read2_b64 v[188:191], v216 offset1:16
	ds_read2_b64 v[192:195], v216 offset0:32 offset1:48
	ds_read2_b64 v[196:199], v216 offset0:64 offset1:80
	;; [unrolled: 1-line block ×7, first 2 shown]
	s_waitcnt lgkmcnt(14)
	v_max_f64 v[152:153], v[152:153], v[152:153]
	v_max_f64 v[154:155], v[154:155], v[154:155]
	;; [unrolled: 1-line block ×3, first 2 shown]
	s_waitcnt lgkmcnt(8)
	v_max_f64 v[184:185], v[184:185], v[184:185]
	v_max_f64 v[158:159], v[158:159], v[158:159]
	;; [unrolled: 1-line block ×15, first 2 shown]
	v_min_f64 v[220:221], v[152:153], v[184:185]
	v_min_f64 v[222:223], v[154:155], v[184:185]
	;; [unrolled: 1-line block ×16, first 2 shown]
	s_waitcnt lgkmcnt(7)
	v_max_f64 v[188:189], v[188:189], v[188:189]
	v_max_f64 v[190:191], v[190:191], v[190:191]
	s_waitcnt lgkmcnt(6)
	v_max_f64 v[192:193], v[192:193], v[192:193]
	v_max_f64 v[194:195], v[194:195], v[194:195]
	;; [unrolled: 3-line block ×8, first 2 shown]
	v_min_f64 v[152:153], v[152:153], v[186:187]
	v_min_f64 v[154:155], v[154:155], v[186:187]
	;; [unrolled: 1-line block ×16, first 2 shown]
	s_add_i32 s21, s21, 8
	v_add_f64 v[126:127], v[220:221], v[126:127]
	v_add_f64 v[124:125], v[222:223], v[124:125]
	;; [unrolled: 1-line block ×15, first 2 shown]
	v_min_f64 v[220:221], v[188:189], v[184:185]
	v_min_f64 v[222:223], v[190:191], v[184:185]
	;; [unrolled: 1-line block ×16, first 2 shown]
	v_add_f64 v[62:63], v[152:153], v[62:63]
	v_add_f64 v[60:61], v[154:155], v[60:61]
	;; [unrolled: 1-line block ×16, first 2 shown]
	v_min_f64 v[152:153], v[188:189], v[186:187]
	v_min_f64 v[154:155], v[190:191], v[186:187]
	;; [unrolled: 1-line block ×16, first 2 shown]
	s_cmp_eq_u32 s21, 32
	v_add_f64 v[96:97], v[250:251], v[96:97]
	v_add_f64 v[94:95], v[220:221], v[94:95]
	;; [unrolled: 1-line block ×33, first 2 shown]
	s_cbranch_scc0 .LBB194_37
; %bb.38:                               ;   in Loop: Header=BB194_24 Depth=1
	s_add_i32 s13, s13, 8
	s_add_i32 s20, s20, 8
	s_cmp_ge_i32 s20, s12
	ds_write2st64_b64 v150, v[132:133], v[134:135] offset1:4
	ds_write2st64_b64 v151, v[136:137], v[138:139] offset1:4
	s_waitcnt lgkmcnt(0)
	s_barrier
	s_cbranch_scc0 .LBB194_24
.LBB194_39:
	s_mov_b32 s4, 0
.LBB194_40:                             ; =>This Inner Loop Header: Depth=1
	v_add_u32_e32 v146, s4, v148
	v_add_u32_e32 v147, s4, v149
	ds_read2_b64 v[128:131], v146 offset1:16
	ds_read2_b64 v[132:135], v146 offset0:32 offset1:48
	ds_read2_b64 v[136:139], v146 offset0:64 offset1:80
	;; [unrolled: 1-line block ×7, first 2 shown]
	v_add_u32_e32 v146, 0x800, v146
	ds_read2st64_b64 v[166:169], v147 offset1:4
	ds_read2_b64 v[170:173], v146 offset1:16
	ds_read2_b64 v[174:177], v146 offset0:32 offset1:48
	ds_read2_b64 v[178:181], v146 offset0:64 offset1:80
	;; [unrolled: 1-line block ×7, first 2 shown]
	s_waitcnt lgkmcnt(14)
	v_max_f64 v[128:129], v[128:129], v[128:129]
	v_max_f64 v[130:131], v[130:131], v[130:131]
	;; [unrolled: 1-line block ×3, first 2 shown]
	s_waitcnt lgkmcnt(8)
	v_max_f64 v[146:147], v[166:167], v[166:167]
	v_max_f64 v[134:135], v[134:135], v[134:135]
	;; [unrolled: 1-line block ×15, first 2 shown]
	v_min_f64 v[168:169], v[128:129], v[146:147]
	v_min_f64 v[202:203], v[130:131], v[146:147]
	;; [unrolled: 1-line block ×16, first 2 shown]
	s_waitcnt lgkmcnt(7)
	v_max_f64 v[170:171], v[170:171], v[170:171]
	v_max_f64 v[172:173], v[172:173], v[172:173]
	s_waitcnt lgkmcnt(6)
	v_max_f64 v[174:175], v[174:175], v[174:175]
	v_max_f64 v[176:177], v[176:177], v[176:177]
	;; [unrolled: 3-line block ×8, first 2 shown]
	v_min_f64 v[128:129], v[128:129], v[166:167]
	v_min_f64 v[130:131], v[130:131], v[166:167]
	;; [unrolled: 1-line block ×16, first 2 shown]
	s_add_i32 s4, s4, 8
	v_add_f64 v[126:127], v[168:169], v[126:127]
	v_add_f64 v[124:125], v[202:203], v[124:125]
	v_add_f64 v[122:123], v[204:205], v[122:123]
	v_add_f64 v[120:121], v[206:207], v[120:121]
	v_add_f64 v[118:119], v[208:209], v[118:119]
	v_add_f64 v[116:117], v[210:211], v[116:117]
	v_add_f64 v[114:115], v[212:213], v[114:115]
	v_add_f64 v[112:113], v[214:215], v[112:113]
	v_add_f64 v[110:111], v[216:217], v[110:111]
	v_add_f64 v[108:109], v[218:219], v[108:109]
	v_add_f64 v[106:107], v[220:221], v[106:107]
	v_add_f64 v[104:105], v[222:223], v[104:105]
	v_add_f64 v[102:103], v[224:225], v[102:103]
	v_add_f64 v[100:101], v[226:227], v[100:101]
	v_add_f64 v[98:99], v[228:229], v[98:99]
	v_min_f64 v[168:169], v[170:171], v[146:147]
	v_min_f64 v[202:203], v[172:173], v[146:147]
	;; [unrolled: 1-line block ×16, first 2 shown]
	v_add_f64 v[62:63], v[128:129], v[62:63]
	v_add_f64 v[60:61], v[130:131], v[60:61]
	;; [unrolled: 1-line block ×16, first 2 shown]
	v_min_f64 v[128:129], v[170:171], v[166:167]
	v_min_f64 v[130:131], v[172:173], v[166:167]
	;; [unrolled: 1-line block ×16, first 2 shown]
	s_cmp_eq_u32 s4, 32
	v_add_f64 v[96:97], v[230:231], v[96:97]
	v_add_f64 v[94:95], v[168:169], v[94:95]
	;; [unrolled: 1-line block ×33, first 2 shown]
	s_cbranch_scc0 .LBB194_40
; %bb.41:
	s_load_dwordx2 s[12:13], s[0:1], 0x78
	s_load_dword s4, s[0:1], 0x58
	s_load_dword s5, s[0:1], 0x70
	v_add_u32_e32 v130, s2, v140
	v_add_u32_e32 v170, s18, v141
	s_waitcnt lgkmcnt(0)
	s_mul_i32 s0, s3, s13
	s_mul_hi_u32 s1, s3, s12
	s_mul_i32 s13, s19, s12
	s_add_i32 s0, s1, s0
	s_add_i32 s1, s0, s13
	s_mul_i32 s0, s3, s12
	s_lshl_b64 s[0:1], s[0:1], 3
	s_add_u32 s0, s14, s0
	s_addc_u32 s1, s15, s1
	v_add_u32_e32 v128, 4, v130
	v_mad_i64_i32 v[132:133], s[2:3], v170, s5, 0
	v_ashrrev_i32_e32 v131, 31, v130
	v_ashrrev_i32_e32 v129, 31, v128
	v_lshl_add_u64 v[138:139], v[132:133], 3, s[0:1]
	v_mad_i64_i32 v[132:133], s[2:3], v170, s4, 0
	s_mov_b64 vcc, s[6:7]
	s_cbranch_vccz .LBB194_44
; %bb.42:
	v_add_f64 v[134:135], v[126:127], 0
	v_lshl_add_u64 v[136:137], v[130:131], 3, v[138:139]
	s_mov_b64 s[2:3], 0
	global_store_dwordx2 v[136:137], v[134:135], off
	v_lshl_add_u64 v[146:147], v[132:133], 3, s[8:9]
	v_lshlrev_b64 v[134:135], 3, v[130:131]
	s_cbranch_execz .LBB194_45
; %bb.43:
	v_mov_b64_e32 v[136:137], s[2:3]
	s_branch .LBB194_46
.LBB194_44:
	s_mov_b64 s[2:3], -1
	v_lshl_add_u64 v[146:147], v[132:133], 3, s[8:9]
	v_lshlrev_b64 v[134:135], 3, v[130:131]
.LBB194_45:
	v_lshl_add_u64 v[132:133], v[146:147], 0, v[134:135]
	flat_load_dwordx2 v[132:133], v[132:133]
	v_lshl_add_u64 v[136:137], v[138:139], 0, v[134:135]
	s_waitcnt vmcnt(0) lgkmcnt(0)
	v_fmac_f64_e32 v[126:127], s[10:11], v[132:133]
	global_store_dwordx2 v[136:137], v[126:127], off
	v_lshl_add_u64 v[126:127], v[128:129], 3, v[146:147]
	flat_load_dwordx2 v[126:127], v[126:127]
	s_waitcnt vmcnt(0) lgkmcnt(0)
	v_mul_f64 v[136:137], v[126:127], s[10:11]
.LBB194_46:
	v_add_u32_e32 v132, 8, v130
	v_add_u32_e32 v126, 12, v130
	v_ashrrev_i32_e32 v133, 31, v132
	v_ashrrev_i32_e32 v127, 31, v126
	v_add_f64 v[124:125], v[124:125], v[136:137]
	v_lshl_add_u64 v[136:137], v[128:129], 3, v[138:139]
	s_mov_b64 vcc, s[6:7]
	global_store_dwordx2 v[136:137], v[124:125], off
	s_cbranch_vccz .LBB194_49
; %bb.47:
	v_add_f64 v[124:125], v[122:123], 0
	v_lshl_add_u64 v[136:137], v[132:133], 3, v[138:139]
	s_mov_b64 s[2:3], 0
	global_store_dwordx2 v[136:137], v[124:125], off
	v_lshlrev_b64 v[136:137], 3, v[132:133]
	s_cbranch_execz .LBB194_50
; %bb.48:
	v_mov_b64_e32 v[140:141], s[2:3]
	s_branch .LBB194_51
.LBB194_49:
	s_mov_b64 s[2:3], -1
	v_lshlrev_b64 v[136:137], 3, v[132:133]
.LBB194_50:
	v_lshl_add_u64 v[124:125], v[146:147], 0, v[136:137]
	flat_load_dwordx2 v[124:125], v[124:125]
	v_lshl_add_u64 v[140:141], v[138:139], 0, v[136:137]
	s_waitcnt vmcnt(0) lgkmcnt(0)
	v_fmac_f64_e32 v[122:123], s[10:11], v[124:125]
	global_store_dwordx2 v[140:141], v[122:123], off
	v_lshl_add_u64 v[122:123], v[126:127], 3, v[146:147]
	flat_load_dwordx2 v[122:123], v[122:123]
	s_waitcnt vmcnt(0) lgkmcnt(0)
	v_mul_f64 v[140:141], v[122:123], s[10:11]
.LBB194_51:
	v_add_u32_e32 v124, 16, v130
	v_add_u32_e32 v122, 20, v130
	v_ashrrev_i32_e32 v125, 31, v124
	v_ashrrev_i32_e32 v123, 31, v122
	v_add_f64 v[120:121], v[120:121], v[140:141]
	v_lshl_add_u64 v[140:141], v[126:127], 3, v[138:139]
	s_mov_b64 vcc, s[6:7]
	global_store_dwordx2 v[140:141], v[120:121], off
	s_cbranch_vccz .LBB194_54
; %bb.52:
	v_add_f64 v[120:121], v[118:119], 0
	v_lshl_add_u64 v[140:141], v[124:125], 3, v[138:139]
	s_mov_b64 s[2:3], 0
	global_store_dwordx2 v[140:141], v[120:121], off
	v_lshlrev_b64 v[140:141], 3, v[124:125]
	s_cbranch_execz .LBB194_55
; %bb.53:
	v_mov_b64_e32 v[142:143], s[2:3]
	s_branch .LBB194_56
.LBB194_54:
	s_mov_b64 s[2:3], -1
	v_lshlrev_b64 v[140:141], 3, v[124:125]
.LBB194_55:
	v_lshl_add_u64 v[120:121], v[146:147], 0, v[140:141]
	flat_load_dwordx2 v[120:121], v[120:121]
	v_lshl_add_u64 v[142:143], v[138:139], 0, v[140:141]
	s_waitcnt vmcnt(0) lgkmcnt(0)
	v_fmac_f64_e32 v[118:119], s[10:11], v[120:121]
	global_store_dwordx2 v[142:143], v[118:119], off
	v_lshl_add_u64 v[118:119], v[122:123], 3, v[146:147]
	flat_load_dwordx2 v[118:119], v[118:119]
	s_waitcnt vmcnt(0) lgkmcnt(0)
	v_mul_f64 v[142:143], v[118:119], s[10:11]
.LBB194_56:
	;; [unrolled: 34-line block ×15, first 2 shown]
	v_add_f64 v[64:65], v[64:65], v[66:67]
	v_lshl_add_u64 v[66:67], v[70:71], 3, v[138:139]
	global_store_dwordx2 v[66:67], v[64:65], off
	v_add_u32_e32 v66, 64, v170
	v_mad_i64_i32 v[64:65], s[2:3], v66, s5, 0
	v_lshl_add_u64 v[64:65], v[64:65], 3, s[0:1]
	v_mad_i64_i32 v[66:67], s[0:1], v66, s4, 0
	s_mov_b64 vcc, s[6:7]
	s_cbranch_vccz .LBB194_124
; %bb.122:
	v_add_f64 v[138:139], v[62:63], 0
	v_lshl_add_u64 v[130:131], v[130:131], 3, v[64:65]
	s_mov_b64 s[0:1], 0
	global_store_dwordx2 v[130:131], v[138:139], off
	v_lshl_add_u64 v[66:67], v[66:67], 3, s[8:9]
	s_cbranch_execz .LBB194_125
; %bb.123:
	v_mov_b64_e32 v[62:63], s[0:1]
	s_branch .LBB194_126
.LBB194_124:
	s_mov_b64 s[0:1], -1
	v_lshl_add_u64 v[66:67], v[66:67], 3, s[8:9]
.LBB194_125:
	v_lshl_add_u64 v[130:131], v[66:67], 0, v[134:135]
	flat_load_dwordx2 v[130:131], v[130:131]
	v_lshl_add_u64 v[134:135], v[64:65], 0, v[134:135]
	s_waitcnt vmcnt(0) lgkmcnt(0)
	v_fmac_f64_e32 v[62:63], s[10:11], v[130:131]
	global_store_dwordx2 v[134:135], v[62:63], off
	v_lshl_add_u64 v[62:63], v[128:129], 3, v[66:67]
	flat_load_dwordx2 v[62:63], v[62:63]
	s_waitcnt vmcnt(0) lgkmcnt(0)
	v_mul_f64 v[62:63], v[62:63], s[10:11]
.LBB194_126:
	v_add_f64 v[60:61], v[60:61], v[62:63]
	v_lshl_add_u64 v[62:63], v[128:129], 3, v[64:65]
	s_mov_b64 vcc, s[6:7]
	global_store_dwordx2 v[62:63], v[60:61], off
	s_cbranch_vccz .LBB194_129
; %bb.127:
	v_add_f64 v[60:61], v[58:59], 0
	v_lshl_add_u64 v[62:63], v[132:133], 3, v[64:65]
	s_mov_b64 s[0:1], 0
	global_store_dwordx2 v[62:63], v[60:61], off
	s_cbranch_execz .LBB194_130
; %bb.128:
	v_mov_b64_e32 v[58:59], s[0:1]
	s_branch .LBB194_131
.LBB194_129:
	s_mov_b64 s[0:1], -1
.LBB194_130:
	v_lshl_add_u64 v[60:61], v[66:67], 0, v[136:137]
	flat_load_dwordx2 v[60:61], v[60:61]
	v_lshl_add_u64 v[62:63], v[64:65], 0, v[136:137]
	s_waitcnt vmcnt(0) lgkmcnt(0)
	v_fmac_f64_e32 v[58:59], s[10:11], v[60:61]
	global_store_dwordx2 v[62:63], v[58:59], off
	v_lshl_add_u64 v[58:59], v[126:127], 3, v[66:67]
	flat_load_dwordx2 v[58:59], v[58:59]
	s_waitcnt vmcnt(0) lgkmcnt(0)
	v_mul_f64 v[58:59], v[58:59], s[10:11]
.LBB194_131:
	v_add_f64 v[56:57], v[56:57], v[58:59]
	v_lshl_add_u64 v[58:59], v[126:127], 3, v[64:65]
	s_mov_b64 vcc, s[6:7]
	global_store_dwordx2 v[58:59], v[56:57], off
	s_cbranch_vccz .LBB194_134
; %bb.132:
	v_add_f64 v[56:57], v[54:55], 0
	v_lshl_add_u64 v[58:59], v[124:125], 3, v[64:65]
	s_mov_b64 s[0:1], 0
	global_store_dwordx2 v[58:59], v[56:57], off
	s_cbranch_execz .LBB194_135
; %bb.133:
	v_mov_b64_e32 v[54:55], s[0:1]
	s_branch .LBB194_136
.LBB194_134:
	s_mov_b64 s[0:1], -1
.LBB194_135:
	v_lshl_add_u64 v[56:57], v[66:67], 0, v[140:141]
	flat_load_dwordx2 v[56:57], v[56:57]
	v_lshl_add_u64 v[58:59], v[64:65], 0, v[140:141]
	s_waitcnt vmcnt(0) lgkmcnt(0)
	v_fmac_f64_e32 v[54:55], s[10:11], v[56:57]
	global_store_dwordx2 v[58:59], v[54:55], off
	v_lshl_add_u64 v[54:55], v[122:123], 3, v[66:67]
	flat_load_dwordx2 v[54:55], v[54:55]
	s_waitcnt vmcnt(0) lgkmcnt(0)
	v_mul_f64 v[54:55], v[54:55], s[10:11]
.LBB194_136:
	v_add_f64 v[52:53], v[52:53], v[54:55]
	v_lshl_add_u64 v[54:55], v[122:123], 3, v[64:65]
	s_mov_b64 vcc, s[6:7]
	global_store_dwordx2 v[54:55], v[52:53], off
	s_cbranch_vccz .LBB194_139
; %bb.137:
	v_add_f64 v[52:53], v[50:51], 0
	v_lshl_add_u64 v[54:55], v[120:121], 3, v[64:65]
	s_mov_b64 s[0:1], 0
	global_store_dwordx2 v[54:55], v[52:53], off
	s_cbranch_execz .LBB194_140
; %bb.138:
	v_mov_b64_e32 v[50:51], s[0:1]
	s_branch .LBB194_141
.LBB194_139:
	s_mov_b64 s[0:1], -1
.LBB194_140:
	v_lshl_add_u64 v[52:53], v[66:67], 0, v[142:143]
	flat_load_dwordx2 v[52:53], v[52:53]
	v_lshl_add_u64 v[54:55], v[64:65], 0, v[142:143]
	s_waitcnt vmcnt(0) lgkmcnt(0)
	v_fmac_f64_e32 v[50:51], s[10:11], v[52:53]
	global_store_dwordx2 v[54:55], v[50:51], off
	v_lshl_add_u64 v[50:51], v[118:119], 3, v[66:67]
	flat_load_dwordx2 v[50:51], v[50:51]
	s_waitcnt vmcnt(0) lgkmcnt(0)
	v_mul_f64 v[50:51], v[50:51], s[10:11]
.LBB194_141:
	v_add_f64 v[48:49], v[48:49], v[50:51]
	v_lshl_add_u64 v[50:51], v[118:119], 3, v[64:65]
	s_mov_b64 vcc, s[6:7]
	global_store_dwordx2 v[50:51], v[48:49], off
	s_cbranch_vccz .LBB194_144
; %bb.142:
	v_add_f64 v[48:49], v[46:47], 0
	v_lshl_add_u64 v[50:51], v[116:117], 3, v[64:65]
	s_mov_b64 s[0:1], 0
	global_store_dwordx2 v[50:51], v[48:49], off
	s_cbranch_execz .LBB194_145
; %bb.143:
	v_mov_b64_e32 v[46:47], s[0:1]
	s_branch .LBB194_146
.LBB194_144:
	s_mov_b64 s[0:1], -1
.LBB194_145:
	v_lshl_add_u64 v[48:49], v[66:67], 0, v[144:145]
	flat_load_dwordx2 v[48:49], v[48:49]
	v_lshl_add_u64 v[50:51], v[64:65], 0, v[144:145]
	s_waitcnt vmcnt(0) lgkmcnt(0)
	v_fmac_f64_e32 v[46:47], s[10:11], v[48:49]
	global_store_dwordx2 v[50:51], v[46:47], off
	v_lshl_add_u64 v[46:47], v[114:115], 3, v[66:67]
	flat_load_dwordx2 v[46:47], v[46:47]
	s_waitcnt vmcnt(0) lgkmcnt(0)
	v_mul_f64 v[46:47], v[46:47], s[10:11]
.LBB194_146:
	v_add_f64 v[44:45], v[44:45], v[46:47]
	v_lshl_add_u64 v[46:47], v[114:115], 3, v[64:65]
	s_mov_b64 vcc, s[6:7]
	global_store_dwordx2 v[46:47], v[44:45], off
	s_cbranch_vccz .LBB194_149
; %bb.147:
	v_add_f64 v[44:45], v[42:43], 0
	v_lshl_add_u64 v[46:47], v[112:113], 3, v[64:65]
	s_mov_b64 s[0:1], 0
	global_store_dwordx2 v[46:47], v[44:45], off
	s_cbranch_execz .LBB194_150
; %bb.148:
	v_mov_b64_e32 v[42:43], s[0:1]
	s_branch .LBB194_151
.LBB194_149:
	s_mov_b64 s[0:1], -1
.LBB194_150:
	v_lshl_add_u64 v[44:45], v[66:67], 0, v[148:149]
	flat_load_dwordx2 v[44:45], v[44:45]
	v_lshl_add_u64 v[46:47], v[64:65], 0, v[148:149]
	s_waitcnt vmcnt(0) lgkmcnt(0)
	v_fmac_f64_e32 v[42:43], s[10:11], v[44:45]
	global_store_dwordx2 v[46:47], v[42:43], off
	v_lshl_add_u64 v[42:43], v[110:111], 3, v[66:67]
	flat_load_dwordx2 v[42:43], v[42:43]
	s_waitcnt vmcnt(0) lgkmcnt(0)
	v_mul_f64 v[42:43], v[42:43], s[10:11]
.LBB194_151:
	v_add_f64 v[40:41], v[40:41], v[42:43]
	v_lshl_add_u64 v[42:43], v[110:111], 3, v[64:65]
	s_mov_b64 vcc, s[6:7]
	global_store_dwordx2 v[42:43], v[40:41], off
	s_cbranch_vccz .LBB194_154
; %bb.152:
	v_add_f64 v[40:41], v[38:39], 0
	v_lshl_add_u64 v[42:43], v[108:109], 3, v[64:65]
	s_mov_b64 s[0:1], 0
	global_store_dwordx2 v[42:43], v[40:41], off
	s_cbranch_execz .LBB194_155
; %bb.153:
	v_mov_b64_e32 v[38:39], s[0:1]
	s_branch .LBB194_156
.LBB194_154:
	s_mov_b64 s[0:1], -1
.LBB194_155:
	v_lshl_add_u64 v[40:41], v[66:67], 0, v[150:151]
	flat_load_dwordx2 v[40:41], v[40:41]
	v_lshl_add_u64 v[42:43], v[64:65], 0, v[150:151]
	s_waitcnt vmcnt(0) lgkmcnt(0)
	v_fmac_f64_e32 v[38:39], s[10:11], v[40:41]
	global_store_dwordx2 v[42:43], v[38:39], off
	v_lshl_add_u64 v[38:39], v[106:107], 3, v[66:67]
	flat_load_dwordx2 v[38:39], v[38:39]
	s_waitcnt vmcnt(0) lgkmcnt(0)
	v_mul_f64 v[38:39], v[38:39], s[10:11]
.LBB194_156:
	v_add_f64 v[36:37], v[36:37], v[38:39]
	v_lshl_add_u64 v[38:39], v[106:107], 3, v[64:65]
	s_mov_b64 vcc, s[6:7]
	global_store_dwordx2 v[38:39], v[36:37], off
	s_cbranch_vccz .LBB194_159
; %bb.157:
	v_add_f64 v[36:37], v[34:35], 0
	v_lshl_add_u64 v[38:39], v[104:105], 3, v[64:65]
	s_mov_b64 s[0:1], 0
	global_store_dwordx2 v[38:39], v[36:37], off
	s_cbranch_execz .LBB194_160
; %bb.158:
	v_mov_b64_e32 v[34:35], s[0:1]
	s_branch .LBB194_161
.LBB194_159:
	s_mov_b64 s[0:1], -1
.LBB194_160:
	v_lshl_add_u64 v[36:37], v[66:67], 0, v[152:153]
	flat_load_dwordx2 v[36:37], v[36:37]
	v_lshl_add_u64 v[38:39], v[64:65], 0, v[152:153]
	s_waitcnt vmcnt(0) lgkmcnt(0)
	v_fmac_f64_e32 v[34:35], s[10:11], v[36:37]
	global_store_dwordx2 v[38:39], v[34:35], off
	v_lshl_add_u64 v[34:35], v[102:103], 3, v[66:67]
	flat_load_dwordx2 v[34:35], v[34:35]
	s_waitcnt vmcnt(0) lgkmcnt(0)
	v_mul_f64 v[34:35], v[34:35], s[10:11]
.LBB194_161:
	v_add_f64 v[32:33], v[32:33], v[34:35]
	v_lshl_add_u64 v[34:35], v[102:103], 3, v[64:65]
	s_mov_b64 vcc, s[6:7]
	global_store_dwordx2 v[34:35], v[32:33], off
	s_cbranch_vccz .LBB194_164
; %bb.162:
	v_add_f64 v[32:33], v[30:31], 0
	v_lshl_add_u64 v[34:35], v[100:101], 3, v[64:65]
	s_mov_b64 s[0:1], 0
	global_store_dwordx2 v[34:35], v[32:33], off
	s_cbranch_execz .LBB194_165
; %bb.163:
	v_mov_b64_e32 v[30:31], s[0:1]
	s_branch .LBB194_166
.LBB194_164:
	s_mov_b64 s[0:1], -1
.LBB194_165:
	v_lshl_add_u64 v[32:33], v[66:67], 0, v[154:155]
	flat_load_dwordx2 v[32:33], v[32:33]
	v_lshl_add_u64 v[34:35], v[64:65], 0, v[154:155]
	s_waitcnt vmcnt(0) lgkmcnt(0)
	v_fmac_f64_e32 v[30:31], s[10:11], v[32:33]
	global_store_dwordx2 v[34:35], v[30:31], off
	v_lshl_add_u64 v[30:31], v[98:99], 3, v[66:67]
	flat_load_dwordx2 v[30:31], v[30:31]
	s_waitcnt vmcnt(0) lgkmcnt(0)
	v_mul_f64 v[30:31], v[30:31], s[10:11]
.LBB194_166:
	v_add_f64 v[28:29], v[28:29], v[30:31]
	v_lshl_add_u64 v[30:31], v[98:99], 3, v[64:65]
	s_mov_b64 vcc, s[6:7]
	global_store_dwordx2 v[30:31], v[28:29], off
	s_cbranch_vccz .LBB194_169
; %bb.167:
	v_add_f64 v[28:29], v[26:27], 0
	v_lshl_add_u64 v[30:31], v[96:97], 3, v[64:65]
	s_mov_b64 s[0:1], 0
	global_store_dwordx2 v[30:31], v[28:29], off
	s_cbranch_execz .LBB194_170
; %bb.168:
	v_mov_b64_e32 v[26:27], s[0:1]
	s_branch .LBB194_171
.LBB194_169:
	s_mov_b64 s[0:1], -1
.LBB194_170:
	v_lshl_add_u64 v[28:29], v[66:67], 0, v[156:157]
	flat_load_dwordx2 v[28:29], v[28:29]
	v_lshl_add_u64 v[30:31], v[64:65], 0, v[156:157]
	s_waitcnt vmcnt(0) lgkmcnt(0)
	v_fmac_f64_e32 v[26:27], s[10:11], v[28:29]
	global_store_dwordx2 v[30:31], v[26:27], off
	v_lshl_add_u64 v[26:27], v[94:95], 3, v[66:67]
	flat_load_dwordx2 v[26:27], v[26:27]
	s_waitcnt vmcnt(0) lgkmcnt(0)
	v_mul_f64 v[26:27], v[26:27], s[10:11]
.LBB194_171:
	v_add_f64 v[24:25], v[24:25], v[26:27]
	v_lshl_add_u64 v[26:27], v[94:95], 3, v[64:65]
	s_mov_b64 vcc, s[6:7]
	global_store_dwordx2 v[26:27], v[24:25], off
	s_cbranch_vccz .LBB194_174
; %bb.172:
	v_add_f64 v[24:25], v[22:23], 0
	v_lshl_add_u64 v[26:27], v[92:93], 3, v[64:65]
	s_mov_b64 s[0:1], 0
	global_store_dwordx2 v[26:27], v[24:25], off
	s_cbranch_execz .LBB194_175
; %bb.173:
	v_mov_b64_e32 v[22:23], s[0:1]
	s_branch .LBB194_176
.LBB194_174:
	s_mov_b64 s[0:1], -1
.LBB194_175:
	v_lshl_add_u64 v[24:25], v[66:67], 0, v[158:159]
	flat_load_dwordx2 v[24:25], v[24:25]
	v_lshl_add_u64 v[26:27], v[64:65], 0, v[158:159]
	s_waitcnt vmcnt(0) lgkmcnt(0)
	v_fmac_f64_e32 v[22:23], s[10:11], v[24:25]
	global_store_dwordx2 v[26:27], v[22:23], off
	v_lshl_add_u64 v[22:23], v[90:91], 3, v[66:67]
	flat_load_dwordx2 v[22:23], v[22:23]
	s_waitcnt vmcnt(0) lgkmcnt(0)
	v_mul_f64 v[22:23], v[22:23], s[10:11]
.LBB194_176:
	v_add_f64 v[20:21], v[20:21], v[22:23]
	v_lshl_add_u64 v[22:23], v[90:91], 3, v[64:65]
	s_mov_b64 vcc, s[6:7]
	global_store_dwordx2 v[22:23], v[20:21], off
	s_cbranch_vccz .LBB194_179
; %bb.177:
	v_add_f64 v[20:21], v[18:19], 0
	v_lshl_add_u64 v[22:23], v[88:89], 3, v[64:65]
	s_mov_b64 s[0:1], 0
	global_store_dwordx2 v[22:23], v[20:21], off
	s_cbranch_execz .LBB194_180
; %bb.178:
	v_mov_b64_e32 v[18:19], s[0:1]
	s_branch .LBB194_181
.LBB194_179:
	s_mov_b64 s[0:1], -1
.LBB194_180:
	v_lshl_add_u64 v[20:21], v[66:67], 0, v[160:161]
	flat_load_dwordx2 v[20:21], v[20:21]
	v_lshl_add_u64 v[22:23], v[64:65], 0, v[160:161]
	s_waitcnt vmcnt(0) lgkmcnt(0)
	v_fmac_f64_e32 v[18:19], s[10:11], v[20:21]
	global_store_dwordx2 v[22:23], v[18:19], off
	v_lshl_add_u64 v[18:19], v[86:87], 3, v[66:67]
	flat_load_dwordx2 v[18:19], v[18:19]
	s_waitcnt vmcnt(0) lgkmcnt(0)
	v_mul_f64 v[18:19], v[18:19], s[10:11]
.LBB194_181:
	v_add_f64 v[16:17], v[16:17], v[18:19]
	v_lshl_add_u64 v[18:19], v[86:87], 3, v[64:65]
	s_mov_b64 vcc, s[6:7]
	global_store_dwordx2 v[18:19], v[16:17], off
	s_cbranch_vccz .LBB194_184
; %bb.182:
	v_add_f64 v[16:17], v[14:15], 0
	v_lshl_add_u64 v[18:19], v[84:85], 3, v[64:65]
	s_mov_b64 s[0:1], 0
	global_store_dwordx2 v[18:19], v[16:17], off
	s_cbranch_execz .LBB194_185
; %bb.183:
	v_mov_b64_e32 v[14:15], s[0:1]
	s_branch .LBB194_186
.LBB194_184:
	s_mov_b64 s[0:1], -1
.LBB194_185:
	v_lshl_add_u64 v[16:17], v[66:67], 0, v[162:163]
	flat_load_dwordx2 v[16:17], v[16:17]
	v_lshl_add_u64 v[18:19], v[64:65], 0, v[162:163]
	s_waitcnt vmcnt(0) lgkmcnt(0)
	v_fmac_f64_e32 v[14:15], s[10:11], v[16:17]
	global_store_dwordx2 v[18:19], v[14:15], off
	v_lshl_add_u64 v[14:15], v[82:83], 3, v[66:67]
	flat_load_dwordx2 v[14:15], v[14:15]
	s_waitcnt vmcnt(0) lgkmcnt(0)
	v_mul_f64 v[14:15], v[14:15], s[10:11]
.LBB194_186:
	v_add_f64 v[12:13], v[12:13], v[14:15]
	v_lshl_add_u64 v[14:15], v[82:83], 3, v[64:65]
	s_mov_b64 vcc, s[6:7]
	global_store_dwordx2 v[14:15], v[12:13], off
	s_cbranch_vccz .LBB194_189
; %bb.187:
	v_add_f64 v[12:13], v[10:11], 0
	v_lshl_add_u64 v[14:15], v[80:81], 3, v[64:65]
	s_mov_b64 s[0:1], 0
	global_store_dwordx2 v[14:15], v[12:13], off
	s_cbranch_execz .LBB194_190
; %bb.188:
	v_mov_b64_e32 v[10:11], s[0:1]
	s_branch .LBB194_191
.LBB194_189:
	s_mov_b64 s[0:1], -1
.LBB194_190:
	v_lshl_add_u64 v[12:13], v[66:67], 0, v[164:165]
	flat_load_dwordx2 v[12:13], v[12:13]
	v_lshl_add_u64 v[14:15], v[64:65], 0, v[164:165]
	s_waitcnt vmcnt(0) lgkmcnt(0)
	v_fmac_f64_e32 v[10:11], s[10:11], v[12:13]
	global_store_dwordx2 v[14:15], v[10:11], off
	v_lshl_add_u64 v[10:11], v[78:79], 3, v[66:67]
	flat_load_dwordx2 v[10:11], v[10:11]
	s_waitcnt vmcnt(0) lgkmcnt(0)
	v_mul_f64 v[10:11], v[10:11], s[10:11]
.LBB194_191:
	v_add_f64 v[8:9], v[8:9], v[10:11]
	v_lshl_add_u64 v[10:11], v[78:79], 3, v[64:65]
	s_mov_b64 vcc, s[6:7]
	global_store_dwordx2 v[10:11], v[8:9], off
	s_cbranch_vccz .LBB194_194
; %bb.192:
	v_add_f64 v[8:9], v[6:7], 0
	v_lshl_add_u64 v[10:11], v[76:77], 3, v[64:65]
	s_mov_b64 s[0:1], 0
	global_store_dwordx2 v[10:11], v[8:9], off
	s_cbranch_execz .LBB194_195
; %bb.193:
	v_mov_b64_e32 v[6:7], s[0:1]
	s_branch .LBB194_196
.LBB194_194:
	s_mov_b64 s[0:1], -1
.LBB194_195:
	v_lshl_add_u64 v[8:9], v[66:67], 0, v[166:167]
	flat_load_dwordx2 v[8:9], v[8:9]
	v_lshl_add_u64 v[10:11], v[64:65], 0, v[166:167]
	s_waitcnt vmcnt(0) lgkmcnt(0)
	v_fmac_f64_e32 v[6:7], s[10:11], v[8:9]
	global_store_dwordx2 v[10:11], v[6:7], off
	v_lshl_add_u64 v[6:7], v[74:75], 3, v[66:67]
	flat_load_dwordx2 v[6:7], v[6:7]
	s_waitcnt vmcnt(0) lgkmcnt(0)
	v_mul_f64 v[6:7], v[6:7], s[10:11]
.LBB194_196:
	v_add_f64 v[4:5], v[4:5], v[6:7]
	v_lshl_add_u64 v[6:7], v[74:75], 3, v[64:65]
	s_mov_b64 vcc, s[6:7]
	global_store_dwordx2 v[6:7], v[4:5], off
	s_cbranch_vccz .LBB194_199
; %bb.197:
	v_add_f64 v[4:5], v[2:3], 0
	v_lshl_add_u64 v[6:7], v[72:73], 3, v[64:65]
	s_mov_b64 s[0:1], 0
	global_store_dwordx2 v[6:7], v[4:5], off
	s_cbranch_execz .LBB194_200
; %bb.198:
	v_mov_b64_e32 v[2:3], s[0:1]
	v_add_f64 v[0:1], v[0:1], v[2:3]
	v_lshl_add_u64 v[2:3], v[70:71], 3, v[64:65]
	global_store_dwordx2 v[2:3], v[0:1], off
	s_endpgm
.LBB194_199:
	s_mov_b64 s[0:1], -1
.LBB194_200:
	v_lshl_add_u64 v[4:5], v[66:67], 0, v[68:69]
	flat_load_dwordx2 v[4:5], v[4:5]
	v_lshl_add_u64 v[6:7], v[64:65], 0, v[68:69]
	s_waitcnt vmcnt(0) lgkmcnt(0)
	v_fmac_f64_e32 v[2:3], s[10:11], v[4:5]
	global_store_dwordx2 v[6:7], v[2:3], off
	v_lshl_add_u64 v[2:3], v[70:71], 3, v[66:67]
	flat_load_dwordx2 v[2:3], v[2:3]
	s_waitcnt vmcnt(0) lgkmcnt(0)
	v_mul_f64 v[2:3], v[2:3], s[10:11]
	v_add_f64 v[0:1], v[0:1], v[2:3]
	v_lshl_add_u64 v[2:3], v[70:71], 3, v[64:65]
	global_store_dwordx2 v[2:3], v[0:1], off
	s_endpgm
	.section	.rodata,"a",@progbits
	.p2align	6, 0x0
	.amdhsa_kernel _ZN12_GLOBAL__N_120geam_min_plus_kernelIdddLi4ELi64ELi128ELi128ELi4ELi64ELi4ELi64ELi4ELc78ELc84ELb0ELb0ELb0EdKddEEviiiT16_PT17_ilS4_ilS2_S4_ilPT18_ili26rocblas_geam_ex_operation_
		.amdhsa_group_segment_fixed_size 16384
		.amdhsa_private_segment_fixed_size 0
		.amdhsa_kernarg_size 136
		.amdhsa_user_sgpr_count 2
		.amdhsa_user_sgpr_dispatch_ptr 0
		.amdhsa_user_sgpr_queue_ptr 0
		.amdhsa_user_sgpr_kernarg_segment_ptr 1
		.amdhsa_user_sgpr_dispatch_id 0
		.amdhsa_user_sgpr_kernarg_preload_length 0
		.amdhsa_user_sgpr_kernarg_preload_offset 0
		.amdhsa_user_sgpr_private_segment_size 0
		.amdhsa_uses_dynamic_stack 0
		.amdhsa_enable_private_segment 0
		.amdhsa_system_sgpr_workgroup_id_x 1
		.amdhsa_system_sgpr_workgroup_id_y 0
		.amdhsa_system_sgpr_workgroup_id_z 1
		.amdhsa_system_sgpr_workgroup_info 0
		.amdhsa_system_vgpr_workitem_id 1
		.amdhsa_next_free_vgpr 252
		.amdhsa_next_free_sgpr 30
		.amdhsa_accum_offset 252
		.amdhsa_reserve_vcc 1
		.amdhsa_float_round_mode_32 0
		.amdhsa_float_round_mode_16_64 0
		.amdhsa_float_denorm_mode_32 3
		.amdhsa_float_denorm_mode_16_64 3
		.amdhsa_dx10_clamp 1
		.amdhsa_ieee_mode 1
		.amdhsa_fp16_overflow 0
		.amdhsa_tg_split 0
		.amdhsa_exception_fp_ieee_invalid_op 0
		.amdhsa_exception_fp_denorm_src 0
		.amdhsa_exception_fp_ieee_div_zero 0
		.amdhsa_exception_fp_ieee_overflow 0
		.amdhsa_exception_fp_ieee_underflow 0
		.amdhsa_exception_fp_ieee_inexact 0
		.amdhsa_exception_int_div_zero 0
	.end_amdhsa_kernel
	.section	.text._ZN12_GLOBAL__N_120geam_min_plus_kernelIdddLi4ELi64ELi128ELi128ELi4ELi64ELi4ELi64ELi4ELc78ELc84ELb0ELb0ELb0EdKddEEviiiT16_PT17_ilS4_ilS2_S4_ilPT18_ili26rocblas_geam_ex_operation_,"axG",@progbits,_ZN12_GLOBAL__N_120geam_min_plus_kernelIdddLi4ELi64ELi128ELi128ELi4ELi64ELi4ELi64ELi4ELc78ELc84ELb0ELb0ELb0EdKddEEviiiT16_PT17_ilS4_ilS2_S4_ilPT18_ili26rocblas_geam_ex_operation_,comdat
.Lfunc_end194:
	.size	_ZN12_GLOBAL__N_120geam_min_plus_kernelIdddLi4ELi64ELi128ELi128ELi4ELi64ELi4ELi64ELi4ELc78ELc84ELb0ELb0ELb0EdKddEEviiiT16_PT17_ilS4_ilS2_S4_ilPT18_ili26rocblas_geam_ex_operation_, .Lfunc_end194-_ZN12_GLOBAL__N_120geam_min_plus_kernelIdddLi4ELi64ELi128ELi128ELi4ELi64ELi4ELi64ELi4ELc78ELc84ELb0ELb0ELb0EdKddEEviiiT16_PT17_ilS4_ilS2_S4_ilPT18_ili26rocblas_geam_ex_operation_
                                        ; -- End function
	.section	.AMDGPU.csdata,"",@progbits
; Kernel info:
; codeLenInByte = 13072
; NumSgprs: 36
; NumVgprs: 252
; NumAgprs: 0
; TotalNumVgprs: 252
; ScratchSize: 0
; MemoryBound: 0
; FloatMode: 240
; IeeeMode: 1
; LDSByteSize: 16384 bytes/workgroup (compile time only)
; SGPRBlocks: 4
; VGPRBlocks: 31
; NumSGPRsForWavesPerEU: 36
; NumVGPRsForWavesPerEU: 252
; AccumOffset: 252
; Occupancy: 2
; WaveLimiterHint : 1
; COMPUTE_PGM_RSRC2:SCRATCH_EN: 0
; COMPUTE_PGM_RSRC2:USER_SGPR: 2
; COMPUTE_PGM_RSRC2:TRAP_HANDLER: 0
; COMPUTE_PGM_RSRC2:TGID_X_EN: 1
; COMPUTE_PGM_RSRC2:TGID_Y_EN: 0
; COMPUTE_PGM_RSRC2:TGID_Z_EN: 1
; COMPUTE_PGM_RSRC2:TIDIG_COMP_CNT: 1
; COMPUTE_PGM_RSRC3_GFX90A:ACCUM_OFFSET: 62
; COMPUTE_PGM_RSRC3_GFX90A:TG_SPLIT: 0
	.section	.text._ZN12_GLOBAL__N_120geam_min_plus_kernelIdddLi4ELi64ELi128ELi128ELi4ELi64ELi4ELi64ELi4ELc78ELc84ELb0ELb1ELb0EPKdS1_dEEviiiT16_PT17_ilS5_ilS3_S5_ilPT18_ili26rocblas_geam_ex_operation_,"axG",@progbits,_ZN12_GLOBAL__N_120geam_min_plus_kernelIdddLi4ELi64ELi128ELi128ELi4ELi64ELi4ELi64ELi4ELc78ELc84ELb0ELb1ELb0EPKdS1_dEEviiiT16_PT17_ilS5_ilS3_S5_ilPT18_ili26rocblas_geam_ex_operation_,comdat
	.globl	_ZN12_GLOBAL__N_120geam_min_plus_kernelIdddLi4ELi64ELi128ELi128ELi4ELi64ELi4ELi64ELi4ELc78ELc84ELb0ELb1ELb0EPKdS1_dEEviiiT16_PT17_ilS5_ilS3_S5_ilPT18_ili26rocblas_geam_ex_operation_ ; -- Begin function _ZN12_GLOBAL__N_120geam_min_plus_kernelIdddLi4ELi64ELi128ELi128ELi4ELi64ELi4ELi64ELi4ELc78ELc84ELb0ELb1ELb0EPKdS1_dEEviiiT16_PT17_ilS5_ilS3_S5_ilPT18_ili26rocblas_geam_ex_operation_
	.p2align	8
	.type	_ZN12_GLOBAL__N_120geam_min_plus_kernelIdddLi4ELi64ELi128ELi128ELi4ELi64ELi4ELi64ELi4ELc78ELc84ELb0ELb1ELb0EPKdS1_dEEviiiT16_PT17_ilS5_ilS3_S5_ilPT18_ili26rocblas_geam_ex_operation_,@function
_ZN12_GLOBAL__N_120geam_min_plus_kernelIdddLi4ELi64ELi128ELi128ELi4ELi64ELi4ELi64ELi4ELc78ELc84ELb0ELb1ELb0EPKdS1_dEEviiiT16_PT17_ilS5_ilS3_S5_ilPT18_ili26rocblas_geam_ex_operation_: ; @_ZN12_GLOBAL__N_120geam_min_plus_kernelIdddLi4ELi64ELi128ELi128ELi4ELi64ELi4ELi64ELi4ELc78ELc84ELb0ELb1ELb0EPKdS1_dEEviiiT16_PT17_ilS5_ilS3_S5_ilPT18_ili26rocblas_geam_ex_operation_
; %bb.0:
	s_load_dwordx4 s[12:15], s[0:1], 0x10
	s_load_dwordx4 s[4:7], s[0:1], 0x28
	s_mov_b32 s16, s3
	s_mov_b32 s17, 0
	s_lshl_b64 s[20:21], s[16:17], 3
	s_waitcnt lgkmcnt(0)
	s_add_u32 s12, s12, s20
	s_load_dwordx4 s[8:11], s[0:1], 0x40
	s_addc_u32 s13, s13, s21
	s_load_dwordx2 s[18:19], s[12:13], 0x0
	s_load_dwordx2 s[24:25], s[0:1], 0x50
	s_waitcnt lgkmcnt(0)
	s_add_u32 s10, s10, s20
	v_cmp_eq_f64_e64 s[22:23], s[18:19], 0
	s_addc_u32 s11, s11, s21
	s_mov_b64 s[20:21], 0
	v_cmp_neq_f64_e64 s[12:13], s[18:19], 0
	s_and_b64 vcc, exec, s[22:23]
	s_mov_b64 s[22:23], 0
	s_cbranch_vccnz .LBB195_2
; %bb.1:
	s_mul_i32 s3, s16, s5
	s_mul_hi_u32 s5, s16, s4
	s_add_i32 s5, s5, s3
	s_mul_i32 s4, s16, s4
	s_lshl_b64 s[4:5], s[4:5], 3
	s_add_u32 s22, s14, s4
	s_addc_u32 s23, s15, s5
.LBB195_2:
	s_load_dwordx2 s[70:71], s[10:11], 0x0
	s_andn2_b64 vcc, exec, s[12:13]
	s_cbranch_vccnz .LBB195_4
; %bb.3:
	s_mul_i32 s3, s16, s9
	s_mul_hi_u32 s4, s16, s8
	s_add_i32 s5, s4, s3
	s_mul_i32 s4, s16, s8
	s_lshl_b64 s[4:5], s[4:5], 3
	s_add_u32 s20, s6, s4
	s_addc_u32 s21, s7, s5
.LBB195_4:
	s_load_dwordx4 s[8:11], s[0:1], 0x60
	s_waitcnt lgkmcnt(0)
	v_cmp_eq_f64_e64 s[4:5], s[70:71], 0
	s_mov_b64 s[76:77], 0
	v_cmp_neq_f64_e64 s[12:13], s[70:71], 0
	s_and_b64 vcc, exec, s[4:5]
	s_cbranch_vccnz .LBB195_6
; %bb.5:
	s_mul_i32 s3, s16, s9
	s_mul_hi_u32 s4, s16, s8
	s_add_i32 s5, s4, s3
	s_mul_i32 s4, s16, s8
	s_lshl_b64 s[4:5], s[4:5], 3
	s_add_u32 s76, s24, s4
	s_addc_u32 s77, s25, s5
.LBB195_6:
	s_load_dwordx4 s[72:75], s[0:1], 0x0
	s_load_dword s27, s[0:1], 0x20
	v_and_b32_e32 v142, 0x3ff, v0
	v_bfe_u32 v143, v0, 10, 10
	v_lshl_add_u32 v3, v143, 2, v142
	s_waitcnt lgkmcnt(0)
	s_add_i32 s3, s72, -1
	s_ashr_i32 s4, s3, 31
	s_lshr_b32 s4, s4, 25
	s_add_i32 s3, s3, s4
	s_ashr_i32 s3, s3, 7
	s_add_i32 s4, s3, 1
	v_cvt_f32_u32_e32 v1, s4
	s_not_b32 s3, s3
	v_lshrrev_b32_e32 v144, 6, v3
	v_and_b32_e32 v141, 63, v3
	v_rcp_iflag_f32_e32 v2, v1
	v_cmp_le_i32_e32 vcc, s74, v144
	v_cmp_eq_f64_e64 s[14:15], s[18:19], 0
	v_mov_b64_e32 v[0:1], 0
	v_mul_f32_e32 v2, 0x4f7ffffe, v2
	v_cvt_u32_f32_e32 v2, v2
	s_nop 0
	v_readfirstlane_b32 s5, v2
	s_mul_i32 s3, s3, s5
	s_mul_hi_u32 s3, s5, s3
	s_add_i32 s5, s5, s3
	s_mul_hi_u32 s3, s2, s5
	s_mul_i32 s5, s3, s4
	s_sub_i32 s5, s2, s5
	s_add_i32 s6, s3, 1
	s_sub_i32 s7, s5, s4
	s_cmp_ge_u32 s5, s4
	s_cselect_b32 s3, s6, s3
	s_cselect_b32 s5, s7, s5
	s_add_i32 s6, s3, 1
	s_cmp_ge_u32 s5, s4
	s_cselect_b32 s8, s6, s3
	s_mul_i32 s3, s8, s4
	s_add_i32 s28, s74, -1
	s_sub_i32 s2, s2, s3
	v_min_i32_e32 v8, s28, v144
	s_lshl_b32 s17, s2, 7
	v_or_b32_e32 v128, s17, v141
	v_mad_i64_i32 v[2:3], s[2:3], s27, v8, 0
	v_cmp_le_i32_e64 s[2:3], s72, v128
	s_or_b64 s[4:5], s[2:3], vcc
	s_or_b64 s[4:5], s[14:15], s[4:5]
	v_lshl_add_u64 v[6:7], v[2:3], 3, s[22:23]
	s_xor_b64 s[6:7], s[4:5], -1
	v_ashrrev_i32_e32 v129, 31, v128
	v_mov_b64_e32 v[2:3], v[0:1]
	s_and_saveexec_b64 s[4:5], s[6:7]
	s_cbranch_execz .LBB195_8
; %bb.7:
	v_lshl_add_u64 v[2:3], v[128:129], 3, v[6:7]
	flat_load_dwordx2 v[2:3], v[2:3]
	s_waitcnt vmcnt(0) lgkmcnt(0)
	v_mul_f64 v[2:3], s[18:19], v[2:3]
.LBB195_8:
	s_or_b64 exec, exec, s[4:5]
	v_or_b32_e32 v4, 64, v128
	v_cmp_le_i32_e64 s[4:5], s72, v4
	s_or_b64 s[6:7], s[4:5], vcc
	s_or_b64 s[6:7], s[14:15], s[6:7]
	s_xor_b64 s[24:25], s[6:7], -1
	v_mov_b64_e32 v[4:5], v[0:1]
	s_and_saveexec_b64 s[6:7], s[24:25]
	s_cbranch_execz .LBB195_10
; %bb.9:
	v_lshl_add_u64 v[4:5], v[128:129], 3, v[6:7]
	flat_load_dwordx2 v[4:5], v[4:5] offset:512
	s_waitcnt vmcnt(0) lgkmcnt(0)
	v_mul_f64 v[4:5], s[18:19], v[4:5]
.LBB195_10:
	s_or_b64 exec, exec, s[6:7]
	s_load_dword s29, s[0:1], 0x38
	s_lshl_b32 s26, s8, 7
	v_or_b32_e32 v130, s26, v141
	v_cmp_le_i32_e64 s[6:7], s73, v130
	v_ashrrev_i32_e32 v131, 31, v130
	s_waitcnt lgkmcnt(0)
	v_mad_i64_i32 v[6:7], s[8:9], s29, v8, 0
	s_or_b64 s[8:9], s[6:7], vcc
	s_or_b64 s[8:9], s[14:15], s[8:9]
	v_lshl_add_u64 v[8:9], v[6:7], 3, s[20:21]
	s_xor_b64 s[24:25], s[8:9], -1
	s_and_saveexec_b64 s[8:9], s[24:25]
	s_cbranch_execz .LBB195_12
; %bb.11:
	v_lshl_add_u64 v[0:1], v[130:131], 3, v[8:9]
	flat_load_dwordx2 v[0:1], v[0:1]
	s_waitcnt vmcnt(0) lgkmcnt(0)
	v_mul_f64 v[0:1], s[18:19], v[0:1]
.LBB195_12:
	s_or_b64 exec, exec, s[8:9]
	v_or_b32_e32 v6, 64, v130
	v_cmp_le_i32_e64 s[8:9], s73, v6
	s_or_b64 s[24:25], s[8:9], vcc
	s_or_b64 s[24:25], s[14:15], s[24:25]
	v_mov_b64_e32 v[132:133], 0
	s_xor_b64 s[30:31], s[24:25], -1
	v_mov_b64_e32 v[6:7], v[132:133]
	s_and_saveexec_b64 s[24:25], s[30:31]
	s_cbranch_execz .LBB195_14
; %bb.13:
	v_lshl_add_u64 v[6:7], v[130:131], 3, v[8:9]
	flat_load_dwordx2 v[6:7], v[6:7] offset:512
	s_waitcnt vmcnt(0) lgkmcnt(0)
	v_mul_f64 v[6:7], s[18:19], v[6:7]
.LBB195_14:
	s_or_b64 exec, exec, s[24:25]
	v_add_u32_e32 v8, 4, v144
	v_min_i32_e32 v10, s28, v8
	v_cmp_le_i32_e32 vcc, s74, v8
	v_mad_i64_i32 v[8:9], s[24:25], s27, v10, 0
	s_or_b64 s[24:25], s[2:3], vcc
	s_or_b64 s[24:25], s[14:15], s[24:25]
	v_lshl_add_u64 v[8:9], v[8:9], 3, s[22:23]
	s_xor_b64 s[30:31], s[24:25], -1
	s_and_saveexec_b64 s[24:25], s[30:31]
	s_cbranch_execz .LBB195_16
; %bb.15:
	v_lshl_add_u64 v[12:13], v[128:129], 3, v[8:9]
	flat_load_dwordx2 v[12:13], v[12:13]
	s_waitcnt vmcnt(0) lgkmcnt(0)
	v_mul_f64 v[132:133], s[18:19], v[12:13]
.LBB195_16:
	s_or_b64 exec, exec, s[24:25]
	s_or_b64 s[24:25], s[4:5], vcc
	s_or_b64 s[24:25], s[14:15], s[24:25]
	v_mov_b64_e32 v[134:135], 0
	s_xor_b64 s[30:31], s[24:25], -1
	v_mov_b64_e32 v[136:137], v[134:135]
	s_and_saveexec_b64 s[24:25], s[30:31]
	s_cbranch_execz .LBB195_18
; %bb.17:
	v_lshl_add_u64 v[8:9], v[128:129], 3, v[8:9]
	flat_load_dwordx2 v[8:9], v[8:9] offset:512
	s_waitcnt vmcnt(0) lgkmcnt(0)
	v_mul_f64 v[136:137], s[18:19], v[8:9]
.LBB195_18:
	s_or_b64 exec, exec, s[24:25]
	v_mad_i64_i32 v[8:9], s[24:25], s29, v10, 0
	s_or_b64 s[24:25], s[6:7], vcc
	s_or_b64 s[24:25], s[14:15], s[24:25]
	v_lshl_add_u64 v[8:9], v[8:9], 3, s[20:21]
	s_xor_b64 s[30:31], s[24:25], -1
	s_and_saveexec_b64 s[24:25], s[30:31]
	s_cbranch_execz .LBB195_20
; %bb.19:
	v_lshl_add_u64 v[10:11], v[130:131], 3, v[8:9]
	flat_load_dwordx2 v[10:11], v[10:11]
	s_waitcnt vmcnt(0) lgkmcnt(0)
	v_mul_f64 v[134:135], s[18:19], v[10:11]
.LBB195_20:
	s_or_b64 exec, exec, s[24:25]
	s_or_b64 s[24:25], s[8:9], vcc
	s_or_b64 s[24:25], s[14:15], s[24:25]
	v_mov_b64_e32 v[126:127], 0
	s_xor_b64 s[30:31], s[24:25], -1
	v_mov_b64_e32 v[138:139], v[126:127]
	s_and_saveexec_b64 s[24:25], s[30:31]
	s_cbranch_execz .LBB195_22
; %bb.21:
	v_lshl_add_u64 v[8:9], v[130:131], 3, v[8:9]
	flat_load_dwordx2 v[8:9], v[8:9] offset:512
	s_waitcnt vmcnt(0) lgkmcnt(0)
	v_mul_f64 v[138:139], s[18:19], v[8:9]
.LBB195_22:
	s_or_b64 exec, exec, s[24:25]
	v_lshlrev_b32_e32 v8, 3, v144
	v_lshl_add_u32 v145, v141, 5, v8
	v_lshlrev_b32_e32 v140, 5, v143
	ds_write2st64_b64 v145, v[2:3], v[4:5] offset1:4
	v_or_b32_e32 v146, 0x2000, v145
	ds_write2st64_b64 v145, v[0:1], v[6:7] offset0:16 offset1:20
	v_lshlrev_b32_e32 v147, 5, v142
	v_add_u32_e32 v148, 0x2000, v140
	s_mov_b32 s24, 0
	v_mov_b64_e32 v[124:125], v[126:127]
	v_mov_b64_e32 v[122:123], v[126:127]
	;; [unrolled: 1-line block ×63, first 2 shown]
	s_waitcnt lgkmcnt(0)
	s_barrier
.LBB195_23:                             ; =>This Inner Loop Header: Depth=1
	v_add_u32_e32 v149, s24, v147
	v_add_u32_e32 v182, s24, v148
	ds_read2_b64 v[150:153], v149 offset1:16
	ds_read2_b64 v[154:157], v149 offset0:32 offset1:48
	ds_read2_b64 v[158:161], v149 offset0:64 offset1:80
	;; [unrolled: 1-line block ×7, first 2 shown]
	ds_read2st64_b64 v[182:185], v182 offset1:4
	v_add_u32_e32 v149, 0x800, v149
	ds_read2_b64 v[186:189], v149 offset1:16
	ds_read2_b64 v[190:193], v149 offset0:32 offset1:48
	ds_read2_b64 v[194:197], v149 offset0:64 offset1:80
	;; [unrolled: 1-line block ×7, first 2 shown]
	s_waitcnt lgkmcnt(14)
	v_max_f64 v[150:151], v[150:151], v[150:151]
	v_max_f64 v[152:153], v[152:153], v[152:153]
	;; [unrolled: 1-line block ×6, first 2 shown]
	s_waitcnt lgkmcnt(13)
	v_max_f64 v[162:163], v[162:163], v[162:163]
	v_max_f64 v[164:165], v[164:165], v[164:165]
	s_waitcnt lgkmcnt(12)
	v_max_f64 v[166:167], v[166:167], v[166:167]
	v_max_f64 v[168:169], v[168:169], v[168:169]
	;; [unrolled: 3-line block ×14, first 2 shown]
	v_min_f64 v[218:219], v[150:151], v[182:183]
	v_min_f64 v[220:221], v[152:153], v[182:183]
	;; [unrolled: 1-line block ×32, first 2 shown]
	s_add_i32 s24, s24, 8
	v_add_f64 v[62:63], v[150:151], v[62:63]
	v_add_f64 v[60:61], v[152:153], v[60:61]
	;; [unrolled: 1-line block ×16, first 2 shown]
	v_min_f64 v[150:151], v[186:187], v[182:183]
	v_min_f64 v[152:153], v[188:189], v[182:183]
	;; [unrolled: 1-line block ×32, first 2 shown]
	s_cmp_eq_u32 s24, 32
	v_add_f64 v[126:127], v[218:219], v[126:127]
	v_add_f64 v[124:125], v[220:221], v[124:125]
	;; [unrolled: 1-line block ×48, first 2 shown]
	s_cbranch_scc0 .LBB195_23
; %bb.24:
	v_lshlrev_b32_e32 v141, 5, v141
	v_lshl_add_u32 v141, v144, 3, v141
	s_cmp_gt_i32 s74, 8
	ds_write2st64_b64 v141, v[132:133], v[136:137] offset0:8 offset1:12
	ds_write2st64_b64 v141, v[134:135], v[138:139] offset0:24 offset1:28
	s_waitcnt lgkmcnt(0)
	s_barrier
	s_cbranch_scc1 .LBB195_26
; %bb.25:
	v_add_u32_e32 v149, 0x1000, v147
	v_add_u32_e32 v150, 0x3000, v140
	s_cbranch_execz .LBB195_27
	s_branch .LBB195_49
.LBB195_26:
                                        ; implicit-def: $vgpr149
                                        ; implicit-def: $vgpr150
.LBB195_27:
	v_or_b32_e32 v151, 0x1000, v141
	v_or_b32_e32 v152, 0x3000, v141
	s_add_i32 s30, s74, -8
	v_add_u32_e32 v149, 0x1000, v147
	v_add_u32_e32 v150, 0x3000, v140
	s_mov_b32 s31, 8
	s_mov_b32 s33, 0
.LBB195_28:                             ; =>This Loop Header: Depth=1
                                        ;     Child Loop BB195_37 Depth 2
                                        ;     Child Loop BB195_47 Depth 2
	v_add_u32_e32 v132, s31, v144
	v_min_i32_e32 v138, s28, v132
	v_cmp_le_i32_e32 vcc, s74, v132
	v_mad_i64_i32 v[132:133], s[24:25], v138, s27, 0
	s_or_b64 s[24:25], s[2:3], vcc
	v_lshl_add_u64 v[134:135], v[132:133], 3, s[22:23]
	s_or_b64 s[24:25], s[14:15], s[24:25]
	v_mov_b64_e32 v[132:133], 0
	s_xor_b64 s[34:35], s[24:25], -1
	v_lshl_add_u64 v[136:137], v[128:129], 3, v[134:135]
	v_mov_b64_e32 v[134:135], v[132:133]
	s_and_saveexec_b64 s[24:25], s[34:35]
	s_cbranch_execz .LBB195_30
; %bb.29:                               ;   in Loop: Header=BB195_28 Depth=1
	flat_load_dwordx2 v[134:135], v[136:137]
	s_waitcnt vmcnt(0) lgkmcnt(0)
	v_mul_f64 v[134:135], s[18:19], v[134:135]
.LBB195_30:                             ;   in Loop: Header=BB195_28 Depth=1
	s_or_b64 exec, exec, s[24:25]
	s_or_b64 s[24:25], s[4:5], vcc
	s_or_b64 s[24:25], s[14:15], s[24:25]
	s_xor_b64 s[34:35], s[24:25], -1
	s_and_saveexec_b64 s[24:25], s[34:35]
	s_cbranch_execz .LBB195_32
; %bb.31:                               ;   in Loop: Header=BB195_28 Depth=1
	flat_load_dwordx2 v[132:133], v[136:137] offset:512
	s_waitcnt vmcnt(0) lgkmcnt(0)
	v_mul_f64 v[132:133], s[18:19], v[132:133]
.LBB195_32:                             ;   in Loop: Header=BB195_28 Depth=1
	s_or_b64 exec, exec, s[24:25]
	v_mad_i64_i32 v[136:137], s[24:25], v138, s29, 0
	s_or_b64 s[24:25], s[6:7], vcc
	v_lshl_add_u64 v[138:139], v[136:137], 3, s[20:21]
	s_or_b64 s[24:25], s[14:15], s[24:25]
	v_mov_b64_e32 v[136:137], 0
	s_xor_b64 s[34:35], s[24:25], -1
	v_lshl_add_u64 v[140:141], v[130:131], 3, v[138:139]
	v_mov_b64_e32 v[138:139], v[136:137]
	s_and_saveexec_b64 s[24:25], s[34:35]
	s_cbranch_execz .LBB195_34
; %bb.33:                               ;   in Loop: Header=BB195_28 Depth=1
	flat_load_dwordx2 v[138:139], v[140:141]
	s_waitcnt vmcnt(0) lgkmcnt(0)
	v_mul_f64 v[138:139], s[18:19], v[138:139]
.LBB195_34:                             ;   in Loop: Header=BB195_28 Depth=1
	s_or_b64 exec, exec, s[24:25]
	s_or_b64 s[24:25], s[8:9], vcc
	s_or_b64 s[24:25], s[14:15], s[24:25]
	s_xor_b64 s[34:35], s[24:25], -1
	s_and_saveexec_b64 s[24:25], s[34:35]
	s_cbranch_execz .LBB195_36
; %bb.35:                               ;   in Loop: Header=BB195_28 Depth=1
	flat_load_dwordx2 v[136:137], v[140:141] offset:512
	s_waitcnt vmcnt(0) lgkmcnt(0)
	v_mul_f64 v[136:137], s[18:19], v[136:137]
.LBB195_36:                             ;   in Loop: Header=BB195_28 Depth=1
	s_or_b64 exec, exec, s[24:25]
	s_mov_b32 s24, 0
.LBB195_37:                             ;   Parent Loop BB195_28 Depth=1
                                        ; =>  This Inner Loop Header: Depth=2
	v_add_u32_e32 v140, s24, v149
	v_add_u32_e32 v141, s24, v150
	ds_read2_b64 v[154:157], v140 offset1:16
	ds_read2_b64 v[158:161], v140 offset0:32 offset1:48
	ds_read2_b64 v[162:165], v140 offset0:64 offset1:80
	;; [unrolled: 1-line block ×7, first 2 shown]
	v_add_u32_e32 v140, 0x800, v140
	ds_read2st64_b64 v[186:189], v141 offset1:4
	ds_read2_b64 v[190:193], v140 offset1:16
	ds_read2_b64 v[194:197], v140 offset0:32 offset1:48
	ds_read2_b64 v[198:201], v140 offset0:64 offset1:80
	;; [unrolled: 1-line block ×7, first 2 shown]
	s_waitcnt lgkmcnt(14)
	v_max_f64 v[154:155], v[154:155], v[154:155]
	v_max_f64 v[156:157], v[156:157], v[156:157]
	;; [unrolled: 1-line block ×3, first 2 shown]
	s_waitcnt lgkmcnt(8)
	v_max_f64 v[140:141], v[186:187], v[186:187]
	v_max_f64 v[160:161], v[160:161], v[160:161]
	;; [unrolled: 1-line block ×15, first 2 shown]
	v_min_f64 v[188:189], v[154:155], v[140:141]
	v_min_f64 v[222:223], v[156:157], v[140:141]
	;; [unrolled: 1-line block ×16, first 2 shown]
	s_waitcnt lgkmcnt(7)
	v_max_f64 v[190:191], v[190:191], v[190:191]
	v_max_f64 v[192:193], v[192:193], v[192:193]
	s_waitcnt lgkmcnt(6)
	v_max_f64 v[194:195], v[194:195], v[194:195]
	v_max_f64 v[196:197], v[196:197], v[196:197]
	;; [unrolled: 3-line block ×8, first 2 shown]
	v_min_f64 v[154:155], v[154:155], v[186:187]
	v_min_f64 v[156:157], v[156:157], v[186:187]
	v_min_f64 v[158:159], v[158:159], v[186:187]
	v_min_f64 v[160:161], v[160:161], v[186:187]
	v_min_f64 v[162:163], v[162:163], v[186:187]
	v_min_f64 v[164:165], v[164:165], v[186:187]
	v_min_f64 v[166:167], v[166:167], v[186:187]
	v_min_f64 v[168:169], v[168:169], v[186:187]
	v_min_f64 v[170:171], v[170:171], v[186:187]
	v_min_f64 v[172:173], v[172:173], v[186:187]
	v_min_f64 v[174:175], v[174:175], v[186:187]
	v_min_f64 v[176:177], v[176:177], v[186:187]
	v_min_f64 v[178:179], v[178:179], v[186:187]
	v_min_f64 v[180:181], v[180:181], v[186:187]
	v_min_f64 v[182:183], v[182:183], v[186:187]
	v_min_f64 v[184:185], v[184:185], v[186:187]
	s_add_i32 s24, s24, 8
	v_add_f64 v[126:127], v[188:189], v[126:127]
	v_add_f64 v[124:125], v[222:223], v[124:125]
	;; [unrolled: 1-line block ×15, first 2 shown]
	v_min_f64 v[188:189], v[190:191], v[140:141]
	v_min_f64 v[222:223], v[192:193], v[140:141]
	;; [unrolled: 1-line block ×16, first 2 shown]
	v_add_f64 v[62:63], v[154:155], v[62:63]
	v_add_f64 v[60:61], v[156:157], v[60:61]
	;; [unrolled: 1-line block ×16, first 2 shown]
	v_min_f64 v[154:155], v[190:191], v[186:187]
	v_min_f64 v[156:157], v[192:193], v[186:187]
	;; [unrolled: 1-line block ×16, first 2 shown]
	s_cmp_eq_u32 s24, 32
	v_add_f64 v[96:97], v[250:251], v[96:97]
	v_add_f64 v[94:95], v[188:189], v[94:95]
	;; [unrolled: 1-line block ×33, first 2 shown]
	s_cbranch_scc0 .LBB195_37
; %bb.38:                               ;   in Loop: Header=BB195_28 Depth=1
	ds_write2st64_b64 v145, v[134:135], v[132:133] offset1:4
	ds_write2st64_b64 v146, v[138:139], v[136:137] offset1:4
	v_add3_u32 v132, v144, s31, 4
	v_min_i32_e32 v138, s28, v132
	v_cmp_le_i32_e32 vcc, s74, v132
	v_mad_i64_i32 v[132:133], s[24:25], v138, s27, 0
	s_or_b64 s[24:25], s[2:3], vcc
	v_lshl_add_u64 v[134:135], v[132:133], 3, s[22:23]
	s_or_b64 s[24:25], s[14:15], s[24:25]
	v_mov_b64_e32 v[132:133], 0
	s_xor_b64 s[34:35], s[24:25], -1
	v_lshl_add_u64 v[136:137], v[128:129], 3, v[134:135]
	v_mov_b64_e32 v[134:135], v[132:133]
	s_waitcnt lgkmcnt(0)
	s_barrier
	s_and_saveexec_b64 s[24:25], s[34:35]
	s_cbranch_execz .LBB195_40
; %bb.39:                               ;   in Loop: Header=BB195_28 Depth=1
	flat_load_dwordx2 v[134:135], v[136:137]
	s_waitcnt vmcnt(0) lgkmcnt(0)
	v_mul_f64 v[134:135], s[18:19], v[134:135]
.LBB195_40:                             ;   in Loop: Header=BB195_28 Depth=1
	s_or_b64 exec, exec, s[24:25]
	s_or_b64 s[24:25], s[4:5], vcc
	s_or_b64 s[24:25], s[14:15], s[24:25]
	s_xor_b64 s[34:35], s[24:25], -1
	s_and_saveexec_b64 s[24:25], s[34:35]
	s_cbranch_execz .LBB195_42
; %bb.41:                               ;   in Loop: Header=BB195_28 Depth=1
	flat_load_dwordx2 v[132:133], v[136:137] offset:512
	s_waitcnt vmcnt(0) lgkmcnt(0)
	v_mul_f64 v[132:133], s[18:19], v[132:133]
.LBB195_42:                             ;   in Loop: Header=BB195_28 Depth=1
	s_or_b64 exec, exec, s[24:25]
	v_mad_i64_i32 v[136:137], s[24:25], v138, s29, 0
	s_or_b64 s[24:25], s[6:7], vcc
	v_lshl_add_u64 v[138:139], v[136:137], 3, s[20:21]
	s_or_b64 s[24:25], s[14:15], s[24:25]
	v_mov_b64_e32 v[136:137], 0
	s_xor_b64 s[34:35], s[24:25], -1
	v_lshl_add_u64 v[140:141], v[130:131], 3, v[138:139]
	v_mov_b64_e32 v[138:139], v[136:137]
	s_and_saveexec_b64 s[24:25], s[34:35]
	s_cbranch_execz .LBB195_44
; %bb.43:                               ;   in Loop: Header=BB195_28 Depth=1
	flat_load_dwordx2 v[138:139], v[140:141]
	s_waitcnt vmcnt(0) lgkmcnt(0)
	v_mul_f64 v[138:139], s[18:19], v[138:139]
.LBB195_44:                             ;   in Loop: Header=BB195_28 Depth=1
	s_or_b64 exec, exec, s[24:25]
	s_or_b64 s[24:25], s[8:9], vcc
	s_or_b64 s[24:25], s[14:15], s[24:25]
	s_xor_b64 s[34:35], s[24:25], -1
	s_and_saveexec_b64 s[24:25], s[34:35]
	s_cbranch_execz .LBB195_46
; %bb.45:                               ;   in Loop: Header=BB195_28 Depth=1
	flat_load_dwordx2 v[136:137], v[140:141] offset:512
	s_waitcnt vmcnt(0) lgkmcnt(0)
	v_mul_f64 v[136:137], s[18:19], v[136:137]
.LBB195_46:                             ;   in Loop: Header=BB195_28 Depth=1
	s_or_b64 exec, exec, s[24:25]
	s_mov_b32 s24, 0
.LBB195_47:                             ;   Parent Loop BB195_28 Depth=1
                                        ; =>  This Inner Loop Header: Depth=2
	v_add_u32_e32 v140, s24, v147
	v_add_u32_e32 v141, s24, v148
	ds_read2_b64 v[154:157], v140 offset1:16
	ds_read2_b64 v[158:161], v140 offset0:32 offset1:48
	ds_read2_b64 v[162:165], v140 offset0:64 offset1:80
	ds_read2_b64 v[166:169], v140 offset0:96 offset1:112
	ds_read2_b64 v[170:173], v140 offset0:128 offset1:144
	ds_read2_b64 v[174:177], v140 offset0:160 offset1:176
	ds_read2_b64 v[178:181], v140 offset0:192 offset1:208
	ds_read2_b64 v[182:185], v140 offset0:224 offset1:240
	v_add_u32_e32 v140, 0x800, v140
	ds_read2st64_b64 v[186:189], v141 offset1:4
	ds_read2_b64 v[190:193], v140 offset1:16
	ds_read2_b64 v[194:197], v140 offset0:32 offset1:48
	ds_read2_b64 v[198:201], v140 offset0:64 offset1:80
	ds_read2_b64 v[202:205], v140 offset0:96 offset1:112
	ds_read2_b64 v[206:209], v140 offset0:128 offset1:144
	ds_read2_b64 v[210:213], v140 offset0:160 offset1:176
	ds_read2_b64 v[214:217], v140 offset0:192 offset1:208
	ds_read2_b64 v[218:221], v140 offset0:224 offset1:240
	s_waitcnt lgkmcnt(14)
	v_max_f64 v[154:155], v[154:155], v[154:155]
	v_max_f64 v[156:157], v[156:157], v[156:157]
	;; [unrolled: 1-line block ×3, first 2 shown]
	s_waitcnt lgkmcnt(8)
	v_max_f64 v[140:141], v[186:187], v[186:187]
	v_max_f64 v[160:161], v[160:161], v[160:161]
	;; [unrolled: 1-line block ×15, first 2 shown]
	v_min_f64 v[188:189], v[154:155], v[140:141]
	v_min_f64 v[222:223], v[156:157], v[140:141]
	;; [unrolled: 1-line block ×16, first 2 shown]
	s_waitcnt lgkmcnt(7)
	v_max_f64 v[190:191], v[190:191], v[190:191]
	v_max_f64 v[192:193], v[192:193], v[192:193]
	s_waitcnt lgkmcnt(6)
	v_max_f64 v[194:195], v[194:195], v[194:195]
	v_max_f64 v[196:197], v[196:197], v[196:197]
	;; [unrolled: 3-line block ×8, first 2 shown]
	v_min_f64 v[154:155], v[154:155], v[186:187]
	v_min_f64 v[156:157], v[156:157], v[186:187]
	;; [unrolled: 1-line block ×16, first 2 shown]
	s_add_i32 s24, s24, 8
	v_add_f64 v[126:127], v[188:189], v[126:127]
	v_add_f64 v[124:125], v[222:223], v[124:125]
	;; [unrolled: 1-line block ×15, first 2 shown]
	v_min_f64 v[188:189], v[190:191], v[140:141]
	v_min_f64 v[222:223], v[192:193], v[140:141]
	;; [unrolled: 1-line block ×16, first 2 shown]
	v_add_f64 v[62:63], v[154:155], v[62:63]
	v_add_f64 v[60:61], v[156:157], v[60:61]
	;; [unrolled: 1-line block ×16, first 2 shown]
	v_min_f64 v[154:155], v[190:191], v[186:187]
	v_min_f64 v[156:157], v[192:193], v[186:187]
	;; [unrolled: 1-line block ×16, first 2 shown]
	s_cmp_eq_u32 s24, 32
	v_add_f64 v[96:97], v[250:251], v[96:97]
	v_add_f64 v[94:95], v[188:189], v[94:95]
	v_add_f64 v[92:93], v[222:223], v[92:93]
	v_add_f64 v[90:91], v[224:225], v[90:91]
	v_add_f64 v[88:89], v[226:227], v[88:89]
	v_add_f64 v[86:87], v[228:229], v[86:87]
	v_add_f64 v[84:85], v[230:231], v[84:85]
	v_add_f64 v[82:83], v[232:233], v[82:83]
	v_add_f64 v[80:81], v[234:235], v[80:81]
	v_add_f64 v[78:79], v[236:237], v[78:79]
	v_add_f64 v[76:77], v[238:239], v[76:77]
	v_add_f64 v[74:75], v[240:241], v[74:75]
	v_add_f64 v[72:73], v[242:243], v[72:73]
	v_add_f64 v[70:71], v[244:245], v[70:71]
	v_add_f64 v[68:69], v[246:247], v[68:69]
	v_add_f64 v[66:67], v[248:249], v[66:67]
	v_add_f64 v[64:65], v[140:141], v[64:65]
	v_add_f64 v[30:31], v[154:155], v[30:31]
	v_add_f64 v[28:29], v[156:157], v[28:29]
	v_add_f64 v[26:27], v[158:159], v[26:27]
	v_add_f64 v[24:25], v[160:161], v[24:25]
	v_add_f64 v[22:23], v[162:163], v[22:23]
	v_add_f64 v[20:21], v[164:165], v[20:21]
	v_add_f64 v[18:19], v[166:167], v[18:19]
	v_add_f64 v[16:17], v[168:169], v[16:17]
	v_add_f64 v[14:15], v[170:171], v[14:15]
	v_add_f64 v[12:13], v[172:173], v[12:13]
	v_add_f64 v[10:11], v[174:175], v[10:11]
	v_add_f64 v[8:9], v[176:177], v[8:9]
	v_add_f64 v[6:7], v[178:179], v[6:7]
	v_add_f64 v[4:5], v[180:181], v[4:5]
	v_add_f64 v[2:3], v[182:183], v[2:3]
	v_add_f64 v[0:1], v[184:185], v[0:1]
	s_cbranch_scc0 .LBB195_47
; %bb.48:                               ;   in Loop: Header=BB195_28 Depth=1
	s_add_i32 s31, s31, 8
	s_add_i32 s33, s33, 8
	s_cmp_ge_i32 s33, s30
	ds_write2st64_b64 v151, v[134:135], v[132:133] offset1:4
	ds_write2st64_b64 v152, v[138:139], v[136:137] offset1:4
	s_waitcnt lgkmcnt(0)
	s_barrier
	s_cbranch_scc0 .LBB195_28
.LBB195_49:
	s_mov_b32 s2, 0
.LBB195_50:                             ; =>This Inner Loop Header: Depth=1
	v_add_u32_e32 v140, s2, v149
	v_add_u32_e32 v141, s2, v150
	ds_read2_b64 v[128:131], v140 offset1:16
	ds_read2_b64 v[132:135], v140 offset0:32 offset1:48
	ds_read2_b64 v[136:139], v140 offset0:64 offset1:80
	;; [unrolled: 1-line block ×7, first 2 shown]
	v_add_u32_e32 v140, 0x800, v140
	ds_read2st64_b64 v[168:171], v141 offset1:4
	ds_read2_b64 v[172:175], v140 offset1:16
	ds_read2_b64 v[176:179], v140 offset0:32 offset1:48
	ds_read2_b64 v[180:183], v140 offset0:64 offset1:80
	;; [unrolled: 1-line block ×7, first 2 shown]
	s_waitcnt lgkmcnt(14)
	v_max_f64 v[128:129], v[128:129], v[128:129]
	v_max_f64 v[130:131], v[130:131], v[130:131]
	;; [unrolled: 1-line block ×3, first 2 shown]
	s_waitcnt lgkmcnt(8)
	v_max_f64 v[140:141], v[168:169], v[168:169]
	v_max_f64 v[134:135], v[134:135], v[134:135]
	;; [unrolled: 1-line block ×15, first 2 shown]
	v_min_f64 v[170:171], v[128:129], v[140:141]
	v_min_f64 v[204:205], v[130:131], v[140:141]
	;; [unrolled: 1-line block ×16, first 2 shown]
	s_waitcnt lgkmcnt(7)
	v_max_f64 v[172:173], v[172:173], v[172:173]
	v_max_f64 v[174:175], v[174:175], v[174:175]
	s_waitcnt lgkmcnt(6)
	v_max_f64 v[176:177], v[176:177], v[176:177]
	v_max_f64 v[178:179], v[178:179], v[178:179]
	;; [unrolled: 3-line block ×8, first 2 shown]
	v_min_f64 v[128:129], v[128:129], v[168:169]
	v_min_f64 v[130:131], v[130:131], v[168:169]
	;; [unrolled: 1-line block ×16, first 2 shown]
	s_add_i32 s2, s2, 8
	v_add_f64 v[126:127], v[170:171], v[126:127]
	v_add_f64 v[124:125], v[204:205], v[124:125]
	;; [unrolled: 1-line block ×15, first 2 shown]
	v_min_f64 v[170:171], v[172:173], v[140:141]
	v_min_f64 v[204:205], v[174:175], v[140:141]
	;; [unrolled: 1-line block ×16, first 2 shown]
	v_add_f64 v[62:63], v[128:129], v[62:63]
	v_add_f64 v[60:61], v[130:131], v[60:61]
	;; [unrolled: 1-line block ×16, first 2 shown]
	v_min_f64 v[128:129], v[172:173], v[168:169]
	v_min_f64 v[130:131], v[174:175], v[168:169]
	;; [unrolled: 1-line block ×16, first 2 shown]
	s_cmp_eq_u32 s2, 32
	v_add_f64 v[96:97], v[232:233], v[96:97]
	v_add_f64 v[94:95], v[170:171], v[94:95]
	;; [unrolled: 1-line block ×33, first 2 shown]
	s_cbranch_scc0 .LBB195_50
; %bb.51:
	s_load_dwordx2 s[2:3], s[0:1], 0x78
	s_load_dword s78, s[0:1], 0x58
	s_load_dword s33, s[0:1], 0x70
	v_add_u32_e32 v136, s26, v143
	v_add_u32_e32 v128, s17, v142
	s_waitcnt lgkmcnt(0)
	s_mul_i32 s1, s16, s3
	s_mul_hi_u32 s3, s16, s2
	s_mul_i32 s0, s16, s2
	s_add_i32 s1, s3, s1
	s_lshl_b64 s[0:1], s[0:1], 3
	s_add_u32 s74, s10, s0
	s_addc_u32 s75, s11, s1
	v_mad_i64_i32 v[130:131], s[0:1], v136, s78, 0
	v_cmp_gt_i32_e64 s[24:25], s73, v136
	v_lshl_add_u64 v[132:133], v[130:131], 3, s[76:77]
	v_mad_i64_i32 v[130:131], s[0:1], v136, s33, 0
	v_cmp_gt_i32_e64 s[2:3], s72, v128
	v_cndmask_b32_e64 v134, 0, 1, s[12:13]
	v_lshl_add_u64 v[130:131], v[130:131], 3, s[74:75]
	s_and_b64 s[6:7], s[24:25], s[2:3]
	v_ashrrev_i32_e32 v129, 31, v128
	v_cmp_ne_u32_e64 s[0:1], 1, v134
	s_and_saveexec_b64 s[4:5], s[6:7]
	s_cbranch_execz .LBB195_56
; %bb.52:
	s_and_b64 vcc, exec, s[0:1]
	s_cbranch_vccnz .LBB195_54
; %bb.53:
	v_lshl_add_u64 v[134:135], v[128:129], 3, v[132:133]
	flat_load_dwordx2 v[134:135], v[134:135]
	s_waitcnt vmcnt(0) lgkmcnt(0)
	v_mul_f64 v[134:135], s[70:71], v[134:135]
	s_branch .LBB195_55
.LBB195_54:
	v_mov_b64_e32 v[134:135], 0
.LBB195_55:
	v_add_f64 v[126:127], v[126:127], v[134:135]
	v_lshl_add_u64 v[134:135], v[128:129], 3, v[130:131]
	global_store_dwordx2 v[134:135], v[126:127], off
.LBB195_56:
	s_or_b64 exec, exec, s[4:5]
	v_add_u32_e32 v126, 4, v128
	v_cmp_gt_i32_e64 s[4:5], s72, v126
	s_and_b64 s[8:9], s[24:25], s[4:5]
	v_ashrrev_i32_e32 v127, 31, v126
	s_and_saveexec_b64 s[6:7], s[8:9]
	s_cbranch_execz .LBB195_61
; %bb.57:
	s_and_b64 vcc, exec, s[0:1]
	s_cbranch_vccnz .LBB195_59
; %bb.58:
	v_lshl_add_u64 v[134:135], v[126:127], 3, v[132:133]
	flat_load_dwordx2 v[134:135], v[134:135]
	s_waitcnt vmcnt(0) lgkmcnt(0)
	v_mul_f64 v[134:135], s[70:71], v[134:135]
	s_branch .LBB195_60
.LBB195_59:
	v_mov_b64_e32 v[134:135], 0
.LBB195_60:
	v_add_f64 v[124:125], v[124:125], v[134:135]
	v_lshl_add_u64 v[134:135], v[126:127], 3, v[130:131]
	global_store_dwordx2 v[134:135], v[124:125], off
.LBB195_61:
	s_or_b64 exec, exec, s[6:7]
	v_add_u32_e32 v124, 8, v128
	v_cmp_gt_i32_e64 s[6:7], s72, v124
	s_and_b64 s[10:11], s[24:25], s[6:7]
	v_ashrrev_i32_e32 v125, 31, v124
	;; [unrolled: 23-line block ×31, first 2 shown]
	s_and_saveexec_b64 s[24:25], s[80:81]
	s_cbranch_execz .LBB195_211
; %bb.207:
	s_and_b64 vcc, exec, s[0:1]
	s_cbranch_vccnz .LBB195_209
; %bb.208:
	v_lshl_add_u64 v[132:133], v[66:67], 3, v[132:133]
	flat_load_dwordx2 v[132:133], v[132:133]
	s_waitcnt vmcnt(0) lgkmcnt(0)
	v_mul_f64 v[132:133], s[70:71], v[132:133]
	s_branch .LBB195_210
.LBB195_209:
	v_mov_b64_e32 v[132:133], 0
.LBB195_210:
	v_add_f64 v[64:65], v[64:65], v[132:133]
	v_lshl_add_u64 v[130:131], v[66:67], 3, v[130:131]
	global_store_dwordx2 v[130:131], v[64:65], off
.LBB195_211:
	s_or_b64 exec, exec, s[24:25]
	v_add_u32_e32 v132, 64, v136
	v_cmp_gt_i32_e64 s[24:25], s73, v132
	v_mad_i64_i32 v[64:65], s[72:73], v132, s78, 0
	v_lshl_add_u64 v[130:131], v[64:65], 3, s[76:77]
	v_mad_i64_i32 v[64:65], s[72:73], v132, s33, 0
	v_lshl_add_u64 v[64:65], v[64:65], 3, s[74:75]
	s_and_b64 s[2:3], s[24:25], s[2:3]
	s_and_saveexec_b64 s[72:73], s[2:3]
	s_xor_b64 s[2:3], exec, s[72:73]
	s_cbranch_execnz .LBB195_244
; %bb.212:
	s_or_b64 exec, exec, s[2:3]
	s_and_b64 s[4:5], s[24:25], s[4:5]
	s_and_saveexec_b64 s[2:3], s[4:5]
	s_cbranch_execnz .LBB195_248
.LBB195_213:
	s_or_b64 exec, exec, s[2:3]
	s_and_b64 s[4:5], s[24:25], s[6:7]
	s_and_saveexec_b64 s[2:3], s[4:5]
	s_cbranch_execnz .LBB195_252
.LBB195_214:
	s_or_b64 exec, exec, s[2:3]
	s_and_b64 s[4:5], s[24:25], s[8:9]
	s_and_saveexec_b64 s[2:3], s[4:5]
	s_cbranch_execnz .LBB195_256
.LBB195_215:
	s_or_b64 exec, exec, s[2:3]
	s_and_b64 s[4:5], s[24:25], s[10:11]
	s_and_saveexec_b64 s[2:3], s[4:5]
	s_cbranch_execnz .LBB195_260
.LBB195_216:
	s_or_b64 exec, exec, s[2:3]
	s_and_b64 s[4:5], s[24:25], s[12:13]
	s_and_saveexec_b64 s[2:3], s[4:5]
	s_cbranch_execnz .LBB195_264
.LBB195_217:
	s_or_b64 exec, exec, s[2:3]
	s_and_b64 s[4:5], s[24:25], s[14:15]
	s_and_saveexec_b64 s[2:3], s[4:5]
	s_cbranch_execnz .LBB195_268
.LBB195_218:
	s_or_b64 exec, exec, s[2:3]
	s_and_b64 s[4:5], s[24:25], s[16:17]
	s_and_saveexec_b64 s[2:3], s[4:5]
	s_cbranch_execnz .LBB195_272
.LBB195_219:
	s_or_b64 exec, exec, s[2:3]
	s_and_b64 s[4:5], s[24:25], s[18:19]
	s_and_saveexec_b64 s[2:3], s[4:5]
	s_cbranch_execnz .LBB195_276
.LBB195_220:
	s_or_b64 exec, exec, s[2:3]
	s_and_b64 s[4:5], s[24:25], s[20:21]
	s_and_saveexec_b64 s[2:3], s[4:5]
	s_cbranch_execnz .LBB195_280
.LBB195_221:
	s_or_b64 exec, exec, s[2:3]
	s_and_b64 s[4:5], s[24:25], s[22:23]
	s_and_saveexec_b64 s[2:3], s[4:5]
	s_cbranch_execnz .LBB195_284
.LBB195_222:
	s_or_b64 exec, exec, s[2:3]
	s_and_b64 s[4:5], s[24:25], s[26:27]
	s_and_saveexec_b64 s[2:3], s[4:5]
	s_cbranch_execnz .LBB195_288
.LBB195_223:
	s_or_b64 exec, exec, s[2:3]
	s_and_b64 s[4:5], s[24:25], s[28:29]
	s_and_saveexec_b64 s[2:3], s[4:5]
	s_cbranch_execnz .LBB195_292
.LBB195_224:
	s_or_b64 exec, exec, s[2:3]
	s_and_b64 s[4:5], s[24:25], s[30:31]
	s_and_saveexec_b64 s[2:3], s[4:5]
	s_cbranch_execnz .LBB195_296
.LBB195_225:
	s_or_b64 exec, exec, s[2:3]
	s_and_b64 s[4:5], s[24:25], s[34:35]
	s_and_saveexec_b64 s[2:3], s[4:5]
	s_cbranch_execnz .LBB195_300
.LBB195_226:
	s_or_b64 exec, exec, s[2:3]
	s_and_b64 s[4:5], s[24:25], s[36:37]
	s_and_saveexec_b64 s[2:3], s[4:5]
	s_cbranch_execnz .LBB195_304
.LBB195_227:
	s_or_b64 exec, exec, s[2:3]
	s_and_b64 s[4:5], s[24:25], s[38:39]
	s_and_saveexec_b64 s[2:3], s[4:5]
	s_cbranch_execnz .LBB195_308
.LBB195_228:
	s_or_b64 exec, exec, s[2:3]
	s_and_b64 s[4:5], s[24:25], s[40:41]
	s_and_saveexec_b64 s[2:3], s[4:5]
	s_cbranch_execnz .LBB195_312
.LBB195_229:
	s_or_b64 exec, exec, s[2:3]
	s_and_b64 s[4:5], s[24:25], s[42:43]
	s_and_saveexec_b64 s[2:3], s[4:5]
	s_cbranch_execnz .LBB195_316
.LBB195_230:
	s_or_b64 exec, exec, s[2:3]
	s_and_b64 s[4:5], s[24:25], s[44:45]
	s_and_saveexec_b64 s[2:3], s[4:5]
	s_cbranch_execnz .LBB195_320
.LBB195_231:
	s_or_b64 exec, exec, s[2:3]
	s_and_b64 s[4:5], s[24:25], s[46:47]
	s_and_saveexec_b64 s[2:3], s[4:5]
	s_cbranch_execnz .LBB195_324
.LBB195_232:
	s_or_b64 exec, exec, s[2:3]
	s_and_b64 s[4:5], s[24:25], s[48:49]
	s_and_saveexec_b64 s[2:3], s[4:5]
	s_cbranch_execnz .LBB195_328
.LBB195_233:
	s_or_b64 exec, exec, s[2:3]
	s_and_b64 s[4:5], s[24:25], s[50:51]
	s_and_saveexec_b64 s[2:3], s[4:5]
	s_cbranch_execnz .LBB195_332
.LBB195_234:
	s_or_b64 exec, exec, s[2:3]
	s_and_b64 s[4:5], s[24:25], s[52:53]
	s_and_saveexec_b64 s[2:3], s[4:5]
	s_cbranch_execnz .LBB195_336
.LBB195_235:
	s_or_b64 exec, exec, s[2:3]
	s_and_b64 s[4:5], s[24:25], s[54:55]
	s_and_saveexec_b64 s[2:3], s[4:5]
	s_cbranch_execnz .LBB195_340
.LBB195_236:
	s_or_b64 exec, exec, s[2:3]
	s_and_b64 s[4:5], s[24:25], s[56:57]
	s_and_saveexec_b64 s[2:3], s[4:5]
	s_cbranch_execnz .LBB195_344
.LBB195_237:
	s_or_b64 exec, exec, s[2:3]
	s_and_b64 s[4:5], s[24:25], s[58:59]
	s_and_saveexec_b64 s[2:3], s[4:5]
	s_cbranch_execnz .LBB195_348
.LBB195_238:
	s_or_b64 exec, exec, s[2:3]
	s_and_b64 s[4:5], s[24:25], s[60:61]
	s_and_saveexec_b64 s[2:3], s[4:5]
	s_cbranch_execnz .LBB195_352
.LBB195_239:
	s_or_b64 exec, exec, s[2:3]
	s_and_b64 s[4:5], s[24:25], s[62:63]
	s_and_saveexec_b64 s[2:3], s[4:5]
	s_cbranch_execnz .LBB195_356
.LBB195_240:
	s_or_b64 exec, exec, s[2:3]
	s_and_b64 s[4:5], s[24:25], s[64:65]
	s_and_saveexec_b64 s[2:3], s[4:5]
	s_cbranch_execnz .LBB195_360
.LBB195_241:
	s_or_b64 exec, exec, s[2:3]
	s_and_b64 s[4:5], s[24:25], s[66:67]
	s_and_saveexec_b64 s[2:3], s[4:5]
	s_cbranch_execnz .LBB195_364
.LBB195_242:
	s_or_b64 exec, exec, s[2:3]
	s_and_b64 s[2:3], s[24:25], s[68:69]
	s_and_saveexec_b64 s[4:5], s[2:3]
	s_cbranch_execnz .LBB195_368
.LBB195_243:
	s_endpgm
.LBB195_244:
	s_and_b64 vcc, exec, s[0:1]
	s_cbranch_vccnz .LBB195_246
; %bb.245:
	v_lshl_add_u64 v[132:133], v[128:129], 3, v[130:131]
	flat_load_dwordx2 v[132:133], v[132:133]
	s_waitcnt vmcnt(0) lgkmcnt(0)
	v_mul_f64 v[132:133], s[70:71], v[132:133]
	s_branch .LBB195_247
.LBB195_246:
	v_mov_b64_e32 v[132:133], 0
.LBB195_247:
	v_add_f64 v[62:63], v[62:63], v[132:133]
	v_lshl_add_u64 v[128:129], v[128:129], 3, v[64:65]
	global_store_dwordx2 v[128:129], v[62:63], off
	s_or_b64 exec, exec, s[2:3]
	s_and_b64 s[4:5], s[24:25], s[4:5]
	s_and_saveexec_b64 s[2:3], s[4:5]
	s_cbranch_execz .LBB195_213
.LBB195_248:
	s_and_b64 vcc, exec, s[0:1]
	s_cbranch_vccnz .LBB195_250
; %bb.249:
	v_lshl_add_u64 v[62:63], v[126:127], 3, v[130:131]
	flat_load_dwordx2 v[62:63], v[62:63]
	s_waitcnt vmcnt(0) lgkmcnt(0)
	v_mul_f64 v[62:63], s[70:71], v[62:63]
	s_branch .LBB195_251
.LBB195_250:
	v_mov_b64_e32 v[62:63], 0
.LBB195_251:
	v_add_f64 v[60:61], v[60:61], v[62:63]
	v_lshl_add_u64 v[62:63], v[126:127], 3, v[64:65]
	global_store_dwordx2 v[62:63], v[60:61], off
	s_or_b64 exec, exec, s[2:3]
	s_and_b64 s[4:5], s[24:25], s[6:7]
	s_and_saveexec_b64 s[2:3], s[4:5]
	s_cbranch_execz .LBB195_214
.LBB195_252:
	s_and_b64 vcc, exec, s[0:1]
	s_cbranch_vccnz .LBB195_254
; %bb.253:
	v_lshl_add_u64 v[60:61], v[124:125], 3, v[130:131]
	flat_load_dwordx2 v[60:61], v[60:61]
	s_waitcnt vmcnt(0) lgkmcnt(0)
	v_mul_f64 v[60:61], s[70:71], v[60:61]
	s_branch .LBB195_255
.LBB195_254:
	v_mov_b64_e32 v[60:61], 0
.LBB195_255:
	v_add_f64 v[58:59], v[58:59], v[60:61]
	v_lshl_add_u64 v[60:61], v[124:125], 3, v[64:65]
	global_store_dwordx2 v[60:61], v[58:59], off
	s_or_b64 exec, exec, s[2:3]
	s_and_b64 s[4:5], s[24:25], s[8:9]
	s_and_saveexec_b64 s[2:3], s[4:5]
	s_cbranch_execz .LBB195_215
.LBB195_256:
	s_and_b64 vcc, exec, s[0:1]
	s_cbranch_vccnz .LBB195_258
; %bb.257:
	v_lshl_add_u64 v[58:59], v[122:123], 3, v[130:131]
	flat_load_dwordx2 v[58:59], v[58:59]
	s_waitcnt vmcnt(0) lgkmcnt(0)
	v_mul_f64 v[58:59], s[70:71], v[58:59]
	s_branch .LBB195_259
.LBB195_258:
	v_mov_b64_e32 v[58:59], 0
.LBB195_259:
	v_add_f64 v[56:57], v[56:57], v[58:59]
	v_lshl_add_u64 v[58:59], v[122:123], 3, v[64:65]
	global_store_dwordx2 v[58:59], v[56:57], off
	s_or_b64 exec, exec, s[2:3]
	s_and_b64 s[4:5], s[24:25], s[10:11]
	s_and_saveexec_b64 s[2:3], s[4:5]
	s_cbranch_execz .LBB195_216
.LBB195_260:
	s_and_b64 vcc, exec, s[0:1]
	s_cbranch_vccnz .LBB195_262
; %bb.261:
	v_lshl_add_u64 v[56:57], v[120:121], 3, v[130:131]
	flat_load_dwordx2 v[56:57], v[56:57]
	s_waitcnt vmcnt(0) lgkmcnt(0)
	v_mul_f64 v[56:57], s[70:71], v[56:57]
	s_branch .LBB195_263
.LBB195_262:
	v_mov_b64_e32 v[56:57], 0
.LBB195_263:
	v_add_f64 v[54:55], v[54:55], v[56:57]
	v_lshl_add_u64 v[56:57], v[120:121], 3, v[64:65]
	global_store_dwordx2 v[56:57], v[54:55], off
	s_or_b64 exec, exec, s[2:3]
	s_and_b64 s[4:5], s[24:25], s[12:13]
	s_and_saveexec_b64 s[2:3], s[4:5]
	s_cbranch_execz .LBB195_217
.LBB195_264:
	s_and_b64 vcc, exec, s[0:1]
	s_cbranch_vccnz .LBB195_266
; %bb.265:
	v_lshl_add_u64 v[54:55], v[118:119], 3, v[130:131]
	flat_load_dwordx2 v[54:55], v[54:55]
	s_waitcnt vmcnt(0) lgkmcnt(0)
	v_mul_f64 v[54:55], s[70:71], v[54:55]
	s_branch .LBB195_267
.LBB195_266:
	v_mov_b64_e32 v[54:55], 0
.LBB195_267:
	v_add_f64 v[52:53], v[52:53], v[54:55]
	v_lshl_add_u64 v[54:55], v[118:119], 3, v[64:65]
	global_store_dwordx2 v[54:55], v[52:53], off
	s_or_b64 exec, exec, s[2:3]
	s_and_b64 s[4:5], s[24:25], s[14:15]
	s_and_saveexec_b64 s[2:3], s[4:5]
	s_cbranch_execz .LBB195_218
.LBB195_268:
	s_and_b64 vcc, exec, s[0:1]
	s_cbranch_vccnz .LBB195_270
; %bb.269:
	v_lshl_add_u64 v[52:53], v[116:117], 3, v[130:131]
	flat_load_dwordx2 v[52:53], v[52:53]
	s_waitcnt vmcnt(0) lgkmcnt(0)
	v_mul_f64 v[52:53], s[70:71], v[52:53]
	s_branch .LBB195_271
.LBB195_270:
	v_mov_b64_e32 v[52:53], 0
.LBB195_271:
	v_add_f64 v[50:51], v[50:51], v[52:53]
	v_lshl_add_u64 v[52:53], v[116:117], 3, v[64:65]
	global_store_dwordx2 v[52:53], v[50:51], off
	s_or_b64 exec, exec, s[2:3]
	s_and_b64 s[4:5], s[24:25], s[16:17]
	s_and_saveexec_b64 s[2:3], s[4:5]
	s_cbranch_execz .LBB195_219
.LBB195_272:
	s_and_b64 vcc, exec, s[0:1]
	s_cbranch_vccnz .LBB195_274
; %bb.273:
	v_lshl_add_u64 v[50:51], v[114:115], 3, v[130:131]
	flat_load_dwordx2 v[50:51], v[50:51]
	s_waitcnt vmcnt(0) lgkmcnt(0)
	v_mul_f64 v[50:51], s[70:71], v[50:51]
	s_branch .LBB195_275
.LBB195_274:
	v_mov_b64_e32 v[50:51], 0
.LBB195_275:
	v_add_f64 v[48:49], v[48:49], v[50:51]
	v_lshl_add_u64 v[50:51], v[114:115], 3, v[64:65]
	global_store_dwordx2 v[50:51], v[48:49], off
	s_or_b64 exec, exec, s[2:3]
	s_and_b64 s[4:5], s[24:25], s[18:19]
	s_and_saveexec_b64 s[2:3], s[4:5]
	s_cbranch_execz .LBB195_220
.LBB195_276:
	s_and_b64 vcc, exec, s[0:1]
	s_cbranch_vccnz .LBB195_278
; %bb.277:
	v_lshl_add_u64 v[48:49], v[112:113], 3, v[130:131]
	flat_load_dwordx2 v[48:49], v[48:49]
	s_waitcnt vmcnt(0) lgkmcnt(0)
	v_mul_f64 v[48:49], s[70:71], v[48:49]
	s_branch .LBB195_279
.LBB195_278:
	v_mov_b64_e32 v[48:49], 0
.LBB195_279:
	v_add_f64 v[46:47], v[46:47], v[48:49]
	v_lshl_add_u64 v[48:49], v[112:113], 3, v[64:65]
	global_store_dwordx2 v[48:49], v[46:47], off
	s_or_b64 exec, exec, s[2:3]
	s_and_b64 s[4:5], s[24:25], s[20:21]
	s_and_saveexec_b64 s[2:3], s[4:5]
	s_cbranch_execz .LBB195_221
.LBB195_280:
	s_and_b64 vcc, exec, s[0:1]
	s_cbranch_vccnz .LBB195_282
; %bb.281:
	v_lshl_add_u64 v[46:47], v[110:111], 3, v[130:131]
	flat_load_dwordx2 v[46:47], v[46:47]
	s_waitcnt vmcnt(0) lgkmcnt(0)
	v_mul_f64 v[46:47], s[70:71], v[46:47]
	s_branch .LBB195_283
.LBB195_282:
	v_mov_b64_e32 v[46:47], 0
.LBB195_283:
	v_add_f64 v[44:45], v[44:45], v[46:47]
	v_lshl_add_u64 v[46:47], v[110:111], 3, v[64:65]
	global_store_dwordx2 v[46:47], v[44:45], off
	s_or_b64 exec, exec, s[2:3]
	s_and_b64 s[4:5], s[24:25], s[22:23]
	s_and_saveexec_b64 s[2:3], s[4:5]
	s_cbranch_execz .LBB195_222
.LBB195_284:
	s_and_b64 vcc, exec, s[0:1]
	s_cbranch_vccnz .LBB195_286
; %bb.285:
	v_lshl_add_u64 v[44:45], v[108:109], 3, v[130:131]
	flat_load_dwordx2 v[44:45], v[44:45]
	s_waitcnt vmcnt(0) lgkmcnt(0)
	v_mul_f64 v[44:45], s[70:71], v[44:45]
	s_branch .LBB195_287
.LBB195_286:
	v_mov_b64_e32 v[44:45], 0
.LBB195_287:
	v_add_f64 v[42:43], v[42:43], v[44:45]
	v_lshl_add_u64 v[44:45], v[108:109], 3, v[64:65]
	global_store_dwordx2 v[44:45], v[42:43], off
	s_or_b64 exec, exec, s[2:3]
	s_and_b64 s[4:5], s[24:25], s[26:27]
	s_and_saveexec_b64 s[2:3], s[4:5]
	s_cbranch_execz .LBB195_223
.LBB195_288:
	s_and_b64 vcc, exec, s[0:1]
	s_cbranch_vccnz .LBB195_290
; %bb.289:
	v_lshl_add_u64 v[42:43], v[106:107], 3, v[130:131]
	flat_load_dwordx2 v[42:43], v[42:43]
	s_waitcnt vmcnt(0) lgkmcnt(0)
	v_mul_f64 v[42:43], s[70:71], v[42:43]
	s_branch .LBB195_291
.LBB195_290:
	v_mov_b64_e32 v[42:43], 0
.LBB195_291:
	v_add_f64 v[40:41], v[40:41], v[42:43]
	v_lshl_add_u64 v[42:43], v[106:107], 3, v[64:65]
	global_store_dwordx2 v[42:43], v[40:41], off
	s_or_b64 exec, exec, s[2:3]
	s_and_b64 s[4:5], s[24:25], s[28:29]
	s_and_saveexec_b64 s[2:3], s[4:5]
	s_cbranch_execz .LBB195_224
.LBB195_292:
	s_and_b64 vcc, exec, s[0:1]
	s_cbranch_vccnz .LBB195_294
; %bb.293:
	v_lshl_add_u64 v[40:41], v[104:105], 3, v[130:131]
	flat_load_dwordx2 v[40:41], v[40:41]
	s_waitcnt vmcnt(0) lgkmcnt(0)
	v_mul_f64 v[40:41], s[70:71], v[40:41]
	s_branch .LBB195_295
.LBB195_294:
	v_mov_b64_e32 v[40:41], 0
.LBB195_295:
	v_add_f64 v[38:39], v[38:39], v[40:41]
	v_lshl_add_u64 v[40:41], v[104:105], 3, v[64:65]
	global_store_dwordx2 v[40:41], v[38:39], off
	s_or_b64 exec, exec, s[2:3]
	s_and_b64 s[4:5], s[24:25], s[30:31]
	s_and_saveexec_b64 s[2:3], s[4:5]
	s_cbranch_execz .LBB195_225
.LBB195_296:
	s_and_b64 vcc, exec, s[0:1]
	s_cbranch_vccnz .LBB195_298
; %bb.297:
	v_lshl_add_u64 v[38:39], v[102:103], 3, v[130:131]
	flat_load_dwordx2 v[38:39], v[38:39]
	s_waitcnt vmcnt(0) lgkmcnt(0)
	v_mul_f64 v[38:39], s[70:71], v[38:39]
	s_branch .LBB195_299
.LBB195_298:
	v_mov_b64_e32 v[38:39], 0
.LBB195_299:
	v_add_f64 v[36:37], v[36:37], v[38:39]
	v_lshl_add_u64 v[38:39], v[102:103], 3, v[64:65]
	global_store_dwordx2 v[38:39], v[36:37], off
	s_or_b64 exec, exec, s[2:3]
	s_and_b64 s[4:5], s[24:25], s[34:35]
	s_and_saveexec_b64 s[2:3], s[4:5]
	s_cbranch_execz .LBB195_226
.LBB195_300:
	s_and_b64 vcc, exec, s[0:1]
	s_cbranch_vccnz .LBB195_302
; %bb.301:
	v_lshl_add_u64 v[36:37], v[100:101], 3, v[130:131]
	flat_load_dwordx2 v[36:37], v[36:37]
	s_waitcnt vmcnt(0) lgkmcnt(0)
	v_mul_f64 v[36:37], s[70:71], v[36:37]
	s_branch .LBB195_303
.LBB195_302:
	v_mov_b64_e32 v[36:37], 0
.LBB195_303:
	v_add_f64 v[34:35], v[34:35], v[36:37]
	v_lshl_add_u64 v[36:37], v[100:101], 3, v[64:65]
	global_store_dwordx2 v[36:37], v[34:35], off
	s_or_b64 exec, exec, s[2:3]
	s_and_b64 s[4:5], s[24:25], s[36:37]
	s_and_saveexec_b64 s[2:3], s[4:5]
	s_cbranch_execz .LBB195_227
.LBB195_304:
	s_and_b64 vcc, exec, s[0:1]
	s_cbranch_vccnz .LBB195_306
; %bb.305:
	v_lshl_add_u64 v[34:35], v[98:99], 3, v[130:131]
	flat_load_dwordx2 v[34:35], v[34:35]
	s_waitcnt vmcnt(0) lgkmcnt(0)
	v_mul_f64 v[34:35], s[70:71], v[34:35]
	s_branch .LBB195_307
.LBB195_306:
	v_mov_b64_e32 v[34:35], 0
.LBB195_307:
	v_add_f64 v[32:33], v[32:33], v[34:35]
	v_lshl_add_u64 v[34:35], v[98:99], 3, v[64:65]
	global_store_dwordx2 v[34:35], v[32:33], off
	s_or_b64 exec, exec, s[2:3]
	s_and_b64 s[4:5], s[24:25], s[38:39]
	s_and_saveexec_b64 s[2:3], s[4:5]
	s_cbranch_execz .LBB195_228
.LBB195_308:
	s_and_b64 vcc, exec, s[0:1]
	s_cbranch_vccnz .LBB195_310
; %bb.309:
	v_lshl_add_u64 v[32:33], v[96:97], 3, v[130:131]
	flat_load_dwordx2 v[32:33], v[32:33]
	s_waitcnt vmcnt(0) lgkmcnt(0)
	v_mul_f64 v[32:33], s[70:71], v[32:33]
	s_branch .LBB195_311
.LBB195_310:
	v_mov_b64_e32 v[32:33], 0
.LBB195_311:
	v_add_f64 v[30:31], v[30:31], v[32:33]
	v_lshl_add_u64 v[32:33], v[96:97], 3, v[64:65]
	global_store_dwordx2 v[32:33], v[30:31], off
	s_or_b64 exec, exec, s[2:3]
	s_and_b64 s[4:5], s[24:25], s[40:41]
	s_and_saveexec_b64 s[2:3], s[4:5]
	s_cbranch_execz .LBB195_229
.LBB195_312:
	s_and_b64 vcc, exec, s[0:1]
	s_cbranch_vccnz .LBB195_314
; %bb.313:
	v_lshl_add_u64 v[30:31], v[94:95], 3, v[130:131]
	flat_load_dwordx2 v[30:31], v[30:31]
	s_waitcnt vmcnt(0) lgkmcnt(0)
	v_mul_f64 v[30:31], s[70:71], v[30:31]
	s_branch .LBB195_315
.LBB195_314:
	v_mov_b64_e32 v[30:31], 0
.LBB195_315:
	v_add_f64 v[28:29], v[28:29], v[30:31]
	v_lshl_add_u64 v[30:31], v[94:95], 3, v[64:65]
	global_store_dwordx2 v[30:31], v[28:29], off
	s_or_b64 exec, exec, s[2:3]
	s_and_b64 s[4:5], s[24:25], s[42:43]
	s_and_saveexec_b64 s[2:3], s[4:5]
	s_cbranch_execz .LBB195_230
.LBB195_316:
	s_and_b64 vcc, exec, s[0:1]
	s_cbranch_vccnz .LBB195_318
; %bb.317:
	v_lshl_add_u64 v[28:29], v[92:93], 3, v[130:131]
	flat_load_dwordx2 v[28:29], v[28:29]
	s_waitcnt vmcnt(0) lgkmcnt(0)
	v_mul_f64 v[28:29], s[70:71], v[28:29]
	s_branch .LBB195_319
.LBB195_318:
	v_mov_b64_e32 v[28:29], 0
.LBB195_319:
	v_add_f64 v[26:27], v[26:27], v[28:29]
	v_lshl_add_u64 v[28:29], v[92:93], 3, v[64:65]
	global_store_dwordx2 v[28:29], v[26:27], off
	s_or_b64 exec, exec, s[2:3]
	s_and_b64 s[4:5], s[24:25], s[44:45]
	s_and_saveexec_b64 s[2:3], s[4:5]
	s_cbranch_execz .LBB195_231
.LBB195_320:
	s_and_b64 vcc, exec, s[0:1]
	s_cbranch_vccnz .LBB195_322
; %bb.321:
	v_lshl_add_u64 v[26:27], v[90:91], 3, v[130:131]
	flat_load_dwordx2 v[26:27], v[26:27]
	s_waitcnt vmcnt(0) lgkmcnt(0)
	v_mul_f64 v[26:27], s[70:71], v[26:27]
	s_branch .LBB195_323
.LBB195_322:
	v_mov_b64_e32 v[26:27], 0
.LBB195_323:
	v_add_f64 v[24:25], v[24:25], v[26:27]
	v_lshl_add_u64 v[26:27], v[90:91], 3, v[64:65]
	global_store_dwordx2 v[26:27], v[24:25], off
	s_or_b64 exec, exec, s[2:3]
	s_and_b64 s[4:5], s[24:25], s[46:47]
	s_and_saveexec_b64 s[2:3], s[4:5]
	s_cbranch_execz .LBB195_232
.LBB195_324:
	s_and_b64 vcc, exec, s[0:1]
	s_cbranch_vccnz .LBB195_326
; %bb.325:
	v_lshl_add_u64 v[24:25], v[88:89], 3, v[130:131]
	flat_load_dwordx2 v[24:25], v[24:25]
	s_waitcnt vmcnt(0) lgkmcnt(0)
	v_mul_f64 v[24:25], s[70:71], v[24:25]
	s_branch .LBB195_327
.LBB195_326:
	v_mov_b64_e32 v[24:25], 0
.LBB195_327:
	v_add_f64 v[22:23], v[22:23], v[24:25]
	v_lshl_add_u64 v[24:25], v[88:89], 3, v[64:65]
	global_store_dwordx2 v[24:25], v[22:23], off
	s_or_b64 exec, exec, s[2:3]
	s_and_b64 s[4:5], s[24:25], s[48:49]
	s_and_saveexec_b64 s[2:3], s[4:5]
	s_cbranch_execz .LBB195_233
.LBB195_328:
	s_and_b64 vcc, exec, s[0:1]
	s_cbranch_vccnz .LBB195_330
; %bb.329:
	v_lshl_add_u64 v[22:23], v[86:87], 3, v[130:131]
	flat_load_dwordx2 v[22:23], v[22:23]
	s_waitcnt vmcnt(0) lgkmcnt(0)
	v_mul_f64 v[22:23], s[70:71], v[22:23]
	s_branch .LBB195_331
.LBB195_330:
	v_mov_b64_e32 v[22:23], 0
.LBB195_331:
	v_add_f64 v[20:21], v[20:21], v[22:23]
	v_lshl_add_u64 v[22:23], v[86:87], 3, v[64:65]
	global_store_dwordx2 v[22:23], v[20:21], off
	s_or_b64 exec, exec, s[2:3]
	s_and_b64 s[4:5], s[24:25], s[50:51]
	s_and_saveexec_b64 s[2:3], s[4:5]
	s_cbranch_execz .LBB195_234
.LBB195_332:
	s_and_b64 vcc, exec, s[0:1]
	s_cbranch_vccnz .LBB195_334
; %bb.333:
	v_lshl_add_u64 v[20:21], v[84:85], 3, v[130:131]
	flat_load_dwordx2 v[20:21], v[20:21]
	s_waitcnt vmcnt(0) lgkmcnt(0)
	v_mul_f64 v[20:21], s[70:71], v[20:21]
	s_branch .LBB195_335
.LBB195_334:
	v_mov_b64_e32 v[20:21], 0
.LBB195_335:
	v_add_f64 v[18:19], v[18:19], v[20:21]
	v_lshl_add_u64 v[20:21], v[84:85], 3, v[64:65]
	global_store_dwordx2 v[20:21], v[18:19], off
	s_or_b64 exec, exec, s[2:3]
	s_and_b64 s[4:5], s[24:25], s[52:53]
	s_and_saveexec_b64 s[2:3], s[4:5]
	s_cbranch_execz .LBB195_235
.LBB195_336:
	s_and_b64 vcc, exec, s[0:1]
	s_cbranch_vccnz .LBB195_338
; %bb.337:
	v_lshl_add_u64 v[18:19], v[82:83], 3, v[130:131]
	flat_load_dwordx2 v[18:19], v[18:19]
	s_waitcnt vmcnt(0) lgkmcnt(0)
	v_mul_f64 v[18:19], s[70:71], v[18:19]
	s_branch .LBB195_339
.LBB195_338:
	v_mov_b64_e32 v[18:19], 0
.LBB195_339:
	v_add_f64 v[16:17], v[16:17], v[18:19]
	v_lshl_add_u64 v[18:19], v[82:83], 3, v[64:65]
	global_store_dwordx2 v[18:19], v[16:17], off
	s_or_b64 exec, exec, s[2:3]
	s_and_b64 s[4:5], s[24:25], s[54:55]
	s_and_saveexec_b64 s[2:3], s[4:5]
	s_cbranch_execz .LBB195_236
.LBB195_340:
	s_and_b64 vcc, exec, s[0:1]
	s_cbranch_vccnz .LBB195_342
; %bb.341:
	v_lshl_add_u64 v[16:17], v[80:81], 3, v[130:131]
	flat_load_dwordx2 v[16:17], v[16:17]
	s_waitcnt vmcnt(0) lgkmcnt(0)
	v_mul_f64 v[16:17], s[70:71], v[16:17]
	s_branch .LBB195_343
.LBB195_342:
	v_mov_b64_e32 v[16:17], 0
.LBB195_343:
	v_add_f64 v[14:15], v[14:15], v[16:17]
	v_lshl_add_u64 v[16:17], v[80:81], 3, v[64:65]
	global_store_dwordx2 v[16:17], v[14:15], off
	s_or_b64 exec, exec, s[2:3]
	s_and_b64 s[4:5], s[24:25], s[56:57]
	s_and_saveexec_b64 s[2:3], s[4:5]
	s_cbranch_execz .LBB195_237
.LBB195_344:
	s_and_b64 vcc, exec, s[0:1]
	s_cbranch_vccnz .LBB195_346
; %bb.345:
	v_lshl_add_u64 v[14:15], v[78:79], 3, v[130:131]
	flat_load_dwordx2 v[14:15], v[14:15]
	s_waitcnt vmcnt(0) lgkmcnt(0)
	v_mul_f64 v[14:15], s[70:71], v[14:15]
	s_branch .LBB195_347
.LBB195_346:
	v_mov_b64_e32 v[14:15], 0
.LBB195_347:
	v_add_f64 v[12:13], v[12:13], v[14:15]
	v_lshl_add_u64 v[14:15], v[78:79], 3, v[64:65]
	global_store_dwordx2 v[14:15], v[12:13], off
	s_or_b64 exec, exec, s[2:3]
	s_and_b64 s[4:5], s[24:25], s[58:59]
	s_and_saveexec_b64 s[2:3], s[4:5]
	s_cbranch_execz .LBB195_238
.LBB195_348:
	s_and_b64 vcc, exec, s[0:1]
	s_cbranch_vccnz .LBB195_350
; %bb.349:
	v_lshl_add_u64 v[12:13], v[76:77], 3, v[130:131]
	flat_load_dwordx2 v[12:13], v[12:13]
	s_waitcnt vmcnt(0) lgkmcnt(0)
	v_mul_f64 v[12:13], s[70:71], v[12:13]
	s_branch .LBB195_351
.LBB195_350:
	v_mov_b64_e32 v[12:13], 0
.LBB195_351:
	v_add_f64 v[10:11], v[10:11], v[12:13]
	v_lshl_add_u64 v[12:13], v[76:77], 3, v[64:65]
	global_store_dwordx2 v[12:13], v[10:11], off
	s_or_b64 exec, exec, s[2:3]
	s_and_b64 s[4:5], s[24:25], s[60:61]
	s_and_saveexec_b64 s[2:3], s[4:5]
	s_cbranch_execz .LBB195_239
.LBB195_352:
	s_and_b64 vcc, exec, s[0:1]
	s_cbranch_vccnz .LBB195_354
; %bb.353:
	v_lshl_add_u64 v[10:11], v[74:75], 3, v[130:131]
	flat_load_dwordx2 v[10:11], v[10:11]
	s_waitcnt vmcnt(0) lgkmcnt(0)
	v_mul_f64 v[10:11], s[70:71], v[10:11]
	s_branch .LBB195_355
.LBB195_354:
	v_mov_b64_e32 v[10:11], 0
.LBB195_355:
	v_add_f64 v[8:9], v[8:9], v[10:11]
	v_lshl_add_u64 v[10:11], v[74:75], 3, v[64:65]
	global_store_dwordx2 v[10:11], v[8:9], off
	s_or_b64 exec, exec, s[2:3]
	s_and_b64 s[4:5], s[24:25], s[62:63]
	s_and_saveexec_b64 s[2:3], s[4:5]
	s_cbranch_execz .LBB195_240
.LBB195_356:
	s_and_b64 vcc, exec, s[0:1]
	s_cbranch_vccnz .LBB195_358
; %bb.357:
	v_lshl_add_u64 v[8:9], v[72:73], 3, v[130:131]
	flat_load_dwordx2 v[8:9], v[8:9]
	s_waitcnt vmcnt(0) lgkmcnt(0)
	v_mul_f64 v[8:9], s[70:71], v[8:9]
	s_branch .LBB195_359
.LBB195_358:
	v_mov_b64_e32 v[8:9], 0
.LBB195_359:
	v_add_f64 v[6:7], v[6:7], v[8:9]
	v_lshl_add_u64 v[8:9], v[72:73], 3, v[64:65]
	global_store_dwordx2 v[8:9], v[6:7], off
	s_or_b64 exec, exec, s[2:3]
	s_and_b64 s[4:5], s[24:25], s[64:65]
	s_and_saveexec_b64 s[2:3], s[4:5]
	s_cbranch_execz .LBB195_241
.LBB195_360:
	s_and_b64 vcc, exec, s[0:1]
	s_cbranch_vccnz .LBB195_362
; %bb.361:
	v_lshl_add_u64 v[6:7], v[70:71], 3, v[130:131]
	flat_load_dwordx2 v[6:7], v[6:7]
	s_waitcnt vmcnt(0) lgkmcnt(0)
	v_mul_f64 v[6:7], s[70:71], v[6:7]
	s_branch .LBB195_363
.LBB195_362:
	v_mov_b64_e32 v[6:7], 0
.LBB195_363:
	v_add_f64 v[4:5], v[4:5], v[6:7]
	v_lshl_add_u64 v[6:7], v[70:71], 3, v[64:65]
	global_store_dwordx2 v[6:7], v[4:5], off
	s_or_b64 exec, exec, s[2:3]
	s_and_b64 s[4:5], s[24:25], s[66:67]
	s_and_saveexec_b64 s[2:3], s[4:5]
	s_cbranch_execz .LBB195_242
.LBB195_364:
	s_and_b64 vcc, exec, s[0:1]
	s_cbranch_vccnz .LBB195_366
; %bb.365:
	v_lshl_add_u64 v[4:5], v[68:69], 3, v[130:131]
	flat_load_dwordx2 v[4:5], v[4:5]
	s_waitcnt vmcnt(0) lgkmcnt(0)
	v_mul_f64 v[4:5], s[70:71], v[4:5]
	s_branch .LBB195_367
.LBB195_366:
	v_mov_b64_e32 v[4:5], 0
.LBB195_367:
	v_add_f64 v[2:3], v[2:3], v[4:5]
	v_lshl_add_u64 v[4:5], v[68:69], 3, v[64:65]
	global_store_dwordx2 v[4:5], v[2:3], off
	s_or_b64 exec, exec, s[2:3]
	s_and_b64 s[2:3], s[24:25], s[68:69]
	s_and_saveexec_b64 s[4:5], s[2:3]
	s_cbranch_execz .LBB195_243
.LBB195_368:
	s_and_b64 vcc, exec, s[0:1]
	s_cbranch_vccnz .LBB195_370
; %bb.369:
	v_lshl_add_u64 v[2:3], v[66:67], 3, v[130:131]
	flat_load_dwordx2 v[2:3], v[2:3]
	s_waitcnt vmcnt(0) lgkmcnt(0)
	v_mul_f64 v[2:3], s[70:71], v[2:3]
	v_add_f64 v[0:1], v[0:1], v[2:3]
	v_lshl_add_u64 v[2:3], v[66:67], 3, v[64:65]
	global_store_dwordx2 v[2:3], v[0:1], off
	s_endpgm
.LBB195_370:
	v_mov_b64_e32 v[2:3], 0
	v_add_f64 v[0:1], v[0:1], v[2:3]
	v_lshl_add_u64 v[2:3], v[66:67], 3, v[64:65]
	global_store_dwordx2 v[2:3], v[0:1], off
	s_endpgm
	.section	.rodata,"a",@progbits
	.p2align	6, 0x0
	.amdhsa_kernel _ZN12_GLOBAL__N_120geam_min_plus_kernelIdddLi4ELi64ELi128ELi128ELi4ELi64ELi4ELi64ELi4ELc78ELc84ELb0ELb1ELb0EPKdS1_dEEviiiT16_PT17_ilS5_ilS3_S5_ilPT18_ili26rocblas_geam_ex_operation_
		.amdhsa_group_segment_fixed_size 16384
		.amdhsa_private_segment_fixed_size 0
		.amdhsa_kernarg_size 136
		.amdhsa_user_sgpr_count 2
		.amdhsa_user_sgpr_dispatch_ptr 0
		.amdhsa_user_sgpr_queue_ptr 0
		.amdhsa_user_sgpr_kernarg_segment_ptr 1
		.amdhsa_user_sgpr_dispatch_id 0
		.amdhsa_user_sgpr_kernarg_preload_length 0
		.amdhsa_user_sgpr_kernarg_preload_offset 0
		.amdhsa_user_sgpr_private_segment_size 0
		.amdhsa_uses_dynamic_stack 0
		.amdhsa_enable_private_segment 0
		.amdhsa_system_sgpr_workgroup_id_x 1
		.amdhsa_system_sgpr_workgroup_id_y 0
		.amdhsa_system_sgpr_workgroup_id_z 1
		.amdhsa_system_sgpr_workgroup_info 0
		.amdhsa_system_vgpr_workitem_id 1
		.amdhsa_next_free_vgpr 252
		.amdhsa_next_free_sgpr 82
		.amdhsa_accum_offset 252
		.amdhsa_reserve_vcc 1
		.amdhsa_float_round_mode_32 0
		.amdhsa_float_round_mode_16_64 0
		.amdhsa_float_denorm_mode_32 3
		.amdhsa_float_denorm_mode_16_64 3
		.amdhsa_dx10_clamp 1
		.amdhsa_ieee_mode 1
		.amdhsa_fp16_overflow 0
		.amdhsa_tg_split 0
		.amdhsa_exception_fp_ieee_invalid_op 0
		.amdhsa_exception_fp_denorm_src 0
		.amdhsa_exception_fp_ieee_div_zero 0
		.amdhsa_exception_fp_ieee_overflow 0
		.amdhsa_exception_fp_ieee_underflow 0
		.amdhsa_exception_fp_ieee_inexact 0
		.amdhsa_exception_int_div_zero 0
	.end_amdhsa_kernel
	.section	.text._ZN12_GLOBAL__N_120geam_min_plus_kernelIdddLi4ELi64ELi128ELi128ELi4ELi64ELi4ELi64ELi4ELc78ELc84ELb0ELb1ELb0EPKdS1_dEEviiiT16_PT17_ilS5_ilS3_S5_ilPT18_ili26rocblas_geam_ex_operation_,"axG",@progbits,_ZN12_GLOBAL__N_120geam_min_plus_kernelIdddLi4ELi64ELi128ELi128ELi4ELi64ELi4ELi64ELi4ELc78ELc84ELb0ELb1ELb0EPKdS1_dEEviiiT16_PT17_ilS5_ilS3_S5_ilPT18_ili26rocblas_geam_ex_operation_,comdat
.Lfunc_end195:
	.size	_ZN12_GLOBAL__N_120geam_min_plus_kernelIdddLi4ELi64ELi128ELi128ELi4ELi64ELi4ELi64ELi4ELc78ELc84ELb0ELb1ELb0EPKdS1_dEEviiiT16_PT17_ilS5_ilS3_S5_ilPT18_ili26rocblas_geam_ex_operation_, .Lfunc_end195-_ZN12_GLOBAL__N_120geam_min_plus_kernelIdddLi4ELi64ELi128ELi128ELi4ELi64ELi4ELi64ELi4ELc78ELc84ELb0ELb1ELb0EPKdS1_dEEviiiT16_PT17_ilS5_ilS3_S5_ilPT18_ili26rocblas_geam_ex_operation_
                                        ; -- End function
	.section	.AMDGPU.csdata,"",@progbits
; Kernel info:
; codeLenInByte = 14712
; NumSgprs: 88
; NumVgprs: 252
; NumAgprs: 0
; TotalNumVgprs: 252
; ScratchSize: 0
; MemoryBound: 0
; FloatMode: 240
; IeeeMode: 1
; LDSByteSize: 16384 bytes/workgroup (compile time only)
; SGPRBlocks: 10
; VGPRBlocks: 31
; NumSGPRsForWavesPerEU: 88
; NumVGPRsForWavesPerEU: 252
; AccumOffset: 252
; Occupancy: 2
; WaveLimiterHint : 0
; COMPUTE_PGM_RSRC2:SCRATCH_EN: 0
; COMPUTE_PGM_RSRC2:USER_SGPR: 2
; COMPUTE_PGM_RSRC2:TRAP_HANDLER: 0
; COMPUTE_PGM_RSRC2:TGID_X_EN: 1
; COMPUTE_PGM_RSRC2:TGID_Y_EN: 0
; COMPUTE_PGM_RSRC2:TGID_Z_EN: 1
; COMPUTE_PGM_RSRC2:TIDIG_COMP_CNT: 1
; COMPUTE_PGM_RSRC3_GFX90A:ACCUM_OFFSET: 62
; COMPUTE_PGM_RSRC3_GFX90A:TG_SPLIT: 0
	.section	.text._ZN12_GLOBAL__N_120geam_min_plus_kernelIdddLi4ELi64ELi128ELi128ELi4ELi64ELi4ELi64ELi4ELc78ELc84ELb1ELb1ELb0EdKddEEviiiT16_PT17_ilS4_ilS2_S4_ilPT18_ili26rocblas_geam_ex_operation_,"axG",@progbits,_ZN12_GLOBAL__N_120geam_min_plus_kernelIdddLi4ELi64ELi128ELi128ELi4ELi64ELi4ELi64ELi4ELc78ELc84ELb1ELb1ELb0EdKddEEviiiT16_PT17_ilS4_ilS2_S4_ilPT18_ili26rocblas_geam_ex_operation_,comdat
	.globl	_ZN12_GLOBAL__N_120geam_min_plus_kernelIdddLi4ELi64ELi128ELi128ELi4ELi64ELi4ELi64ELi4ELc78ELc84ELb1ELb1ELb0EdKddEEviiiT16_PT17_ilS4_ilS2_S4_ilPT18_ili26rocblas_geam_ex_operation_ ; -- Begin function _ZN12_GLOBAL__N_120geam_min_plus_kernelIdddLi4ELi64ELi128ELi128ELi4ELi64ELi4ELi64ELi4ELc78ELc84ELb1ELb1ELb0EdKddEEviiiT16_PT17_ilS4_ilS2_S4_ilPT18_ili26rocblas_geam_ex_operation_
	.p2align	8
	.type	_ZN12_GLOBAL__N_120geam_min_plus_kernelIdddLi4ELi64ELi128ELi128ELi4ELi64ELi4ELi64ELi4ELc78ELc84ELb1ELb1ELb0EdKddEEviiiT16_PT17_ilS4_ilS2_S4_ilPT18_ili26rocblas_geam_ex_operation_,@function
_ZN12_GLOBAL__N_120geam_min_plus_kernelIdddLi4ELi64ELi128ELi128ELi4ELi64ELi4ELi64ELi4ELc78ELc84ELb1ELb1ELb0EdKddEEviiiT16_PT17_ilS4_ilS2_S4_ilPT18_ili26rocblas_geam_ex_operation_: ; @_ZN12_GLOBAL__N_120geam_min_plus_kernelIdddLi4ELi64ELi128ELi128ELi4ELi64ELi4ELi64ELi4ELc78ELc84ELb1ELb1ELb0EdKddEEviiiT16_PT17_ilS4_ilS2_S4_ilPT18_ili26rocblas_geam_ex_operation_
; %bb.0:
	s_load_dwordx4 s[8:11], s[0:1], 0x10
	s_load_dwordx4 s[4:7], s[0:1], 0x28
	s_mov_b64 s[20:21], 0
	s_waitcnt lgkmcnt(0)
	v_cmp_eq_f64_e64 s[8:9], s[8:9], 0
	s_and_b64 vcc, exec, s[8:9]
	s_cbranch_vccnz .LBB196_2
; %bb.1:
	s_mul_i32 s5, s3, s5
	s_mul_hi_u32 s12, s3, s4
	s_add_i32 s5, s12, s5
	s_mul_i32 s4, s3, s4
	s_lshl_b64 s[4:5], s[4:5], 3
	s_add_u32 s20, s10, s4
	s_addc_u32 s21, s11, s5
.LBB196_2:
	s_load_dwordx4 s[68:71], s[0:1], 0x40
	s_load_dwordx2 s[4:5], s[0:1], 0x50
	s_andn2_b64 vcc, exec, s[8:9]
	s_cbranch_vccnz .LBB196_4
; %bb.3:
	s_mov_b32 s17, 0
	s_mov_b64 s[22:23], 0
	s_cbranch_execz .LBB196_5
	s_branch .LBB196_6
.LBB196_4:
                                        ; implicit-def: $sgpr22_sgpr23
                                        ; implicit-def: $sgpr16_sgpr17
.LBB196_5:
	s_waitcnt lgkmcnt(0)
	s_mul_i32 s8, s3, s69
	s_mul_hi_u32 s9, s3, s68
	s_add_i32 s9, s9, s8
	s_mul_i32 s8, s3, s68
	s_lshl_b64 s[8:9], s[8:9], 3
	s_add_u32 s22, s6, s8
	s_mov_b32 s17, 0
	s_addc_u32 s23, s7, s9
.LBB196_6:
	s_load_dwordx4 s[12:15], s[0:1], 0x60
	s_waitcnt lgkmcnt(0)
	v_cmp_eq_f64_e64 s[6:7], s[70:71], 0
	s_mov_b64 s[76:77], 0
	v_cmp_neq_f64_e64 s[18:19], s[70:71], 0
	s_and_b64 vcc, exec, s[6:7]
	s_cbranch_vccnz .LBB196_8
; %bb.7:
	s_mul_i32 s6, s3, s13
	s_mul_hi_u32 s7, s3, s12
	s_add_i32 s6, s7, s6
	s_mul_i32 s7, s17, s12
	s_add_i32 s7, s6, s7
	s_mul_i32 s6, s3, s12
	s_lshl_b64 s[6:7], s[6:7], 3
	s_add_u32 s76, s4, s6
	s_addc_u32 s77, s5, s7
.LBB196_8:
	s_load_dwordx4 s[72:75], s[0:1], 0x0
	s_load_dword s24, s[0:1], 0x20
	v_and_b32_e32 v142, 0x3ff, v0
	v_bfe_u32 v143, v0, 10, 10
	v_lshl_add_u32 v0, v143, 2, v142
	s_waitcnt lgkmcnt(0)
	s_add_i32 s4, s72, -1
	s_ashr_i32 s5, s4, 31
	s_lshr_b32 s5, s5, 25
	s_add_i32 s4, s4, s5
	s_ashr_i32 s6, s4, 7
	s_add_i32 s7, s6, 1
	v_cvt_f32_u32_e32 v1, s7
	v_and_b32_e32 v141, 63, v0
	v_lshrrev_b32_e32 v144, 6, v0
	v_cmp_le_i32_e32 vcc, s74, v144
	v_rcp_iflag_f32_e32 v1, v1
	s_nop 0
	v_mul_f32_e32 v0, 0x4f7ffffe, v1
	v_cvt_u32_f32_e32 v2, v0
	v_mad_i64_i32 v[0:1], s[4:5], s24, v144, 0
	s_not_b32 s4, s6
	v_readfirstlane_b32 s5, v2
	s_mul_i32 s4, s4, s5
	s_mul_hi_u32 s4, s5, s4
	s_add_i32 s5, s5, s4
	s_mul_hi_u32 s4, s2, s5
	s_mul_i32 s5, s4, s7
	s_sub_i32 s5, s2, s5
	s_add_i32 s6, s4, 1
	s_sub_i32 s8, s5, s7
	s_cmp_ge_u32 s5, s7
	s_cselect_b32 s4, s6, s4
	s_cselect_b32 s5, s8, s5
	s_add_i32 s6, s4, 1
	s_cmp_ge_u32 s5, s7
	s_cselect_b32 s8, s6, s4
	s_mul_i32 s4, s8, s7
	s_sub_i32 s2, s2, s4
	s_lshl_b32 s2, s2, 7
	v_or_b32_e32 v128, s2, v141
	v_cmp_le_i32_e64 s[10:11], s72, v128
	v_lshl_add_u64 v[4:5], v[0:1], 3, s[20:21]
	s_or_b64 s[4:5], s[10:11], vcc
	v_mov_b64_e32 v[0:1], 0
	s_xor_b64 s[6:7], s[4:5], -1
	v_ashrrev_i32_e32 v129, 31, v128
	v_mov_b64_e32 v[2:3], v[0:1]
	s_and_saveexec_b64 s[4:5], s[6:7]
	s_cbranch_execz .LBB196_10
; %bb.9:
	v_lshl_add_u64 v[2:3], v[128:129], 3, v[4:5]
	flat_load_dwordx2 v[2:3], v[2:3]
.LBB196_10:
	s_or_b64 exec, exec, s[4:5]
	v_or_b32_e32 v6, 64, v128
	v_cmp_le_i32_e64 s[4:5], s72, v6
	s_or_b64 s[6:7], s[4:5], vcc
	s_ashr_i32 s25, s24, 31
	s_xor_b64 s[12:13], s[6:7], -1
	s_and_saveexec_b64 s[6:7], s[12:13]
	s_cbranch_execz .LBB196_12
; %bb.11:
	v_lshl_add_u64 v[0:1], v[128:129], 3, v[4:5]
	flat_load_dwordx2 v[0:1], v[0:1] offset:512
.LBB196_12:
	s_or_b64 exec, exec, s[6:7]
	s_load_dword s26, s[0:1], 0x38
	s_lshl_b32 s16, s8, 7
	v_or_b32_e32 v130, s16, v141
	v_cmp_le_i32_e64 s[6:7], s73, v130
	v_ashrrev_i32_e32 v131, 31, v130
	s_waitcnt lgkmcnt(0)
	v_mad_i64_i32 v[4:5], s[8:9], s26, v144, 0
	v_lshl_add_u64 v[8:9], v[4:5], 3, s[22:23]
	s_or_b64 s[8:9], s[6:7], vcc
	v_mov_b64_e32 v[4:5], 0
	s_xor_b64 s[12:13], s[8:9], -1
	v_mov_b64_e32 v[6:7], v[4:5]
	s_and_saveexec_b64 s[8:9], s[12:13]
	s_cbranch_execz .LBB196_14
; %bb.13:
	v_lshl_add_u64 v[6:7], v[130:131], 3, v[8:9]
	flat_load_dwordx2 v[6:7], v[6:7]
.LBB196_14:
	s_or_b64 exec, exec, s[8:9]
	v_or_b32_e32 v10, 64, v130
	v_cmp_le_i32_e64 s[8:9], s73, v10
	s_or_b64 s[12:13], s[8:9], vcc
	s_ashr_i32 s27, s26, 31
	s_xor_b64 s[28:29], s[12:13], -1
	s_and_saveexec_b64 s[12:13], s[28:29]
	s_cbranch_execz .LBB196_16
; %bb.15:
	v_lshl_add_u64 v[4:5], v[130:131], 3, v[8:9]
	flat_load_dwordx2 v[4:5], v[4:5] offset:512
.LBB196_16:
	s_or_b64 exec, exec, s[12:13]
	v_add_u32_e32 v10, 4, v144
	v_cmp_le_i32_e32 vcc, s74, v10
	v_mad_i64_i32 v[8:9], s[12:13], s24, v10, 0
	s_or_b64 s[12:13], s[10:11], vcc
	v_mov_b64_e32 v[132:133], 0
	v_lshl_add_u64 v[8:9], v[8:9], 3, s[20:21]
	s_xor_b64 s[28:29], s[12:13], -1
	v_mov_b64_e32 v[134:135], v[132:133]
	s_and_saveexec_b64 s[12:13], s[28:29]
	s_cbranch_execz .LBB196_18
; %bb.17:
	v_lshl_add_u64 v[12:13], v[128:129], 3, v[8:9]
	flat_load_dwordx2 v[134:135], v[12:13]
.LBB196_18:
	s_or_b64 exec, exec, s[12:13]
	s_or_b64 s[12:13], s[4:5], vcc
	s_xor_b64 s[28:29], s[12:13], -1
	s_and_saveexec_b64 s[12:13], s[28:29]
	s_cbranch_execz .LBB196_20
; %bb.19:
	v_lshl_add_u64 v[8:9], v[128:129], 3, v[8:9]
	flat_load_dwordx2 v[132:133], v[8:9] offset:512
.LBB196_20:
	s_or_b64 exec, exec, s[12:13]
	v_mad_i64_i32 v[8:9], s[12:13], s26, v10, 0
	s_or_b64 s[12:13], s[6:7], vcc
	v_mov_b64_e32 v[136:137], 0
	v_lshl_add_u64 v[8:9], v[8:9], 3, s[22:23]
	s_xor_b64 s[28:29], s[12:13], -1
	v_mov_b64_e32 v[138:139], v[136:137]
	s_and_saveexec_b64 s[12:13], s[28:29]
	s_cbranch_execz .LBB196_22
; %bb.21:
	v_lshl_add_u64 v[10:11], v[130:131], 3, v[8:9]
	flat_load_dwordx2 v[138:139], v[10:11]
.LBB196_22:
	s_or_b64 exec, exec, s[12:13]
	s_or_b64 s[12:13], s[8:9], vcc
	s_xor_b64 s[28:29], s[12:13], -1
	s_and_saveexec_b64 s[12:13], s[28:29]
	s_cbranch_execz .LBB196_24
; %bb.23:
	v_lshl_add_u64 v[8:9], v[130:131], 3, v[8:9]
	flat_load_dwordx2 v[136:137], v[8:9] offset:512
.LBB196_24:
	s_or_b64 exec, exec, s[12:13]
	v_lshlrev_b32_e32 v8, 3, v144
	v_lshl_add_u32 v145, v141, 5, v8
	v_lshlrev_b32_e32 v140, 5, v143
	v_mov_b64_e32 v[126:127], 0
	s_waitcnt vmcnt(0)
	ds_write2st64_b64 v145, v[2:3], v[0:1] offset1:4
	v_or_b32_e32 v146, 0x2000, v145
	s_waitcnt lgkmcnt(0)
	ds_write2st64_b64 v145, v[6:7], v[4:5] offset0:16 offset1:20
	v_lshlrev_b32_e32 v147, 5, v142
	v_add_u32_e32 v148, 0x2000, v140
	s_mov_b32 s12, 0
	v_mov_b64_e32 v[124:125], v[126:127]
	v_mov_b64_e32 v[122:123], v[126:127]
	;; [unrolled: 1-line block ×63, first 2 shown]
	s_waitcnt lgkmcnt(0)
	s_barrier
.LBB196_25:                             ; =>This Inner Loop Header: Depth=1
	v_add_u32_e32 v149, s12, v147
	v_add_u32_e32 v182, s12, v148
	ds_read2_b64 v[150:153], v149 offset1:16
	ds_read2_b64 v[154:157], v149 offset0:32 offset1:48
	ds_read2_b64 v[158:161], v149 offset0:64 offset1:80
	;; [unrolled: 1-line block ×7, first 2 shown]
	ds_read2st64_b64 v[182:185], v182 offset1:4
	v_add_u32_e32 v149, 0x800, v149
	ds_read2_b64 v[186:189], v149 offset1:16
	ds_read2_b64 v[190:193], v149 offset0:32 offset1:48
	ds_read2_b64 v[194:197], v149 offset0:64 offset1:80
	;; [unrolled: 1-line block ×7, first 2 shown]
	s_waitcnt lgkmcnt(14)
	v_max_f64 v[150:151], v[150:151], v[150:151]
	v_max_f64 v[152:153], v[152:153], v[152:153]
	;; [unrolled: 1-line block ×6, first 2 shown]
	s_waitcnt lgkmcnt(13)
	v_max_f64 v[162:163], v[162:163], v[162:163]
	v_max_f64 v[164:165], v[164:165], v[164:165]
	s_waitcnt lgkmcnt(12)
	v_max_f64 v[166:167], v[166:167], v[166:167]
	v_max_f64 v[168:169], v[168:169], v[168:169]
	;; [unrolled: 3-line block ×14, first 2 shown]
	v_min_f64 v[218:219], v[150:151], v[182:183]
	v_min_f64 v[220:221], v[152:153], v[182:183]
	;; [unrolled: 1-line block ×32, first 2 shown]
	s_add_i32 s12, s12, 8
	v_add_f64 v[62:63], v[150:151], v[62:63]
	v_add_f64 v[60:61], v[152:153], v[60:61]
	;; [unrolled: 1-line block ×16, first 2 shown]
	v_min_f64 v[150:151], v[186:187], v[182:183]
	v_min_f64 v[152:153], v[188:189], v[182:183]
	;; [unrolled: 1-line block ×32, first 2 shown]
	s_cmp_eq_u32 s12, 32
	v_add_f64 v[126:127], v[218:219], v[126:127]
	v_add_f64 v[124:125], v[220:221], v[124:125]
	;; [unrolled: 1-line block ×48, first 2 shown]
	s_cbranch_scc0 .LBB196_25
; %bb.26:
	v_lshlrev_b32_e32 v141, 5, v141
	v_lshl_add_u32 v141, v144, 3, v141
	s_cmp_gt_i32 s74, 8
	ds_write2st64_b64 v141, v[134:135], v[132:133] offset0:8 offset1:12
	ds_write2st64_b64 v141, v[138:139], v[136:137] offset0:24 offset1:28
	s_waitcnt lgkmcnt(0)
	s_barrier
	s_cbranch_scc1 .LBB196_28
; %bb.27:
	v_add_u32_e32 v149, 0x1000, v147
	v_add_u32_e32 v150, 0x3000, v140
	s_cbranch_execz .LBB196_29
	s_branch .LBB196_51
.LBB196_28:
                                        ; implicit-def: $vgpr149
                                        ; implicit-def: $vgpr150
.LBB196_29:
	v_or_b32_e32 v151, 0x1000, v141
	v_or_b32_e32 v152, 0x3000, v141
	s_add_i32 s28, s74, -8
	v_add_u32_e32 v149, 0x1000, v147
	v_add_u32_e32 v150, 0x3000, v140
	s_mov_b32 s29, 8
	s_mov_b32 s30, 0
.LBB196_30:                             ; =>This Loop Header: Depth=1
                                        ;     Child Loop BB196_39 Depth 2
                                        ;     Child Loop BB196_49 Depth 2
	v_add_u32_e32 v138, s29, v144
	v_mad_u64_u32 v[132:133], s[12:13], v138, s24, 0
	v_mov_b32_e32 v134, v133
	v_mad_u64_u32 v[134:135], s[12:13], v138, s25, v[134:135]
	v_cmp_le_i32_e32 vcc, s74, v138
	v_mov_b32_e32 v133, v134
	v_lshl_add_u64 v[134:135], v[132:133], 3, s[20:21]
	s_or_b64 s[12:13], s[10:11], vcc
	v_mov_b64_e32 v[132:133], 0
	s_xor_b64 s[34:35], s[12:13], -1
	v_lshl_add_u64 v[136:137], v[128:129], 3, v[134:135]
	v_mov_b64_e32 v[134:135], v[132:133]
	s_and_saveexec_b64 s[12:13], s[34:35]
	s_cbranch_execz .LBB196_32
; %bb.31:                               ;   in Loop: Header=BB196_30 Depth=1
	flat_load_dwordx2 v[134:135], v[136:137]
.LBB196_32:                             ;   in Loop: Header=BB196_30 Depth=1
	s_or_b64 exec, exec, s[12:13]
	s_or_b64 s[12:13], s[4:5], vcc
	s_xor_b64 s[34:35], s[12:13], -1
	s_and_saveexec_b64 s[12:13], s[34:35]
	s_cbranch_execz .LBB196_34
; %bb.33:                               ;   in Loop: Header=BB196_30 Depth=1
	flat_load_dwordx2 v[132:133], v[136:137] offset:512
.LBB196_34:                             ;   in Loop: Header=BB196_30 Depth=1
	s_or_b64 exec, exec, s[12:13]
	v_mad_u64_u32 v[136:137], s[12:13], v138, s26, 0
	v_mov_b32_e32 v140, v137
	v_mad_u64_u32 v[138:139], s[12:13], v138, s27, v[140:141]
	v_mov_b32_e32 v137, v138
	v_lshl_add_u64 v[138:139], v[136:137], 3, s[22:23]
	s_or_b64 s[12:13], s[6:7], vcc
	v_mov_b64_e32 v[136:137], 0
	s_xor_b64 s[34:35], s[12:13], -1
	v_lshl_add_u64 v[140:141], v[130:131], 3, v[138:139]
	v_mov_b64_e32 v[138:139], v[136:137]
	s_and_saveexec_b64 s[12:13], s[34:35]
	s_cbranch_execz .LBB196_36
; %bb.35:                               ;   in Loop: Header=BB196_30 Depth=1
	flat_load_dwordx2 v[138:139], v[140:141]
.LBB196_36:                             ;   in Loop: Header=BB196_30 Depth=1
	s_or_b64 exec, exec, s[12:13]
	s_or_b64 s[12:13], s[8:9], vcc
	s_xor_b64 s[34:35], s[12:13], -1
	s_and_saveexec_b64 s[12:13], s[34:35]
	s_cbranch_execz .LBB196_38
; %bb.37:                               ;   in Loop: Header=BB196_30 Depth=1
	flat_load_dwordx2 v[136:137], v[140:141] offset:512
.LBB196_38:                             ;   in Loop: Header=BB196_30 Depth=1
	s_or_b64 exec, exec, s[12:13]
	s_mov_b32 s12, 0
.LBB196_39:                             ;   Parent Loop BB196_30 Depth=1
                                        ; =>  This Inner Loop Header: Depth=2
	v_add_u32_e32 v140, s12, v149
	v_add_u32_e32 v141, s12, v150
	ds_read2_b64 v[154:157], v140 offset1:16
	ds_read2_b64 v[158:161], v140 offset0:32 offset1:48
	ds_read2_b64 v[162:165], v140 offset0:64 offset1:80
	;; [unrolled: 1-line block ×7, first 2 shown]
	v_add_u32_e32 v140, 0x800, v140
	ds_read2st64_b64 v[186:189], v141 offset1:4
	ds_read2_b64 v[190:193], v140 offset1:16
	ds_read2_b64 v[194:197], v140 offset0:32 offset1:48
	ds_read2_b64 v[198:201], v140 offset0:64 offset1:80
	;; [unrolled: 1-line block ×7, first 2 shown]
	s_waitcnt lgkmcnt(0)
	v_max_f64 v[154:155], v[154:155], v[154:155]
	v_max_f64 v[156:157], v[156:157], v[156:157]
	v_max_f64 v[158:159], v[158:159], v[158:159]
	v_max_f64 v[140:141], v[186:187], v[186:187]
	v_max_f64 v[160:161], v[160:161], v[160:161]
	v_max_f64 v[162:163], v[162:163], v[162:163]
	v_max_f64 v[164:165], v[164:165], v[164:165]
	v_max_f64 v[166:167], v[166:167], v[166:167]
	v_max_f64 v[168:169], v[168:169], v[168:169]
	v_max_f64 v[170:171], v[170:171], v[170:171]
	v_max_f64 v[172:173], v[172:173], v[172:173]
	v_max_f64 v[174:175], v[174:175], v[174:175]
	v_max_f64 v[176:177], v[176:177], v[176:177]
	v_max_f64 v[178:179], v[178:179], v[178:179]
	v_max_f64 v[180:181], v[180:181], v[180:181]
	v_max_f64 v[182:183], v[182:183], v[182:183]
	v_max_f64 v[184:185], v[184:185], v[184:185]
	v_max_f64 v[186:187], v[188:189], v[188:189]
	v_min_f64 v[188:189], v[154:155], v[140:141]
	v_min_f64 v[222:223], v[156:157], v[140:141]
	;; [unrolled: 1-line block ×16, first 2 shown]
	v_max_f64 v[190:191], v[190:191], v[190:191]
	v_max_f64 v[192:193], v[192:193], v[192:193]
	;; [unrolled: 1-line block ×16, first 2 shown]
	v_min_f64 v[154:155], v[154:155], v[186:187]
	v_min_f64 v[156:157], v[156:157], v[186:187]
	;; [unrolled: 1-line block ×16, first 2 shown]
	s_add_i32 s12, s12, 8
	v_add_f64 v[126:127], v[188:189], v[126:127]
	v_add_f64 v[124:125], v[222:223], v[124:125]
	;; [unrolled: 1-line block ×15, first 2 shown]
	v_min_f64 v[188:189], v[190:191], v[140:141]
	v_min_f64 v[222:223], v[192:193], v[140:141]
	;; [unrolled: 1-line block ×16, first 2 shown]
	v_add_f64 v[62:63], v[154:155], v[62:63]
	v_add_f64 v[60:61], v[156:157], v[60:61]
	;; [unrolled: 1-line block ×16, first 2 shown]
	v_min_f64 v[154:155], v[190:191], v[186:187]
	v_min_f64 v[156:157], v[192:193], v[186:187]
	;; [unrolled: 1-line block ×16, first 2 shown]
	s_cmp_eq_u32 s12, 32
	v_add_f64 v[96:97], v[250:251], v[96:97]
	v_add_f64 v[94:95], v[188:189], v[94:95]
	;; [unrolled: 1-line block ×33, first 2 shown]
	s_cbranch_scc0 .LBB196_39
; %bb.40:                               ;   in Loop: Header=BB196_30 Depth=1
	s_waitcnt vmcnt(0)
	ds_write2st64_b64 v145, v[134:135], v[132:133] offset1:4
	ds_write2st64_b64 v146, v[138:139], v[136:137] offset1:4
	v_add3_u32 v138, v144, s29, 4
	v_mad_u64_u32 v[132:133], s[12:13], v138, s24, 0
	v_mov_b32_e32 v134, v133
	v_mad_u64_u32 v[134:135], s[12:13], v138, s25, v[134:135]
	v_cmp_le_i32_e32 vcc, s74, v138
	v_mov_b32_e32 v133, v134
	v_lshl_add_u64 v[134:135], v[132:133], 3, s[20:21]
	s_or_b64 s[12:13], s[10:11], vcc
	v_mov_b64_e32 v[132:133], 0
	s_xor_b64 s[34:35], s[12:13], -1
	v_lshl_add_u64 v[136:137], v[128:129], 3, v[134:135]
	v_mov_b64_e32 v[134:135], v[132:133]
	s_waitcnt lgkmcnt(0)
	s_barrier
	s_and_saveexec_b64 s[12:13], s[34:35]
	s_cbranch_execz .LBB196_42
; %bb.41:                               ;   in Loop: Header=BB196_30 Depth=1
	flat_load_dwordx2 v[134:135], v[136:137]
.LBB196_42:                             ;   in Loop: Header=BB196_30 Depth=1
	s_or_b64 exec, exec, s[12:13]
	s_or_b64 s[12:13], s[4:5], vcc
	s_xor_b64 s[34:35], s[12:13], -1
	s_and_saveexec_b64 s[12:13], s[34:35]
	s_cbranch_execz .LBB196_44
; %bb.43:                               ;   in Loop: Header=BB196_30 Depth=1
	flat_load_dwordx2 v[132:133], v[136:137] offset:512
.LBB196_44:                             ;   in Loop: Header=BB196_30 Depth=1
	s_or_b64 exec, exec, s[12:13]
	v_mad_u64_u32 v[136:137], s[12:13], v138, s26, 0
	v_mov_b32_e32 v140, v137
	v_mad_u64_u32 v[138:139], s[12:13], v138, s27, v[140:141]
	v_mov_b32_e32 v137, v138
	v_lshl_add_u64 v[138:139], v[136:137], 3, s[22:23]
	s_or_b64 s[12:13], s[6:7], vcc
	v_mov_b64_e32 v[136:137], 0
	s_xor_b64 s[34:35], s[12:13], -1
	v_lshl_add_u64 v[140:141], v[130:131], 3, v[138:139]
	v_mov_b64_e32 v[138:139], v[136:137]
	s_and_saveexec_b64 s[12:13], s[34:35]
	s_cbranch_execz .LBB196_46
; %bb.45:                               ;   in Loop: Header=BB196_30 Depth=1
	flat_load_dwordx2 v[138:139], v[140:141]
.LBB196_46:                             ;   in Loop: Header=BB196_30 Depth=1
	s_or_b64 exec, exec, s[12:13]
	s_or_b64 s[12:13], s[8:9], vcc
	s_xor_b64 s[34:35], s[12:13], -1
	s_and_saveexec_b64 s[12:13], s[34:35]
	s_cbranch_execz .LBB196_48
; %bb.47:                               ;   in Loop: Header=BB196_30 Depth=1
	flat_load_dwordx2 v[136:137], v[140:141] offset:512
.LBB196_48:                             ;   in Loop: Header=BB196_30 Depth=1
	s_or_b64 exec, exec, s[12:13]
	s_mov_b32 s12, 0
.LBB196_49:                             ;   Parent Loop BB196_30 Depth=1
                                        ; =>  This Inner Loop Header: Depth=2
	v_add_u32_e32 v140, s12, v147
	v_add_u32_e32 v141, s12, v148
	ds_read2_b64 v[154:157], v140 offset1:16
	ds_read2_b64 v[158:161], v140 offset0:32 offset1:48
	ds_read2_b64 v[162:165], v140 offset0:64 offset1:80
	;; [unrolled: 1-line block ×7, first 2 shown]
	v_add_u32_e32 v140, 0x800, v140
	ds_read2st64_b64 v[186:189], v141 offset1:4
	ds_read2_b64 v[190:193], v140 offset1:16
	ds_read2_b64 v[194:197], v140 offset0:32 offset1:48
	ds_read2_b64 v[198:201], v140 offset0:64 offset1:80
	;; [unrolled: 1-line block ×7, first 2 shown]
	s_waitcnt lgkmcnt(0)
	v_max_f64 v[154:155], v[154:155], v[154:155]
	v_max_f64 v[156:157], v[156:157], v[156:157]
	;; [unrolled: 1-line block ×18, first 2 shown]
	v_min_f64 v[188:189], v[154:155], v[140:141]
	v_min_f64 v[222:223], v[156:157], v[140:141]
	;; [unrolled: 1-line block ×16, first 2 shown]
	v_max_f64 v[190:191], v[190:191], v[190:191]
	v_max_f64 v[192:193], v[192:193], v[192:193]
	;; [unrolled: 1-line block ×16, first 2 shown]
	v_min_f64 v[154:155], v[154:155], v[186:187]
	v_min_f64 v[156:157], v[156:157], v[186:187]
	;; [unrolled: 1-line block ×16, first 2 shown]
	s_add_i32 s12, s12, 8
	v_add_f64 v[126:127], v[188:189], v[126:127]
	v_add_f64 v[124:125], v[222:223], v[124:125]
	;; [unrolled: 1-line block ×15, first 2 shown]
	v_min_f64 v[188:189], v[190:191], v[140:141]
	v_min_f64 v[222:223], v[192:193], v[140:141]
	;; [unrolled: 1-line block ×16, first 2 shown]
	v_add_f64 v[62:63], v[154:155], v[62:63]
	v_add_f64 v[60:61], v[156:157], v[60:61]
	;; [unrolled: 1-line block ×16, first 2 shown]
	v_min_f64 v[154:155], v[190:191], v[186:187]
	v_min_f64 v[156:157], v[192:193], v[186:187]
	;; [unrolled: 1-line block ×16, first 2 shown]
	s_cmp_eq_u32 s12, 32
	v_add_f64 v[96:97], v[250:251], v[96:97]
	v_add_f64 v[94:95], v[188:189], v[94:95]
	v_add_f64 v[92:93], v[222:223], v[92:93]
	v_add_f64 v[90:91], v[224:225], v[90:91]
	v_add_f64 v[88:89], v[226:227], v[88:89]
	v_add_f64 v[86:87], v[228:229], v[86:87]
	v_add_f64 v[84:85], v[230:231], v[84:85]
	v_add_f64 v[82:83], v[232:233], v[82:83]
	v_add_f64 v[80:81], v[234:235], v[80:81]
	v_add_f64 v[78:79], v[236:237], v[78:79]
	v_add_f64 v[76:77], v[238:239], v[76:77]
	v_add_f64 v[74:75], v[240:241], v[74:75]
	v_add_f64 v[72:73], v[242:243], v[72:73]
	v_add_f64 v[70:71], v[244:245], v[70:71]
	v_add_f64 v[68:69], v[246:247], v[68:69]
	v_add_f64 v[66:67], v[248:249], v[66:67]
	v_add_f64 v[64:65], v[140:141], v[64:65]
	v_add_f64 v[30:31], v[154:155], v[30:31]
	v_add_f64 v[28:29], v[156:157], v[28:29]
	v_add_f64 v[26:27], v[158:159], v[26:27]
	v_add_f64 v[24:25], v[160:161], v[24:25]
	v_add_f64 v[22:23], v[162:163], v[22:23]
	v_add_f64 v[20:21], v[164:165], v[20:21]
	v_add_f64 v[18:19], v[166:167], v[18:19]
	v_add_f64 v[16:17], v[168:169], v[16:17]
	v_add_f64 v[14:15], v[170:171], v[14:15]
	v_add_f64 v[12:13], v[172:173], v[12:13]
	v_add_f64 v[10:11], v[174:175], v[10:11]
	v_add_f64 v[8:9], v[176:177], v[8:9]
	v_add_f64 v[6:7], v[178:179], v[6:7]
	v_add_f64 v[4:5], v[180:181], v[4:5]
	v_add_f64 v[2:3], v[182:183], v[2:3]
	v_add_f64 v[0:1], v[184:185], v[0:1]
	s_cbranch_scc0 .LBB196_49
; %bb.50:                               ;   in Loop: Header=BB196_30 Depth=1
	s_add_i32 s29, s29, 8
	s_add_i32 s30, s30, 8
	s_cmp_ge_i32 s30, s28
	s_waitcnt vmcnt(0)
	ds_write2st64_b64 v151, v[134:135], v[132:133] offset1:4
	ds_write2st64_b64 v152, v[138:139], v[136:137] offset1:4
	s_waitcnt lgkmcnt(0)
	s_barrier
	s_cbranch_scc0 .LBB196_30
.LBB196_51:
	s_mov_b32 s4, 0
.LBB196_52:                             ; =>This Inner Loop Header: Depth=1
	v_add_u32_e32 v140, s4, v149
	v_add_u32_e32 v141, s4, v150
	ds_read2_b64 v[128:131], v140 offset1:16
	ds_read2_b64 v[132:135], v140 offset0:32 offset1:48
	ds_read2_b64 v[136:139], v140 offset0:64 offset1:80
	;; [unrolled: 1-line block ×7, first 2 shown]
	v_add_u32_e32 v140, 0x800, v140
	ds_read2st64_b64 v[168:171], v141 offset1:4
	ds_read2_b64 v[172:175], v140 offset1:16
	ds_read2_b64 v[176:179], v140 offset0:32 offset1:48
	ds_read2_b64 v[180:183], v140 offset0:64 offset1:80
	;; [unrolled: 1-line block ×7, first 2 shown]
	s_waitcnt lgkmcnt(14)
	v_max_f64 v[128:129], v[128:129], v[128:129]
	v_max_f64 v[130:131], v[130:131], v[130:131]
	;; [unrolled: 1-line block ×3, first 2 shown]
	s_waitcnt lgkmcnt(8)
	v_max_f64 v[140:141], v[168:169], v[168:169]
	v_max_f64 v[134:135], v[134:135], v[134:135]
	;; [unrolled: 1-line block ×15, first 2 shown]
	v_min_f64 v[170:171], v[128:129], v[140:141]
	v_min_f64 v[204:205], v[130:131], v[140:141]
	;; [unrolled: 1-line block ×16, first 2 shown]
	s_waitcnt lgkmcnt(7)
	v_max_f64 v[172:173], v[172:173], v[172:173]
	v_max_f64 v[174:175], v[174:175], v[174:175]
	s_waitcnt lgkmcnt(6)
	v_max_f64 v[176:177], v[176:177], v[176:177]
	v_max_f64 v[178:179], v[178:179], v[178:179]
	;; [unrolled: 3-line block ×8, first 2 shown]
	v_min_f64 v[128:129], v[128:129], v[168:169]
	v_min_f64 v[130:131], v[130:131], v[168:169]
	v_min_f64 v[132:133], v[132:133], v[168:169]
	v_min_f64 v[134:135], v[134:135], v[168:169]
	v_min_f64 v[136:137], v[136:137], v[168:169]
	v_min_f64 v[138:139], v[138:139], v[168:169]
	v_min_f64 v[144:145], v[144:145], v[168:169]
	v_min_f64 v[146:147], v[146:147], v[168:169]
	v_min_f64 v[152:153], v[152:153], v[168:169]
	v_min_f64 v[154:155], v[154:155], v[168:169]
	v_min_f64 v[156:157], v[156:157], v[168:169]
	v_min_f64 v[158:159], v[158:159], v[168:169]
	v_min_f64 v[160:161], v[160:161], v[168:169]
	v_min_f64 v[162:163], v[162:163], v[168:169]
	v_min_f64 v[164:165], v[164:165], v[168:169]
	v_min_f64 v[166:167], v[166:167], v[168:169]
	s_add_i32 s4, s4, 8
	v_add_f64 v[126:127], v[170:171], v[126:127]
	v_add_f64 v[124:125], v[204:205], v[124:125]
	;; [unrolled: 1-line block ×15, first 2 shown]
	v_min_f64 v[170:171], v[172:173], v[140:141]
	v_min_f64 v[204:205], v[174:175], v[140:141]
	;; [unrolled: 1-line block ×16, first 2 shown]
	v_add_f64 v[62:63], v[128:129], v[62:63]
	v_add_f64 v[60:61], v[130:131], v[60:61]
	;; [unrolled: 1-line block ×16, first 2 shown]
	v_min_f64 v[128:129], v[172:173], v[168:169]
	v_min_f64 v[130:131], v[174:175], v[168:169]
	;; [unrolled: 1-line block ×16, first 2 shown]
	s_cmp_eq_u32 s4, 32
	v_add_f64 v[96:97], v[232:233], v[96:97]
	v_add_f64 v[94:95], v[170:171], v[94:95]
	;; [unrolled: 1-line block ×33, first 2 shown]
	s_cbranch_scc0 .LBB196_52
; %bb.53:
	s_load_dwordx2 s[4:5], s[0:1], 0x78
	s_load_dword s78, s[0:1], 0x58
	s_load_dword s33, s[0:1], 0x70
	v_add_u32_e32 v136, s16, v143
	v_add_u32_e32 v128, s2, v142
	s_waitcnt lgkmcnt(0)
	s_mul_i32 s0, s3, s5
	s_mul_hi_u32 s1, s3, s4
	s_mul_i32 s5, s17, s4
	s_add_i32 s0, s1, s0
	s_add_i32 s1, s0, s5
	s_mul_i32 s0, s3, s4
	s_lshl_b64 s[0:1], s[0:1], 3
	s_add_u32 s74, s14, s0
	s_addc_u32 s75, s15, s1
	v_mad_i64_i32 v[130:131], s[0:1], v136, s78, 0
	v_cmp_gt_i32_e64 s[24:25], s73, v136
	v_lshl_add_u64 v[132:133], v[130:131], 3, s[76:77]
	v_mad_i64_i32 v[130:131], s[0:1], v136, s33, 0
	v_cmp_gt_i32_e64 s[2:3], s72, v128
	v_cndmask_b32_e64 v134, 0, 1, s[18:19]
	v_lshl_add_u64 v[130:131], v[130:131], 3, s[74:75]
	s_and_b64 s[6:7], s[24:25], s[2:3]
	v_ashrrev_i32_e32 v129, 31, v128
	v_cmp_ne_u32_e64 s[0:1], 1, v134
	s_and_saveexec_b64 s[4:5], s[6:7]
	s_cbranch_execz .LBB196_58
; %bb.54:
	s_and_b64 vcc, exec, s[0:1]
	s_cbranch_vccnz .LBB196_56
; %bb.55:
	v_lshl_add_u64 v[134:135], v[128:129], 3, v[132:133]
	flat_load_dwordx2 v[134:135], v[134:135]
	s_waitcnt vmcnt(0) lgkmcnt(0)
	v_mul_f64 v[134:135], v[134:135], s[70:71]
	s_branch .LBB196_57
.LBB196_56:
	v_mov_b64_e32 v[134:135], 0
.LBB196_57:
	v_add_f64 v[126:127], v[126:127], v[134:135]
	v_lshl_add_u64 v[134:135], v[128:129], 3, v[130:131]
	global_store_dwordx2 v[134:135], v[126:127], off
.LBB196_58:
	s_or_b64 exec, exec, s[4:5]
	v_add_u32_e32 v126, 4, v128
	v_cmp_gt_i32_e64 s[4:5], s72, v126
	s_and_b64 s[8:9], s[24:25], s[4:5]
	v_ashrrev_i32_e32 v127, 31, v126
	s_and_saveexec_b64 s[6:7], s[8:9]
	s_cbranch_execz .LBB196_63
; %bb.59:
	s_and_b64 vcc, exec, s[0:1]
	s_cbranch_vccnz .LBB196_61
; %bb.60:
	v_lshl_add_u64 v[134:135], v[126:127], 3, v[132:133]
	flat_load_dwordx2 v[134:135], v[134:135]
	s_waitcnt vmcnt(0) lgkmcnt(0)
	v_mul_f64 v[134:135], v[134:135], s[70:71]
	s_branch .LBB196_62
.LBB196_61:
	v_mov_b64_e32 v[134:135], 0
.LBB196_62:
	v_add_f64 v[124:125], v[124:125], v[134:135]
	v_lshl_add_u64 v[134:135], v[126:127], 3, v[130:131]
	global_store_dwordx2 v[134:135], v[124:125], off
.LBB196_63:
	s_or_b64 exec, exec, s[6:7]
	v_add_u32_e32 v124, 8, v128
	v_cmp_gt_i32_e64 s[6:7], s72, v124
	s_and_b64 s[10:11], s[24:25], s[6:7]
	v_ashrrev_i32_e32 v125, 31, v124
	;; [unrolled: 23-line block ×31, first 2 shown]
	s_and_saveexec_b64 s[24:25], s[80:81]
	s_cbranch_execz .LBB196_213
; %bb.209:
	s_and_b64 vcc, exec, s[0:1]
	s_cbranch_vccnz .LBB196_211
; %bb.210:
	v_lshl_add_u64 v[132:133], v[66:67], 3, v[132:133]
	flat_load_dwordx2 v[132:133], v[132:133]
	s_waitcnt vmcnt(0) lgkmcnt(0)
	v_mul_f64 v[132:133], v[132:133], s[70:71]
	s_branch .LBB196_212
.LBB196_211:
	v_mov_b64_e32 v[132:133], 0
.LBB196_212:
	v_add_f64 v[64:65], v[64:65], v[132:133]
	v_lshl_add_u64 v[130:131], v[66:67], 3, v[130:131]
	global_store_dwordx2 v[130:131], v[64:65], off
.LBB196_213:
	s_or_b64 exec, exec, s[24:25]
	v_add_u32_e32 v132, 64, v136
	v_cmp_gt_i32_e64 s[24:25], s73, v132
	v_mad_i64_i32 v[64:65], s[72:73], v132, s78, 0
	v_lshl_add_u64 v[130:131], v[64:65], 3, s[76:77]
	v_mad_i64_i32 v[64:65], s[72:73], v132, s33, 0
	v_lshl_add_u64 v[64:65], v[64:65], 3, s[74:75]
	s_and_b64 s[2:3], s[24:25], s[2:3]
	s_and_saveexec_b64 s[72:73], s[2:3]
	s_xor_b64 s[2:3], exec, s[72:73]
	s_cbranch_execnz .LBB196_246
; %bb.214:
	s_or_b64 exec, exec, s[2:3]
	s_and_b64 s[4:5], s[24:25], s[4:5]
	s_and_saveexec_b64 s[2:3], s[4:5]
	s_cbranch_execnz .LBB196_250
.LBB196_215:
	s_or_b64 exec, exec, s[2:3]
	s_and_b64 s[4:5], s[24:25], s[6:7]
	s_and_saveexec_b64 s[2:3], s[4:5]
	s_cbranch_execnz .LBB196_254
.LBB196_216:
	s_or_b64 exec, exec, s[2:3]
	s_and_b64 s[4:5], s[24:25], s[8:9]
	s_and_saveexec_b64 s[2:3], s[4:5]
	s_cbranch_execnz .LBB196_258
.LBB196_217:
	s_or_b64 exec, exec, s[2:3]
	s_and_b64 s[4:5], s[24:25], s[10:11]
	s_and_saveexec_b64 s[2:3], s[4:5]
	s_cbranch_execnz .LBB196_262
.LBB196_218:
	s_or_b64 exec, exec, s[2:3]
	s_and_b64 s[4:5], s[24:25], s[12:13]
	s_and_saveexec_b64 s[2:3], s[4:5]
	s_cbranch_execnz .LBB196_266
.LBB196_219:
	s_or_b64 exec, exec, s[2:3]
	s_and_b64 s[4:5], s[24:25], s[14:15]
	s_and_saveexec_b64 s[2:3], s[4:5]
	s_cbranch_execnz .LBB196_270
.LBB196_220:
	s_or_b64 exec, exec, s[2:3]
	s_and_b64 s[4:5], s[24:25], s[16:17]
	s_and_saveexec_b64 s[2:3], s[4:5]
	s_cbranch_execnz .LBB196_274
.LBB196_221:
	s_or_b64 exec, exec, s[2:3]
	s_and_b64 s[4:5], s[24:25], s[18:19]
	s_and_saveexec_b64 s[2:3], s[4:5]
	s_cbranch_execnz .LBB196_278
.LBB196_222:
	s_or_b64 exec, exec, s[2:3]
	s_and_b64 s[4:5], s[24:25], s[20:21]
	s_and_saveexec_b64 s[2:3], s[4:5]
	s_cbranch_execnz .LBB196_282
.LBB196_223:
	s_or_b64 exec, exec, s[2:3]
	s_and_b64 s[4:5], s[24:25], s[22:23]
	s_and_saveexec_b64 s[2:3], s[4:5]
	s_cbranch_execnz .LBB196_286
.LBB196_224:
	s_or_b64 exec, exec, s[2:3]
	s_and_b64 s[4:5], s[24:25], s[26:27]
	s_and_saveexec_b64 s[2:3], s[4:5]
	s_cbranch_execnz .LBB196_290
.LBB196_225:
	s_or_b64 exec, exec, s[2:3]
	s_and_b64 s[4:5], s[24:25], s[28:29]
	s_and_saveexec_b64 s[2:3], s[4:5]
	s_cbranch_execnz .LBB196_294
.LBB196_226:
	s_or_b64 exec, exec, s[2:3]
	s_and_b64 s[4:5], s[24:25], s[30:31]
	s_and_saveexec_b64 s[2:3], s[4:5]
	s_cbranch_execnz .LBB196_298
.LBB196_227:
	s_or_b64 exec, exec, s[2:3]
	s_and_b64 s[4:5], s[24:25], s[34:35]
	s_and_saveexec_b64 s[2:3], s[4:5]
	s_cbranch_execnz .LBB196_302
.LBB196_228:
	s_or_b64 exec, exec, s[2:3]
	s_and_b64 s[4:5], s[24:25], s[36:37]
	s_and_saveexec_b64 s[2:3], s[4:5]
	s_cbranch_execnz .LBB196_306
.LBB196_229:
	s_or_b64 exec, exec, s[2:3]
	s_and_b64 s[4:5], s[24:25], s[38:39]
	s_and_saveexec_b64 s[2:3], s[4:5]
	s_cbranch_execnz .LBB196_310
.LBB196_230:
	s_or_b64 exec, exec, s[2:3]
	s_and_b64 s[4:5], s[24:25], s[40:41]
	s_and_saveexec_b64 s[2:3], s[4:5]
	s_cbranch_execnz .LBB196_314
.LBB196_231:
	s_or_b64 exec, exec, s[2:3]
	s_and_b64 s[4:5], s[24:25], s[42:43]
	s_and_saveexec_b64 s[2:3], s[4:5]
	s_cbranch_execnz .LBB196_318
.LBB196_232:
	s_or_b64 exec, exec, s[2:3]
	s_and_b64 s[4:5], s[24:25], s[44:45]
	s_and_saveexec_b64 s[2:3], s[4:5]
	s_cbranch_execnz .LBB196_322
.LBB196_233:
	s_or_b64 exec, exec, s[2:3]
	s_and_b64 s[4:5], s[24:25], s[46:47]
	s_and_saveexec_b64 s[2:3], s[4:5]
	s_cbranch_execnz .LBB196_326
.LBB196_234:
	s_or_b64 exec, exec, s[2:3]
	s_and_b64 s[4:5], s[24:25], s[48:49]
	s_and_saveexec_b64 s[2:3], s[4:5]
	s_cbranch_execnz .LBB196_330
.LBB196_235:
	s_or_b64 exec, exec, s[2:3]
	s_and_b64 s[4:5], s[24:25], s[50:51]
	s_and_saveexec_b64 s[2:3], s[4:5]
	s_cbranch_execnz .LBB196_334
.LBB196_236:
	s_or_b64 exec, exec, s[2:3]
	s_and_b64 s[4:5], s[24:25], s[52:53]
	s_and_saveexec_b64 s[2:3], s[4:5]
	s_cbranch_execnz .LBB196_338
.LBB196_237:
	s_or_b64 exec, exec, s[2:3]
	s_and_b64 s[4:5], s[24:25], s[54:55]
	s_and_saveexec_b64 s[2:3], s[4:5]
	s_cbranch_execnz .LBB196_342
.LBB196_238:
	s_or_b64 exec, exec, s[2:3]
	s_and_b64 s[4:5], s[24:25], s[56:57]
	s_and_saveexec_b64 s[2:3], s[4:5]
	s_cbranch_execnz .LBB196_346
.LBB196_239:
	s_or_b64 exec, exec, s[2:3]
	s_and_b64 s[4:5], s[24:25], s[58:59]
	s_and_saveexec_b64 s[2:3], s[4:5]
	s_cbranch_execnz .LBB196_350
.LBB196_240:
	s_or_b64 exec, exec, s[2:3]
	s_and_b64 s[4:5], s[24:25], s[60:61]
	s_and_saveexec_b64 s[2:3], s[4:5]
	s_cbranch_execnz .LBB196_354
.LBB196_241:
	s_or_b64 exec, exec, s[2:3]
	s_and_b64 s[4:5], s[24:25], s[62:63]
	s_and_saveexec_b64 s[2:3], s[4:5]
	s_cbranch_execnz .LBB196_358
.LBB196_242:
	s_or_b64 exec, exec, s[2:3]
	s_and_b64 s[4:5], s[24:25], s[64:65]
	s_and_saveexec_b64 s[2:3], s[4:5]
	s_cbranch_execnz .LBB196_362
.LBB196_243:
	s_or_b64 exec, exec, s[2:3]
	s_and_b64 s[4:5], s[24:25], s[66:67]
	s_and_saveexec_b64 s[2:3], s[4:5]
	s_cbranch_execnz .LBB196_366
.LBB196_244:
	s_or_b64 exec, exec, s[2:3]
	s_and_b64 s[2:3], s[24:25], s[68:69]
	s_and_saveexec_b64 s[4:5], s[2:3]
	s_cbranch_execnz .LBB196_370
.LBB196_245:
	s_endpgm
.LBB196_246:
	s_and_b64 vcc, exec, s[0:1]
	s_cbranch_vccnz .LBB196_248
; %bb.247:
	v_lshl_add_u64 v[132:133], v[128:129], 3, v[130:131]
	flat_load_dwordx2 v[132:133], v[132:133]
	s_waitcnt vmcnt(0) lgkmcnt(0)
	v_mul_f64 v[132:133], v[132:133], s[70:71]
	s_branch .LBB196_249
.LBB196_248:
	v_mov_b64_e32 v[132:133], 0
.LBB196_249:
	v_add_f64 v[62:63], v[62:63], v[132:133]
	v_lshl_add_u64 v[128:129], v[128:129], 3, v[64:65]
	global_store_dwordx2 v[128:129], v[62:63], off
	s_or_b64 exec, exec, s[2:3]
	s_and_b64 s[4:5], s[24:25], s[4:5]
	s_and_saveexec_b64 s[2:3], s[4:5]
	s_cbranch_execz .LBB196_215
.LBB196_250:
	s_and_b64 vcc, exec, s[0:1]
	s_cbranch_vccnz .LBB196_252
; %bb.251:
	v_lshl_add_u64 v[62:63], v[126:127], 3, v[130:131]
	flat_load_dwordx2 v[62:63], v[62:63]
	s_waitcnt vmcnt(0) lgkmcnt(0)
	v_mul_f64 v[62:63], v[62:63], s[70:71]
	s_branch .LBB196_253
.LBB196_252:
	v_mov_b64_e32 v[62:63], 0
.LBB196_253:
	v_add_f64 v[60:61], v[60:61], v[62:63]
	v_lshl_add_u64 v[62:63], v[126:127], 3, v[64:65]
	global_store_dwordx2 v[62:63], v[60:61], off
	s_or_b64 exec, exec, s[2:3]
	s_and_b64 s[4:5], s[24:25], s[6:7]
	s_and_saveexec_b64 s[2:3], s[4:5]
	s_cbranch_execz .LBB196_216
.LBB196_254:
	s_and_b64 vcc, exec, s[0:1]
	s_cbranch_vccnz .LBB196_256
; %bb.255:
	v_lshl_add_u64 v[60:61], v[124:125], 3, v[130:131]
	flat_load_dwordx2 v[60:61], v[60:61]
	s_waitcnt vmcnt(0) lgkmcnt(0)
	v_mul_f64 v[60:61], v[60:61], s[70:71]
	s_branch .LBB196_257
.LBB196_256:
	v_mov_b64_e32 v[60:61], 0
.LBB196_257:
	v_add_f64 v[58:59], v[58:59], v[60:61]
	v_lshl_add_u64 v[60:61], v[124:125], 3, v[64:65]
	global_store_dwordx2 v[60:61], v[58:59], off
	s_or_b64 exec, exec, s[2:3]
	s_and_b64 s[4:5], s[24:25], s[8:9]
	s_and_saveexec_b64 s[2:3], s[4:5]
	s_cbranch_execz .LBB196_217
.LBB196_258:
	s_and_b64 vcc, exec, s[0:1]
	s_cbranch_vccnz .LBB196_260
; %bb.259:
	v_lshl_add_u64 v[58:59], v[122:123], 3, v[130:131]
	flat_load_dwordx2 v[58:59], v[58:59]
	s_waitcnt vmcnt(0) lgkmcnt(0)
	v_mul_f64 v[58:59], v[58:59], s[70:71]
	s_branch .LBB196_261
.LBB196_260:
	v_mov_b64_e32 v[58:59], 0
.LBB196_261:
	v_add_f64 v[56:57], v[56:57], v[58:59]
	v_lshl_add_u64 v[58:59], v[122:123], 3, v[64:65]
	global_store_dwordx2 v[58:59], v[56:57], off
	s_or_b64 exec, exec, s[2:3]
	s_and_b64 s[4:5], s[24:25], s[10:11]
	s_and_saveexec_b64 s[2:3], s[4:5]
	s_cbranch_execz .LBB196_218
.LBB196_262:
	s_and_b64 vcc, exec, s[0:1]
	s_cbranch_vccnz .LBB196_264
; %bb.263:
	v_lshl_add_u64 v[56:57], v[120:121], 3, v[130:131]
	flat_load_dwordx2 v[56:57], v[56:57]
	s_waitcnt vmcnt(0) lgkmcnt(0)
	v_mul_f64 v[56:57], v[56:57], s[70:71]
	s_branch .LBB196_265
.LBB196_264:
	v_mov_b64_e32 v[56:57], 0
.LBB196_265:
	v_add_f64 v[54:55], v[54:55], v[56:57]
	v_lshl_add_u64 v[56:57], v[120:121], 3, v[64:65]
	global_store_dwordx2 v[56:57], v[54:55], off
	s_or_b64 exec, exec, s[2:3]
	s_and_b64 s[4:5], s[24:25], s[12:13]
	s_and_saveexec_b64 s[2:3], s[4:5]
	s_cbranch_execz .LBB196_219
.LBB196_266:
	s_and_b64 vcc, exec, s[0:1]
	s_cbranch_vccnz .LBB196_268
; %bb.267:
	v_lshl_add_u64 v[54:55], v[118:119], 3, v[130:131]
	flat_load_dwordx2 v[54:55], v[54:55]
	s_waitcnt vmcnt(0) lgkmcnt(0)
	v_mul_f64 v[54:55], v[54:55], s[70:71]
	s_branch .LBB196_269
.LBB196_268:
	v_mov_b64_e32 v[54:55], 0
.LBB196_269:
	v_add_f64 v[52:53], v[52:53], v[54:55]
	v_lshl_add_u64 v[54:55], v[118:119], 3, v[64:65]
	global_store_dwordx2 v[54:55], v[52:53], off
	s_or_b64 exec, exec, s[2:3]
	s_and_b64 s[4:5], s[24:25], s[14:15]
	s_and_saveexec_b64 s[2:3], s[4:5]
	s_cbranch_execz .LBB196_220
.LBB196_270:
	s_and_b64 vcc, exec, s[0:1]
	s_cbranch_vccnz .LBB196_272
; %bb.271:
	v_lshl_add_u64 v[52:53], v[116:117], 3, v[130:131]
	flat_load_dwordx2 v[52:53], v[52:53]
	s_waitcnt vmcnt(0) lgkmcnt(0)
	v_mul_f64 v[52:53], v[52:53], s[70:71]
	s_branch .LBB196_273
.LBB196_272:
	v_mov_b64_e32 v[52:53], 0
.LBB196_273:
	v_add_f64 v[50:51], v[50:51], v[52:53]
	v_lshl_add_u64 v[52:53], v[116:117], 3, v[64:65]
	global_store_dwordx2 v[52:53], v[50:51], off
	s_or_b64 exec, exec, s[2:3]
	s_and_b64 s[4:5], s[24:25], s[16:17]
	s_and_saveexec_b64 s[2:3], s[4:5]
	s_cbranch_execz .LBB196_221
.LBB196_274:
	s_and_b64 vcc, exec, s[0:1]
	s_cbranch_vccnz .LBB196_276
; %bb.275:
	v_lshl_add_u64 v[50:51], v[114:115], 3, v[130:131]
	flat_load_dwordx2 v[50:51], v[50:51]
	s_waitcnt vmcnt(0) lgkmcnt(0)
	v_mul_f64 v[50:51], v[50:51], s[70:71]
	s_branch .LBB196_277
.LBB196_276:
	v_mov_b64_e32 v[50:51], 0
.LBB196_277:
	v_add_f64 v[48:49], v[48:49], v[50:51]
	v_lshl_add_u64 v[50:51], v[114:115], 3, v[64:65]
	global_store_dwordx2 v[50:51], v[48:49], off
	s_or_b64 exec, exec, s[2:3]
	s_and_b64 s[4:5], s[24:25], s[18:19]
	s_and_saveexec_b64 s[2:3], s[4:5]
	s_cbranch_execz .LBB196_222
.LBB196_278:
	s_and_b64 vcc, exec, s[0:1]
	s_cbranch_vccnz .LBB196_280
; %bb.279:
	v_lshl_add_u64 v[48:49], v[112:113], 3, v[130:131]
	flat_load_dwordx2 v[48:49], v[48:49]
	s_waitcnt vmcnt(0) lgkmcnt(0)
	v_mul_f64 v[48:49], v[48:49], s[70:71]
	s_branch .LBB196_281
.LBB196_280:
	v_mov_b64_e32 v[48:49], 0
.LBB196_281:
	v_add_f64 v[46:47], v[46:47], v[48:49]
	v_lshl_add_u64 v[48:49], v[112:113], 3, v[64:65]
	global_store_dwordx2 v[48:49], v[46:47], off
	s_or_b64 exec, exec, s[2:3]
	s_and_b64 s[4:5], s[24:25], s[20:21]
	s_and_saveexec_b64 s[2:3], s[4:5]
	s_cbranch_execz .LBB196_223
.LBB196_282:
	s_and_b64 vcc, exec, s[0:1]
	s_cbranch_vccnz .LBB196_284
; %bb.283:
	v_lshl_add_u64 v[46:47], v[110:111], 3, v[130:131]
	flat_load_dwordx2 v[46:47], v[46:47]
	s_waitcnt vmcnt(0) lgkmcnt(0)
	v_mul_f64 v[46:47], v[46:47], s[70:71]
	s_branch .LBB196_285
.LBB196_284:
	v_mov_b64_e32 v[46:47], 0
.LBB196_285:
	v_add_f64 v[44:45], v[44:45], v[46:47]
	v_lshl_add_u64 v[46:47], v[110:111], 3, v[64:65]
	global_store_dwordx2 v[46:47], v[44:45], off
	s_or_b64 exec, exec, s[2:3]
	s_and_b64 s[4:5], s[24:25], s[22:23]
	s_and_saveexec_b64 s[2:3], s[4:5]
	s_cbranch_execz .LBB196_224
.LBB196_286:
	s_and_b64 vcc, exec, s[0:1]
	s_cbranch_vccnz .LBB196_288
; %bb.287:
	v_lshl_add_u64 v[44:45], v[108:109], 3, v[130:131]
	flat_load_dwordx2 v[44:45], v[44:45]
	s_waitcnt vmcnt(0) lgkmcnt(0)
	v_mul_f64 v[44:45], v[44:45], s[70:71]
	s_branch .LBB196_289
.LBB196_288:
	v_mov_b64_e32 v[44:45], 0
.LBB196_289:
	v_add_f64 v[42:43], v[42:43], v[44:45]
	v_lshl_add_u64 v[44:45], v[108:109], 3, v[64:65]
	global_store_dwordx2 v[44:45], v[42:43], off
	s_or_b64 exec, exec, s[2:3]
	s_and_b64 s[4:5], s[24:25], s[26:27]
	s_and_saveexec_b64 s[2:3], s[4:5]
	s_cbranch_execz .LBB196_225
.LBB196_290:
	s_and_b64 vcc, exec, s[0:1]
	s_cbranch_vccnz .LBB196_292
; %bb.291:
	v_lshl_add_u64 v[42:43], v[106:107], 3, v[130:131]
	flat_load_dwordx2 v[42:43], v[42:43]
	s_waitcnt vmcnt(0) lgkmcnt(0)
	v_mul_f64 v[42:43], v[42:43], s[70:71]
	s_branch .LBB196_293
.LBB196_292:
	v_mov_b64_e32 v[42:43], 0
.LBB196_293:
	v_add_f64 v[40:41], v[40:41], v[42:43]
	v_lshl_add_u64 v[42:43], v[106:107], 3, v[64:65]
	global_store_dwordx2 v[42:43], v[40:41], off
	s_or_b64 exec, exec, s[2:3]
	s_and_b64 s[4:5], s[24:25], s[28:29]
	s_and_saveexec_b64 s[2:3], s[4:5]
	s_cbranch_execz .LBB196_226
.LBB196_294:
	s_and_b64 vcc, exec, s[0:1]
	s_cbranch_vccnz .LBB196_296
; %bb.295:
	v_lshl_add_u64 v[40:41], v[104:105], 3, v[130:131]
	flat_load_dwordx2 v[40:41], v[40:41]
	s_waitcnt vmcnt(0) lgkmcnt(0)
	v_mul_f64 v[40:41], v[40:41], s[70:71]
	s_branch .LBB196_297
.LBB196_296:
	v_mov_b64_e32 v[40:41], 0
.LBB196_297:
	v_add_f64 v[38:39], v[38:39], v[40:41]
	v_lshl_add_u64 v[40:41], v[104:105], 3, v[64:65]
	global_store_dwordx2 v[40:41], v[38:39], off
	s_or_b64 exec, exec, s[2:3]
	s_and_b64 s[4:5], s[24:25], s[30:31]
	s_and_saveexec_b64 s[2:3], s[4:5]
	s_cbranch_execz .LBB196_227
.LBB196_298:
	s_and_b64 vcc, exec, s[0:1]
	s_cbranch_vccnz .LBB196_300
; %bb.299:
	v_lshl_add_u64 v[38:39], v[102:103], 3, v[130:131]
	flat_load_dwordx2 v[38:39], v[38:39]
	s_waitcnt vmcnt(0) lgkmcnt(0)
	v_mul_f64 v[38:39], v[38:39], s[70:71]
	s_branch .LBB196_301
.LBB196_300:
	v_mov_b64_e32 v[38:39], 0
.LBB196_301:
	v_add_f64 v[36:37], v[36:37], v[38:39]
	v_lshl_add_u64 v[38:39], v[102:103], 3, v[64:65]
	global_store_dwordx2 v[38:39], v[36:37], off
	s_or_b64 exec, exec, s[2:3]
	s_and_b64 s[4:5], s[24:25], s[34:35]
	s_and_saveexec_b64 s[2:3], s[4:5]
	s_cbranch_execz .LBB196_228
.LBB196_302:
	s_and_b64 vcc, exec, s[0:1]
	s_cbranch_vccnz .LBB196_304
; %bb.303:
	v_lshl_add_u64 v[36:37], v[100:101], 3, v[130:131]
	flat_load_dwordx2 v[36:37], v[36:37]
	s_waitcnt vmcnt(0) lgkmcnt(0)
	v_mul_f64 v[36:37], v[36:37], s[70:71]
	s_branch .LBB196_305
.LBB196_304:
	v_mov_b64_e32 v[36:37], 0
.LBB196_305:
	v_add_f64 v[34:35], v[34:35], v[36:37]
	v_lshl_add_u64 v[36:37], v[100:101], 3, v[64:65]
	global_store_dwordx2 v[36:37], v[34:35], off
	s_or_b64 exec, exec, s[2:3]
	s_and_b64 s[4:5], s[24:25], s[36:37]
	s_and_saveexec_b64 s[2:3], s[4:5]
	s_cbranch_execz .LBB196_229
.LBB196_306:
	s_and_b64 vcc, exec, s[0:1]
	s_cbranch_vccnz .LBB196_308
; %bb.307:
	v_lshl_add_u64 v[34:35], v[98:99], 3, v[130:131]
	flat_load_dwordx2 v[34:35], v[34:35]
	s_waitcnt vmcnt(0) lgkmcnt(0)
	v_mul_f64 v[34:35], v[34:35], s[70:71]
	s_branch .LBB196_309
.LBB196_308:
	v_mov_b64_e32 v[34:35], 0
.LBB196_309:
	v_add_f64 v[32:33], v[32:33], v[34:35]
	v_lshl_add_u64 v[34:35], v[98:99], 3, v[64:65]
	global_store_dwordx2 v[34:35], v[32:33], off
	s_or_b64 exec, exec, s[2:3]
	s_and_b64 s[4:5], s[24:25], s[38:39]
	s_and_saveexec_b64 s[2:3], s[4:5]
	s_cbranch_execz .LBB196_230
.LBB196_310:
	s_and_b64 vcc, exec, s[0:1]
	s_cbranch_vccnz .LBB196_312
; %bb.311:
	v_lshl_add_u64 v[32:33], v[96:97], 3, v[130:131]
	flat_load_dwordx2 v[32:33], v[32:33]
	s_waitcnt vmcnt(0) lgkmcnt(0)
	v_mul_f64 v[32:33], v[32:33], s[70:71]
	s_branch .LBB196_313
.LBB196_312:
	v_mov_b64_e32 v[32:33], 0
.LBB196_313:
	v_add_f64 v[30:31], v[30:31], v[32:33]
	v_lshl_add_u64 v[32:33], v[96:97], 3, v[64:65]
	global_store_dwordx2 v[32:33], v[30:31], off
	s_or_b64 exec, exec, s[2:3]
	s_and_b64 s[4:5], s[24:25], s[40:41]
	s_and_saveexec_b64 s[2:3], s[4:5]
	s_cbranch_execz .LBB196_231
.LBB196_314:
	s_and_b64 vcc, exec, s[0:1]
	s_cbranch_vccnz .LBB196_316
; %bb.315:
	v_lshl_add_u64 v[30:31], v[94:95], 3, v[130:131]
	flat_load_dwordx2 v[30:31], v[30:31]
	s_waitcnt vmcnt(0) lgkmcnt(0)
	v_mul_f64 v[30:31], v[30:31], s[70:71]
	s_branch .LBB196_317
.LBB196_316:
	v_mov_b64_e32 v[30:31], 0
.LBB196_317:
	v_add_f64 v[28:29], v[28:29], v[30:31]
	v_lshl_add_u64 v[30:31], v[94:95], 3, v[64:65]
	global_store_dwordx2 v[30:31], v[28:29], off
	s_or_b64 exec, exec, s[2:3]
	s_and_b64 s[4:5], s[24:25], s[42:43]
	s_and_saveexec_b64 s[2:3], s[4:5]
	s_cbranch_execz .LBB196_232
.LBB196_318:
	s_and_b64 vcc, exec, s[0:1]
	s_cbranch_vccnz .LBB196_320
; %bb.319:
	v_lshl_add_u64 v[28:29], v[92:93], 3, v[130:131]
	flat_load_dwordx2 v[28:29], v[28:29]
	s_waitcnt vmcnt(0) lgkmcnt(0)
	v_mul_f64 v[28:29], v[28:29], s[70:71]
	s_branch .LBB196_321
.LBB196_320:
	v_mov_b64_e32 v[28:29], 0
.LBB196_321:
	v_add_f64 v[26:27], v[26:27], v[28:29]
	v_lshl_add_u64 v[28:29], v[92:93], 3, v[64:65]
	global_store_dwordx2 v[28:29], v[26:27], off
	s_or_b64 exec, exec, s[2:3]
	s_and_b64 s[4:5], s[24:25], s[44:45]
	s_and_saveexec_b64 s[2:3], s[4:5]
	s_cbranch_execz .LBB196_233
.LBB196_322:
	s_and_b64 vcc, exec, s[0:1]
	s_cbranch_vccnz .LBB196_324
; %bb.323:
	v_lshl_add_u64 v[26:27], v[90:91], 3, v[130:131]
	flat_load_dwordx2 v[26:27], v[26:27]
	s_waitcnt vmcnt(0) lgkmcnt(0)
	v_mul_f64 v[26:27], v[26:27], s[70:71]
	s_branch .LBB196_325
.LBB196_324:
	v_mov_b64_e32 v[26:27], 0
.LBB196_325:
	v_add_f64 v[24:25], v[24:25], v[26:27]
	v_lshl_add_u64 v[26:27], v[90:91], 3, v[64:65]
	global_store_dwordx2 v[26:27], v[24:25], off
	s_or_b64 exec, exec, s[2:3]
	s_and_b64 s[4:5], s[24:25], s[46:47]
	s_and_saveexec_b64 s[2:3], s[4:5]
	s_cbranch_execz .LBB196_234
.LBB196_326:
	s_and_b64 vcc, exec, s[0:1]
	s_cbranch_vccnz .LBB196_328
; %bb.327:
	v_lshl_add_u64 v[24:25], v[88:89], 3, v[130:131]
	flat_load_dwordx2 v[24:25], v[24:25]
	s_waitcnt vmcnt(0) lgkmcnt(0)
	v_mul_f64 v[24:25], v[24:25], s[70:71]
	s_branch .LBB196_329
.LBB196_328:
	v_mov_b64_e32 v[24:25], 0
.LBB196_329:
	v_add_f64 v[22:23], v[22:23], v[24:25]
	v_lshl_add_u64 v[24:25], v[88:89], 3, v[64:65]
	global_store_dwordx2 v[24:25], v[22:23], off
	s_or_b64 exec, exec, s[2:3]
	s_and_b64 s[4:5], s[24:25], s[48:49]
	s_and_saveexec_b64 s[2:3], s[4:5]
	s_cbranch_execz .LBB196_235
.LBB196_330:
	s_and_b64 vcc, exec, s[0:1]
	s_cbranch_vccnz .LBB196_332
; %bb.331:
	v_lshl_add_u64 v[22:23], v[86:87], 3, v[130:131]
	flat_load_dwordx2 v[22:23], v[22:23]
	s_waitcnt vmcnt(0) lgkmcnt(0)
	v_mul_f64 v[22:23], v[22:23], s[70:71]
	s_branch .LBB196_333
.LBB196_332:
	v_mov_b64_e32 v[22:23], 0
.LBB196_333:
	v_add_f64 v[20:21], v[20:21], v[22:23]
	v_lshl_add_u64 v[22:23], v[86:87], 3, v[64:65]
	global_store_dwordx2 v[22:23], v[20:21], off
	s_or_b64 exec, exec, s[2:3]
	s_and_b64 s[4:5], s[24:25], s[50:51]
	s_and_saveexec_b64 s[2:3], s[4:5]
	s_cbranch_execz .LBB196_236
.LBB196_334:
	s_and_b64 vcc, exec, s[0:1]
	s_cbranch_vccnz .LBB196_336
; %bb.335:
	v_lshl_add_u64 v[20:21], v[84:85], 3, v[130:131]
	flat_load_dwordx2 v[20:21], v[20:21]
	s_waitcnt vmcnt(0) lgkmcnt(0)
	v_mul_f64 v[20:21], v[20:21], s[70:71]
	s_branch .LBB196_337
.LBB196_336:
	v_mov_b64_e32 v[20:21], 0
.LBB196_337:
	v_add_f64 v[18:19], v[18:19], v[20:21]
	v_lshl_add_u64 v[20:21], v[84:85], 3, v[64:65]
	global_store_dwordx2 v[20:21], v[18:19], off
	s_or_b64 exec, exec, s[2:3]
	s_and_b64 s[4:5], s[24:25], s[52:53]
	s_and_saveexec_b64 s[2:3], s[4:5]
	s_cbranch_execz .LBB196_237
.LBB196_338:
	s_and_b64 vcc, exec, s[0:1]
	s_cbranch_vccnz .LBB196_340
; %bb.339:
	v_lshl_add_u64 v[18:19], v[82:83], 3, v[130:131]
	flat_load_dwordx2 v[18:19], v[18:19]
	s_waitcnt vmcnt(0) lgkmcnt(0)
	v_mul_f64 v[18:19], v[18:19], s[70:71]
	s_branch .LBB196_341
.LBB196_340:
	v_mov_b64_e32 v[18:19], 0
.LBB196_341:
	v_add_f64 v[16:17], v[16:17], v[18:19]
	v_lshl_add_u64 v[18:19], v[82:83], 3, v[64:65]
	global_store_dwordx2 v[18:19], v[16:17], off
	s_or_b64 exec, exec, s[2:3]
	s_and_b64 s[4:5], s[24:25], s[54:55]
	s_and_saveexec_b64 s[2:3], s[4:5]
	s_cbranch_execz .LBB196_238
.LBB196_342:
	s_and_b64 vcc, exec, s[0:1]
	s_cbranch_vccnz .LBB196_344
; %bb.343:
	v_lshl_add_u64 v[16:17], v[80:81], 3, v[130:131]
	flat_load_dwordx2 v[16:17], v[16:17]
	s_waitcnt vmcnt(0) lgkmcnt(0)
	v_mul_f64 v[16:17], v[16:17], s[70:71]
	s_branch .LBB196_345
.LBB196_344:
	v_mov_b64_e32 v[16:17], 0
.LBB196_345:
	v_add_f64 v[14:15], v[14:15], v[16:17]
	v_lshl_add_u64 v[16:17], v[80:81], 3, v[64:65]
	global_store_dwordx2 v[16:17], v[14:15], off
	s_or_b64 exec, exec, s[2:3]
	s_and_b64 s[4:5], s[24:25], s[56:57]
	s_and_saveexec_b64 s[2:3], s[4:5]
	s_cbranch_execz .LBB196_239
.LBB196_346:
	s_and_b64 vcc, exec, s[0:1]
	s_cbranch_vccnz .LBB196_348
; %bb.347:
	v_lshl_add_u64 v[14:15], v[78:79], 3, v[130:131]
	flat_load_dwordx2 v[14:15], v[14:15]
	s_waitcnt vmcnt(0) lgkmcnt(0)
	v_mul_f64 v[14:15], v[14:15], s[70:71]
	s_branch .LBB196_349
.LBB196_348:
	v_mov_b64_e32 v[14:15], 0
.LBB196_349:
	v_add_f64 v[12:13], v[12:13], v[14:15]
	v_lshl_add_u64 v[14:15], v[78:79], 3, v[64:65]
	global_store_dwordx2 v[14:15], v[12:13], off
	s_or_b64 exec, exec, s[2:3]
	s_and_b64 s[4:5], s[24:25], s[58:59]
	s_and_saveexec_b64 s[2:3], s[4:5]
	s_cbranch_execz .LBB196_240
.LBB196_350:
	s_and_b64 vcc, exec, s[0:1]
	s_cbranch_vccnz .LBB196_352
; %bb.351:
	v_lshl_add_u64 v[12:13], v[76:77], 3, v[130:131]
	flat_load_dwordx2 v[12:13], v[12:13]
	s_waitcnt vmcnt(0) lgkmcnt(0)
	v_mul_f64 v[12:13], v[12:13], s[70:71]
	s_branch .LBB196_353
.LBB196_352:
	v_mov_b64_e32 v[12:13], 0
.LBB196_353:
	v_add_f64 v[10:11], v[10:11], v[12:13]
	v_lshl_add_u64 v[12:13], v[76:77], 3, v[64:65]
	global_store_dwordx2 v[12:13], v[10:11], off
	s_or_b64 exec, exec, s[2:3]
	s_and_b64 s[4:5], s[24:25], s[60:61]
	s_and_saveexec_b64 s[2:3], s[4:5]
	s_cbranch_execz .LBB196_241
.LBB196_354:
	s_and_b64 vcc, exec, s[0:1]
	s_cbranch_vccnz .LBB196_356
; %bb.355:
	v_lshl_add_u64 v[10:11], v[74:75], 3, v[130:131]
	flat_load_dwordx2 v[10:11], v[10:11]
	s_waitcnt vmcnt(0) lgkmcnt(0)
	v_mul_f64 v[10:11], v[10:11], s[70:71]
	s_branch .LBB196_357
.LBB196_356:
	v_mov_b64_e32 v[10:11], 0
.LBB196_357:
	v_add_f64 v[8:9], v[8:9], v[10:11]
	v_lshl_add_u64 v[10:11], v[74:75], 3, v[64:65]
	global_store_dwordx2 v[10:11], v[8:9], off
	s_or_b64 exec, exec, s[2:3]
	s_and_b64 s[4:5], s[24:25], s[62:63]
	s_and_saveexec_b64 s[2:3], s[4:5]
	s_cbranch_execz .LBB196_242
.LBB196_358:
	s_and_b64 vcc, exec, s[0:1]
	s_cbranch_vccnz .LBB196_360
; %bb.359:
	v_lshl_add_u64 v[8:9], v[72:73], 3, v[130:131]
	flat_load_dwordx2 v[8:9], v[8:9]
	s_waitcnt vmcnt(0) lgkmcnt(0)
	v_mul_f64 v[8:9], v[8:9], s[70:71]
	s_branch .LBB196_361
.LBB196_360:
	v_mov_b64_e32 v[8:9], 0
.LBB196_361:
	v_add_f64 v[6:7], v[6:7], v[8:9]
	v_lshl_add_u64 v[8:9], v[72:73], 3, v[64:65]
	global_store_dwordx2 v[8:9], v[6:7], off
	s_or_b64 exec, exec, s[2:3]
	s_and_b64 s[4:5], s[24:25], s[64:65]
	s_and_saveexec_b64 s[2:3], s[4:5]
	s_cbranch_execz .LBB196_243
.LBB196_362:
	s_and_b64 vcc, exec, s[0:1]
	s_cbranch_vccnz .LBB196_364
; %bb.363:
	v_lshl_add_u64 v[6:7], v[70:71], 3, v[130:131]
	flat_load_dwordx2 v[6:7], v[6:7]
	s_waitcnt vmcnt(0) lgkmcnt(0)
	v_mul_f64 v[6:7], v[6:7], s[70:71]
	s_branch .LBB196_365
.LBB196_364:
	v_mov_b64_e32 v[6:7], 0
.LBB196_365:
	v_add_f64 v[4:5], v[4:5], v[6:7]
	v_lshl_add_u64 v[6:7], v[70:71], 3, v[64:65]
	global_store_dwordx2 v[6:7], v[4:5], off
	s_or_b64 exec, exec, s[2:3]
	s_and_b64 s[4:5], s[24:25], s[66:67]
	s_and_saveexec_b64 s[2:3], s[4:5]
	s_cbranch_execz .LBB196_244
.LBB196_366:
	s_and_b64 vcc, exec, s[0:1]
	s_cbranch_vccnz .LBB196_368
; %bb.367:
	v_lshl_add_u64 v[4:5], v[68:69], 3, v[130:131]
	flat_load_dwordx2 v[4:5], v[4:5]
	s_waitcnt vmcnt(0) lgkmcnt(0)
	v_mul_f64 v[4:5], v[4:5], s[70:71]
	s_branch .LBB196_369
.LBB196_368:
	v_mov_b64_e32 v[4:5], 0
.LBB196_369:
	v_add_f64 v[2:3], v[2:3], v[4:5]
	v_lshl_add_u64 v[4:5], v[68:69], 3, v[64:65]
	global_store_dwordx2 v[4:5], v[2:3], off
	s_or_b64 exec, exec, s[2:3]
	s_and_b64 s[2:3], s[24:25], s[68:69]
	s_and_saveexec_b64 s[4:5], s[2:3]
	s_cbranch_execz .LBB196_245
.LBB196_370:
	s_and_b64 vcc, exec, s[0:1]
	s_cbranch_vccnz .LBB196_372
; %bb.371:
	v_lshl_add_u64 v[2:3], v[66:67], 3, v[130:131]
	flat_load_dwordx2 v[2:3], v[2:3]
	s_waitcnt vmcnt(0) lgkmcnt(0)
	v_mul_f64 v[2:3], v[2:3], s[70:71]
	v_add_f64 v[0:1], v[0:1], v[2:3]
	v_lshl_add_u64 v[2:3], v[66:67], 3, v[64:65]
	global_store_dwordx2 v[2:3], v[0:1], off
	s_endpgm
.LBB196_372:
	v_mov_b64_e32 v[2:3], 0
	v_add_f64 v[0:1], v[0:1], v[2:3]
	v_lshl_add_u64 v[2:3], v[66:67], 3, v[64:65]
	global_store_dwordx2 v[2:3], v[0:1], off
	s_endpgm
	.section	.rodata,"a",@progbits
	.p2align	6, 0x0
	.amdhsa_kernel _ZN12_GLOBAL__N_120geam_min_plus_kernelIdddLi4ELi64ELi128ELi128ELi4ELi64ELi4ELi64ELi4ELc78ELc84ELb1ELb1ELb0EdKddEEviiiT16_PT17_ilS4_ilS2_S4_ilPT18_ili26rocblas_geam_ex_operation_
		.amdhsa_group_segment_fixed_size 16384
		.amdhsa_private_segment_fixed_size 0
		.amdhsa_kernarg_size 136
		.amdhsa_user_sgpr_count 2
		.amdhsa_user_sgpr_dispatch_ptr 0
		.amdhsa_user_sgpr_queue_ptr 0
		.amdhsa_user_sgpr_kernarg_segment_ptr 1
		.amdhsa_user_sgpr_dispatch_id 0
		.amdhsa_user_sgpr_kernarg_preload_length 0
		.amdhsa_user_sgpr_kernarg_preload_offset 0
		.amdhsa_user_sgpr_private_segment_size 0
		.amdhsa_uses_dynamic_stack 0
		.amdhsa_enable_private_segment 0
		.amdhsa_system_sgpr_workgroup_id_x 1
		.amdhsa_system_sgpr_workgroup_id_y 0
		.amdhsa_system_sgpr_workgroup_id_z 1
		.amdhsa_system_sgpr_workgroup_info 0
		.amdhsa_system_vgpr_workitem_id 1
		.amdhsa_next_free_vgpr 252
		.amdhsa_next_free_sgpr 82
		.amdhsa_accum_offset 252
		.amdhsa_reserve_vcc 1
		.amdhsa_float_round_mode_32 0
		.amdhsa_float_round_mode_16_64 0
		.amdhsa_float_denorm_mode_32 3
		.amdhsa_float_denorm_mode_16_64 3
		.amdhsa_dx10_clamp 1
		.amdhsa_ieee_mode 1
		.amdhsa_fp16_overflow 0
		.amdhsa_tg_split 0
		.amdhsa_exception_fp_ieee_invalid_op 0
		.amdhsa_exception_fp_denorm_src 0
		.amdhsa_exception_fp_ieee_div_zero 0
		.amdhsa_exception_fp_ieee_overflow 0
		.amdhsa_exception_fp_ieee_underflow 0
		.amdhsa_exception_fp_ieee_inexact 0
		.amdhsa_exception_int_div_zero 0
	.end_amdhsa_kernel
	.section	.text._ZN12_GLOBAL__N_120geam_min_plus_kernelIdddLi4ELi64ELi128ELi128ELi4ELi64ELi4ELi64ELi4ELc78ELc84ELb1ELb1ELb0EdKddEEviiiT16_PT17_ilS4_ilS2_S4_ilPT18_ili26rocblas_geam_ex_operation_,"axG",@progbits,_ZN12_GLOBAL__N_120geam_min_plus_kernelIdddLi4ELi64ELi128ELi128ELi4ELi64ELi4ELi64ELi4ELc78ELc84ELb1ELb1ELb0EdKddEEviiiT16_PT17_ilS4_ilS2_S4_ilPT18_ili26rocblas_geam_ex_operation_,comdat
.Lfunc_end196:
	.size	_ZN12_GLOBAL__N_120geam_min_plus_kernelIdddLi4ELi64ELi128ELi128ELi4ELi64ELi4ELi64ELi4ELc78ELc84ELb1ELb1ELb0EdKddEEviiiT16_PT17_ilS4_ilS2_S4_ilPT18_ili26rocblas_geam_ex_operation_, .Lfunc_end196-_ZN12_GLOBAL__N_120geam_min_plus_kernelIdddLi4ELi64ELi128ELi128ELi4ELi64ELi4ELi64ELi4ELc78ELc84ELb1ELb1ELb0EdKddEEviiiT16_PT17_ilS4_ilS2_S4_ilPT18_ili26rocblas_geam_ex_operation_
                                        ; -- End function
	.section	.AMDGPU.csdata,"",@progbits
; Kernel info:
; codeLenInByte = 14424
; NumSgprs: 88
; NumVgprs: 252
; NumAgprs: 0
; TotalNumVgprs: 252
; ScratchSize: 0
; MemoryBound: 0
; FloatMode: 240
; IeeeMode: 1
; LDSByteSize: 16384 bytes/workgroup (compile time only)
; SGPRBlocks: 10
; VGPRBlocks: 31
; NumSGPRsForWavesPerEU: 88
; NumVGPRsForWavesPerEU: 252
; AccumOffset: 252
; Occupancy: 2
; WaveLimiterHint : 0
; COMPUTE_PGM_RSRC2:SCRATCH_EN: 0
; COMPUTE_PGM_RSRC2:USER_SGPR: 2
; COMPUTE_PGM_RSRC2:TRAP_HANDLER: 0
; COMPUTE_PGM_RSRC2:TGID_X_EN: 1
; COMPUTE_PGM_RSRC2:TGID_Y_EN: 0
; COMPUTE_PGM_RSRC2:TGID_Z_EN: 1
; COMPUTE_PGM_RSRC2:TIDIG_COMP_CNT: 1
; COMPUTE_PGM_RSRC3_GFX90A:ACCUM_OFFSET: 62
; COMPUTE_PGM_RSRC3_GFX90A:TG_SPLIT: 0
	.section	.text._ZN12_GLOBAL__N_120geam_min_plus_kernelIdddLi4ELi64ELi128ELi128ELi4ELi64ELi4ELi64ELi4ELc78ELc84ELb0ELb1ELb0EdKddEEviiiT16_PT17_ilS4_ilS2_S4_ilPT18_ili26rocblas_geam_ex_operation_,"axG",@progbits,_ZN12_GLOBAL__N_120geam_min_plus_kernelIdddLi4ELi64ELi128ELi128ELi4ELi64ELi4ELi64ELi4ELc78ELc84ELb0ELb1ELb0EdKddEEviiiT16_PT17_ilS4_ilS2_S4_ilPT18_ili26rocblas_geam_ex_operation_,comdat
	.globl	_ZN12_GLOBAL__N_120geam_min_plus_kernelIdddLi4ELi64ELi128ELi128ELi4ELi64ELi4ELi64ELi4ELc78ELc84ELb0ELb1ELb0EdKddEEviiiT16_PT17_ilS4_ilS2_S4_ilPT18_ili26rocblas_geam_ex_operation_ ; -- Begin function _ZN12_GLOBAL__N_120geam_min_plus_kernelIdddLi4ELi64ELi128ELi128ELi4ELi64ELi4ELi64ELi4ELc78ELc84ELb0ELb1ELb0EdKddEEviiiT16_PT17_ilS4_ilS2_S4_ilPT18_ili26rocblas_geam_ex_operation_
	.p2align	8
	.type	_ZN12_GLOBAL__N_120geam_min_plus_kernelIdddLi4ELi64ELi128ELi128ELi4ELi64ELi4ELi64ELi4ELc78ELc84ELb0ELb1ELb0EdKddEEviiiT16_PT17_ilS4_ilS2_S4_ilPT18_ili26rocblas_geam_ex_operation_,@function
_ZN12_GLOBAL__N_120geam_min_plus_kernelIdddLi4ELi64ELi128ELi128ELi4ELi64ELi4ELi64ELi4ELc78ELc84ELb0ELb1ELb0EdKddEEviiiT16_PT17_ilS4_ilS2_S4_ilPT18_ili26rocblas_geam_ex_operation_: ; @_ZN12_GLOBAL__N_120geam_min_plus_kernelIdddLi4ELi64ELi128ELi128ELi4ELi64ELi4ELi64ELi4ELc78ELc84ELb0ELb1ELb0EdKddEEviiiT16_PT17_ilS4_ilS2_S4_ilPT18_ili26rocblas_geam_ex_operation_
; %bb.0:
	s_load_dwordx4 s[16:19], s[0:1], 0x10
	s_load_dwordx4 s[4:7], s[0:1], 0x28
	s_mov_b64 s[22:23], 0
	s_waitcnt lgkmcnt(0)
	v_cmp_eq_f64_e64 s[8:9], s[16:17], 0
	s_and_b64 vcc, exec, s[8:9]
	s_cbranch_vccnz .LBB197_2
; %bb.1:
	s_mul_i32 s5, s3, s5
	s_mul_hi_u32 s10, s3, s4
	s_add_i32 s5, s10, s5
	s_mul_i32 s4, s3, s4
	s_lshl_b64 s[4:5], s[4:5], 3
	s_add_u32 s22, s18, s4
	s_addc_u32 s23, s19, s5
.LBB197_2:
	s_load_dwordx4 s[68:71], s[0:1], 0x40
	s_load_dwordx2 s[4:5], s[0:1], 0x50
	s_andn2_b64 vcc, exec, s[8:9]
	s_cbranch_vccnz .LBB197_4
; %bb.3:
	s_mov_b32 s19, 0
	s_mov_b64 s[24:25], 0
	s_cbranch_execz .LBB197_5
	s_branch .LBB197_6
.LBB197_4:
                                        ; implicit-def: $sgpr24_sgpr25
                                        ; implicit-def: $sgpr18_sgpr19
.LBB197_5:
	s_waitcnt lgkmcnt(0)
	s_mul_i32 s8, s3, s69
	s_mul_hi_u32 s9, s3, s68
	s_add_i32 s9, s9, s8
	s_mul_i32 s8, s3, s68
	s_lshl_b64 s[8:9], s[8:9], 3
	s_add_u32 s24, s6, s8
	s_mov_b32 s19, 0
	s_addc_u32 s25, s7, s9
.LBB197_6:
	s_load_dwordx4 s[12:15], s[0:1], 0x60
	s_waitcnt lgkmcnt(0)
	v_cmp_eq_f64_e64 s[6:7], s[70:71], 0
	s_mov_b64 s[76:77], 0
	v_cmp_neq_f64_e64 s[20:21], s[70:71], 0
	s_and_b64 vcc, exec, s[6:7]
	s_cbranch_vccnz .LBB197_8
; %bb.7:
	s_mul_i32 s6, s3, s13
	s_mul_hi_u32 s7, s3, s12
	s_add_i32 s6, s7, s6
	s_mul_i32 s7, s19, s12
	s_add_i32 s7, s6, s7
	s_mul_i32 s6, s3, s12
	s_lshl_b64 s[6:7], s[6:7], 3
	s_add_u32 s76, s4, s6
	s_addc_u32 s77, s5, s7
.LBB197_8:
	s_load_dwordx4 s[72:75], s[0:1], 0x0
	s_load_dword s28, s[0:1], 0x20
	v_and_b32_e32 v142, 0x3ff, v0
	v_bfe_u32 v143, v0, 10, 10
	v_lshl_add_u32 v3, v143, 2, v142
	s_waitcnt lgkmcnt(0)
	s_add_i32 s4, s72, -1
	s_ashr_i32 s5, s4, 31
	s_lshr_b32 s5, s5, 25
	s_add_i32 s4, s4, s5
	s_ashr_i32 s4, s4, 7
	s_add_i32 s5, s4, 1
	v_cvt_f32_u32_e32 v1, s5
	s_not_b32 s4, s4
	v_and_b32_e32 v141, 63, v3
	v_lshrrev_b32_e32 v144, 6, v3
	v_rcp_iflag_f32_e32 v2, v1
	v_cmp_le_i32_e32 vcc, s74, v144
	v_cmp_eq_f64_e64 s[12:13], s[16:17], 0
	v_mov_b64_e32 v[0:1], 0
	v_mul_f32_e32 v2, 0x4f7ffffe, v2
	v_cvt_u32_f32_e32 v2, v2
	s_nop 0
	v_readfirstlane_b32 s6, v2
	s_mul_i32 s4, s4, s6
	s_mul_hi_u32 s4, s6, s4
	s_add_i32 s6, s6, s4
	s_mul_hi_u32 s4, s2, s6
	s_mul_i32 s6, s4, s5
	s_sub_i32 s6, s2, s6
	s_add_i32 s7, s4, 1
	s_sub_i32 s8, s6, s5
	s_cmp_ge_u32 s6, s5
	s_cselect_b32 s4, s7, s4
	s_cselect_b32 s6, s8, s6
	s_add_i32 s7, s4, 1
	s_cmp_ge_u32 s6, s5
	s_cselect_b32 s8, s7, s4
	s_mul_i32 s4, s8, s5
	s_sub_i32 s2, s2, s4
	s_add_i32 s29, s74, -1
	s_lshl_b32 s2, s2, 7
	v_min_i32_e32 v8, s29, v144
	v_or_b32_e32 v128, s2, v141
	v_mad_i64_i32 v[2:3], s[4:5], s28, v8, 0
	v_cmp_le_i32_e64 s[10:11], s72, v128
	s_or_b64 s[4:5], s[10:11], vcc
	s_or_b64 s[4:5], s[12:13], s[4:5]
	v_lshl_add_u64 v[6:7], v[2:3], 3, s[22:23]
	s_xor_b64 s[6:7], s[4:5], -1
	v_ashrrev_i32_e32 v129, 31, v128
	v_mov_b64_e32 v[2:3], v[0:1]
	s_and_saveexec_b64 s[4:5], s[6:7]
	s_cbranch_execz .LBB197_10
; %bb.9:
	v_lshl_add_u64 v[2:3], v[128:129], 3, v[6:7]
	flat_load_dwordx2 v[2:3], v[2:3]
	s_waitcnt vmcnt(0) lgkmcnt(0)
	v_mul_f64 v[2:3], v[2:3], s[16:17]
.LBB197_10:
	s_or_b64 exec, exec, s[4:5]
	v_or_b32_e32 v4, 64, v128
	v_cmp_le_i32_e64 s[4:5], s72, v4
	s_or_b64 s[6:7], s[4:5], vcc
	s_or_b64 s[6:7], s[12:13], s[6:7]
	s_xor_b64 s[26:27], s[6:7], -1
	v_mov_b64_e32 v[4:5], v[0:1]
	s_and_saveexec_b64 s[6:7], s[26:27]
	s_cbranch_execz .LBB197_12
; %bb.11:
	v_lshl_add_u64 v[4:5], v[128:129], 3, v[6:7]
	flat_load_dwordx2 v[4:5], v[4:5] offset:512
	s_waitcnt vmcnt(0) lgkmcnt(0)
	v_mul_f64 v[4:5], v[4:5], s[16:17]
.LBB197_12:
	s_or_b64 exec, exec, s[6:7]
	s_load_dword s30, s[0:1], 0x38
	s_lshl_b32 s18, s8, 7
	v_or_b32_e32 v130, s18, v141
	v_cmp_le_i32_e64 s[6:7], s73, v130
	v_ashrrev_i32_e32 v131, 31, v130
	s_waitcnt lgkmcnt(0)
	v_mad_i64_i32 v[6:7], s[8:9], s30, v8, 0
	s_or_b64 s[8:9], s[6:7], vcc
	s_or_b64 s[8:9], s[12:13], s[8:9]
	v_lshl_add_u64 v[8:9], v[6:7], 3, s[24:25]
	s_xor_b64 s[26:27], s[8:9], -1
	s_and_saveexec_b64 s[8:9], s[26:27]
	s_cbranch_execz .LBB197_14
; %bb.13:
	v_lshl_add_u64 v[0:1], v[130:131], 3, v[8:9]
	flat_load_dwordx2 v[0:1], v[0:1]
	s_waitcnt vmcnt(0) lgkmcnt(0)
	v_mul_f64 v[0:1], v[0:1], s[16:17]
.LBB197_14:
	s_or_b64 exec, exec, s[8:9]
	v_or_b32_e32 v6, 64, v130
	v_cmp_le_i32_e64 s[8:9], s73, v6
	s_or_b64 s[26:27], s[8:9], vcc
	s_or_b64 s[26:27], s[12:13], s[26:27]
	v_mov_b64_e32 v[132:133], 0
	s_xor_b64 s[34:35], s[26:27], -1
	v_mov_b64_e32 v[6:7], v[132:133]
	s_and_saveexec_b64 s[26:27], s[34:35]
	s_cbranch_execz .LBB197_16
; %bb.15:
	v_lshl_add_u64 v[6:7], v[130:131], 3, v[8:9]
	flat_load_dwordx2 v[6:7], v[6:7] offset:512
	s_waitcnt vmcnt(0) lgkmcnt(0)
	v_mul_f64 v[6:7], v[6:7], s[16:17]
.LBB197_16:
	s_or_b64 exec, exec, s[26:27]
	v_add_u32_e32 v8, 4, v144
	v_min_i32_e32 v10, s29, v8
	v_cmp_le_i32_e32 vcc, s74, v8
	v_mad_i64_i32 v[8:9], s[26:27], s28, v10, 0
	s_or_b64 s[26:27], s[10:11], vcc
	s_or_b64 s[26:27], s[12:13], s[26:27]
	v_lshl_add_u64 v[8:9], v[8:9], 3, s[22:23]
	s_xor_b64 s[34:35], s[26:27], -1
	s_and_saveexec_b64 s[26:27], s[34:35]
	s_cbranch_execz .LBB197_18
; %bb.17:
	v_lshl_add_u64 v[12:13], v[128:129], 3, v[8:9]
	flat_load_dwordx2 v[12:13], v[12:13]
	s_waitcnt vmcnt(0) lgkmcnt(0)
	v_mul_f64 v[132:133], v[12:13], s[16:17]
.LBB197_18:
	s_or_b64 exec, exec, s[26:27]
	s_or_b64 s[26:27], s[4:5], vcc
	s_or_b64 s[26:27], s[12:13], s[26:27]
	v_mov_b64_e32 v[134:135], 0
	s_xor_b64 s[34:35], s[26:27], -1
	v_mov_b64_e32 v[136:137], v[134:135]
	s_and_saveexec_b64 s[26:27], s[34:35]
	s_cbranch_execz .LBB197_20
; %bb.19:
	v_lshl_add_u64 v[8:9], v[128:129], 3, v[8:9]
	flat_load_dwordx2 v[8:9], v[8:9] offset:512
	s_waitcnt vmcnt(0) lgkmcnt(0)
	v_mul_f64 v[136:137], v[8:9], s[16:17]
.LBB197_20:
	s_or_b64 exec, exec, s[26:27]
	v_mad_i64_i32 v[8:9], s[26:27], s30, v10, 0
	s_or_b64 s[26:27], s[6:7], vcc
	s_or_b64 s[26:27], s[12:13], s[26:27]
	v_lshl_add_u64 v[8:9], v[8:9], 3, s[24:25]
	s_xor_b64 s[34:35], s[26:27], -1
	s_and_saveexec_b64 s[26:27], s[34:35]
	s_cbranch_execz .LBB197_22
; %bb.21:
	v_lshl_add_u64 v[10:11], v[130:131], 3, v[8:9]
	flat_load_dwordx2 v[10:11], v[10:11]
	s_waitcnt vmcnt(0) lgkmcnt(0)
	v_mul_f64 v[134:135], v[10:11], s[16:17]
.LBB197_22:
	s_or_b64 exec, exec, s[26:27]
	s_or_b64 s[26:27], s[8:9], vcc
	s_or_b64 s[26:27], s[12:13], s[26:27]
	v_mov_b64_e32 v[126:127], 0
	s_xor_b64 s[34:35], s[26:27], -1
	v_mov_b64_e32 v[138:139], v[126:127]
	s_and_saveexec_b64 s[26:27], s[34:35]
	s_cbranch_execz .LBB197_24
; %bb.23:
	v_lshl_add_u64 v[8:9], v[130:131], 3, v[8:9]
	flat_load_dwordx2 v[8:9], v[8:9] offset:512
	s_waitcnt vmcnt(0) lgkmcnt(0)
	v_mul_f64 v[138:139], v[8:9], s[16:17]
.LBB197_24:
	s_or_b64 exec, exec, s[26:27]
	v_lshlrev_b32_e32 v8, 3, v144
	v_lshl_add_u32 v145, v141, 5, v8
	v_lshlrev_b32_e32 v140, 5, v143
	ds_write2st64_b64 v145, v[2:3], v[4:5] offset1:4
	v_or_b32_e32 v146, 0x2000, v145
	ds_write2st64_b64 v145, v[0:1], v[6:7] offset0:16 offset1:20
	v_lshlrev_b32_e32 v147, 5, v142
	v_add_u32_e32 v148, 0x2000, v140
	s_mov_b32 s26, 0
	v_mov_b64_e32 v[124:125], v[126:127]
	v_mov_b64_e32 v[122:123], v[126:127]
	;; [unrolled: 1-line block ×63, first 2 shown]
	s_waitcnt lgkmcnt(0)
	s_barrier
.LBB197_25:                             ; =>This Inner Loop Header: Depth=1
	v_add_u32_e32 v149, s26, v147
	v_add_u32_e32 v182, s26, v148
	ds_read2_b64 v[150:153], v149 offset1:16
	ds_read2_b64 v[154:157], v149 offset0:32 offset1:48
	ds_read2_b64 v[158:161], v149 offset0:64 offset1:80
	;; [unrolled: 1-line block ×7, first 2 shown]
	ds_read2st64_b64 v[182:185], v182 offset1:4
	v_add_u32_e32 v149, 0x800, v149
	ds_read2_b64 v[186:189], v149 offset1:16
	ds_read2_b64 v[190:193], v149 offset0:32 offset1:48
	ds_read2_b64 v[194:197], v149 offset0:64 offset1:80
	ds_read2_b64 v[198:201], v149 offset0:96 offset1:112
	ds_read2_b64 v[202:205], v149 offset0:128 offset1:144
	ds_read2_b64 v[206:209], v149 offset0:160 offset1:176
	ds_read2_b64 v[210:213], v149 offset0:192 offset1:208
	ds_read2_b64 v[214:217], v149 offset0:224 offset1:240
	s_waitcnt lgkmcnt(14)
	v_max_f64 v[150:151], v[150:151], v[150:151]
	v_max_f64 v[152:153], v[152:153], v[152:153]
	;; [unrolled: 1-line block ×6, first 2 shown]
	s_waitcnt lgkmcnt(13)
	v_max_f64 v[162:163], v[162:163], v[162:163]
	v_max_f64 v[164:165], v[164:165], v[164:165]
	s_waitcnt lgkmcnt(12)
	v_max_f64 v[166:167], v[166:167], v[166:167]
	v_max_f64 v[168:169], v[168:169], v[168:169]
	s_waitcnt lgkmcnt(11)
	v_max_f64 v[170:171], v[170:171], v[170:171]
	v_max_f64 v[172:173], v[172:173], v[172:173]
	s_waitcnt lgkmcnt(10)
	v_max_f64 v[174:175], v[174:175], v[174:175]
	v_max_f64 v[176:177], v[176:177], v[176:177]
	s_waitcnt lgkmcnt(9)
	v_max_f64 v[178:179], v[178:179], v[178:179]
	v_max_f64 v[180:181], v[180:181], v[180:181]
	s_waitcnt lgkmcnt(8)
	v_max_f64 v[182:183], v[182:183], v[182:183]
	v_max_f64 v[184:185], v[184:185], v[184:185]
	s_waitcnt lgkmcnt(7)
	v_max_f64 v[186:187], v[186:187], v[186:187]
	v_max_f64 v[188:189], v[188:189], v[188:189]
	s_waitcnt lgkmcnt(6)
	v_max_f64 v[190:191], v[190:191], v[190:191]
	v_max_f64 v[192:193], v[192:193], v[192:193]
	s_waitcnt lgkmcnt(5)
	v_max_f64 v[194:195], v[194:195], v[194:195]
	v_max_f64 v[196:197], v[196:197], v[196:197]
	s_waitcnt lgkmcnt(4)
	v_max_f64 v[198:199], v[198:199], v[198:199]
	v_max_f64 v[200:201], v[200:201], v[200:201]
	s_waitcnt lgkmcnt(3)
	v_max_f64 v[202:203], v[202:203], v[202:203]
	v_max_f64 v[204:205], v[204:205], v[204:205]
	s_waitcnt lgkmcnt(2)
	v_max_f64 v[206:207], v[206:207], v[206:207]
	v_max_f64 v[208:209], v[208:209], v[208:209]
	s_waitcnt lgkmcnt(1)
	v_max_f64 v[210:211], v[210:211], v[210:211]
	v_max_f64 v[212:213], v[212:213], v[212:213]
	s_waitcnt lgkmcnt(0)
	v_max_f64 v[214:215], v[214:215], v[214:215]
	v_max_f64 v[216:217], v[216:217], v[216:217]
	v_min_f64 v[218:219], v[150:151], v[182:183]
	v_min_f64 v[220:221], v[152:153], v[182:183]
	;; [unrolled: 1-line block ×32, first 2 shown]
	s_add_i32 s26, s26, 8
	v_add_f64 v[62:63], v[150:151], v[62:63]
	v_add_f64 v[60:61], v[152:153], v[60:61]
	;; [unrolled: 1-line block ×16, first 2 shown]
	v_min_f64 v[150:151], v[186:187], v[182:183]
	v_min_f64 v[152:153], v[188:189], v[182:183]
	;; [unrolled: 1-line block ×32, first 2 shown]
	s_cmp_eq_u32 s26, 32
	v_add_f64 v[126:127], v[218:219], v[126:127]
	v_add_f64 v[124:125], v[220:221], v[124:125]
	;; [unrolled: 1-line block ×48, first 2 shown]
	s_cbranch_scc0 .LBB197_25
; %bb.26:
	v_lshlrev_b32_e32 v141, 5, v141
	v_lshl_add_u32 v141, v144, 3, v141
	s_cmp_gt_i32 s74, 8
	ds_write2st64_b64 v141, v[132:133], v[136:137] offset0:8 offset1:12
	ds_write2st64_b64 v141, v[134:135], v[138:139] offset0:24 offset1:28
	s_waitcnt lgkmcnt(0)
	s_barrier
	s_cbranch_scc1 .LBB197_28
; %bb.27:
	v_add_u32_e32 v149, 0x1000, v147
	v_add_u32_e32 v150, 0x3000, v140
	s_cbranch_execz .LBB197_29
	s_branch .LBB197_51
.LBB197_28:
                                        ; implicit-def: $vgpr149
                                        ; implicit-def: $vgpr150
.LBB197_29:
	v_or_b32_e32 v151, 0x1000, v141
	v_or_b32_e32 v152, 0x3000, v141
	s_add_i32 s31, s74, -8
	v_add_u32_e32 v149, 0x1000, v147
	v_add_u32_e32 v150, 0x3000, v140
	s_mov_b32 s33, 8
	s_mov_b32 s34, 0
.LBB197_30:                             ; =>This Loop Header: Depth=1
                                        ;     Child Loop BB197_39 Depth 2
                                        ;     Child Loop BB197_49 Depth 2
	v_add_u32_e32 v132, s33, v144
	v_min_i32_e32 v138, s29, v132
	v_cmp_le_i32_e32 vcc, s74, v132
	v_mad_i64_i32 v[132:133], s[26:27], v138, s28, 0
	s_or_b64 s[26:27], s[10:11], vcc
	v_lshl_add_u64 v[134:135], v[132:133], 3, s[22:23]
	s_or_b64 s[26:27], s[12:13], s[26:27]
	v_mov_b64_e32 v[132:133], 0
	s_xor_b64 s[36:37], s[26:27], -1
	v_lshl_add_u64 v[136:137], v[128:129], 3, v[134:135]
	v_mov_b64_e32 v[134:135], v[132:133]
	s_and_saveexec_b64 s[26:27], s[36:37]
	s_cbranch_execz .LBB197_32
; %bb.31:                               ;   in Loop: Header=BB197_30 Depth=1
	flat_load_dwordx2 v[134:135], v[136:137]
	s_waitcnt vmcnt(0) lgkmcnt(0)
	v_mul_f64 v[134:135], v[134:135], s[16:17]
.LBB197_32:                             ;   in Loop: Header=BB197_30 Depth=1
	s_or_b64 exec, exec, s[26:27]
	s_or_b64 s[26:27], s[4:5], vcc
	s_or_b64 s[26:27], s[12:13], s[26:27]
	s_xor_b64 s[36:37], s[26:27], -1
	s_and_saveexec_b64 s[26:27], s[36:37]
	s_cbranch_execz .LBB197_34
; %bb.33:                               ;   in Loop: Header=BB197_30 Depth=1
	flat_load_dwordx2 v[132:133], v[136:137] offset:512
	s_waitcnt vmcnt(0) lgkmcnt(0)
	v_mul_f64 v[132:133], v[132:133], s[16:17]
.LBB197_34:                             ;   in Loop: Header=BB197_30 Depth=1
	s_or_b64 exec, exec, s[26:27]
	v_mad_i64_i32 v[136:137], s[26:27], v138, s30, 0
	s_or_b64 s[26:27], s[6:7], vcc
	v_lshl_add_u64 v[138:139], v[136:137], 3, s[24:25]
	s_or_b64 s[26:27], s[12:13], s[26:27]
	v_mov_b64_e32 v[136:137], 0
	s_xor_b64 s[36:37], s[26:27], -1
	v_lshl_add_u64 v[140:141], v[130:131], 3, v[138:139]
	v_mov_b64_e32 v[138:139], v[136:137]
	s_and_saveexec_b64 s[26:27], s[36:37]
	s_cbranch_execz .LBB197_36
; %bb.35:                               ;   in Loop: Header=BB197_30 Depth=1
	flat_load_dwordx2 v[138:139], v[140:141]
	s_waitcnt vmcnt(0) lgkmcnt(0)
	v_mul_f64 v[138:139], v[138:139], s[16:17]
.LBB197_36:                             ;   in Loop: Header=BB197_30 Depth=1
	s_or_b64 exec, exec, s[26:27]
	s_or_b64 s[26:27], s[8:9], vcc
	s_or_b64 s[26:27], s[12:13], s[26:27]
	s_xor_b64 s[36:37], s[26:27], -1
	s_and_saveexec_b64 s[26:27], s[36:37]
	s_cbranch_execz .LBB197_38
; %bb.37:                               ;   in Loop: Header=BB197_30 Depth=1
	flat_load_dwordx2 v[136:137], v[140:141] offset:512
	s_waitcnt vmcnt(0) lgkmcnt(0)
	v_mul_f64 v[136:137], v[136:137], s[16:17]
.LBB197_38:                             ;   in Loop: Header=BB197_30 Depth=1
	s_or_b64 exec, exec, s[26:27]
	s_mov_b32 s26, 0
.LBB197_39:                             ;   Parent Loop BB197_30 Depth=1
                                        ; =>  This Inner Loop Header: Depth=2
	v_add_u32_e32 v140, s26, v149
	v_add_u32_e32 v141, s26, v150
	ds_read2_b64 v[154:157], v140 offset1:16
	ds_read2_b64 v[158:161], v140 offset0:32 offset1:48
	ds_read2_b64 v[162:165], v140 offset0:64 offset1:80
	;; [unrolled: 1-line block ×7, first 2 shown]
	v_add_u32_e32 v140, 0x800, v140
	ds_read2st64_b64 v[186:189], v141 offset1:4
	ds_read2_b64 v[190:193], v140 offset1:16
	ds_read2_b64 v[194:197], v140 offset0:32 offset1:48
	ds_read2_b64 v[198:201], v140 offset0:64 offset1:80
	;; [unrolled: 1-line block ×7, first 2 shown]
	s_waitcnt lgkmcnt(14)
	v_max_f64 v[154:155], v[154:155], v[154:155]
	v_max_f64 v[156:157], v[156:157], v[156:157]
	;; [unrolled: 1-line block ×3, first 2 shown]
	s_waitcnt lgkmcnt(8)
	v_max_f64 v[140:141], v[186:187], v[186:187]
	v_max_f64 v[160:161], v[160:161], v[160:161]
	;; [unrolled: 1-line block ×15, first 2 shown]
	v_min_f64 v[188:189], v[154:155], v[140:141]
	v_min_f64 v[222:223], v[156:157], v[140:141]
	v_min_f64 v[224:225], v[158:159], v[140:141]
	v_min_f64 v[226:227], v[160:161], v[140:141]
	v_min_f64 v[228:229], v[162:163], v[140:141]
	v_min_f64 v[230:231], v[164:165], v[140:141]
	v_min_f64 v[232:233], v[166:167], v[140:141]
	v_min_f64 v[234:235], v[168:169], v[140:141]
	v_min_f64 v[236:237], v[170:171], v[140:141]
	v_min_f64 v[238:239], v[172:173], v[140:141]
	v_min_f64 v[240:241], v[174:175], v[140:141]
	v_min_f64 v[242:243], v[176:177], v[140:141]
	v_min_f64 v[244:245], v[178:179], v[140:141]
	v_min_f64 v[246:247], v[180:181], v[140:141]
	v_min_f64 v[248:249], v[182:183], v[140:141]
	v_min_f64 v[250:251], v[184:185], v[140:141]
	s_waitcnt lgkmcnt(7)
	v_max_f64 v[190:191], v[190:191], v[190:191]
	v_max_f64 v[192:193], v[192:193], v[192:193]
	s_waitcnt lgkmcnt(6)
	v_max_f64 v[194:195], v[194:195], v[194:195]
	v_max_f64 v[196:197], v[196:197], v[196:197]
	;; [unrolled: 3-line block ×8, first 2 shown]
	v_min_f64 v[154:155], v[154:155], v[186:187]
	v_min_f64 v[156:157], v[156:157], v[186:187]
	;; [unrolled: 1-line block ×16, first 2 shown]
	s_add_i32 s26, s26, 8
	v_add_f64 v[126:127], v[188:189], v[126:127]
	v_add_f64 v[124:125], v[222:223], v[124:125]
	;; [unrolled: 1-line block ×15, first 2 shown]
	v_min_f64 v[188:189], v[190:191], v[140:141]
	v_min_f64 v[222:223], v[192:193], v[140:141]
	;; [unrolled: 1-line block ×16, first 2 shown]
	v_add_f64 v[62:63], v[154:155], v[62:63]
	v_add_f64 v[60:61], v[156:157], v[60:61]
	;; [unrolled: 1-line block ×16, first 2 shown]
	v_min_f64 v[154:155], v[190:191], v[186:187]
	v_min_f64 v[156:157], v[192:193], v[186:187]
	;; [unrolled: 1-line block ×16, first 2 shown]
	s_cmp_eq_u32 s26, 32
	v_add_f64 v[96:97], v[250:251], v[96:97]
	v_add_f64 v[94:95], v[188:189], v[94:95]
	;; [unrolled: 1-line block ×33, first 2 shown]
	s_cbranch_scc0 .LBB197_39
; %bb.40:                               ;   in Loop: Header=BB197_30 Depth=1
	ds_write2st64_b64 v145, v[134:135], v[132:133] offset1:4
	ds_write2st64_b64 v146, v[138:139], v[136:137] offset1:4
	v_add3_u32 v132, v144, s33, 4
	v_min_i32_e32 v138, s29, v132
	v_cmp_le_i32_e32 vcc, s74, v132
	v_mad_i64_i32 v[132:133], s[26:27], v138, s28, 0
	s_or_b64 s[26:27], s[10:11], vcc
	v_lshl_add_u64 v[134:135], v[132:133], 3, s[22:23]
	s_or_b64 s[26:27], s[12:13], s[26:27]
	v_mov_b64_e32 v[132:133], 0
	s_xor_b64 s[36:37], s[26:27], -1
	v_lshl_add_u64 v[136:137], v[128:129], 3, v[134:135]
	v_mov_b64_e32 v[134:135], v[132:133]
	s_waitcnt lgkmcnt(0)
	s_barrier
	s_and_saveexec_b64 s[26:27], s[36:37]
	s_cbranch_execz .LBB197_42
; %bb.41:                               ;   in Loop: Header=BB197_30 Depth=1
	flat_load_dwordx2 v[134:135], v[136:137]
	s_waitcnt vmcnt(0) lgkmcnt(0)
	v_mul_f64 v[134:135], v[134:135], s[16:17]
.LBB197_42:                             ;   in Loop: Header=BB197_30 Depth=1
	s_or_b64 exec, exec, s[26:27]
	s_or_b64 s[26:27], s[4:5], vcc
	s_or_b64 s[26:27], s[12:13], s[26:27]
	s_xor_b64 s[36:37], s[26:27], -1
	s_and_saveexec_b64 s[26:27], s[36:37]
	s_cbranch_execz .LBB197_44
; %bb.43:                               ;   in Loop: Header=BB197_30 Depth=1
	flat_load_dwordx2 v[132:133], v[136:137] offset:512
	s_waitcnt vmcnt(0) lgkmcnt(0)
	v_mul_f64 v[132:133], v[132:133], s[16:17]
.LBB197_44:                             ;   in Loop: Header=BB197_30 Depth=1
	s_or_b64 exec, exec, s[26:27]
	v_mad_i64_i32 v[136:137], s[26:27], v138, s30, 0
	s_or_b64 s[26:27], s[6:7], vcc
	v_lshl_add_u64 v[138:139], v[136:137], 3, s[24:25]
	s_or_b64 s[26:27], s[12:13], s[26:27]
	v_mov_b64_e32 v[136:137], 0
	s_xor_b64 s[36:37], s[26:27], -1
	v_lshl_add_u64 v[140:141], v[130:131], 3, v[138:139]
	v_mov_b64_e32 v[138:139], v[136:137]
	s_and_saveexec_b64 s[26:27], s[36:37]
	s_cbranch_execz .LBB197_46
; %bb.45:                               ;   in Loop: Header=BB197_30 Depth=1
	flat_load_dwordx2 v[138:139], v[140:141]
	s_waitcnt vmcnt(0) lgkmcnt(0)
	v_mul_f64 v[138:139], v[138:139], s[16:17]
.LBB197_46:                             ;   in Loop: Header=BB197_30 Depth=1
	s_or_b64 exec, exec, s[26:27]
	s_or_b64 s[26:27], s[8:9], vcc
	s_or_b64 s[26:27], s[12:13], s[26:27]
	s_xor_b64 s[36:37], s[26:27], -1
	s_and_saveexec_b64 s[26:27], s[36:37]
	s_cbranch_execz .LBB197_48
; %bb.47:                               ;   in Loop: Header=BB197_30 Depth=1
	flat_load_dwordx2 v[136:137], v[140:141] offset:512
	s_waitcnt vmcnt(0) lgkmcnt(0)
	v_mul_f64 v[136:137], v[136:137], s[16:17]
.LBB197_48:                             ;   in Loop: Header=BB197_30 Depth=1
	s_or_b64 exec, exec, s[26:27]
	s_mov_b32 s26, 0
.LBB197_49:                             ;   Parent Loop BB197_30 Depth=1
                                        ; =>  This Inner Loop Header: Depth=2
	v_add_u32_e32 v140, s26, v147
	v_add_u32_e32 v141, s26, v148
	ds_read2_b64 v[154:157], v140 offset1:16
	ds_read2_b64 v[158:161], v140 offset0:32 offset1:48
	ds_read2_b64 v[162:165], v140 offset0:64 offset1:80
	;; [unrolled: 1-line block ×7, first 2 shown]
	v_add_u32_e32 v140, 0x800, v140
	ds_read2st64_b64 v[186:189], v141 offset1:4
	ds_read2_b64 v[190:193], v140 offset1:16
	ds_read2_b64 v[194:197], v140 offset0:32 offset1:48
	ds_read2_b64 v[198:201], v140 offset0:64 offset1:80
	;; [unrolled: 1-line block ×7, first 2 shown]
	s_waitcnt lgkmcnt(14)
	v_max_f64 v[154:155], v[154:155], v[154:155]
	v_max_f64 v[156:157], v[156:157], v[156:157]
	;; [unrolled: 1-line block ×3, first 2 shown]
	s_waitcnt lgkmcnt(8)
	v_max_f64 v[140:141], v[186:187], v[186:187]
	v_max_f64 v[160:161], v[160:161], v[160:161]
	;; [unrolled: 1-line block ×15, first 2 shown]
	v_min_f64 v[188:189], v[154:155], v[140:141]
	v_min_f64 v[222:223], v[156:157], v[140:141]
	;; [unrolled: 1-line block ×16, first 2 shown]
	s_waitcnt lgkmcnt(7)
	v_max_f64 v[190:191], v[190:191], v[190:191]
	v_max_f64 v[192:193], v[192:193], v[192:193]
	s_waitcnt lgkmcnt(6)
	v_max_f64 v[194:195], v[194:195], v[194:195]
	v_max_f64 v[196:197], v[196:197], v[196:197]
	;; [unrolled: 3-line block ×8, first 2 shown]
	v_min_f64 v[154:155], v[154:155], v[186:187]
	v_min_f64 v[156:157], v[156:157], v[186:187]
	;; [unrolled: 1-line block ×16, first 2 shown]
	s_add_i32 s26, s26, 8
	v_add_f64 v[126:127], v[188:189], v[126:127]
	v_add_f64 v[124:125], v[222:223], v[124:125]
	;; [unrolled: 1-line block ×15, first 2 shown]
	v_min_f64 v[188:189], v[190:191], v[140:141]
	v_min_f64 v[222:223], v[192:193], v[140:141]
	;; [unrolled: 1-line block ×16, first 2 shown]
	v_add_f64 v[62:63], v[154:155], v[62:63]
	v_add_f64 v[60:61], v[156:157], v[60:61]
	;; [unrolled: 1-line block ×16, first 2 shown]
	v_min_f64 v[154:155], v[190:191], v[186:187]
	v_min_f64 v[156:157], v[192:193], v[186:187]
	;; [unrolled: 1-line block ×16, first 2 shown]
	s_cmp_eq_u32 s26, 32
	v_add_f64 v[96:97], v[250:251], v[96:97]
	v_add_f64 v[94:95], v[188:189], v[94:95]
	;; [unrolled: 1-line block ×33, first 2 shown]
	s_cbranch_scc0 .LBB197_49
; %bb.50:                               ;   in Loop: Header=BB197_30 Depth=1
	s_add_i32 s33, s33, 8
	s_add_i32 s34, s34, 8
	s_cmp_ge_i32 s34, s31
	ds_write2st64_b64 v151, v[134:135], v[132:133] offset1:4
	ds_write2st64_b64 v152, v[138:139], v[136:137] offset1:4
	s_waitcnt lgkmcnt(0)
	s_barrier
	s_cbranch_scc0 .LBB197_30
.LBB197_51:
	s_mov_b32 s4, 0
.LBB197_52:                             ; =>This Inner Loop Header: Depth=1
	v_add_u32_e32 v140, s4, v149
	v_add_u32_e32 v141, s4, v150
	ds_read2_b64 v[128:131], v140 offset1:16
	ds_read2_b64 v[132:135], v140 offset0:32 offset1:48
	ds_read2_b64 v[136:139], v140 offset0:64 offset1:80
	;; [unrolled: 1-line block ×7, first 2 shown]
	v_add_u32_e32 v140, 0x800, v140
	ds_read2st64_b64 v[168:171], v141 offset1:4
	ds_read2_b64 v[172:175], v140 offset1:16
	ds_read2_b64 v[176:179], v140 offset0:32 offset1:48
	ds_read2_b64 v[180:183], v140 offset0:64 offset1:80
	ds_read2_b64 v[184:187], v140 offset0:96 offset1:112
	ds_read2_b64 v[188:191], v140 offset0:128 offset1:144
	ds_read2_b64 v[192:195], v140 offset0:160 offset1:176
	ds_read2_b64 v[196:199], v140 offset0:192 offset1:208
	ds_read2_b64 v[200:203], v140 offset0:224 offset1:240
	s_waitcnt lgkmcnt(14)
	v_max_f64 v[128:129], v[128:129], v[128:129]
	v_max_f64 v[130:131], v[130:131], v[130:131]
	;; [unrolled: 1-line block ×3, first 2 shown]
	s_waitcnt lgkmcnt(8)
	v_max_f64 v[140:141], v[168:169], v[168:169]
	v_max_f64 v[134:135], v[134:135], v[134:135]
	;; [unrolled: 1-line block ×15, first 2 shown]
	v_min_f64 v[170:171], v[128:129], v[140:141]
	v_min_f64 v[204:205], v[130:131], v[140:141]
	;; [unrolled: 1-line block ×16, first 2 shown]
	s_waitcnt lgkmcnt(7)
	v_max_f64 v[172:173], v[172:173], v[172:173]
	v_max_f64 v[174:175], v[174:175], v[174:175]
	s_waitcnt lgkmcnt(6)
	v_max_f64 v[176:177], v[176:177], v[176:177]
	v_max_f64 v[178:179], v[178:179], v[178:179]
	;; [unrolled: 3-line block ×8, first 2 shown]
	v_min_f64 v[128:129], v[128:129], v[168:169]
	v_min_f64 v[130:131], v[130:131], v[168:169]
	;; [unrolled: 1-line block ×16, first 2 shown]
	s_add_i32 s4, s4, 8
	v_add_f64 v[126:127], v[170:171], v[126:127]
	v_add_f64 v[124:125], v[204:205], v[124:125]
	;; [unrolled: 1-line block ×15, first 2 shown]
	v_min_f64 v[170:171], v[172:173], v[140:141]
	v_min_f64 v[204:205], v[174:175], v[140:141]
	;; [unrolled: 1-line block ×16, first 2 shown]
	v_add_f64 v[62:63], v[128:129], v[62:63]
	v_add_f64 v[60:61], v[130:131], v[60:61]
	;; [unrolled: 1-line block ×16, first 2 shown]
	v_min_f64 v[128:129], v[172:173], v[168:169]
	v_min_f64 v[130:131], v[174:175], v[168:169]
	;; [unrolled: 1-line block ×16, first 2 shown]
	s_cmp_eq_u32 s4, 32
	v_add_f64 v[96:97], v[232:233], v[96:97]
	v_add_f64 v[94:95], v[170:171], v[94:95]
	;; [unrolled: 1-line block ×33, first 2 shown]
	s_cbranch_scc0 .LBB197_52
; %bb.53:
	s_load_dwordx2 s[4:5], s[0:1], 0x78
	s_load_dword s78, s[0:1], 0x58
	s_load_dword s33, s[0:1], 0x70
	v_add_u32_e32 v136, s18, v143
	v_add_u32_e32 v128, s2, v142
	s_waitcnt lgkmcnt(0)
	s_mul_i32 s0, s3, s5
	s_mul_hi_u32 s1, s3, s4
	s_mul_i32 s5, s19, s4
	s_add_i32 s0, s1, s0
	s_add_i32 s1, s0, s5
	s_mul_i32 s0, s3, s4
	s_lshl_b64 s[0:1], s[0:1], 3
	s_add_u32 s74, s14, s0
	s_addc_u32 s75, s15, s1
	v_mad_i64_i32 v[130:131], s[0:1], v136, s78, 0
	v_cmp_gt_i32_e64 s[24:25], s73, v136
	v_lshl_add_u64 v[132:133], v[130:131], 3, s[76:77]
	v_mad_i64_i32 v[130:131], s[0:1], v136, s33, 0
	v_cmp_gt_i32_e64 s[2:3], s72, v128
	v_cndmask_b32_e64 v134, 0, 1, s[20:21]
	v_lshl_add_u64 v[130:131], v[130:131], 3, s[74:75]
	s_and_b64 s[6:7], s[24:25], s[2:3]
	v_ashrrev_i32_e32 v129, 31, v128
	v_cmp_ne_u32_e64 s[0:1], 1, v134
	s_and_saveexec_b64 s[4:5], s[6:7]
	s_cbranch_execz .LBB197_58
; %bb.54:
	s_and_b64 vcc, exec, s[0:1]
	s_cbranch_vccnz .LBB197_56
; %bb.55:
	v_lshl_add_u64 v[134:135], v[128:129], 3, v[132:133]
	flat_load_dwordx2 v[134:135], v[134:135]
	s_waitcnt vmcnt(0) lgkmcnt(0)
	v_mul_f64 v[134:135], v[134:135], s[70:71]
	s_branch .LBB197_57
.LBB197_56:
	v_mov_b64_e32 v[134:135], 0
.LBB197_57:
	v_add_f64 v[126:127], v[126:127], v[134:135]
	v_lshl_add_u64 v[134:135], v[128:129], 3, v[130:131]
	global_store_dwordx2 v[134:135], v[126:127], off
.LBB197_58:
	s_or_b64 exec, exec, s[4:5]
	v_add_u32_e32 v126, 4, v128
	v_cmp_gt_i32_e64 s[4:5], s72, v126
	s_and_b64 s[8:9], s[24:25], s[4:5]
	v_ashrrev_i32_e32 v127, 31, v126
	s_and_saveexec_b64 s[6:7], s[8:9]
	s_cbranch_execz .LBB197_63
; %bb.59:
	s_and_b64 vcc, exec, s[0:1]
	s_cbranch_vccnz .LBB197_61
; %bb.60:
	v_lshl_add_u64 v[134:135], v[126:127], 3, v[132:133]
	flat_load_dwordx2 v[134:135], v[134:135]
	s_waitcnt vmcnt(0) lgkmcnt(0)
	v_mul_f64 v[134:135], v[134:135], s[70:71]
	s_branch .LBB197_62
.LBB197_61:
	v_mov_b64_e32 v[134:135], 0
.LBB197_62:
	v_add_f64 v[124:125], v[124:125], v[134:135]
	v_lshl_add_u64 v[134:135], v[126:127], 3, v[130:131]
	global_store_dwordx2 v[134:135], v[124:125], off
.LBB197_63:
	s_or_b64 exec, exec, s[6:7]
	v_add_u32_e32 v124, 8, v128
	v_cmp_gt_i32_e64 s[6:7], s72, v124
	s_and_b64 s[10:11], s[24:25], s[6:7]
	v_ashrrev_i32_e32 v125, 31, v124
	;; [unrolled: 23-line block ×31, first 2 shown]
	s_and_saveexec_b64 s[24:25], s[80:81]
	s_cbranch_execz .LBB197_213
; %bb.209:
	s_and_b64 vcc, exec, s[0:1]
	s_cbranch_vccnz .LBB197_211
; %bb.210:
	v_lshl_add_u64 v[132:133], v[66:67], 3, v[132:133]
	flat_load_dwordx2 v[132:133], v[132:133]
	s_waitcnt vmcnt(0) lgkmcnt(0)
	v_mul_f64 v[132:133], v[132:133], s[70:71]
	s_branch .LBB197_212
.LBB197_211:
	v_mov_b64_e32 v[132:133], 0
.LBB197_212:
	v_add_f64 v[64:65], v[64:65], v[132:133]
	v_lshl_add_u64 v[130:131], v[66:67], 3, v[130:131]
	global_store_dwordx2 v[130:131], v[64:65], off
.LBB197_213:
	s_or_b64 exec, exec, s[24:25]
	v_add_u32_e32 v132, 64, v136
	v_cmp_gt_i32_e64 s[24:25], s73, v132
	v_mad_i64_i32 v[64:65], s[72:73], v132, s78, 0
	v_lshl_add_u64 v[130:131], v[64:65], 3, s[76:77]
	v_mad_i64_i32 v[64:65], s[72:73], v132, s33, 0
	v_lshl_add_u64 v[64:65], v[64:65], 3, s[74:75]
	s_and_b64 s[2:3], s[24:25], s[2:3]
	s_and_saveexec_b64 s[72:73], s[2:3]
	s_xor_b64 s[2:3], exec, s[72:73]
	s_cbranch_execnz .LBB197_246
; %bb.214:
	s_or_b64 exec, exec, s[2:3]
	s_and_b64 s[4:5], s[24:25], s[4:5]
	s_and_saveexec_b64 s[2:3], s[4:5]
	s_cbranch_execnz .LBB197_250
.LBB197_215:
	s_or_b64 exec, exec, s[2:3]
	s_and_b64 s[4:5], s[24:25], s[6:7]
	s_and_saveexec_b64 s[2:3], s[4:5]
	s_cbranch_execnz .LBB197_254
.LBB197_216:
	s_or_b64 exec, exec, s[2:3]
	s_and_b64 s[4:5], s[24:25], s[8:9]
	s_and_saveexec_b64 s[2:3], s[4:5]
	s_cbranch_execnz .LBB197_258
.LBB197_217:
	s_or_b64 exec, exec, s[2:3]
	s_and_b64 s[4:5], s[24:25], s[10:11]
	s_and_saveexec_b64 s[2:3], s[4:5]
	s_cbranch_execnz .LBB197_262
.LBB197_218:
	s_or_b64 exec, exec, s[2:3]
	s_and_b64 s[4:5], s[24:25], s[12:13]
	s_and_saveexec_b64 s[2:3], s[4:5]
	s_cbranch_execnz .LBB197_266
.LBB197_219:
	s_or_b64 exec, exec, s[2:3]
	s_and_b64 s[4:5], s[24:25], s[14:15]
	s_and_saveexec_b64 s[2:3], s[4:5]
	s_cbranch_execnz .LBB197_270
.LBB197_220:
	s_or_b64 exec, exec, s[2:3]
	s_and_b64 s[4:5], s[24:25], s[16:17]
	s_and_saveexec_b64 s[2:3], s[4:5]
	s_cbranch_execnz .LBB197_274
.LBB197_221:
	s_or_b64 exec, exec, s[2:3]
	s_and_b64 s[4:5], s[24:25], s[18:19]
	s_and_saveexec_b64 s[2:3], s[4:5]
	s_cbranch_execnz .LBB197_278
.LBB197_222:
	s_or_b64 exec, exec, s[2:3]
	s_and_b64 s[4:5], s[24:25], s[20:21]
	s_and_saveexec_b64 s[2:3], s[4:5]
	s_cbranch_execnz .LBB197_282
.LBB197_223:
	s_or_b64 exec, exec, s[2:3]
	s_and_b64 s[4:5], s[24:25], s[22:23]
	s_and_saveexec_b64 s[2:3], s[4:5]
	s_cbranch_execnz .LBB197_286
.LBB197_224:
	s_or_b64 exec, exec, s[2:3]
	s_and_b64 s[4:5], s[24:25], s[26:27]
	s_and_saveexec_b64 s[2:3], s[4:5]
	s_cbranch_execnz .LBB197_290
.LBB197_225:
	s_or_b64 exec, exec, s[2:3]
	s_and_b64 s[4:5], s[24:25], s[28:29]
	s_and_saveexec_b64 s[2:3], s[4:5]
	s_cbranch_execnz .LBB197_294
.LBB197_226:
	s_or_b64 exec, exec, s[2:3]
	s_and_b64 s[4:5], s[24:25], s[30:31]
	s_and_saveexec_b64 s[2:3], s[4:5]
	s_cbranch_execnz .LBB197_298
.LBB197_227:
	s_or_b64 exec, exec, s[2:3]
	s_and_b64 s[4:5], s[24:25], s[34:35]
	s_and_saveexec_b64 s[2:3], s[4:5]
	s_cbranch_execnz .LBB197_302
.LBB197_228:
	s_or_b64 exec, exec, s[2:3]
	s_and_b64 s[4:5], s[24:25], s[36:37]
	s_and_saveexec_b64 s[2:3], s[4:5]
	s_cbranch_execnz .LBB197_306
.LBB197_229:
	s_or_b64 exec, exec, s[2:3]
	s_and_b64 s[4:5], s[24:25], s[38:39]
	s_and_saveexec_b64 s[2:3], s[4:5]
	s_cbranch_execnz .LBB197_310
.LBB197_230:
	s_or_b64 exec, exec, s[2:3]
	s_and_b64 s[4:5], s[24:25], s[40:41]
	s_and_saveexec_b64 s[2:3], s[4:5]
	s_cbranch_execnz .LBB197_314
.LBB197_231:
	s_or_b64 exec, exec, s[2:3]
	s_and_b64 s[4:5], s[24:25], s[42:43]
	s_and_saveexec_b64 s[2:3], s[4:5]
	s_cbranch_execnz .LBB197_318
.LBB197_232:
	s_or_b64 exec, exec, s[2:3]
	s_and_b64 s[4:5], s[24:25], s[44:45]
	s_and_saveexec_b64 s[2:3], s[4:5]
	s_cbranch_execnz .LBB197_322
.LBB197_233:
	s_or_b64 exec, exec, s[2:3]
	s_and_b64 s[4:5], s[24:25], s[46:47]
	s_and_saveexec_b64 s[2:3], s[4:5]
	s_cbranch_execnz .LBB197_326
.LBB197_234:
	s_or_b64 exec, exec, s[2:3]
	s_and_b64 s[4:5], s[24:25], s[48:49]
	s_and_saveexec_b64 s[2:3], s[4:5]
	s_cbranch_execnz .LBB197_330
.LBB197_235:
	s_or_b64 exec, exec, s[2:3]
	s_and_b64 s[4:5], s[24:25], s[50:51]
	s_and_saveexec_b64 s[2:3], s[4:5]
	s_cbranch_execnz .LBB197_334
.LBB197_236:
	s_or_b64 exec, exec, s[2:3]
	s_and_b64 s[4:5], s[24:25], s[52:53]
	s_and_saveexec_b64 s[2:3], s[4:5]
	s_cbranch_execnz .LBB197_338
.LBB197_237:
	s_or_b64 exec, exec, s[2:3]
	s_and_b64 s[4:5], s[24:25], s[54:55]
	s_and_saveexec_b64 s[2:3], s[4:5]
	s_cbranch_execnz .LBB197_342
.LBB197_238:
	s_or_b64 exec, exec, s[2:3]
	s_and_b64 s[4:5], s[24:25], s[56:57]
	s_and_saveexec_b64 s[2:3], s[4:5]
	s_cbranch_execnz .LBB197_346
.LBB197_239:
	s_or_b64 exec, exec, s[2:3]
	s_and_b64 s[4:5], s[24:25], s[58:59]
	s_and_saveexec_b64 s[2:3], s[4:5]
	s_cbranch_execnz .LBB197_350
.LBB197_240:
	s_or_b64 exec, exec, s[2:3]
	s_and_b64 s[4:5], s[24:25], s[60:61]
	s_and_saveexec_b64 s[2:3], s[4:5]
	s_cbranch_execnz .LBB197_354
.LBB197_241:
	s_or_b64 exec, exec, s[2:3]
	s_and_b64 s[4:5], s[24:25], s[62:63]
	s_and_saveexec_b64 s[2:3], s[4:5]
	s_cbranch_execnz .LBB197_358
.LBB197_242:
	s_or_b64 exec, exec, s[2:3]
	s_and_b64 s[4:5], s[24:25], s[64:65]
	s_and_saveexec_b64 s[2:3], s[4:5]
	s_cbranch_execnz .LBB197_362
.LBB197_243:
	s_or_b64 exec, exec, s[2:3]
	s_and_b64 s[4:5], s[24:25], s[66:67]
	s_and_saveexec_b64 s[2:3], s[4:5]
	s_cbranch_execnz .LBB197_366
.LBB197_244:
	s_or_b64 exec, exec, s[2:3]
	s_and_b64 s[2:3], s[24:25], s[68:69]
	s_and_saveexec_b64 s[4:5], s[2:3]
	s_cbranch_execnz .LBB197_370
.LBB197_245:
	s_endpgm
.LBB197_246:
	s_and_b64 vcc, exec, s[0:1]
	s_cbranch_vccnz .LBB197_248
; %bb.247:
	v_lshl_add_u64 v[132:133], v[128:129], 3, v[130:131]
	flat_load_dwordx2 v[132:133], v[132:133]
	s_waitcnt vmcnt(0) lgkmcnt(0)
	v_mul_f64 v[132:133], v[132:133], s[70:71]
	s_branch .LBB197_249
.LBB197_248:
	v_mov_b64_e32 v[132:133], 0
.LBB197_249:
	v_add_f64 v[62:63], v[62:63], v[132:133]
	v_lshl_add_u64 v[128:129], v[128:129], 3, v[64:65]
	global_store_dwordx2 v[128:129], v[62:63], off
	s_or_b64 exec, exec, s[2:3]
	s_and_b64 s[4:5], s[24:25], s[4:5]
	s_and_saveexec_b64 s[2:3], s[4:5]
	s_cbranch_execz .LBB197_215
.LBB197_250:
	s_and_b64 vcc, exec, s[0:1]
	s_cbranch_vccnz .LBB197_252
; %bb.251:
	v_lshl_add_u64 v[62:63], v[126:127], 3, v[130:131]
	flat_load_dwordx2 v[62:63], v[62:63]
	s_waitcnt vmcnt(0) lgkmcnt(0)
	v_mul_f64 v[62:63], v[62:63], s[70:71]
	s_branch .LBB197_253
.LBB197_252:
	v_mov_b64_e32 v[62:63], 0
.LBB197_253:
	v_add_f64 v[60:61], v[60:61], v[62:63]
	v_lshl_add_u64 v[62:63], v[126:127], 3, v[64:65]
	global_store_dwordx2 v[62:63], v[60:61], off
	s_or_b64 exec, exec, s[2:3]
	s_and_b64 s[4:5], s[24:25], s[6:7]
	s_and_saveexec_b64 s[2:3], s[4:5]
	s_cbranch_execz .LBB197_216
.LBB197_254:
	s_and_b64 vcc, exec, s[0:1]
	s_cbranch_vccnz .LBB197_256
; %bb.255:
	v_lshl_add_u64 v[60:61], v[124:125], 3, v[130:131]
	flat_load_dwordx2 v[60:61], v[60:61]
	s_waitcnt vmcnt(0) lgkmcnt(0)
	v_mul_f64 v[60:61], v[60:61], s[70:71]
	s_branch .LBB197_257
.LBB197_256:
	v_mov_b64_e32 v[60:61], 0
.LBB197_257:
	v_add_f64 v[58:59], v[58:59], v[60:61]
	v_lshl_add_u64 v[60:61], v[124:125], 3, v[64:65]
	global_store_dwordx2 v[60:61], v[58:59], off
	s_or_b64 exec, exec, s[2:3]
	s_and_b64 s[4:5], s[24:25], s[8:9]
	s_and_saveexec_b64 s[2:3], s[4:5]
	s_cbranch_execz .LBB197_217
.LBB197_258:
	s_and_b64 vcc, exec, s[0:1]
	s_cbranch_vccnz .LBB197_260
; %bb.259:
	v_lshl_add_u64 v[58:59], v[122:123], 3, v[130:131]
	flat_load_dwordx2 v[58:59], v[58:59]
	s_waitcnt vmcnt(0) lgkmcnt(0)
	v_mul_f64 v[58:59], v[58:59], s[70:71]
	s_branch .LBB197_261
.LBB197_260:
	v_mov_b64_e32 v[58:59], 0
.LBB197_261:
	v_add_f64 v[56:57], v[56:57], v[58:59]
	v_lshl_add_u64 v[58:59], v[122:123], 3, v[64:65]
	global_store_dwordx2 v[58:59], v[56:57], off
	s_or_b64 exec, exec, s[2:3]
	s_and_b64 s[4:5], s[24:25], s[10:11]
	s_and_saveexec_b64 s[2:3], s[4:5]
	s_cbranch_execz .LBB197_218
.LBB197_262:
	s_and_b64 vcc, exec, s[0:1]
	s_cbranch_vccnz .LBB197_264
; %bb.263:
	v_lshl_add_u64 v[56:57], v[120:121], 3, v[130:131]
	flat_load_dwordx2 v[56:57], v[56:57]
	s_waitcnt vmcnt(0) lgkmcnt(0)
	v_mul_f64 v[56:57], v[56:57], s[70:71]
	s_branch .LBB197_265
.LBB197_264:
	v_mov_b64_e32 v[56:57], 0
.LBB197_265:
	v_add_f64 v[54:55], v[54:55], v[56:57]
	v_lshl_add_u64 v[56:57], v[120:121], 3, v[64:65]
	global_store_dwordx2 v[56:57], v[54:55], off
	s_or_b64 exec, exec, s[2:3]
	s_and_b64 s[4:5], s[24:25], s[12:13]
	s_and_saveexec_b64 s[2:3], s[4:5]
	s_cbranch_execz .LBB197_219
.LBB197_266:
	s_and_b64 vcc, exec, s[0:1]
	s_cbranch_vccnz .LBB197_268
; %bb.267:
	v_lshl_add_u64 v[54:55], v[118:119], 3, v[130:131]
	flat_load_dwordx2 v[54:55], v[54:55]
	s_waitcnt vmcnt(0) lgkmcnt(0)
	v_mul_f64 v[54:55], v[54:55], s[70:71]
	s_branch .LBB197_269
.LBB197_268:
	v_mov_b64_e32 v[54:55], 0
.LBB197_269:
	v_add_f64 v[52:53], v[52:53], v[54:55]
	v_lshl_add_u64 v[54:55], v[118:119], 3, v[64:65]
	global_store_dwordx2 v[54:55], v[52:53], off
	s_or_b64 exec, exec, s[2:3]
	s_and_b64 s[4:5], s[24:25], s[14:15]
	s_and_saveexec_b64 s[2:3], s[4:5]
	s_cbranch_execz .LBB197_220
.LBB197_270:
	s_and_b64 vcc, exec, s[0:1]
	s_cbranch_vccnz .LBB197_272
; %bb.271:
	v_lshl_add_u64 v[52:53], v[116:117], 3, v[130:131]
	flat_load_dwordx2 v[52:53], v[52:53]
	s_waitcnt vmcnt(0) lgkmcnt(0)
	v_mul_f64 v[52:53], v[52:53], s[70:71]
	s_branch .LBB197_273
.LBB197_272:
	v_mov_b64_e32 v[52:53], 0
.LBB197_273:
	v_add_f64 v[50:51], v[50:51], v[52:53]
	v_lshl_add_u64 v[52:53], v[116:117], 3, v[64:65]
	global_store_dwordx2 v[52:53], v[50:51], off
	s_or_b64 exec, exec, s[2:3]
	s_and_b64 s[4:5], s[24:25], s[16:17]
	s_and_saveexec_b64 s[2:3], s[4:5]
	s_cbranch_execz .LBB197_221
.LBB197_274:
	s_and_b64 vcc, exec, s[0:1]
	s_cbranch_vccnz .LBB197_276
; %bb.275:
	v_lshl_add_u64 v[50:51], v[114:115], 3, v[130:131]
	flat_load_dwordx2 v[50:51], v[50:51]
	s_waitcnt vmcnt(0) lgkmcnt(0)
	v_mul_f64 v[50:51], v[50:51], s[70:71]
	s_branch .LBB197_277
.LBB197_276:
	v_mov_b64_e32 v[50:51], 0
.LBB197_277:
	v_add_f64 v[48:49], v[48:49], v[50:51]
	v_lshl_add_u64 v[50:51], v[114:115], 3, v[64:65]
	global_store_dwordx2 v[50:51], v[48:49], off
	s_or_b64 exec, exec, s[2:3]
	s_and_b64 s[4:5], s[24:25], s[18:19]
	s_and_saveexec_b64 s[2:3], s[4:5]
	s_cbranch_execz .LBB197_222
.LBB197_278:
	s_and_b64 vcc, exec, s[0:1]
	s_cbranch_vccnz .LBB197_280
; %bb.279:
	v_lshl_add_u64 v[48:49], v[112:113], 3, v[130:131]
	flat_load_dwordx2 v[48:49], v[48:49]
	s_waitcnt vmcnt(0) lgkmcnt(0)
	v_mul_f64 v[48:49], v[48:49], s[70:71]
	s_branch .LBB197_281
.LBB197_280:
	v_mov_b64_e32 v[48:49], 0
.LBB197_281:
	v_add_f64 v[46:47], v[46:47], v[48:49]
	v_lshl_add_u64 v[48:49], v[112:113], 3, v[64:65]
	global_store_dwordx2 v[48:49], v[46:47], off
	s_or_b64 exec, exec, s[2:3]
	s_and_b64 s[4:5], s[24:25], s[20:21]
	s_and_saveexec_b64 s[2:3], s[4:5]
	s_cbranch_execz .LBB197_223
.LBB197_282:
	s_and_b64 vcc, exec, s[0:1]
	s_cbranch_vccnz .LBB197_284
; %bb.283:
	v_lshl_add_u64 v[46:47], v[110:111], 3, v[130:131]
	flat_load_dwordx2 v[46:47], v[46:47]
	s_waitcnt vmcnt(0) lgkmcnt(0)
	v_mul_f64 v[46:47], v[46:47], s[70:71]
	s_branch .LBB197_285
.LBB197_284:
	v_mov_b64_e32 v[46:47], 0
.LBB197_285:
	v_add_f64 v[44:45], v[44:45], v[46:47]
	v_lshl_add_u64 v[46:47], v[110:111], 3, v[64:65]
	global_store_dwordx2 v[46:47], v[44:45], off
	s_or_b64 exec, exec, s[2:3]
	s_and_b64 s[4:5], s[24:25], s[22:23]
	s_and_saveexec_b64 s[2:3], s[4:5]
	s_cbranch_execz .LBB197_224
.LBB197_286:
	s_and_b64 vcc, exec, s[0:1]
	s_cbranch_vccnz .LBB197_288
; %bb.287:
	v_lshl_add_u64 v[44:45], v[108:109], 3, v[130:131]
	flat_load_dwordx2 v[44:45], v[44:45]
	s_waitcnt vmcnt(0) lgkmcnt(0)
	v_mul_f64 v[44:45], v[44:45], s[70:71]
	s_branch .LBB197_289
.LBB197_288:
	v_mov_b64_e32 v[44:45], 0
.LBB197_289:
	v_add_f64 v[42:43], v[42:43], v[44:45]
	v_lshl_add_u64 v[44:45], v[108:109], 3, v[64:65]
	global_store_dwordx2 v[44:45], v[42:43], off
	s_or_b64 exec, exec, s[2:3]
	s_and_b64 s[4:5], s[24:25], s[26:27]
	s_and_saveexec_b64 s[2:3], s[4:5]
	s_cbranch_execz .LBB197_225
.LBB197_290:
	s_and_b64 vcc, exec, s[0:1]
	s_cbranch_vccnz .LBB197_292
; %bb.291:
	v_lshl_add_u64 v[42:43], v[106:107], 3, v[130:131]
	flat_load_dwordx2 v[42:43], v[42:43]
	s_waitcnt vmcnt(0) lgkmcnt(0)
	v_mul_f64 v[42:43], v[42:43], s[70:71]
	s_branch .LBB197_293
.LBB197_292:
	v_mov_b64_e32 v[42:43], 0
.LBB197_293:
	v_add_f64 v[40:41], v[40:41], v[42:43]
	v_lshl_add_u64 v[42:43], v[106:107], 3, v[64:65]
	global_store_dwordx2 v[42:43], v[40:41], off
	s_or_b64 exec, exec, s[2:3]
	s_and_b64 s[4:5], s[24:25], s[28:29]
	s_and_saveexec_b64 s[2:3], s[4:5]
	s_cbranch_execz .LBB197_226
.LBB197_294:
	s_and_b64 vcc, exec, s[0:1]
	s_cbranch_vccnz .LBB197_296
; %bb.295:
	v_lshl_add_u64 v[40:41], v[104:105], 3, v[130:131]
	flat_load_dwordx2 v[40:41], v[40:41]
	s_waitcnt vmcnt(0) lgkmcnt(0)
	v_mul_f64 v[40:41], v[40:41], s[70:71]
	s_branch .LBB197_297
.LBB197_296:
	v_mov_b64_e32 v[40:41], 0
.LBB197_297:
	v_add_f64 v[38:39], v[38:39], v[40:41]
	v_lshl_add_u64 v[40:41], v[104:105], 3, v[64:65]
	global_store_dwordx2 v[40:41], v[38:39], off
	s_or_b64 exec, exec, s[2:3]
	s_and_b64 s[4:5], s[24:25], s[30:31]
	s_and_saveexec_b64 s[2:3], s[4:5]
	s_cbranch_execz .LBB197_227
.LBB197_298:
	s_and_b64 vcc, exec, s[0:1]
	s_cbranch_vccnz .LBB197_300
; %bb.299:
	v_lshl_add_u64 v[38:39], v[102:103], 3, v[130:131]
	flat_load_dwordx2 v[38:39], v[38:39]
	s_waitcnt vmcnt(0) lgkmcnt(0)
	v_mul_f64 v[38:39], v[38:39], s[70:71]
	s_branch .LBB197_301
.LBB197_300:
	v_mov_b64_e32 v[38:39], 0
.LBB197_301:
	v_add_f64 v[36:37], v[36:37], v[38:39]
	v_lshl_add_u64 v[38:39], v[102:103], 3, v[64:65]
	global_store_dwordx2 v[38:39], v[36:37], off
	s_or_b64 exec, exec, s[2:3]
	s_and_b64 s[4:5], s[24:25], s[34:35]
	s_and_saveexec_b64 s[2:3], s[4:5]
	s_cbranch_execz .LBB197_228
.LBB197_302:
	s_and_b64 vcc, exec, s[0:1]
	s_cbranch_vccnz .LBB197_304
; %bb.303:
	v_lshl_add_u64 v[36:37], v[100:101], 3, v[130:131]
	flat_load_dwordx2 v[36:37], v[36:37]
	s_waitcnt vmcnt(0) lgkmcnt(0)
	v_mul_f64 v[36:37], v[36:37], s[70:71]
	s_branch .LBB197_305
.LBB197_304:
	v_mov_b64_e32 v[36:37], 0
.LBB197_305:
	v_add_f64 v[34:35], v[34:35], v[36:37]
	v_lshl_add_u64 v[36:37], v[100:101], 3, v[64:65]
	global_store_dwordx2 v[36:37], v[34:35], off
	s_or_b64 exec, exec, s[2:3]
	s_and_b64 s[4:5], s[24:25], s[36:37]
	s_and_saveexec_b64 s[2:3], s[4:5]
	s_cbranch_execz .LBB197_229
.LBB197_306:
	s_and_b64 vcc, exec, s[0:1]
	s_cbranch_vccnz .LBB197_308
; %bb.307:
	v_lshl_add_u64 v[34:35], v[98:99], 3, v[130:131]
	flat_load_dwordx2 v[34:35], v[34:35]
	s_waitcnt vmcnt(0) lgkmcnt(0)
	v_mul_f64 v[34:35], v[34:35], s[70:71]
	s_branch .LBB197_309
.LBB197_308:
	v_mov_b64_e32 v[34:35], 0
.LBB197_309:
	v_add_f64 v[32:33], v[32:33], v[34:35]
	v_lshl_add_u64 v[34:35], v[98:99], 3, v[64:65]
	global_store_dwordx2 v[34:35], v[32:33], off
	s_or_b64 exec, exec, s[2:3]
	s_and_b64 s[4:5], s[24:25], s[38:39]
	s_and_saveexec_b64 s[2:3], s[4:5]
	s_cbranch_execz .LBB197_230
.LBB197_310:
	s_and_b64 vcc, exec, s[0:1]
	s_cbranch_vccnz .LBB197_312
; %bb.311:
	v_lshl_add_u64 v[32:33], v[96:97], 3, v[130:131]
	flat_load_dwordx2 v[32:33], v[32:33]
	s_waitcnt vmcnt(0) lgkmcnt(0)
	v_mul_f64 v[32:33], v[32:33], s[70:71]
	s_branch .LBB197_313
.LBB197_312:
	v_mov_b64_e32 v[32:33], 0
.LBB197_313:
	v_add_f64 v[30:31], v[30:31], v[32:33]
	v_lshl_add_u64 v[32:33], v[96:97], 3, v[64:65]
	global_store_dwordx2 v[32:33], v[30:31], off
	s_or_b64 exec, exec, s[2:3]
	s_and_b64 s[4:5], s[24:25], s[40:41]
	s_and_saveexec_b64 s[2:3], s[4:5]
	s_cbranch_execz .LBB197_231
.LBB197_314:
	s_and_b64 vcc, exec, s[0:1]
	s_cbranch_vccnz .LBB197_316
; %bb.315:
	v_lshl_add_u64 v[30:31], v[94:95], 3, v[130:131]
	flat_load_dwordx2 v[30:31], v[30:31]
	s_waitcnt vmcnt(0) lgkmcnt(0)
	v_mul_f64 v[30:31], v[30:31], s[70:71]
	s_branch .LBB197_317
.LBB197_316:
	v_mov_b64_e32 v[30:31], 0
.LBB197_317:
	v_add_f64 v[28:29], v[28:29], v[30:31]
	v_lshl_add_u64 v[30:31], v[94:95], 3, v[64:65]
	global_store_dwordx2 v[30:31], v[28:29], off
	s_or_b64 exec, exec, s[2:3]
	s_and_b64 s[4:5], s[24:25], s[42:43]
	s_and_saveexec_b64 s[2:3], s[4:5]
	s_cbranch_execz .LBB197_232
.LBB197_318:
	s_and_b64 vcc, exec, s[0:1]
	s_cbranch_vccnz .LBB197_320
; %bb.319:
	v_lshl_add_u64 v[28:29], v[92:93], 3, v[130:131]
	flat_load_dwordx2 v[28:29], v[28:29]
	s_waitcnt vmcnt(0) lgkmcnt(0)
	v_mul_f64 v[28:29], v[28:29], s[70:71]
	s_branch .LBB197_321
.LBB197_320:
	v_mov_b64_e32 v[28:29], 0
.LBB197_321:
	v_add_f64 v[26:27], v[26:27], v[28:29]
	v_lshl_add_u64 v[28:29], v[92:93], 3, v[64:65]
	global_store_dwordx2 v[28:29], v[26:27], off
	s_or_b64 exec, exec, s[2:3]
	s_and_b64 s[4:5], s[24:25], s[44:45]
	s_and_saveexec_b64 s[2:3], s[4:5]
	s_cbranch_execz .LBB197_233
.LBB197_322:
	s_and_b64 vcc, exec, s[0:1]
	s_cbranch_vccnz .LBB197_324
; %bb.323:
	v_lshl_add_u64 v[26:27], v[90:91], 3, v[130:131]
	flat_load_dwordx2 v[26:27], v[26:27]
	s_waitcnt vmcnt(0) lgkmcnt(0)
	v_mul_f64 v[26:27], v[26:27], s[70:71]
	s_branch .LBB197_325
.LBB197_324:
	v_mov_b64_e32 v[26:27], 0
.LBB197_325:
	v_add_f64 v[24:25], v[24:25], v[26:27]
	v_lshl_add_u64 v[26:27], v[90:91], 3, v[64:65]
	global_store_dwordx2 v[26:27], v[24:25], off
	s_or_b64 exec, exec, s[2:3]
	s_and_b64 s[4:5], s[24:25], s[46:47]
	s_and_saveexec_b64 s[2:3], s[4:5]
	s_cbranch_execz .LBB197_234
.LBB197_326:
	s_and_b64 vcc, exec, s[0:1]
	s_cbranch_vccnz .LBB197_328
; %bb.327:
	v_lshl_add_u64 v[24:25], v[88:89], 3, v[130:131]
	flat_load_dwordx2 v[24:25], v[24:25]
	s_waitcnt vmcnt(0) lgkmcnt(0)
	v_mul_f64 v[24:25], v[24:25], s[70:71]
	s_branch .LBB197_329
.LBB197_328:
	v_mov_b64_e32 v[24:25], 0
.LBB197_329:
	v_add_f64 v[22:23], v[22:23], v[24:25]
	v_lshl_add_u64 v[24:25], v[88:89], 3, v[64:65]
	global_store_dwordx2 v[24:25], v[22:23], off
	s_or_b64 exec, exec, s[2:3]
	s_and_b64 s[4:5], s[24:25], s[48:49]
	s_and_saveexec_b64 s[2:3], s[4:5]
	s_cbranch_execz .LBB197_235
.LBB197_330:
	s_and_b64 vcc, exec, s[0:1]
	s_cbranch_vccnz .LBB197_332
; %bb.331:
	v_lshl_add_u64 v[22:23], v[86:87], 3, v[130:131]
	flat_load_dwordx2 v[22:23], v[22:23]
	s_waitcnt vmcnt(0) lgkmcnt(0)
	v_mul_f64 v[22:23], v[22:23], s[70:71]
	s_branch .LBB197_333
.LBB197_332:
	v_mov_b64_e32 v[22:23], 0
.LBB197_333:
	v_add_f64 v[20:21], v[20:21], v[22:23]
	v_lshl_add_u64 v[22:23], v[86:87], 3, v[64:65]
	global_store_dwordx2 v[22:23], v[20:21], off
	s_or_b64 exec, exec, s[2:3]
	s_and_b64 s[4:5], s[24:25], s[50:51]
	s_and_saveexec_b64 s[2:3], s[4:5]
	s_cbranch_execz .LBB197_236
.LBB197_334:
	s_and_b64 vcc, exec, s[0:1]
	s_cbranch_vccnz .LBB197_336
; %bb.335:
	v_lshl_add_u64 v[20:21], v[84:85], 3, v[130:131]
	flat_load_dwordx2 v[20:21], v[20:21]
	s_waitcnt vmcnt(0) lgkmcnt(0)
	v_mul_f64 v[20:21], v[20:21], s[70:71]
	s_branch .LBB197_337
.LBB197_336:
	v_mov_b64_e32 v[20:21], 0
.LBB197_337:
	v_add_f64 v[18:19], v[18:19], v[20:21]
	v_lshl_add_u64 v[20:21], v[84:85], 3, v[64:65]
	global_store_dwordx2 v[20:21], v[18:19], off
	s_or_b64 exec, exec, s[2:3]
	s_and_b64 s[4:5], s[24:25], s[52:53]
	s_and_saveexec_b64 s[2:3], s[4:5]
	s_cbranch_execz .LBB197_237
.LBB197_338:
	s_and_b64 vcc, exec, s[0:1]
	s_cbranch_vccnz .LBB197_340
; %bb.339:
	v_lshl_add_u64 v[18:19], v[82:83], 3, v[130:131]
	flat_load_dwordx2 v[18:19], v[18:19]
	s_waitcnt vmcnt(0) lgkmcnt(0)
	v_mul_f64 v[18:19], v[18:19], s[70:71]
	s_branch .LBB197_341
.LBB197_340:
	v_mov_b64_e32 v[18:19], 0
.LBB197_341:
	v_add_f64 v[16:17], v[16:17], v[18:19]
	v_lshl_add_u64 v[18:19], v[82:83], 3, v[64:65]
	global_store_dwordx2 v[18:19], v[16:17], off
	s_or_b64 exec, exec, s[2:3]
	s_and_b64 s[4:5], s[24:25], s[54:55]
	s_and_saveexec_b64 s[2:3], s[4:5]
	s_cbranch_execz .LBB197_238
.LBB197_342:
	s_and_b64 vcc, exec, s[0:1]
	s_cbranch_vccnz .LBB197_344
; %bb.343:
	v_lshl_add_u64 v[16:17], v[80:81], 3, v[130:131]
	flat_load_dwordx2 v[16:17], v[16:17]
	s_waitcnt vmcnt(0) lgkmcnt(0)
	v_mul_f64 v[16:17], v[16:17], s[70:71]
	s_branch .LBB197_345
.LBB197_344:
	v_mov_b64_e32 v[16:17], 0
.LBB197_345:
	v_add_f64 v[14:15], v[14:15], v[16:17]
	v_lshl_add_u64 v[16:17], v[80:81], 3, v[64:65]
	global_store_dwordx2 v[16:17], v[14:15], off
	s_or_b64 exec, exec, s[2:3]
	s_and_b64 s[4:5], s[24:25], s[56:57]
	s_and_saveexec_b64 s[2:3], s[4:5]
	s_cbranch_execz .LBB197_239
.LBB197_346:
	s_and_b64 vcc, exec, s[0:1]
	s_cbranch_vccnz .LBB197_348
; %bb.347:
	v_lshl_add_u64 v[14:15], v[78:79], 3, v[130:131]
	flat_load_dwordx2 v[14:15], v[14:15]
	s_waitcnt vmcnt(0) lgkmcnt(0)
	v_mul_f64 v[14:15], v[14:15], s[70:71]
	s_branch .LBB197_349
.LBB197_348:
	v_mov_b64_e32 v[14:15], 0
.LBB197_349:
	v_add_f64 v[12:13], v[12:13], v[14:15]
	v_lshl_add_u64 v[14:15], v[78:79], 3, v[64:65]
	global_store_dwordx2 v[14:15], v[12:13], off
	s_or_b64 exec, exec, s[2:3]
	s_and_b64 s[4:5], s[24:25], s[58:59]
	s_and_saveexec_b64 s[2:3], s[4:5]
	s_cbranch_execz .LBB197_240
.LBB197_350:
	s_and_b64 vcc, exec, s[0:1]
	s_cbranch_vccnz .LBB197_352
; %bb.351:
	v_lshl_add_u64 v[12:13], v[76:77], 3, v[130:131]
	flat_load_dwordx2 v[12:13], v[12:13]
	s_waitcnt vmcnt(0) lgkmcnt(0)
	v_mul_f64 v[12:13], v[12:13], s[70:71]
	s_branch .LBB197_353
.LBB197_352:
	v_mov_b64_e32 v[12:13], 0
.LBB197_353:
	v_add_f64 v[10:11], v[10:11], v[12:13]
	v_lshl_add_u64 v[12:13], v[76:77], 3, v[64:65]
	global_store_dwordx2 v[12:13], v[10:11], off
	s_or_b64 exec, exec, s[2:3]
	s_and_b64 s[4:5], s[24:25], s[60:61]
	s_and_saveexec_b64 s[2:3], s[4:5]
	s_cbranch_execz .LBB197_241
.LBB197_354:
	s_and_b64 vcc, exec, s[0:1]
	s_cbranch_vccnz .LBB197_356
; %bb.355:
	v_lshl_add_u64 v[10:11], v[74:75], 3, v[130:131]
	flat_load_dwordx2 v[10:11], v[10:11]
	s_waitcnt vmcnt(0) lgkmcnt(0)
	v_mul_f64 v[10:11], v[10:11], s[70:71]
	s_branch .LBB197_357
.LBB197_356:
	v_mov_b64_e32 v[10:11], 0
.LBB197_357:
	v_add_f64 v[8:9], v[8:9], v[10:11]
	v_lshl_add_u64 v[10:11], v[74:75], 3, v[64:65]
	global_store_dwordx2 v[10:11], v[8:9], off
	s_or_b64 exec, exec, s[2:3]
	s_and_b64 s[4:5], s[24:25], s[62:63]
	s_and_saveexec_b64 s[2:3], s[4:5]
	s_cbranch_execz .LBB197_242
.LBB197_358:
	s_and_b64 vcc, exec, s[0:1]
	s_cbranch_vccnz .LBB197_360
; %bb.359:
	v_lshl_add_u64 v[8:9], v[72:73], 3, v[130:131]
	flat_load_dwordx2 v[8:9], v[8:9]
	s_waitcnt vmcnt(0) lgkmcnt(0)
	v_mul_f64 v[8:9], v[8:9], s[70:71]
	s_branch .LBB197_361
.LBB197_360:
	v_mov_b64_e32 v[8:9], 0
.LBB197_361:
	v_add_f64 v[6:7], v[6:7], v[8:9]
	v_lshl_add_u64 v[8:9], v[72:73], 3, v[64:65]
	global_store_dwordx2 v[8:9], v[6:7], off
	s_or_b64 exec, exec, s[2:3]
	s_and_b64 s[4:5], s[24:25], s[64:65]
	s_and_saveexec_b64 s[2:3], s[4:5]
	s_cbranch_execz .LBB197_243
.LBB197_362:
	s_and_b64 vcc, exec, s[0:1]
	s_cbranch_vccnz .LBB197_364
; %bb.363:
	v_lshl_add_u64 v[6:7], v[70:71], 3, v[130:131]
	flat_load_dwordx2 v[6:7], v[6:7]
	s_waitcnt vmcnt(0) lgkmcnt(0)
	v_mul_f64 v[6:7], v[6:7], s[70:71]
	s_branch .LBB197_365
.LBB197_364:
	v_mov_b64_e32 v[6:7], 0
.LBB197_365:
	v_add_f64 v[4:5], v[4:5], v[6:7]
	v_lshl_add_u64 v[6:7], v[70:71], 3, v[64:65]
	global_store_dwordx2 v[6:7], v[4:5], off
	s_or_b64 exec, exec, s[2:3]
	s_and_b64 s[4:5], s[24:25], s[66:67]
	s_and_saveexec_b64 s[2:3], s[4:5]
	s_cbranch_execz .LBB197_244
.LBB197_366:
	s_and_b64 vcc, exec, s[0:1]
	s_cbranch_vccnz .LBB197_368
; %bb.367:
	v_lshl_add_u64 v[4:5], v[68:69], 3, v[130:131]
	flat_load_dwordx2 v[4:5], v[4:5]
	s_waitcnt vmcnt(0) lgkmcnt(0)
	v_mul_f64 v[4:5], v[4:5], s[70:71]
	s_branch .LBB197_369
.LBB197_368:
	v_mov_b64_e32 v[4:5], 0
.LBB197_369:
	v_add_f64 v[2:3], v[2:3], v[4:5]
	v_lshl_add_u64 v[4:5], v[68:69], 3, v[64:65]
	global_store_dwordx2 v[4:5], v[2:3], off
	s_or_b64 exec, exec, s[2:3]
	s_and_b64 s[2:3], s[24:25], s[68:69]
	s_and_saveexec_b64 s[4:5], s[2:3]
	s_cbranch_execz .LBB197_245
.LBB197_370:
	s_and_b64 vcc, exec, s[0:1]
	s_cbranch_vccnz .LBB197_372
; %bb.371:
	v_lshl_add_u64 v[2:3], v[66:67], 3, v[130:131]
	flat_load_dwordx2 v[2:3], v[2:3]
	s_waitcnt vmcnt(0) lgkmcnt(0)
	v_mul_f64 v[2:3], v[2:3], s[70:71]
	v_add_f64 v[0:1], v[0:1], v[2:3]
	v_lshl_add_u64 v[2:3], v[66:67], 3, v[64:65]
	global_store_dwordx2 v[2:3], v[0:1], off
	s_endpgm
.LBB197_372:
	v_mov_b64_e32 v[2:3], 0
	v_add_f64 v[0:1], v[0:1], v[2:3]
	v_lshl_add_u64 v[2:3], v[66:67], 3, v[64:65]
	global_store_dwordx2 v[2:3], v[0:1], off
	s_endpgm
	.section	.rodata,"a",@progbits
	.p2align	6, 0x0
	.amdhsa_kernel _ZN12_GLOBAL__N_120geam_min_plus_kernelIdddLi4ELi64ELi128ELi128ELi4ELi64ELi4ELi64ELi4ELc78ELc84ELb0ELb1ELb0EdKddEEviiiT16_PT17_ilS4_ilS2_S4_ilPT18_ili26rocblas_geam_ex_operation_
		.amdhsa_group_segment_fixed_size 16384
		.amdhsa_private_segment_fixed_size 0
		.amdhsa_kernarg_size 136
		.amdhsa_user_sgpr_count 2
		.amdhsa_user_sgpr_dispatch_ptr 0
		.amdhsa_user_sgpr_queue_ptr 0
		.amdhsa_user_sgpr_kernarg_segment_ptr 1
		.amdhsa_user_sgpr_dispatch_id 0
		.amdhsa_user_sgpr_kernarg_preload_length 0
		.amdhsa_user_sgpr_kernarg_preload_offset 0
		.amdhsa_user_sgpr_private_segment_size 0
		.amdhsa_uses_dynamic_stack 0
		.amdhsa_enable_private_segment 0
		.amdhsa_system_sgpr_workgroup_id_x 1
		.amdhsa_system_sgpr_workgroup_id_y 0
		.amdhsa_system_sgpr_workgroup_id_z 1
		.amdhsa_system_sgpr_workgroup_info 0
		.amdhsa_system_vgpr_workitem_id 1
		.amdhsa_next_free_vgpr 252
		.amdhsa_next_free_sgpr 82
		.amdhsa_accum_offset 252
		.amdhsa_reserve_vcc 1
		.amdhsa_float_round_mode_32 0
		.amdhsa_float_round_mode_16_64 0
		.amdhsa_float_denorm_mode_32 3
		.amdhsa_float_denorm_mode_16_64 3
		.amdhsa_dx10_clamp 1
		.amdhsa_ieee_mode 1
		.amdhsa_fp16_overflow 0
		.amdhsa_tg_split 0
		.amdhsa_exception_fp_ieee_invalid_op 0
		.amdhsa_exception_fp_denorm_src 0
		.amdhsa_exception_fp_ieee_div_zero 0
		.amdhsa_exception_fp_ieee_overflow 0
		.amdhsa_exception_fp_ieee_underflow 0
		.amdhsa_exception_fp_ieee_inexact 0
		.amdhsa_exception_int_div_zero 0
	.end_amdhsa_kernel
	.section	.text._ZN12_GLOBAL__N_120geam_min_plus_kernelIdddLi4ELi64ELi128ELi128ELi4ELi64ELi4ELi64ELi4ELc78ELc84ELb0ELb1ELb0EdKddEEviiiT16_PT17_ilS4_ilS2_S4_ilPT18_ili26rocblas_geam_ex_operation_,"axG",@progbits,_ZN12_GLOBAL__N_120geam_min_plus_kernelIdddLi4ELi64ELi128ELi128ELi4ELi64ELi4ELi64ELi4ELc78ELc84ELb0ELb1ELb0EdKddEEviiiT16_PT17_ilS4_ilS2_S4_ilPT18_ili26rocblas_geam_ex_operation_,comdat
.Lfunc_end197:
	.size	_ZN12_GLOBAL__N_120geam_min_plus_kernelIdddLi4ELi64ELi128ELi128ELi4ELi64ELi4ELi64ELi4ELc78ELc84ELb0ELb1ELb0EdKddEEviiiT16_PT17_ilS4_ilS2_S4_ilPT18_ili26rocblas_geam_ex_operation_, .Lfunc_end197-_ZN12_GLOBAL__N_120geam_min_plus_kernelIdddLi4ELi64ELi128ELi128ELi4ELi64ELi4ELi64ELi4ELc78ELc84ELb0ELb1ELb0EdKddEEviiiT16_PT17_ilS4_ilS2_S4_ilPT18_ili26rocblas_geam_ex_operation_
                                        ; -- End function
	.section	.AMDGPU.csdata,"",@progbits
; Kernel info:
; codeLenInByte = 14692
; NumSgprs: 88
; NumVgprs: 252
; NumAgprs: 0
; TotalNumVgprs: 252
; ScratchSize: 0
; MemoryBound: 0
; FloatMode: 240
; IeeeMode: 1
; LDSByteSize: 16384 bytes/workgroup (compile time only)
; SGPRBlocks: 10
; VGPRBlocks: 31
; NumSGPRsForWavesPerEU: 88
; NumVGPRsForWavesPerEU: 252
; AccumOffset: 252
; Occupancy: 2
; WaveLimiterHint : 0
; COMPUTE_PGM_RSRC2:SCRATCH_EN: 0
; COMPUTE_PGM_RSRC2:USER_SGPR: 2
; COMPUTE_PGM_RSRC2:TRAP_HANDLER: 0
; COMPUTE_PGM_RSRC2:TGID_X_EN: 1
; COMPUTE_PGM_RSRC2:TGID_Y_EN: 0
; COMPUTE_PGM_RSRC2:TGID_Z_EN: 1
; COMPUTE_PGM_RSRC2:TIDIG_COMP_CNT: 1
; COMPUTE_PGM_RSRC3_GFX90A:ACCUM_OFFSET: 62
; COMPUTE_PGM_RSRC3_GFX90A:TG_SPLIT: 0
	.section	.text._ZN12_GLOBAL__N_120geam_min_plus_kernelIdddLi4ELi64ELi128ELi128ELi4ELi4ELi64ELi64ELi4ELc84ELc84ELb0ELb0ELb0EPKdS1_dEEviiiT16_PT17_ilS5_ilS3_S5_ilPT18_ili26rocblas_geam_ex_operation_,"axG",@progbits,_ZN12_GLOBAL__N_120geam_min_plus_kernelIdddLi4ELi64ELi128ELi128ELi4ELi4ELi64ELi64ELi4ELc84ELc84ELb0ELb0ELb0EPKdS1_dEEviiiT16_PT17_ilS5_ilS3_S5_ilPT18_ili26rocblas_geam_ex_operation_,comdat
	.globl	_ZN12_GLOBAL__N_120geam_min_plus_kernelIdddLi4ELi64ELi128ELi128ELi4ELi4ELi64ELi64ELi4ELc84ELc84ELb0ELb0ELb0EPKdS1_dEEviiiT16_PT17_ilS5_ilS3_S5_ilPT18_ili26rocblas_geam_ex_operation_ ; -- Begin function _ZN12_GLOBAL__N_120geam_min_plus_kernelIdddLi4ELi64ELi128ELi128ELi4ELi4ELi64ELi64ELi4ELc84ELc84ELb0ELb0ELb0EPKdS1_dEEviiiT16_PT17_ilS5_ilS3_S5_ilPT18_ili26rocblas_geam_ex_operation_
	.p2align	8
	.type	_ZN12_GLOBAL__N_120geam_min_plus_kernelIdddLi4ELi64ELi128ELi128ELi4ELi4ELi64ELi64ELi4ELc84ELc84ELb0ELb0ELb0EPKdS1_dEEviiiT16_PT17_ilS5_ilS3_S5_ilPT18_ili26rocblas_geam_ex_operation_,@function
_ZN12_GLOBAL__N_120geam_min_plus_kernelIdddLi4ELi64ELi128ELi128ELi4ELi4ELi64ELi64ELi4ELc84ELc84ELb0ELb0ELb0EPKdS1_dEEviiiT16_PT17_ilS5_ilS3_S5_ilPT18_ili26rocblas_geam_ex_operation_: ; @_ZN12_GLOBAL__N_120geam_min_plus_kernelIdddLi4ELi64ELi128ELi128ELi4ELi4ELi64ELi64ELi4ELc84ELc84ELb0ELb0ELb0EPKdS1_dEEviiiT16_PT17_ilS5_ilS3_S5_ilPT18_ili26rocblas_geam_ex_operation_
; %bb.0:
	s_load_dwordx4 s[12:15], s[0:1], 0x10
	s_load_dwordx4 s[4:7], s[0:1], 0x28
	s_mov_b32 s16, s3
	s_mov_b32 s17, 0
	s_lshl_b64 s[20:21], s[16:17], 3
	s_waitcnt lgkmcnt(0)
	s_add_u32 s12, s12, s20
	s_load_dwordx4 s[8:11], s[0:1], 0x40
	s_addc_u32 s13, s13, s21
	s_load_dwordx2 s[18:19], s[12:13], 0x0
	s_load_dwordx2 s[24:25], s[0:1], 0x50
	s_mov_b64 s[22:23], 0
	s_waitcnt lgkmcnt(0)
	s_add_u32 s10, s10, s20
	v_cmp_eq_f64_e64 s[12:13], s[18:19], 0
	s_addc_u32 s11, s11, s21
	v_cmp_neq_f64_e64 s[26:27], s[18:19], 0
	s_and_b64 vcc, exec, s[12:13]
	s_mov_b64 s[20:21], 0
	s_cbranch_vccnz .LBB198_2
; %bb.1:
	s_mul_i32 s3, s16, s5
	s_mul_hi_u32 s5, s16, s4
	s_add_i32 s5, s5, s3
	s_mul_i32 s4, s16, s4
	s_lshl_b64 s[4:5], s[4:5], 3
	s_add_u32 s20, s14, s4
	s_addc_u32 s21, s15, s5
.LBB198_2:
	s_load_dwordx2 s[12:13], s[10:11], 0x0
	v_cndmask_b32_e64 v1, 0, 1, s[26:27]
	v_cmp_ne_u32_e64 s[4:5], 1, v1
	s_andn2_b64 vcc, exec, s[26:27]
	s_cbranch_vccnz .LBB198_4
; %bb.3:
	s_mul_i32 s3, s16, s9
	s_mul_hi_u32 s9, s16, s8
	s_add_i32 s9, s9, s3
	s_mul_i32 s8, s16, s8
	s_lshl_b64 s[8:9], s[8:9], 3
	s_add_u32 s22, s6, s8
	s_addc_u32 s23, s7, s9
.LBB198_4:
	s_load_dwordx4 s[8:11], s[0:1], 0x60
	s_waitcnt lgkmcnt(0)
	v_cmp_eq_f64_e64 s[6:7], s[12:13], 0
	s_and_b64 s[6:7], exec, s[6:7]
	s_mov_b64 s[14:15], 0
	s_mov_b64 vcc, s[6:7]
	s_cbranch_vccnz .LBB198_6
; %bb.5:
	s_mul_i32 s3, s16, s9
	s_mul_hi_u32 s9, s16, s8
	s_add_i32 s9, s9, s3
	s_mul_i32 s8, s16, s8
	s_lshl_b64 s[8:9], s[8:9], 3
	s_add_u32 s14, s24, s8
	s_addc_u32 s15, s25, s9
.LBB198_6:
	s_load_dword s3, s[0:1], 0x0
	s_load_dword s25, s[0:1], 0x20
	v_and_b32_e32 v144, 0x3ff, v0
	v_bfe_u32 v145, v0, 10, 10
	v_lshl_add_u32 v6, v145, 2, v144
	s_waitcnt lgkmcnt(0)
	s_add_i32 s3, s3, -1
	s_ashr_i32 s8, s3, 31
	s_lshr_b32 s8, s8, 25
	s_add_i32 s3, s3, s8
	s_ashr_i32 s3, s3, 7
	s_add_i32 s8, s3, 1
	v_cvt_f32_u32_e32 v1, s8
	s_not_b32 s3, s3
	v_lshrrev_b32_e32 v10, 2, v6
	v_and_b32_e32 v146, 3, v144
	v_rcp_iflag_f32_e32 v1, v1
	s_nop 0
	v_mul_f32_e32 v0, 0x4f7ffffe, v1
	v_cvt_u32_f32_e32 v0, v0
	s_nop 0
	v_readfirstlane_b32 s9, v0
	s_mul_i32 s3, s3, s9
	s_mul_hi_u32 s3, s9, s3
	s_add_i32 s9, s9, s3
	s_mul_hi_u32 s3, s2, s9
	s_mul_i32 s9, s3, s8
	s_sub_i32 s9, s2, s9
	s_add_i32 s17, s3, 1
	s_sub_i32 s24, s9, s8
	s_cmp_ge_u32 s9, s8
	s_cselect_b32 s3, s17, s3
	s_cselect_b32 s9, s24, s9
	s_add_i32 s17, s3, 1
	s_cmp_ge_u32 s9, s8
	s_cselect_b32 s3, s17, s3
	s_mul_i32 s8, s3, s8
	s_sub_i32 s2, s2, s8
	s_lshl_b32 s8, s2, 7
	v_add_u32_e32 v139, s8, v10
	s_and_b64 vcc, exec, s[4:5]
	v_lshlrev_b32_e32 v0, 3, v146
	v_add_u32_e32 v138, 64, v139
	s_cbranch_vccnz .LBB198_8
; %bb.7:
	v_mov_b32_e32 v1, 0
	v_lshl_add_u64 v[2:3], s[20:21], 0, v[0:1]
	v_mad_i64_i32 v[4:5], s[26:27], v139, s25, 0
	v_lshl_add_u64 v[4:5], v[4:5], 3, v[2:3]
	v_mad_i64_i32 v[8:9], s[26:27], v138, s25, 0
	v_lshl_add_u64 v[2:3], v[8:9], 3, v[2:3]
	flat_load_dwordx2 v[8:9], v[4:5]
	flat_load_dwordx2 v[12:13], v[2:3]
	s_waitcnt vmcnt(0) lgkmcnt(0)
	v_mul_f64 v[2:3], s[18:19], v[8:9]
	v_mul_f64 v[4:5], s[18:19], v[12:13]
	s_branch .LBB198_9
.LBB198_8:
	v_mov_b64_e32 v[2:3], 0
	v_mov_b64_e32 v[4:5], 0
.LBB198_9:
	s_load_dword s17, s[0:1], 0x38
	v_and_b32_e32 v11, 63, v6
	s_lshl_b32 s9, s3, 7
	v_or_b32_e32 v132, s9, v11
	v_lshrrev_b32_e32 v147, 6, v6
	s_and_b64 vcc, exec, s[4:5]
	s_waitcnt lgkmcnt(0)
	s_ashr_i32 s24, s17, 31
	v_ashrrev_i32_e32 v133, 31, v132
	s_cbranch_vccnz .LBB198_13
; %bb.10:
	v_mad_i64_i32 v[6:7], s[2:3], s17, v147, 0
	v_lshl_add_u64 v[6:7], v[6:7], 3, s[22:23]
	v_lshl_add_u64 v[6:7], v[132:133], 3, v[6:7]
	flat_load_dwordx2 v[8:9], v[6:7]
	flat_load_dwordx2 v[12:13], v[6:7] offset:512
	s_waitcnt vmcnt(0) lgkmcnt(0)
	v_mul_f64 v[6:7], s[18:19], v[8:9]
	v_mul_f64 v[8:9], s[18:19], v[12:13]
	s_and_b64 vcc, exec, s[4:5]
	s_cbranch_vccnz .LBB198_14
.LBB198_11:
	v_mov_b32_e32 v1, 0
	v_lshl_add_u64 v[12:13], s[20:21], 0, v[0:1]
	v_mad_i64_i32 v[14:15], s[2:3], v139, s25, 0
	v_lshl_add_u64 v[14:15], v[14:15], 3, v[12:13]
	v_mad_i64_i32 v[16:17], s[2:3], v138, s25, 0
	v_lshl_add_u64 v[12:13], v[16:17], 3, v[12:13]
	flat_load_dwordx2 v[16:17], v[14:15] offset:32
	flat_load_dwordx2 v[18:19], v[12:13] offset:32
	s_waitcnt vmcnt(0) lgkmcnt(0)
	v_mul_f64 v[128:129], s[18:19], v[16:17]
	v_mul_f64 v[130:131], s[18:19], v[18:19]
	s_and_b64 vcc, exec, s[4:5]
	v_add_u32_e32 v148, 4, v147
	s_cbranch_vccnz .LBB198_15
.LBB198_12:
	v_mad_i64_i32 v[12:13], s[2:3], s17, v148, 0
	v_lshl_add_u64 v[12:13], v[12:13], 3, s[22:23]
	v_lshl_add_u64 v[12:13], v[132:133], 3, v[12:13]
	flat_load_dwordx2 v[14:15], v[12:13]
	flat_load_dwordx2 v[16:17], v[12:13] offset:512
	s_waitcnt vmcnt(0) lgkmcnt(0)
	v_mul_f64 v[134:135], s[18:19], v[14:15]
	v_mul_f64 v[136:137], s[18:19], v[16:17]
	s_branch .LBB198_16
.LBB198_13:
	v_mov_b64_e32 v[6:7], 0
	v_mov_b64_e32 v[8:9], 0
	s_and_b64 vcc, exec, s[4:5]
	s_cbranch_vccz .LBB198_11
.LBB198_14:
	v_mov_b64_e32 v[128:129], 0
	v_mov_b64_e32 v[130:131], 0
	s_and_b64 vcc, exec, s[4:5]
	v_add_u32_e32 v148, 4, v147
	s_cbranch_vccz .LBB198_12
.LBB198_15:
	v_mov_b64_e32 v[134:135], 0
	v_mov_b64_e32 v[136:137], 0
.LBB198_16:
	v_lshl_or_b32 v149, v10, 5, v0
	v_lshlrev_b32_e32 v0, 5, v11
	v_lshl_add_u32 v141, v147, 3, v0
	v_lshlrev_b32_e32 v140, 5, v145
	ds_write2st64_b64 v149, v[2:3], v[4:5] offset1:4
	v_or_b32_e32 v150, 0x2000, v141
	ds_write2st64_b64 v141, v[6:7], v[8:9] offset0:16 offset1:20
	v_lshlrev_b32_e32 v151, 5, v144
	v_add_u32_e32 v152, 0x2000, v140
	s_mov_b32 s2, 0
	v_mov_b64_e32 v[126:127], 0
	v_mov_b64_e32 v[124:125], 0
	;; [unrolled: 1-line block ×64, first 2 shown]
	s_waitcnt lgkmcnt(0)
	s_barrier
.LBB198_17:                             ; =>This Inner Loop Header: Depth=1
	v_add_u32_e32 v142, s2, v151
	v_add_u32_e32 v143, s2, v152
	ds_read2_b64 v[154:157], v142 offset1:16
	ds_read2_b64 v[158:161], v142 offset0:32 offset1:48
	ds_read2_b64 v[162:165], v142 offset0:64 offset1:80
	;; [unrolled: 1-line block ×7, first 2 shown]
	ds_read2st64_b64 v[186:189], v143 offset1:4
	v_add_u32_e32 v142, 0x800, v142
	ds_read2_b64 v[190:193], v142 offset1:16
	ds_read2_b64 v[194:197], v142 offset0:32 offset1:48
	ds_read2_b64 v[198:201], v142 offset0:64 offset1:80
	;; [unrolled: 1-line block ×7, first 2 shown]
	s_waitcnt lgkmcnt(14)
	v_max_f64 v[142:143], v[154:155], v[154:155]
	v_max_f64 v[154:155], v[156:157], v[156:157]
	;; [unrolled: 1-line block ×6, first 2 shown]
	s_waitcnt lgkmcnt(13)
	v_max_f64 v[164:165], v[166:167], v[166:167]
	v_max_f64 v[166:167], v[168:169], v[168:169]
	s_waitcnt lgkmcnt(12)
	v_max_f64 v[168:169], v[170:171], v[170:171]
	v_max_f64 v[170:171], v[172:173], v[172:173]
	;; [unrolled: 3-line block ×14, first 2 shown]
	v_min_f64 v[220:221], v[142:143], v[184:185]
	v_min_f64 v[222:223], v[154:155], v[184:185]
	;; [unrolled: 1-line block ×32, first 2 shown]
	s_add_i32 s2, s2, 8
	v_add_f64 v[62:63], v[142:143], v[62:63]
	v_add_f64 v[60:61], v[154:155], v[60:61]
	;; [unrolled: 1-line block ×16, first 2 shown]
	v_min_f64 v[142:143], v[188:189], v[184:185]
	v_min_f64 v[154:155], v[190:191], v[184:185]
	;; [unrolled: 1-line block ×32, first 2 shown]
	s_cmp_eq_u32 s2, 32
	v_add_f64 v[126:127], v[220:221], v[126:127]
	v_add_f64 v[124:125], v[222:223], v[124:125]
	v_add_f64 v[122:123], v[224:225], v[122:123]
	v_add_f64 v[120:121], v[226:227], v[120:121]
	v_add_f64 v[118:119], v[228:229], v[118:119]
	v_add_f64 v[116:117], v[230:231], v[116:117]
	v_add_f64 v[114:115], v[232:233], v[114:115]
	v_add_f64 v[112:113], v[234:235], v[112:113]
	v_add_f64 v[110:111], v[236:237], v[110:111]
	v_add_f64 v[108:109], v[238:239], v[108:109]
	v_add_f64 v[106:107], v[240:241], v[106:107]
	v_add_f64 v[104:105], v[242:243], v[104:105]
	v_add_f64 v[102:103], v[244:245], v[102:103]
	v_add_f64 v[100:101], v[246:247], v[100:101]
	v_add_f64 v[98:99], v[248:249], v[98:99]
	v_add_f64 v[96:97], v[250:251], v[96:97]
	v_add_f64 v[94:95], v[142:143], v[94:95]
	v_add_f64 v[92:93], v[154:155], v[92:93]
	v_add_f64 v[90:91], v[156:157], v[90:91]
	v_add_f64 v[88:89], v[158:159], v[88:89]
	v_add_f64 v[86:87], v[160:161], v[86:87]
	v_add_f64 v[84:85], v[162:163], v[84:85]
	v_add_f64 v[82:83], v[164:165], v[82:83]
	v_add_f64 v[80:81], v[166:167], v[80:81]
	v_add_f64 v[78:79], v[168:169], v[78:79]
	v_add_f64 v[76:77], v[170:171], v[76:77]
	v_add_f64 v[74:75], v[172:173], v[74:75]
	v_add_f64 v[72:73], v[174:175], v[72:73]
	v_add_f64 v[70:71], v[176:177], v[70:71]
	v_add_f64 v[68:69], v[178:179], v[68:69]
	v_add_f64 v[66:67], v[180:181], v[66:67]
	v_add_f64 v[64:65], v[182:183], v[64:65]
	v_add_f64 v[30:31], v[184:185], v[30:31]
	v_add_f64 v[28:29], v[188:189], v[28:29]
	v_add_f64 v[26:27], v[190:191], v[26:27]
	v_add_f64 v[24:25], v[192:193], v[24:25]
	v_add_f64 v[22:23], v[194:195], v[22:23]
	v_add_f64 v[20:21], v[196:197], v[20:21]
	v_add_f64 v[18:19], v[198:199], v[18:19]
	v_add_f64 v[16:17], v[200:201], v[16:17]
	v_add_f64 v[14:15], v[202:203], v[14:15]
	v_add_f64 v[12:13], v[204:205], v[12:13]
	v_add_f64 v[10:11], v[206:207], v[10:11]
	v_add_f64 v[8:9], v[208:209], v[8:9]
	v_add_f64 v[6:7], v[210:211], v[6:7]
	v_add_f64 v[4:5], v[212:213], v[4:5]
	v_add_f64 v[2:3], v[214:215], v[2:3]
	v_add_f64 v[0:1], v[186:187], v[0:1]
	s_cbranch_scc0 .LBB198_17
; %bb.18:
	s_load_dword s26, s[0:1], 0x8
	ds_write2st64_b64 v149, v[128:129], v[130:131] offset0:8 offset1:12
	ds_write2st64_b64 v141, v[134:135], v[136:137] offset0:24 offset1:28
	s_waitcnt lgkmcnt(0)
	s_barrier
	s_cmp_gt_i32 s26, 8
	s_cbranch_scc1 .LBB198_20
; %bb.19:
	v_add_u32_e32 v153, 0x1000, v151
	v_add_u32_e32 v154, 0x3000, v140
	s_cbranch_execz .LBB198_21
	s_branch .LBB198_37
.LBB198_20:
                                        ; implicit-def: $vgpr153
                                        ; implicit-def: $vgpr154
.LBB198_21:
	v_add_u32_e32 v155, 0x1000, v149
	v_or_b32_e32 v156, 0x3000, v141
	s_add_i32 s2, s26, -8
	v_mad_i64_i32 v[128:129], s[26:27], v139, s25, 0
	v_mad_i64_i32 v[130:131], s[26:27], v138, s25, 0
	v_lshl_add_u64 v[132:133], v[132:133], 3, s[22:23]
	v_add_u32_e32 v153, 0x1000, v151
	v_add_u32_e32 v154, 0x3000, v140
	s_mov_b32 s3, 8
	s_mov_b32 s22, 0
	v_mov_b32_e32 v135, 0
.LBB198_22:                             ; =>This Loop Header: Depth=1
                                        ;     Child Loop BB198_28 Depth 2
                                        ;     Child Loop BB198_35 Depth 2
	s_and_b64 vcc, exec, s[4:5]
	s_cbranch_vccnz .LBB198_25
; %bb.23:                               ;   in Loop: Header=BB198_22 Depth=1
	v_or_b32_e32 v134, s3, v146
	v_lshl_add_u64 v[136:137], v[134:135], 3, s[20:21]
	v_lshl_add_u64 v[138:139], v[128:129], 3, v[136:137]
	v_lshl_add_u64 v[136:137], v[130:131], 3, v[136:137]
	flat_load_dwordx2 v[138:139], v[138:139]
	s_nop 0
	flat_load_dwordx2 v[140:141], v[136:137]
	s_waitcnt vmcnt(0) lgkmcnt(0)
	v_mul_f64 v[136:137], s[18:19], v[138:139]
	v_mul_f64 v[138:139], s[18:19], v[140:141]
	s_and_b64 vcc, exec, s[4:5]
	s_cbranch_vccnz .LBB198_26
.LBB198_24:                             ;   in Loop: Header=BB198_22 Depth=1
	v_add_u32_e32 v142, s3, v147
	v_mad_u64_u32 v[140:141], s[26:27], v142, s17, 0
	v_mov_b32_e32 v134, v141
	v_mad_u64_u32 v[142:143], s[26:27], v142, s24, v[134:135]
	v_mov_b32_e32 v141, v142
	v_lshl_add_u64 v[140:141], v[140:141], 3, v[132:133]
	flat_load_dwordx2 v[142:143], v[140:141]
	flat_load_dwordx2 v[158:159], v[140:141] offset:512
	s_waitcnt vmcnt(0) lgkmcnt(0)
	v_mul_f64 v[140:141], s[18:19], v[142:143]
	v_mul_f64 v[142:143], s[18:19], v[158:159]
	s_branch .LBB198_27
.LBB198_25:                             ;   in Loop: Header=BB198_22 Depth=1
	v_mov_b64_e32 v[136:137], 0
	v_mov_b64_e32 v[138:139], 0
	s_and_b64 vcc, exec, s[4:5]
	s_cbranch_vccz .LBB198_24
.LBB198_26:                             ;   in Loop: Header=BB198_22 Depth=1
	v_mov_b64_e32 v[140:141], 0
	v_mov_b64_e32 v[142:143], 0
.LBB198_27:                             ;   in Loop: Header=BB198_22 Depth=1
	s_mov_b32 s23, 0
.LBB198_28:                             ;   Parent Loop BB198_22 Depth=1
                                        ; =>  This Inner Loop Header: Depth=2
	v_add_u32_e32 v134, s23, v153
	ds_read2_b64 v[158:161], v134 offset1:16
	ds_read2_b64 v[162:165], v134 offset0:32 offset1:48
	ds_read2_b64 v[166:169], v134 offset0:64 offset1:80
	;; [unrolled: 1-line block ×7, first 2 shown]
	v_add_u32_e32 v134, 0x800, v134
	ds_read2_b64 v[190:193], v134 offset1:16
	ds_read2_b64 v[194:197], v134 offset0:32 offset1:48
	ds_read2_b64 v[198:201], v134 offset0:64 offset1:80
	;; [unrolled: 1-line block ×7, first 2 shown]
	v_add_u32_e32 v134, s23, v154
	ds_read2st64_b64 v[222:225], v134 offset1:4
	s_waitcnt lgkmcnt(14)
	v_max_f64 v[158:159], v[158:159], v[158:159]
	v_max_f64 v[160:161], v[160:161], v[160:161]
	;; [unrolled: 1-line block ×4, first 2 shown]
	s_waitcnt lgkmcnt(0)
	v_max_f64 v[222:223], v[222:223], v[222:223]
	v_min_f64 v[226:227], v[158:159], v[222:223]
	v_add_f64 v[126:127], v[226:227], v[126:127]
	v_min_f64 v[226:227], v[160:161], v[222:223]
	v_add_f64 v[124:125], v[226:227], v[124:125]
	;; [unrolled: 2-line block ×3, first 2 shown]
	v_min_f64 v[226:227], v[164:165], v[222:223]
	v_max_f64 v[166:167], v[166:167], v[166:167]
	v_add_f64 v[120:121], v[226:227], v[120:121]
	v_min_f64 v[226:227], v[166:167], v[222:223]
	v_max_f64 v[168:169], v[168:169], v[168:169]
	v_add_f64 v[118:119], v[226:227], v[118:119]
	;; [unrolled: 3-line block ×26, first 2 shown]
	v_min_f64 v[226:227], v[216:217], v[222:223]
	v_max_f64 v[218:219], v[218:219], v[218:219]
	v_max_f64 v[220:221], v[220:221], v[220:221]
	v_add_f64 v[68:69], v[226:227], v[68:69]
	v_min_f64 v[226:227], v[218:219], v[222:223]
	v_min_f64 v[222:223], v[220:221], v[222:223]
	v_add_f64 v[64:65], v[222:223], v[64:65]
	v_max_f64 v[222:223], v[224:225], v[224:225]
	v_min_f64 v[158:159], v[158:159], v[222:223]
	v_add_f64 v[62:63], v[158:159], v[62:63]
	v_min_f64 v[158:159], v[160:161], v[222:223]
	v_add_f64 v[60:61], v[158:159], v[60:61]
	;; [unrolled: 2-line block ×31, first 2 shown]
	v_min_f64 v[158:159], v[220:221], v[222:223]
	s_add_i32 s23, s23, 8
	v_add_f64 v[66:67], v[226:227], v[66:67]
	v_add_f64 v[0:1], v[158:159], v[0:1]
	s_cmp_eq_u32 s23, 32
	s_cbranch_scc0 .LBB198_28
; %bb.29:                               ;   in Loop: Header=BB198_22 Depth=1
	s_and_b64 vcc, exec, s[4:5]
	ds_write2st64_b64 v149, v[136:137], v[138:139] offset1:4
	ds_write2st64_b64 v150, v[140:141], v[142:143] offset1:4
	s_waitcnt lgkmcnt(0)
	s_barrier
	s_cbranch_vccnz .LBB198_32
; %bb.30:                               ;   in Loop: Header=BB198_22 Depth=1
	v_or_b32_e32 v134, s3, v146
	v_lshl_add_u64 v[136:137], v[134:135], 3, s[20:21]
	v_lshl_add_u64 v[138:139], v[128:129], 3, v[136:137]
	;; [unrolled: 1-line block ×3, first 2 shown]
	flat_load_dwordx2 v[138:139], v[138:139] offset:32
	s_nop 0
	flat_load_dwordx2 v[140:141], v[136:137] offset:32
	s_waitcnt vmcnt(0) lgkmcnt(0)
	v_mul_f64 v[136:137], s[18:19], v[138:139]
	v_mul_f64 v[138:139], s[18:19], v[140:141]
	s_and_b64 vcc, exec, s[4:5]
	s_cbranch_vccnz .LBB198_33
.LBB198_31:                             ;   in Loop: Header=BB198_22 Depth=1
	v_add_u32_e32 v142, s3, v148
	v_mad_u64_u32 v[140:141], s[26:27], v142, s17, 0
	v_mov_b32_e32 v134, v141
	v_mad_u64_u32 v[142:143], s[26:27], v142, s24, v[134:135]
	v_mov_b32_e32 v141, v142
	v_lshl_add_u64 v[140:141], v[140:141], 3, v[132:133]
	flat_load_dwordx2 v[142:143], v[140:141]
	flat_load_dwordx2 v[158:159], v[140:141] offset:512
	s_waitcnt vmcnt(0) lgkmcnt(0)
	v_mul_f64 v[140:141], s[18:19], v[142:143]
	v_mul_f64 v[142:143], s[18:19], v[158:159]
	s_branch .LBB198_34
.LBB198_32:                             ;   in Loop: Header=BB198_22 Depth=1
	v_mov_b64_e32 v[136:137], 0
	v_mov_b64_e32 v[138:139], 0
	s_and_b64 vcc, exec, s[4:5]
	s_cbranch_vccz .LBB198_31
.LBB198_33:                             ;   in Loop: Header=BB198_22 Depth=1
	v_mov_b64_e32 v[140:141], 0
	v_mov_b64_e32 v[142:143], 0
.LBB198_34:                             ;   in Loop: Header=BB198_22 Depth=1
	s_mov_b32 s23, 0
.LBB198_35:                             ;   Parent Loop BB198_22 Depth=1
                                        ; =>  This Inner Loop Header: Depth=2
	v_add_u32_e32 v134, s23, v151
	ds_read2_b64 v[158:161], v134 offset1:16
	ds_read2_b64 v[162:165], v134 offset0:32 offset1:48
	ds_read2_b64 v[166:169], v134 offset0:64 offset1:80
	;; [unrolled: 1-line block ×7, first 2 shown]
	v_add_u32_e32 v134, 0x800, v134
	ds_read2_b64 v[190:193], v134 offset1:16
	ds_read2_b64 v[194:197], v134 offset0:32 offset1:48
	ds_read2_b64 v[198:201], v134 offset0:64 offset1:80
	;; [unrolled: 1-line block ×7, first 2 shown]
	v_add_u32_e32 v134, s23, v152
	ds_read2st64_b64 v[222:225], v134 offset1:4
	s_waitcnt lgkmcnt(14)
	v_max_f64 v[158:159], v[158:159], v[158:159]
	v_max_f64 v[160:161], v[160:161], v[160:161]
	;; [unrolled: 1-line block ×4, first 2 shown]
	s_waitcnt lgkmcnt(0)
	v_max_f64 v[222:223], v[222:223], v[222:223]
	v_min_f64 v[226:227], v[158:159], v[222:223]
	v_add_f64 v[126:127], v[226:227], v[126:127]
	v_min_f64 v[226:227], v[160:161], v[222:223]
	v_add_f64 v[124:125], v[226:227], v[124:125]
	;; [unrolled: 2-line block ×3, first 2 shown]
	v_min_f64 v[226:227], v[164:165], v[222:223]
	v_max_f64 v[166:167], v[166:167], v[166:167]
	v_add_f64 v[120:121], v[226:227], v[120:121]
	v_min_f64 v[226:227], v[166:167], v[222:223]
	v_max_f64 v[168:169], v[168:169], v[168:169]
	v_add_f64 v[118:119], v[226:227], v[118:119]
	;; [unrolled: 3-line block ×26, first 2 shown]
	v_min_f64 v[226:227], v[216:217], v[222:223]
	v_max_f64 v[218:219], v[218:219], v[218:219]
	v_max_f64 v[220:221], v[220:221], v[220:221]
	v_add_f64 v[68:69], v[226:227], v[68:69]
	v_min_f64 v[226:227], v[218:219], v[222:223]
	v_min_f64 v[222:223], v[220:221], v[222:223]
	v_add_f64 v[64:65], v[222:223], v[64:65]
	v_max_f64 v[222:223], v[224:225], v[224:225]
	v_min_f64 v[158:159], v[158:159], v[222:223]
	v_add_f64 v[62:63], v[158:159], v[62:63]
	v_min_f64 v[158:159], v[160:161], v[222:223]
	v_add_f64 v[60:61], v[158:159], v[60:61]
	;; [unrolled: 2-line block ×31, first 2 shown]
	v_min_f64 v[158:159], v[220:221], v[222:223]
	s_add_i32 s23, s23, 8
	v_add_f64 v[66:67], v[226:227], v[66:67]
	v_add_f64 v[0:1], v[158:159], v[0:1]
	s_cmp_eq_u32 s23, 32
	s_cbranch_scc0 .LBB198_35
; %bb.36:                               ;   in Loop: Header=BB198_22 Depth=1
	s_add_i32 s3, s3, 8
	s_add_i32 s22, s22, 8
	s_cmp_ge_i32 s22, s2
	ds_write2st64_b64 v155, v[136:137], v[138:139] offset1:4
	ds_write2st64_b64 v156, v[140:141], v[142:143] offset1:4
	s_waitcnt lgkmcnt(0)
	s_barrier
	s_cbranch_scc0 .LBB198_22
.LBB198_37:
	s_mov_b32 s2, 0
.LBB198_38:                             ; =>This Inner Loop Header: Depth=1
	v_add_u32_e32 v150, s2, v153
	v_add_u32_e32 v151, s2, v154
	ds_read2_b64 v[128:131], v150 offset1:16
	ds_read2_b64 v[132:135], v150 offset0:32 offset1:48
	ds_read2_b64 v[136:139], v150 offset0:64 offset1:80
	;; [unrolled: 1-line block ×7, first 2 shown]
	v_add_u32_e32 v150, 0x800, v150
	ds_read2st64_b64 v[168:171], v151 offset1:4
	ds_read2_b64 v[172:175], v150 offset1:16
	ds_read2_b64 v[176:179], v150 offset0:32 offset1:48
	ds_read2_b64 v[180:183], v150 offset0:64 offset1:80
	ds_read2_b64 v[184:187], v150 offset0:96 offset1:112
	ds_read2_b64 v[188:191], v150 offset0:128 offset1:144
	ds_read2_b64 v[192:195], v150 offset0:160 offset1:176
	ds_read2_b64 v[196:199], v150 offset0:192 offset1:208
	ds_read2_b64 v[200:203], v150 offset0:224 offset1:240
	s_waitcnt lgkmcnt(14)
	v_max_f64 v[128:129], v[128:129], v[128:129]
	v_max_f64 v[130:131], v[130:131], v[130:131]
	;; [unrolled: 1-line block ×3, first 2 shown]
	s_waitcnt lgkmcnt(8)
	v_max_f64 v[150:151], v[168:169], v[168:169]
	v_max_f64 v[134:135], v[134:135], v[134:135]
	;; [unrolled: 1-line block ×15, first 2 shown]
	v_min_f64 v[170:171], v[128:129], v[150:151]
	v_min_f64 v[204:205], v[130:131], v[150:151]
	;; [unrolled: 1-line block ×16, first 2 shown]
	s_waitcnt lgkmcnt(7)
	v_max_f64 v[172:173], v[172:173], v[172:173]
	v_max_f64 v[174:175], v[174:175], v[174:175]
	s_waitcnt lgkmcnt(6)
	v_max_f64 v[176:177], v[176:177], v[176:177]
	v_max_f64 v[178:179], v[178:179], v[178:179]
	;; [unrolled: 3-line block ×8, first 2 shown]
	v_min_f64 v[128:129], v[128:129], v[168:169]
	v_min_f64 v[130:131], v[130:131], v[168:169]
	;; [unrolled: 1-line block ×16, first 2 shown]
	s_add_i32 s2, s2, 8
	v_add_f64 v[126:127], v[170:171], v[126:127]
	v_add_f64 v[124:125], v[204:205], v[124:125]
	;; [unrolled: 1-line block ×15, first 2 shown]
	v_min_f64 v[170:171], v[172:173], v[150:151]
	v_min_f64 v[204:205], v[174:175], v[150:151]
	;; [unrolled: 1-line block ×16, first 2 shown]
	v_add_f64 v[62:63], v[128:129], v[62:63]
	v_add_f64 v[60:61], v[130:131], v[60:61]
	;; [unrolled: 1-line block ×16, first 2 shown]
	v_min_f64 v[128:129], v[172:173], v[168:169]
	v_min_f64 v[130:131], v[174:175], v[168:169]
	;; [unrolled: 1-line block ×16, first 2 shown]
	s_cmp_eq_u32 s2, 32
	v_add_f64 v[96:97], v[232:233], v[96:97]
	v_add_f64 v[94:95], v[170:171], v[94:95]
	;; [unrolled: 1-line block ×33, first 2 shown]
	s_cbranch_scc0 .LBB198_38
; %bb.39:
	s_load_dwordx2 s[2:3], s[0:1], 0x78
	s_load_dword s4, s[0:1], 0x58
	s_load_dword s5, s[0:1], 0x70
	v_add_u32_e32 v130, s8, v144
	v_add_u32_e32 v170, s9, v145
	s_waitcnt lgkmcnt(0)
	s_mul_i32 s1, s16, s3
	s_mul_hi_u32 s3, s16, s2
	s_mul_i32 s0, s16, s2
	s_add_i32 s1, s3, s1
	s_lshl_b64 s[0:1], s[0:1], 3
	s_add_u32 s0, s10, s0
	s_addc_u32 s1, s11, s1
	v_add_u32_e32 v128, 4, v130
	v_mad_i64_i32 v[132:133], s[2:3], v170, s5, 0
	v_ashrrev_i32_e32 v131, 31, v130
	v_ashrrev_i32_e32 v129, 31, v128
	v_lshl_add_u64 v[138:139], v[132:133], 3, s[0:1]
	v_mad_i64_i32 v[132:133], s[2:3], v170, s4, 0
	s_mov_b64 vcc, s[6:7]
	s_cbranch_vccz .LBB198_42
; %bb.40:
	v_add_f64 v[134:135], v[126:127], 0
	v_lshl_add_u64 v[136:137], v[130:131], 3, v[138:139]
	s_mov_b64 s[2:3], 0
	global_store_dwordx2 v[136:137], v[134:135], off
	v_lshl_add_u64 v[146:147], v[132:133], 3, s[14:15]
	v_lshlrev_b64 v[134:135], 3, v[130:131]
	s_cbranch_execz .LBB198_43
; %bb.41:
	v_mov_b64_e32 v[136:137], s[2:3]
	s_branch .LBB198_44
.LBB198_42:
	s_mov_b64 s[2:3], -1
	v_lshl_add_u64 v[146:147], v[132:133], 3, s[14:15]
	v_lshlrev_b64 v[134:135], 3, v[130:131]
.LBB198_43:
	v_lshl_add_u64 v[132:133], v[146:147], 0, v[134:135]
	flat_load_dwordx2 v[132:133], v[132:133]
	v_lshl_add_u64 v[136:137], v[138:139], 0, v[134:135]
	s_waitcnt vmcnt(0) lgkmcnt(0)
	v_fmac_f64_e32 v[126:127], s[12:13], v[132:133]
	global_store_dwordx2 v[136:137], v[126:127], off
	v_lshl_add_u64 v[126:127], v[128:129], 3, v[146:147]
	flat_load_dwordx2 v[126:127], v[126:127]
	s_waitcnt vmcnt(0) lgkmcnt(0)
	v_mul_f64 v[136:137], s[12:13], v[126:127]
.LBB198_44:
	v_add_u32_e32 v132, 8, v130
	v_add_u32_e32 v126, 12, v130
	v_ashrrev_i32_e32 v133, 31, v132
	v_ashrrev_i32_e32 v127, 31, v126
	v_add_f64 v[124:125], v[124:125], v[136:137]
	v_lshl_add_u64 v[136:137], v[128:129], 3, v[138:139]
	s_mov_b64 vcc, s[6:7]
	global_store_dwordx2 v[136:137], v[124:125], off
	s_cbranch_vccz .LBB198_47
; %bb.45:
	v_add_f64 v[124:125], v[122:123], 0
	v_lshl_add_u64 v[136:137], v[132:133], 3, v[138:139]
	s_mov_b64 s[2:3], 0
	global_store_dwordx2 v[136:137], v[124:125], off
	v_lshlrev_b64 v[136:137], 3, v[132:133]
	s_cbranch_execz .LBB198_48
; %bb.46:
	v_mov_b64_e32 v[140:141], s[2:3]
	s_branch .LBB198_49
.LBB198_47:
	s_mov_b64 s[2:3], -1
	v_lshlrev_b64 v[136:137], 3, v[132:133]
.LBB198_48:
	v_lshl_add_u64 v[124:125], v[146:147], 0, v[136:137]
	flat_load_dwordx2 v[124:125], v[124:125]
	v_lshl_add_u64 v[140:141], v[138:139], 0, v[136:137]
	s_waitcnt vmcnt(0) lgkmcnt(0)
	v_fmac_f64_e32 v[122:123], s[12:13], v[124:125]
	global_store_dwordx2 v[140:141], v[122:123], off
	v_lshl_add_u64 v[122:123], v[126:127], 3, v[146:147]
	flat_load_dwordx2 v[122:123], v[122:123]
	s_waitcnt vmcnt(0) lgkmcnt(0)
	v_mul_f64 v[140:141], s[12:13], v[122:123]
.LBB198_49:
	v_add_u32_e32 v124, 16, v130
	v_add_u32_e32 v122, 20, v130
	v_ashrrev_i32_e32 v125, 31, v124
	v_ashrrev_i32_e32 v123, 31, v122
	v_add_f64 v[120:121], v[120:121], v[140:141]
	v_lshl_add_u64 v[140:141], v[126:127], 3, v[138:139]
	s_mov_b64 vcc, s[6:7]
	global_store_dwordx2 v[140:141], v[120:121], off
	s_cbranch_vccz .LBB198_52
; %bb.50:
	v_add_f64 v[120:121], v[118:119], 0
	v_lshl_add_u64 v[140:141], v[124:125], 3, v[138:139]
	s_mov_b64 s[2:3], 0
	global_store_dwordx2 v[140:141], v[120:121], off
	v_lshlrev_b64 v[140:141], 3, v[124:125]
	s_cbranch_execz .LBB198_53
; %bb.51:
	v_mov_b64_e32 v[142:143], s[2:3]
	s_branch .LBB198_54
.LBB198_52:
	s_mov_b64 s[2:3], -1
	v_lshlrev_b64 v[140:141], 3, v[124:125]
.LBB198_53:
	v_lshl_add_u64 v[120:121], v[146:147], 0, v[140:141]
	flat_load_dwordx2 v[120:121], v[120:121]
	v_lshl_add_u64 v[142:143], v[138:139], 0, v[140:141]
	s_waitcnt vmcnt(0) lgkmcnt(0)
	v_fmac_f64_e32 v[118:119], s[12:13], v[120:121]
	global_store_dwordx2 v[142:143], v[118:119], off
	v_lshl_add_u64 v[118:119], v[122:123], 3, v[146:147]
	flat_load_dwordx2 v[118:119], v[118:119]
	s_waitcnt vmcnt(0) lgkmcnt(0)
	v_mul_f64 v[142:143], s[12:13], v[118:119]
.LBB198_54:
	;; [unrolled: 34-line block ×15, first 2 shown]
	v_add_f64 v[64:65], v[64:65], v[66:67]
	v_lshl_add_u64 v[66:67], v[70:71], 3, v[138:139]
	global_store_dwordx2 v[66:67], v[64:65], off
	v_add_u32_e32 v66, 64, v170
	v_mad_i64_i32 v[64:65], s[2:3], v66, s5, 0
	v_lshl_add_u64 v[64:65], v[64:65], 3, s[0:1]
	v_mad_i64_i32 v[66:67], s[0:1], v66, s4, 0
	s_mov_b64 vcc, s[6:7]
	s_cbranch_vccz .LBB198_122
; %bb.120:
	v_add_f64 v[138:139], v[62:63], 0
	v_lshl_add_u64 v[130:131], v[130:131], 3, v[64:65]
	s_mov_b64 s[0:1], 0
	global_store_dwordx2 v[130:131], v[138:139], off
	v_lshl_add_u64 v[66:67], v[66:67], 3, s[14:15]
	s_cbranch_execz .LBB198_123
; %bb.121:
	v_mov_b64_e32 v[62:63], s[0:1]
	s_branch .LBB198_124
.LBB198_122:
	s_mov_b64 s[0:1], -1
	v_lshl_add_u64 v[66:67], v[66:67], 3, s[14:15]
.LBB198_123:
	v_lshl_add_u64 v[130:131], v[66:67], 0, v[134:135]
	flat_load_dwordx2 v[130:131], v[130:131]
	v_lshl_add_u64 v[134:135], v[64:65], 0, v[134:135]
	s_waitcnt vmcnt(0) lgkmcnt(0)
	v_fmac_f64_e32 v[62:63], s[12:13], v[130:131]
	global_store_dwordx2 v[134:135], v[62:63], off
	v_lshl_add_u64 v[62:63], v[128:129], 3, v[66:67]
	flat_load_dwordx2 v[62:63], v[62:63]
	s_waitcnt vmcnt(0) lgkmcnt(0)
	v_mul_f64 v[62:63], s[12:13], v[62:63]
.LBB198_124:
	v_add_f64 v[60:61], v[60:61], v[62:63]
	v_lshl_add_u64 v[62:63], v[128:129], 3, v[64:65]
	s_mov_b64 vcc, s[6:7]
	global_store_dwordx2 v[62:63], v[60:61], off
	s_cbranch_vccz .LBB198_127
; %bb.125:
	v_add_f64 v[60:61], v[58:59], 0
	v_lshl_add_u64 v[62:63], v[132:133], 3, v[64:65]
	s_mov_b64 s[0:1], 0
	global_store_dwordx2 v[62:63], v[60:61], off
	s_cbranch_execz .LBB198_128
; %bb.126:
	v_mov_b64_e32 v[58:59], s[0:1]
	s_branch .LBB198_129
.LBB198_127:
	s_mov_b64 s[0:1], -1
.LBB198_128:
	v_lshl_add_u64 v[60:61], v[66:67], 0, v[136:137]
	flat_load_dwordx2 v[60:61], v[60:61]
	v_lshl_add_u64 v[62:63], v[64:65], 0, v[136:137]
	s_waitcnt vmcnt(0) lgkmcnt(0)
	v_fmac_f64_e32 v[58:59], s[12:13], v[60:61]
	global_store_dwordx2 v[62:63], v[58:59], off
	v_lshl_add_u64 v[58:59], v[126:127], 3, v[66:67]
	flat_load_dwordx2 v[58:59], v[58:59]
	s_waitcnt vmcnt(0) lgkmcnt(0)
	v_mul_f64 v[58:59], s[12:13], v[58:59]
.LBB198_129:
	v_add_f64 v[56:57], v[56:57], v[58:59]
	v_lshl_add_u64 v[58:59], v[126:127], 3, v[64:65]
	s_mov_b64 vcc, s[6:7]
	global_store_dwordx2 v[58:59], v[56:57], off
	s_cbranch_vccz .LBB198_132
; %bb.130:
	v_add_f64 v[56:57], v[54:55], 0
	v_lshl_add_u64 v[58:59], v[124:125], 3, v[64:65]
	s_mov_b64 s[0:1], 0
	global_store_dwordx2 v[58:59], v[56:57], off
	s_cbranch_execz .LBB198_133
; %bb.131:
	v_mov_b64_e32 v[54:55], s[0:1]
	s_branch .LBB198_134
.LBB198_132:
	s_mov_b64 s[0:1], -1
.LBB198_133:
	v_lshl_add_u64 v[56:57], v[66:67], 0, v[140:141]
	flat_load_dwordx2 v[56:57], v[56:57]
	v_lshl_add_u64 v[58:59], v[64:65], 0, v[140:141]
	s_waitcnt vmcnt(0) lgkmcnt(0)
	v_fmac_f64_e32 v[54:55], s[12:13], v[56:57]
	global_store_dwordx2 v[58:59], v[54:55], off
	v_lshl_add_u64 v[54:55], v[122:123], 3, v[66:67]
	flat_load_dwordx2 v[54:55], v[54:55]
	s_waitcnt vmcnt(0) lgkmcnt(0)
	v_mul_f64 v[54:55], s[12:13], v[54:55]
.LBB198_134:
	;; [unrolled: 28-line block ×14, first 2 shown]
	v_add_f64 v[4:5], v[4:5], v[6:7]
	v_lshl_add_u64 v[6:7], v[74:75], 3, v[64:65]
	s_mov_b64 vcc, s[6:7]
	global_store_dwordx2 v[6:7], v[4:5], off
	s_cbranch_vccz .LBB198_197
; %bb.195:
	v_add_f64 v[4:5], v[2:3], 0
	v_lshl_add_u64 v[6:7], v[72:73], 3, v[64:65]
	s_mov_b64 s[0:1], 0
	global_store_dwordx2 v[6:7], v[4:5], off
	s_cbranch_execz .LBB198_198
; %bb.196:
	v_mov_b64_e32 v[2:3], s[0:1]
	v_add_f64 v[0:1], v[0:1], v[2:3]
	v_lshl_add_u64 v[2:3], v[70:71], 3, v[64:65]
	global_store_dwordx2 v[2:3], v[0:1], off
	s_endpgm
.LBB198_197:
	s_mov_b64 s[0:1], -1
.LBB198_198:
	v_lshl_add_u64 v[4:5], v[66:67], 0, v[68:69]
	flat_load_dwordx2 v[4:5], v[4:5]
	v_lshl_add_u64 v[6:7], v[64:65], 0, v[68:69]
	s_waitcnt vmcnt(0) lgkmcnt(0)
	v_fmac_f64_e32 v[2:3], s[12:13], v[4:5]
	global_store_dwordx2 v[6:7], v[2:3], off
	v_lshl_add_u64 v[2:3], v[70:71], 3, v[66:67]
	flat_load_dwordx2 v[2:3], v[2:3]
	s_waitcnt vmcnt(0) lgkmcnt(0)
	v_mul_f64 v[2:3], s[12:13], v[2:3]
	v_add_f64 v[0:1], v[0:1], v[2:3]
	v_lshl_add_u64 v[2:3], v[70:71], 3, v[64:65]
	global_store_dwordx2 v[2:3], v[0:1], off
	s_endpgm
	.section	.rodata,"a",@progbits
	.p2align	6, 0x0
	.amdhsa_kernel _ZN12_GLOBAL__N_120geam_min_plus_kernelIdddLi4ELi64ELi128ELi128ELi4ELi4ELi64ELi64ELi4ELc84ELc84ELb0ELb0ELb0EPKdS1_dEEviiiT16_PT17_ilS5_ilS3_S5_ilPT18_ili26rocblas_geam_ex_operation_
		.amdhsa_group_segment_fixed_size 16384
		.amdhsa_private_segment_fixed_size 0
		.amdhsa_kernarg_size 136
		.amdhsa_user_sgpr_count 2
		.amdhsa_user_sgpr_dispatch_ptr 0
		.amdhsa_user_sgpr_queue_ptr 0
		.amdhsa_user_sgpr_kernarg_segment_ptr 1
		.amdhsa_user_sgpr_dispatch_id 0
		.amdhsa_user_sgpr_kernarg_preload_length 0
		.amdhsa_user_sgpr_kernarg_preload_offset 0
		.amdhsa_user_sgpr_private_segment_size 0
		.amdhsa_uses_dynamic_stack 0
		.amdhsa_enable_private_segment 0
		.amdhsa_system_sgpr_workgroup_id_x 1
		.amdhsa_system_sgpr_workgroup_id_y 0
		.amdhsa_system_sgpr_workgroup_id_z 1
		.amdhsa_system_sgpr_workgroup_info 0
		.amdhsa_system_vgpr_workitem_id 1
		.amdhsa_next_free_vgpr 252
		.amdhsa_next_free_sgpr 28
		.amdhsa_accum_offset 252
		.amdhsa_reserve_vcc 1
		.amdhsa_float_round_mode_32 0
		.amdhsa_float_round_mode_16_64 0
		.amdhsa_float_denorm_mode_32 3
		.amdhsa_float_denorm_mode_16_64 3
		.amdhsa_dx10_clamp 1
		.amdhsa_ieee_mode 1
		.amdhsa_fp16_overflow 0
		.amdhsa_tg_split 0
		.amdhsa_exception_fp_ieee_invalid_op 0
		.amdhsa_exception_fp_denorm_src 0
		.amdhsa_exception_fp_ieee_div_zero 0
		.amdhsa_exception_fp_ieee_overflow 0
		.amdhsa_exception_fp_ieee_underflow 0
		.amdhsa_exception_fp_ieee_inexact 0
		.amdhsa_exception_int_div_zero 0
	.end_amdhsa_kernel
	.section	.text._ZN12_GLOBAL__N_120geam_min_plus_kernelIdddLi4ELi64ELi128ELi128ELi4ELi4ELi64ELi64ELi4ELc84ELc84ELb0ELb0ELb0EPKdS1_dEEviiiT16_PT17_ilS5_ilS3_S5_ilPT18_ili26rocblas_geam_ex_operation_,"axG",@progbits,_ZN12_GLOBAL__N_120geam_min_plus_kernelIdddLi4ELi64ELi128ELi128ELi4ELi4ELi64ELi64ELi4ELc84ELc84ELb0ELb0ELb0EPKdS1_dEEviiiT16_PT17_ilS5_ilS3_S5_ilPT18_ili26rocblas_geam_ex_operation_,comdat
.Lfunc_end198:
	.size	_ZN12_GLOBAL__N_120geam_min_plus_kernelIdddLi4ELi64ELi128ELi128ELi4ELi4ELi64ELi64ELi4ELc84ELc84ELb0ELb0ELb0EPKdS1_dEEviiiT16_PT17_ilS5_ilS3_S5_ilPT18_ili26rocblas_geam_ex_operation_, .Lfunc_end198-_ZN12_GLOBAL__N_120geam_min_plus_kernelIdddLi4ELi64ELi128ELi128ELi4ELi4ELi64ELi64ELi4ELc84ELc84ELb0ELb0ELb0EPKdS1_dEEviiiT16_PT17_ilS5_ilS3_S5_ilPT18_ili26rocblas_geam_ex_operation_
                                        ; -- End function
	.section	.AMDGPU.csdata,"",@progbits
; Kernel info:
; codeLenInByte = 13080
; NumSgprs: 34
; NumVgprs: 252
; NumAgprs: 0
; TotalNumVgprs: 252
; ScratchSize: 0
; MemoryBound: 0
; FloatMode: 240
; IeeeMode: 1
; LDSByteSize: 16384 bytes/workgroup (compile time only)
; SGPRBlocks: 4
; VGPRBlocks: 31
; NumSGPRsForWavesPerEU: 34
; NumVGPRsForWavesPerEU: 252
; AccumOffset: 252
; Occupancy: 2
; WaveLimiterHint : 1
; COMPUTE_PGM_RSRC2:SCRATCH_EN: 0
; COMPUTE_PGM_RSRC2:USER_SGPR: 2
; COMPUTE_PGM_RSRC2:TRAP_HANDLER: 0
; COMPUTE_PGM_RSRC2:TGID_X_EN: 1
; COMPUTE_PGM_RSRC2:TGID_Y_EN: 0
; COMPUTE_PGM_RSRC2:TGID_Z_EN: 1
; COMPUTE_PGM_RSRC2:TIDIG_COMP_CNT: 1
; COMPUTE_PGM_RSRC3_GFX90A:ACCUM_OFFSET: 62
; COMPUTE_PGM_RSRC3_GFX90A:TG_SPLIT: 0
	.section	.text._ZN12_GLOBAL__N_120geam_min_plus_kernelIdddLi4ELi64ELi128ELi128ELi4ELi4ELi64ELi64ELi4ELc84ELc84ELb1ELb0ELb0EdKddEEviiiT16_PT17_ilS4_ilS2_S4_ilPT18_ili26rocblas_geam_ex_operation_,"axG",@progbits,_ZN12_GLOBAL__N_120geam_min_plus_kernelIdddLi4ELi64ELi128ELi128ELi4ELi4ELi64ELi64ELi4ELc84ELc84ELb1ELb0ELb0EdKddEEviiiT16_PT17_ilS4_ilS2_S4_ilPT18_ili26rocblas_geam_ex_operation_,comdat
	.globl	_ZN12_GLOBAL__N_120geam_min_plus_kernelIdddLi4ELi64ELi128ELi128ELi4ELi4ELi64ELi64ELi4ELc84ELc84ELb1ELb0ELb0EdKddEEviiiT16_PT17_ilS4_ilS2_S4_ilPT18_ili26rocblas_geam_ex_operation_ ; -- Begin function _ZN12_GLOBAL__N_120geam_min_plus_kernelIdddLi4ELi64ELi128ELi128ELi4ELi4ELi64ELi64ELi4ELc84ELc84ELb1ELb0ELb0EdKddEEviiiT16_PT17_ilS4_ilS2_S4_ilPT18_ili26rocblas_geam_ex_operation_
	.p2align	8
	.type	_ZN12_GLOBAL__N_120geam_min_plus_kernelIdddLi4ELi64ELi128ELi128ELi4ELi4ELi64ELi64ELi4ELc84ELc84ELb1ELb0ELb0EdKddEEviiiT16_PT17_ilS4_ilS2_S4_ilPT18_ili26rocblas_geam_ex_operation_,@function
_ZN12_GLOBAL__N_120geam_min_plus_kernelIdddLi4ELi64ELi128ELi128ELi4ELi4ELi64ELi64ELi4ELc84ELc84ELb1ELb0ELb0EdKddEEviiiT16_PT17_ilS4_ilS2_S4_ilPT18_ili26rocblas_geam_ex_operation_: ; @_ZN12_GLOBAL__N_120geam_min_plus_kernelIdddLi4ELi64ELi128ELi128ELi4ELi4ELi64ELi64ELi4ELc84ELc84ELb1ELb0ELb0EdKddEEviiiT16_PT17_ilS4_ilS2_S4_ilPT18_ili26rocblas_geam_ex_operation_
; %bb.0:
	s_load_dwordx4 s[4:7], s[0:1], 0x10
	s_load_dwordx4 s[8:11], s[0:1], 0x28
	s_mov_b64 s[16:17], 0
	s_waitcnt lgkmcnt(0)
	v_cmp_eq_f64_e64 s[12:13], s[4:5], 0
	s_and_b64 vcc, exec, s[12:13]
	s_cbranch_vccnz .LBB199_2
; %bb.1:
	s_mul_i32 s4, s3, s9
	s_mul_hi_u32 s5, s3, s8
	s_add_i32 s5, s5, s4
	s_mul_i32 s4, s3, s8
	s_lshl_b64 s[4:5], s[4:5], 3
	s_add_u32 s16, s6, s4
	s_addc_u32 s17, s7, s5
.LBB199_2:
	s_load_dwordx4 s[4:7], s[0:1], 0x40
	s_load_dwordx2 s[20:21], s[0:1], 0x50
	s_andn2_b64 vcc, exec, s[12:13]
	s_cbranch_vccnz .LBB199_4
; %bb.3:
	s_mov_b32 s15, 0
	s_mov_b64 s[18:19], 0
	s_cbranch_execz .LBB199_5
	s_branch .LBB199_6
.LBB199_4:
                                        ; implicit-def: $sgpr18_sgpr19
                                        ; implicit-def: $sgpr14_sgpr15
.LBB199_5:
	s_waitcnt lgkmcnt(0)
	s_mul_i32 s5, s3, s5
	s_mul_hi_u32 s8, s3, s4
	s_add_i32 s5, s8, s5
	s_mul_i32 s4, s3, s4
	s_lshl_b64 s[4:5], s[4:5], 3
	s_add_u32 s18, s10, s4
	s_mov_b32 s15, 0
	s_addc_u32 s19, s11, s5
.LBB199_6:
	s_load_dwordx4 s[8:11], s[0:1], 0x60
	s_waitcnt lgkmcnt(0)
	v_cmp_eq_f64_e64 s[4:5], s[6:7], 0
	s_and_b64 s[4:5], exec, s[4:5]
	s_mov_b64 s[12:13], 0
	s_mov_b64 vcc, s[4:5]
	s_cbranch_vccnz .LBB199_8
; %bb.7:
	s_mul_i32 s9, s3, s9
	s_mul_hi_u32 s12, s3, s8
	s_add_i32 s9, s12, s9
	s_mul_i32 s12, s15, s8
	s_add_i32 s9, s9, s12
	s_mul_i32 s8, s3, s8
	s_lshl_b64 s[8:9], s[8:9], 3
	s_add_u32 s12, s20, s8
	s_addc_u32 s13, s21, s9
.LBB199_8:
	s_load_dword s8, s[0:1], 0x0
	s_load_dword s22, s[0:1], 0x20
	;; [unrolled: 1-line block ×3, first 2 shown]
	v_and_b32_e32 v148, 0x3ff, v0
	v_bfe_u32 v149, v0, 10, 10
	s_waitcnt lgkmcnt(0)
	s_add_i32 s8, s8, -1
	s_ashr_i32 s9, s8, 31
	s_lshr_b32 s9, s9, 25
	s_add_i32 s8, s8, s9
	s_ashr_i32 s8, s8, 7
	s_add_i32 s9, s8, 1
	v_cvt_f32_u32_e32 v1, s9
	s_not_b32 s8, s8
	s_ashr_i32 s21, s20, 31
	v_lshl_add_u32 v0, v149, 2, v148
	v_rcp_iflag_f32_e32 v1, v1
	v_and_b32_e32 v150, 3, v148
	v_lshrrev_b32_e32 v18, 2, v0
	v_and_b32_e32 v19, 63, v0
	v_mul_f32_e32 v1, 0x4f7ffffe, v1
	v_cvt_u32_f32_e32 v1, v1
	v_lshrrev_b32_e32 v151, 6, v0
	v_lshlrev_b32_e32 v0, 3, v150
	v_add_u32_e32 v152, 4, v151
	v_readfirstlane_b32 s14, v1
	s_mul_i32 s8, s8, s14
	s_mul_hi_u32 s8, s14, s8
	s_add_i32 s14, s14, s8
	s_mul_hi_u32 s8, s2, s14
	s_mul_i32 s14, s8, s9
	s_sub_i32 s14, s2, s14
	s_add_i32 s23, s8, 1
	s_sub_i32 s24, s14, s9
	s_cmp_ge_u32 s14, s9
	s_cselect_b32 s8, s23, s8
	s_cselect_b32 s14, s24, s14
	s_add_i32 s23, s8, 1
	s_cmp_ge_u32 s14, s9
	s_cselect_b32 s8, s23, s8
	s_mul_i32 s9, s8, s9
	s_sub_i32 s2, s2, s9
	s_lshl_b32 s2, s2, 7
	s_lshl_b32 s14, s8, 7
	v_add_u32_e32 v8, s2, v18
	v_mov_b32_e32 v1, 0
	v_or_b32_e32 v132, s14, v19
	v_lshl_add_u64 v[2:3], s[16:17], 0, v[0:1]
	v_mad_i64_i32 v[128:129], s[8:9], v8, s22, 0
	v_add_u32_e32 v1, 64, v8
	v_mad_i64_i32 v[8:9], s[8:9], s20, v151, 0
	v_ashrrev_i32_e32 v133, 31, v132
	v_lshl_add_u64 v[8:9], v[8:9], 3, s[18:19]
	v_lshlrev_b64 v[10:11], 3, v[132:133]
	v_lshl_add_u64 v[4:5], v[128:129], 3, v[2:3]
	v_mad_i64_i32 v[130:131], s[8:9], v1, s22, 0
	v_lshl_add_u64 v[8:9], v[8:9], 0, v[10:11]
	flat_load_dwordx2 v[6:7], v[4:5]
	v_lshl_add_u64 v[2:3], v[130:131], 3, v[2:3]
	flat_load_dwordx2 v[12:13], v[8:9]
	flat_load_dwordx2 v[14:15], v[8:9] offset:512
	flat_load_dwordx2 v[16:17], v[2:3]
	v_mad_i64_i32 v[8:9], s[8:9], s20, v152, 0
	v_lshl_add_u64 v[8:9], v[8:9], 3, s[18:19]
	v_lshl_add_u64 v[8:9], v[8:9], 0, v[10:11]
	flat_load_dwordx2 v[134:135], v[8:9]
	flat_load_dwordx2 v[136:137], v[8:9] offset:512
	flat_load_dwordx2 v[138:139], v[2:3] offset:32
	;; [unrolled: 1-line block ×3, first 2 shown]
	v_lshl_or_b32 v155, v18, 5, v0
	v_lshlrev_b32_e32 v0, 5, v19
	v_lshlrev_b32_e32 v142, 5, v149
	v_lshl_add_u32 v143, v151, 3, v0
	s_mov_b32 s8, 0
	v_mov_b64_e32 v[126:127], 0
	v_mov_b64_e32 v[124:125], 0
	;; [unrolled: 1-line block ×40, first 2 shown]
	v_lshlrev_b32_e32 v153, 5, v148
	v_add_u32_e32 v154, 0x2000, v142
	v_or_b32_e32 v156, 0x2000, v143
	v_mov_b64_e32 v[46:47], 0
	v_mov_b64_e32 v[44:45], 0
	;; [unrolled: 1-line block ×9, first 2 shown]
	s_waitcnt vmcnt(0) lgkmcnt(0)
	ds_write2st64_b64 v143, v[12:13], v[14:15] offset0:16 offset1:20
	ds_write2st64_b64 v155, v[6:7], v[16:17] offset1:4
	v_mov_b64_e32 v[28:29], 0
	v_mov_b64_e32 v[26:27], 0
	;; [unrolled: 1-line block ×15, first 2 shown]
	s_waitcnt lgkmcnt(0)
	s_barrier
.LBB199_9:                              ; =>This Inner Loop Header: Depth=1
	v_add_u32_e32 v157, s8, v153
	v_add_u32_e32 v186, s8, v154
	ds_read2_b64 v[144:147], v157 offset1:16
	ds_read2_b64 v[158:161], v157 offset0:32 offset1:48
	ds_read2_b64 v[162:165], v157 offset0:64 offset1:80
	;; [unrolled: 1-line block ×7, first 2 shown]
	ds_read2st64_b64 v[186:189], v186 offset1:4
	v_add_u32_e32 v157, 0x800, v157
	ds_read2_b64 v[190:193], v157 offset1:16
	ds_read2_b64 v[194:197], v157 offset0:32 offset1:48
	ds_read2_b64 v[198:201], v157 offset0:64 offset1:80
	;; [unrolled: 1-line block ×7, first 2 shown]
	s_waitcnt lgkmcnt(14)
	v_max_f64 v[144:145], v[144:145], v[144:145]
	v_max_f64 v[146:147], v[146:147], v[146:147]
	v_max_f64 v[158:159], v[158:159], v[158:159]
	v_max_f64 v[160:161], v[160:161], v[160:161]
	v_max_f64 v[162:163], v[162:163], v[162:163]
	v_max_f64 v[164:165], v[164:165], v[164:165]
	s_waitcnt lgkmcnt(13)
	v_max_f64 v[166:167], v[166:167], v[166:167]
	v_max_f64 v[168:169], v[168:169], v[168:169]
	s_waitcnt lgkmcnt(12)
	v_max_f64 v[170:171], v[170:171], v[170:171]
	v_max_f64 v[172:173], v[172:173], v[172:173]
	;; [unrolled: 3-line block ×14, first 2 shown]
	v_min_f64 v[222:223], v[144:145], v[186:187]
	v_min_f64 v[224:225], v[146:147], v[186:187]
	;; [unrolled: 1-line block ×32, first 2 shown]
	s_add_i32 s8, s8, 8
	v_add_f64 v[62:63], v[144:145], v[62:63]
	v_add_f64 v[60:61], v[146:147], v[60:61]
	;; [unrolled: 1-line block ×16, first 2 shown]
	v_min_f64 v[144:145], v[190:191], v[186:187]
	v_min_f64 v[146:147], v[192:193], v[186:187]
	;; [unrolled: 1-line block ×32, first 2 shown]
	s_cmp_eq_u32 s8, 32
	v_add_f64 v[126:127], v[222:223], v[126:127]
	v_add_f64 v[124:125], v[224:225], v[124:125]
	;; [unrolled: 1-line block ×48, first 2 shown]
	s_cbranch_scc0 .LBB199_9
; %bb.10:
	s_load_dword s22, s[0:1], 0x8
	ds_write2st64_b64 v155, v[140:141], v[138:139] offset0:8 offset1:12
	ds_write2st64_b64 v143, v[134:135], v[136:137] offset0:24 offset1:28
	s_waitcnt lgkmcnt(0)
	s_barrier
	s_cmp_gt_i32 s22, 8
	s_cbranch_scc1 .LBB199_12
; %bb.11:
	v_add_u32_e32 v157, 0x1000, v153
	v_add_u32_e32 v158, 0x3000, v142
	s_cbranch_execz .LBB199_13
	s_branch .LBB199_19
.LBB199_12:
                                        ; implicit-def: $vgpr157
                                        ; implicit-def: $vgpr158
.LBB199_13:
	v_add_u32_e32 v159, 0x1000, v155
	v_or_b32_e32 v160, 0x3000, v143
	s_add_i32 s8, s22, -8
	v_lshl_add_u64 v[132:133], v[132:133], 3, s[18:19]
	v_add_u32_e32 v157, 0x1000, v153
	v_add_u32_e32 v158, 0x3000, v142
	s_mov_b32 s9, 8
	s_mov_b32 s18, 0
	v_mov_b32_e32 v135, 0
.LBB199_14:                             ; =>This Loop Header: Depth=1
                                        ;     Child Loop BB199_15 Depth 2
                                        ;     Child Loop BB199_17 Depth 2
	v_add_u32_e32 v146, s9, v151
	v_or_b32_e32 v134, s9, v150
	v_mad_u64_u32 v[144:145], s[22:23], v146, s20, 0
	v_lshl_add_u64 v[138:139], v[134:135], 3, s[16:17]
	v_mov_b32_e32 v134, v145
	v_mad_u64_u32 v[146:147], s[22:23], v146, s21, v[134:135]
	v_mov_b32_e32 v145, v146
	v_lshl_add_u64 v[136:137], v[128:129], 3, v[138:139]
	v_lshl_add_u64 v[146:147], v[144:145], 3, v[132:133]
	;; [unrolled: 1-line block ×3, first 2 shown]
	flat_load_dwordx2 v[140:141], v[136:137]
	flat_load_dwordx2 v[142:143], v[138:139]
	;; [unrolled: 1-line block ×3, first 2 shown]
	s_nop 0
	flat_load_dwordx2 v[146:147], v[146:147] offset:512
	s_mov_b32 s19, 0
.LBB199_15:                             ;   Parent Loop BB199_14 Depth=1
                                        ; =>  This Inner Loop Header: Depth=2
	v_add_u32_e32 v134, s19, v157
	ds_read2_b64 v[162:165], v134 offset1:16
	ds_read2_b64 v[166:169], v134 offset0:32 offset1:48
	ds_read2_b64 v[170:173], v134 offset0:64 offset1:80
	;; [unrolled: 1-line block ×7, first 2 shown]
	v_add_u32_e32 v134, 0x800, v134
	ds_read2_b64 v[194:197], v134 offset1:16
	ds_read2_b64 v[198:201], v134 offset0:32 offset1:48
	ds_read2_b64 v[202:205], v134 offset0:64 offset1:80
	;; [unrolled: 1-line block ×7, first 2 shown]
	v_add_u32_e32 v134, s19, v158
	ds_read2st64_b64 v[226:229], v134 offset1:4
	s_waitcnt lgkmcnt(0)
	v_max_f64 v[162:163], v[162:163], v[162:163]
	v_max_f64 v[164:165], v[164:165], v[164:165]
	;; [unrolled: 1-line block ×5, first 2 shown]
	v_min_f64 v[230:231], v[162:163], v[226:227]
	v_add_f64 v[126:127], v[230:231], v[126:127]
	v_min_f64 v[230:231], v[164:165], v[226:227]
	v_add_f64 v[124:125], v[230:231], v[124:125]
	;; [unrolled: 2-line block ×3, first 2 shown]
	v_min_f64 v[230:231], v[168:169], v[226:227]
	v_max_f64 v[170:171], v[170:171], v[170:171]
	v_add_f64 v[120:121], v[230:231], v[120:121]
	v_min_f64 v[230:231], v[170:171], v[226:227]
	v_max_f64 v[172:173], v[172:173], v[172:173]
	v_add_f64 v[118:119], v[230:231], v[118:119]
	;; [unrolled: 3-line block ×26, first 2 shown]
	v_min_f64 v[230:231], v[220:221], v[226:227]
	v_max_f64 v[222:223], v[222:223], v[222:223]
	v_max_f64 v[224:225], v[224:225], v[224:225]
	v_add_f64 v[68:69], v[230:231], v[68:69]
	v_min_f64 v[230:231], v[222:223], v[226:227]
	v_min_f64 v[226:227], v[224:225], v[226:227]
	v_add_f64 v[64:65], v[226:227], v[64:65]
	v_max_f64 v[226:227], v[228:229], v[228:229]
	v_min_f64 v[162:163], v[162:163], v[226:227]
	v_add_f64 v[62:63], v[162:163], v[62:63]
	v_min_f64 v[162:163], v[164:165], v[226:227]
	v_add_f64 v[60:61], v[162:163], v[60:61]
	;; [unrolled: 2-line block ×31, first 2 shown]
	v_min_f64 v[162:163], v[224:225], v[226:227]
	s_add_i32 s19, s19, 8
	v_add_f64 v[66:67], v[230:231], v[66:67]
	v_add_f64 v[0:1], v[162:163], v[0:1]
	s_cmp_eq_u32 s19, 32
	s_cbranch_scc0 .LBB199_15
; %bb.16:                               ;   in Loop: Header=BB199_14 Depth=1
	s_waitcnt vmcnt(0)
	ds_write2st64_b64 v155, v[140:141], v[142:143] offset1:4
	ds_write2st64_b64 v156, v[144:145], v[146:147] offset1:4
	v_add_u32_e32 v142, s9, v152
	v_mad_u64_u32 v[140:141], s[22:23], v142, s20, 0
	v_mov_b32_e32 v134, v141
	v_mad_u64_u32 v[142:143], s[22:23], v142, s21, v[134:135]
	v_mov_b32_e32 v141, v142
	v_lshl_add_u64 v[142:143], v[140:141], 3, v[132:133]
	s_waitcnt lgkmcnt(0)
	s_barrier
	flat_load_dwordx2 v[136:137], v[136:137] offset:32
	s_nop 0
	flat_load_dwordx2 v[138:139], v[138:139] offset:32
	s_nop 0
	flat_load_dwordx2 v[140:141], v[142:143]
	s_nop 0
	flat_load_dwordx2 v[142:143], v[142:143] offset:512
	s_mov_b32 s19, 0
.LBB199_17:                             ;   Parent Loop BB199_14 Depth=1
                                        ; =>  This Inner Loop Header: Depth=2
	v_add_u32_e32 v134, s19, v153
	ds_read2_b64 v[144:147], v134 offset1:16
	ds_read2_b64 v[162:165], v134 offset0:32 offset1:48
	ds_read2_b64 v[166:169], v134 offset0:64 offset1:80
	;; [unrolled: 1-line block ×7, first 2 shown]
	v_add_u32_e32 v134, 0x800, v134
	ds_read2_b64 v[190:193], v134 offset1:16
	ds_read2_b64 v[194:197], v134 offset0:32 offset1:48
	ds_read2_b64 v[198:201], v134 offset0:64 offset1:80
	;; [unrolled: 1-line block ×7, first 2 shown]
	v_add_u32_e32 v134, s19, v154
	ds_read2st64_b64 v[222:225], v134 offset1:4
	s_waitcnt lgkmcnt(0)
	v_max_f64 v[144:145], v[144:145], v[144:145]
	v_max_f64 v[146:147], v[146:147], v[146:147]
	;; [unrolled: 1-line block ×5, first 2 shown]
	v_min_f64 v[226:227], v[144:145], v[222:223]
	v_add_f64 v[126:127], v[226:227], v[126:127]
	v_min_f64 v[226:227], v[146:147], v[222:223]
	v_add_f64 v[124:125], v[226:227], v[124:125]
	;; [unrolled: 2-line block ×3, first 2 shown]
	v_min_f64 v[226:227], v[164:165], v[222:223]
	v_max_f64 v[166:167], v[166:167], v[166:167]
	v_add_f64 v[120:121], v[226:227], v[120:121]
	v_min_f64 v[226:227], v[166:167], v[222:223]
	v_max_f64 v[168:169], v[168:169], v[168:169]
	v_add_f64 v[118:119], v[226:227], v[118:119]
	;; [unrolled: 3-line block ×26, first 2 shown]
	v_min_f64 v[226:227], v[216:217], v[222:223]
	v_max_f64 v[218:219], v[218:219], v[218:219]
	v_max_f64 v[220:221], v[220:221], v[220:221]
	v_add_f64 v[68:69], v[226:227], v[68:69]
	v_min_f64 v[226:227], v[218:219], v[222:223]
	v_min_f64 v[222:223], v[220:221], v[222:223]
	v_add_f64 v[64:65], v[222:223], v[64:65]
	v_max_f64 v[222:223], v[224:225], v[224:225]
	v_min_f64 v[144:145], v[144:145], v[222:223]
	v_add_f64 v[62:63], v[144:145], v[62:63]
	v_min_f64 v[144:145], v[146:147], v[222:223]
	v_add_f64 v[60:61], v[144:145], v[60:61]
	;; [unrolled: 2-line block ×31, first 2 shown]
	v_min_f64 v[144:145], v[220:221], v[222:223]
	s_add_i32 s19, s19, 8
	v_add_f64 v[66:67], v[226:227], v[66:67]
	v_add_f64 v[0:1], v[144:145], v[0:1]
	s_cmp_eq_u32 s19, 32
	s_cbranch_scc0 .LBB199_17
; %bb.18:                               ;   in Loop: Header=BB199_14 Depth=1
	s_add_i32 s9, s9, 8
	s_add_i32 s18, s18, 8
	s_cmp_ge_i32 s18, s8
	s_waitcnt vmcnt(0)
	ds_write2st64_b64 v159, v[136:137], v[138:139] offset1:4
	ds_write2st64_b64 v160, v[140:141], v[142:143] offset1:4
	s_waitcnt lgkmcnt(0)
	s_barrier
	s_cbranch_scc0 .LBB199_14
.LBB199_19:
	s_mov_b32 s8, 0
.LBB199_20:                             ; =>This Inner Loop Header: Depth=1
	v_add_u32_e32 v154, s8, v157
	v_add_u32_e32 v155, s8, v158
	ds_read2_b64 v[128:131], v154 offset1:16
	ds_read2_b64 v[132:135], v154 offset0:32 offset1:48
	ds_read2_b64 v[136:139], v154 offset0:64 offset1:80
	;; [unrolled: 1-line block ×7, first 2 shown]
	v_add_u32_e32 v154, 0x800, v154
	ds_read2st64_b64 v[168:171], v155 offset1:4
	ds_read2_b64 v[172:175], v154 offset1:16
	ds_read2_b64 v[176:179], v154 offset0:32 offset1:48
	ds_read2_b64 v[180:183], v154 offset0:64 offset1:80
	;; [unrolled: 1-line block ×7, first 2 shown]
	s_waitcnt lgkmcnt(14)
	v_max_f64 v[128:129], v[128:129], v[128:129]
	v_max_f64 v[130:131], v[130:131], v[130:131]
	v_max_f64 v[132:133], v[132:133], v[132:133]
	s_waitcnt lgkmcnt(8)
	v_max_f64 v[154:155], v[168:169], v[168:169]
	v_max_f64 v[134:135], v[134:135], v[134:135]
	;; [unrolled: 1-line block ×15, first 2 shown]
	v_min_f64 v[170:171], v[128:129], v[154:155]
	v_min_f64 v[204:205], v[130:131], v[154:155]
	;; [unrolled: 1-line block ×16, first 2 shown]
	s_waitcnt lgkmcnt(7)
	v_max_f64 v[172:173], v[172:173], v[172:173]
	v_max_f64 v[174:175], v[174:175], v[174:175]
	s_waitcnt lgkmcnt(6)
	v_max_f64 v[176:177], v[176:177], v[176:177]
	v_max_f64 v[178:179], v[178:179], v[178:179]
	;; [unrolled: 3-line block ×8, first 2 shown]
	v_min_f64 v[128:129], v[128:129], v[168:169]
	v_min_f64 v[130:131], v[130:131], v[168:169]
	;; [unrolled: 1-line block ×16, first 2 shown]
	s_add_i32 s8, s8, 8
	v_add_f64 v[126:127], v[170:171], v[126:127]
	v_add_f64 v[124:125], v[204:205], v[124:125]
	;; [unrolled: 1-line block ×15, first 2 shown]
	v_min_f64 v[170:171], v[172:173], v[154:155]
	v_min_f64 v[204:205], v[174:175], v[154:155]
	;; [unrolled: 1-line block ×16, first 2 shown]
	v_add_f64 v[62:63], v[128:129], v[62:63]
	v_add_f64 v[60:61], v[130:131], v[60:61]
	;; [unrolled: 1-line block ×16, first 2 shown]
	v_min_f64 v[128:129], v[172:173], v[168:169]
	v_min_f64 v[130:131], v[174:175], v[168:169]
	;; [unrolled: 1-line block ×16, first 2 shown]
	s_cmp_eq_u32 s8, 32
	v_add_f64 v[96:97], v[232:233], v[96:97]
	v_add_f64 v[94:95], v[170:171], v[94:95]
	;; [unrolled: 1-line block ×33, first 2 shown]
	s_cbranch_scc0 .LBB199_20
; %bb.21:
	s_load_dwordx2 s[16:17], s[0:1], 0x78
	s_load_dword s8, s[0:1], 0x58
	s_load_dword s9, s[0:1], 0x70
	v_add_u32_e32 v130, s2, v148
	v_add_u32_e32 v170, s14, v149
	s_waitcnt lgkmcnt(0)
	s_mul_i32 s0, s3, s17
	s_mul_hi_u32 s1, s3, s16
	s_mul_i32 s15, s15, s16
	s_add_i32 s0, s1, s0
	s_add_i32 s1, s0, s15
	s_mul_i32 s0, s3, s16
	s_lshl_b64 s[0:1], s[0:1], 3
	s_add_u32 s0, s10, s0
	s_addc_u32 s1, s11, s1
	v_add_u32_e32 v128, 4, v130
	v_mad_i64_i32 v[132:133], s[2:3], v170, s9, 0
	v_ashrrev_i32_e32 v131, 31, v130
	v_ashrrev_i32_e32 v129, 31, v128
	v_lshl_add_u64 v[138:139], v[132:133], 3, s[0:1]
	v_mad_i64_i32 v[132:133], s[2:3], v170, s8, 0
	s_mov_b64 vcc, s[4:5]
	s_cbranch_vccz .LBB199_24
; %bb.22:
	v_add_f64 v[134:135], v[126:127], 0
	v_lshl_add_u64 v[136:137], v[130:131], 3, v[138:139]
	s_mov_b64 s[2:3], 0
	global_store_dwordx2 v[136:137], v[134:135], off
	v_lshl_add_u64 v[146:147], v[132:133], 3, s[12:13]
	v_lshlrev_b64 v[134:135], 3, v[130:131]
	s_cbranch_execz .LBB199_25
; %bb.23:
	v_mov_b64_e32 v[136:137], s[2:3]
	s_branch .LBB199_26
.LBB199_24:
	s_mov_b64 s[2:3], -1
	v_lshl_add_u64 v[146:147], v[132:133], 3, s[12:13]
	v_lshlrev_b64 v[134:135], 3, v[130:131]
.LBB199_25:
	v_lshl_add_u64 v[132:133], v[146:147], 0, v[134:135]
	flat_load_dwordx2 v[132:133], v[132:133]
	v_lshl_add_u64 v[136:137], v[138:139], 0, v[134:135]
	s_waitcnt vmcnt(0) lgkmcnt(0)
	v_fmac_f64_e32 v[126:127], s[6:7], v[132:133]
	global_store_dwordx2 v[136:137], v[126:127], off
	v_lshl_add_u64 v[126:127], v[128:129], 3, v[146:147]
	flat_load_dwordx2 v[126:127], v[126:127]
	s_waitcnt vmcnt(0) lgkmcnt(0)
	v_mul_f64 v[136:137], v[126:127], s[6:7]
.LBB199_26:
	v_add_u32_e32 v132, 8, v130
	v_add_u32_e32 v126, 12, v130
	v_ashrrev_i32_e32 v133, 31, v132
	v_ashrrev_i32_e32 v127, 31, v126
	v_add_f64 v[124:125], v[124:125], v[136:137]
	v_lshl_add_u64 v[136:137], v[128:129], 3, v[138:139]
	s_mov_b64 vcc, s[4:5]
	global_store_dwordx2 v[136:137], v[124:125], off
	s_cbranch_vccz .LBB199_29
; %bb.27:
	v_add_f64 v[124:125], v[122:123], 0
	v_lshl_add_u64 v[136:137], v[132:133], 3, v[138:139]
	s_mov_b64 s[2:3], 0
	global_store_dwordx2 v[136:137], v[124:125], off
	v_lshlrev_b64 v[136:137], 3, v[132:133]
	s_cbranch_execz .LBB199_30
; %bb.28:
	v_mov_b64_e32 v[140:141], s[2:3]
	s_branch .LBB199_31
.LBB199_29:
	s_mov_b64 s[2:3], -1
	v_lshlrev_b64 v[136:137], 3, v[132:133]
.LBB199_30:
	v_lshl_add_u64 v[124:125], v[146:147], 0, v[136:137]
	flat_load_dwordx2 v[124:125], v[124:125]
	v_lshl_add_u64 v[140:141], v[138:139], 0, v[136:137]
	s_waitcnt vmcnt(0) lgkmcnt(0)
	v_fmac_f64_e32 v[122:123], s[6:7], v[124:125]
	global_store_dwordx2 v[140:141], v[122:123], off
	v_lshl_add_u64 v[122:123], v[126:127], 3, v[146:147]
	flat_load_dwordx2 v[122:123], v[122:123]
	s_waitcnt vmcnt(0) lgkmcnt(0)
	v_mul_f64 v[140:141], v[122:123], s[6:7]
.LBB199_31:
	v_add_u32_e32 v124, 16, v130
	v_add_u32_e32 v122, 20, v130
	v_ashrrev_i32_e32 v125, 31, v124
	v_ashrrev_i32_e32 v123, 31, v122
	v_add_f64 v[120:121], v[120:121], v[140:141]
	v_lshl_add_u64 v[140:141], v[126:127], 3, v[138:139]
	s_mov_b64 vcc, s[4:5]
	global_store_dwordx2 v[140:141], v[120:121], off
	s_cbranch_vccz .LBB199_34
; %bb.32:
	v_add_f64 v[120:121], v[118:119], 0
	v_lshl_add_u64 v[140:141], v[124:125], 3, v[138:139]
	s_mov_b64 s[2:3], 0
	global_store_dwordx2 v[140:141], v[120:121], off
	v_lshlrev_b64 v[140:141], 3, v[124:125]
	s_cbranch_execz .LBB199_35
; %bb.33:
	v_mov_b64_e32 v[142:143], s[2:3]
	s_branch .LBB199_36
.LBB199_34:
	s_mov_b64 s[2:3], -1
	v_lshlrev_b64 v[140:141], 3, v[124:125]
.LBB199_35:
	v_lshl_add_u64 v[120:121], v[146:147], 0, v[140:141]
	flat_load_dwordx2 v[120:121], v[120:121]
	v_lshl_add_u64 v[142:143], v[138:139], 0, v[140:141]
	s_waitcnt vmcnt(0) lgkmcnt(0)
	v_fmac_f64_e32 v[118:119], s[6:7], v[120:121]
	global_store_dwordx2 v[142:143], v[118:119], off
	v_lshl_add_u64 v[118:119], v[122:123], 3, v[146:147]
	flat_load_dwordx2 v[118:119], v[118:119]
	s_waitcnt vmcnt(0) lgkmcnt(0)
	v_mul_f64 v[142:143], v[118:119], s[6:7]
.LBB199_36:
	;; [unrolled: 34-line block ×15, first 2 shown]
	v_add_f64 v[64:65], v[64:65], v[66:67]
	v_lshl_add_u64 v[66:67], v[70:71], 3, v[138:139]
	global_store_dwordx2 v[66:67], v[64:65], off
	v_add_u32_e32 v66, 64, v170
	v_mad_i64_i32 v[64:65], s[2:3], v66, s9, 0
	v_lshl_add_u64 v[64:65], v[64:65], 3, s[0:1]
	v_mad_i64_i32 v[66:67], s[0:1], v66, s8, 0
	s_mov_b64 vcc, s[4:5]
	s_cbranch_vccz .LBB199_104
; %bb.102:
	v_add_f64 v[138:139], v[62:63], 0
	v_lshl_add_u64 v[130:131], v[130:131], 3, v[64:65]
	s_mov_b64 s[0:1], 0
	global_store_dwordx2 v[130:131], v[138:139], off
	v_lshl_add_u64 v[66:67], v[66:67], 3, s[12:13]
	s_cbranch_execz .LBB199_105
; %bb.103:
	v_mov_b64_e32 v[62:63], s[0:1]
	s_branch .LBB199_106
.LBB199_104:
	s_mov_b64 s[0:1], -1
	v_lshl_add_u64 v[66:67], v[66:67], 3, s[12:13]
.LBB199_105:
	v_lshl_add_u64 v[130:131], v[66:67], 0, v[134:135]
	flat_load_dwordx2 v[130:131], v[130:131]
	v_lshl_add_u64 v[134:135], v[64:65], 0, v[134:135]
	s_waitcnt vmcnt(0) lgkmcnt(0)
	v_fmac_f64_e32 v[62:63], s[6:7], v[130:131]
	global_store_dwordx2 v[134:135], v[62:63], off
	v_lshl_add_u64 v[62:63], v[128:129], 3, v[66:67]
	flat_load_dwordx2 v[62:63], v[62:63]
	s_waitcnt vmcnt(0) lgkmcnt(0)
	v_mul_f64 v[62:63], v[62:63], s[6:7]
.LBB199_106:
	v_add_f64 v[60:61], v[60:61], v[62:63]
	v_lshl_add_u64 v[62:63], v[128:129], 3, v[64:65]
	s_mov_b64 vcc, s[4:5]
	global_store_dwordx2 v[62:63], v[60:61], off
	s_cbranch_vccz .LBB199_109
; %bb.107:
	v_add_f64 v[60:61], v[58:59], 0
	v_lshl_add_u64 v[62:63], v[132:133], 3, v[64:65]
	s_mov_b64 s[0:1], 0
	global_store_dwordx2 v[62:63], v[60:61], off
	s_cbranch_execz .LBB199_110
; %bb.108:
	v_mov_b64_e32 v[58:59], s[0:1]
	s_branch .LBB199_111
.LBB199_109:
	s_mov_b64 s[0:1], -1
.LBB199_110:
	v_lshl_add_u64 v[60:61], v[66:67], 0, v[136:137]
	flat_load_dwordx2 v[60:61], v[60:61]
	v_lshl_add_u64 v[62:63], v[64:65], 0, v[136:137]
	s_waitcnt vmcnt(0) lgkmcnt(0)
	v_fmac_f64_e32 v[58:59], s[6:7], v[60:61]
	global_store_dwordx2 v[62:63], v[58:59], off
	v_lshl_add_u64 v[58:59], v[126:127], 3, v[66:67]
	flat_load_dwordx2 v[58:59], v[58:59]
	s_waitcnt vmcnt(0) lgkmcnt(0)
	v_mul_f64 v[58:59], v[58:59], s[6:7]
.LBB199_111:
	v_add_f64 v[56:57], v[56:57], v[58:59]
	v_lshl_add_u64 v[58:59], v[126:127], 3, v[64:65]
	s_mov_b64 vcc, s[4:5]
	global_store_dwordx2 v[58:59], v[56:57], off
	s_cbranch_vccz .LBB199_114
; %bb.112:
	v_add_f64 v[56:57], v[54:55], 0
	v_lshl_add_u64 v[58:59], v[124:125], 3, v[64:65]
	s_mov_b64 s[0:1], 0
	global_store_dwordx2 v[58:59], v[56:57], off
	s_cbranch_execz .LBB199_115
; %bb.113:
	v_mov_b64_e32 v[54:55], s[0:1]
	s_branch .LBB199_116
.LBB199_114:
	s_mov_b64 s[0:1], -1
.LBB199_115:
	v_lshl_add_u64 v[56:57], v[66:67], 0, v[140:141]
	flat_load_dwordx2 v[56:57], v[56:57]
	v_lshl_add_u64 v[58:59], v[64:65], 0, v[140:141]
	s_waitcnt vmcnt(0) lgkmcnt(0)
	v_fmac_f64_e32 v[54:55], s[6:7], v[56:57]
	global_store_dwordx2 v[58:59], v[54:55], off
	v_lshl_add_u64 v[54:55], v[122:123], 3, v[66:67]
	flat_load_dwordx2 v[54:55], v[54:55]
	s_waitcnt vmcnt(0) lgkmcnt(0)
	v_mul_f64 v[54:55], v[54:55], s[6:7]
.LBB199_116:
	v_add_f64 v[52:53], v[52:53], v[54:55]
	v_lshl_add_u64 v[54:55], v[122:123], 3, v[64:65]
	s_mov_b64 vcc, s[4:5]
	global_store_dwordx2 v[54:55], v[52:53], off
	s_cbranch_vccz .LBB199_119
; %bb.117:
	v_add_f64 v[52:53], v[50:51], 0
	v_lshl_add_u64 v[54:55], v[120:121], 3, v[64:65]
	s_mov_b64 s[0:1], 0
	global_store_dwordx2 v[54:55], v[52:53], off
	s_cbranch_execz .LBB199_120
; %bb.118:
	v_mov_b64_e32 v[50:51], s[0:1]
	s_branch .LBB199_121
.LBB199_119:
	s_mov_b64 s[0:1], -1
.LBB199_120:
	v_lshl_add_u64 v[52:53], v[66:67], 0, v[142:143]
	flat_load_dwordx2 v[52:53], v[52:53]
	v_lshl_add_u64 v[54:55], v[64:65], 0, v[142:143]
	s_waitcnt vmcnt(0) lgkmcnt(0)
	v_fmac_f64_e32 v[50:51], s[6:7], v[52:53]
	global_store_dwordx2 v[54:55], v[50:51], off
	v_lshl_add_u64 v[50:51], v[118:119], 3, v[66:67]
	flat_load_dwordx2 v[50:51], v[50:51]
	s_waitcnt vmcnt(0) lgkmcnt(0)
	v_mul_f64 v[50:51], v[50:51], s[6:7]
.LBB199_121:
	v_add_f64 v[48:49], v[48:49], v[50:51]
	v_lshl_add_u64 v[50:51], v[118:119], 3, v[64:65]
	s_mov_b64 vcc, s[4:5]
	global_store_dwordx2 v[50:51], v[48:49], off
	s_cbranch_vccz .LBB199_124
; %bb.122:
	v_add_f64 v[48:49], v[46:47], 0
	v_lshl_add_u64 v[50:51], v[116:117], 3, v[64:65]
	s_mov_b64 s[0:1], 0
	global_store_dwordx2 v[50:51], v[48:49], off
	s_cbranch_execz .LBB199_125
; %bb.123:
	v_mov_b64_e32 v[46:47], s[0:1]
	s_branch .LBB199_126
.LBB199_124:
	s_mov_b64 s[0:1], -1
.LBB199_125:
	v_lshl_add_u64 v[48:49], v[66:67], 0, v[144:145]
	flat_load_dwordx2 v[48:49], v[48:49]
	v_lshl_add_u64 v[50:51], v[64:65], 0, v[144:145]
	s_waitcnt vmcnt(0) lgkmcnt(0)
	v_fmac_f64_e32 v[46:47], s[6:7], v[48:49]
	global_store_dwordx2 v[50:51], v[46:47], off
	v_lshl_add_u64 v[46:47], v[114:115], 3, v[66:67]
	flat_load_dwordx2 v[46:47], v[46:47]
	s_waitcnt vmcnt(0) lgkmcnt(0)
	v_mul_f64 v[46:47], v[46:47], s[6:7]
.LBB199_126:
	v_add_f64 v[44:45], v[44:45], v[46:47]
	v_lshl_add_u64 v[46:47], v[114:115], 3, v[64:65]
	s_mov_b64 vcc, s[4:5]
	global_store_dwordx2 v[46:47], v[44:45], off
	s_cbranch_vccz .LBB199_129
; %bb.127:
	v_add_f64 v[44:45], v[42:43], 0
	v_lshl_add_u64 v[46:47], v[112:113], 3, v[64:65]
	s_mov_b64 s[0:1], 0
	global_store_dwordx2 v[46:47], v[44:45], off
	s_cbranch_execz .LBB199_130
; %bb.128:
	v_mov_b64_e32 v[42:43], s[0:1]
	s_branch .LBB199_131
.LBB199_129:
	s_mov_b64 s[0:1], -1
.LBB199_130:
	v_lshl_add_u64 v[44:45], v[66:67], 0, v[148:149]
	flat_load_dwordx2 v[44:45], v[44:45]
	v_lshl_add_u64 v[46:47], v[64:65], 0, v[148:149]
	s_waitcnt vmcnt(0) lgkmcnt(0)
	v_fmac_f64_e32 v[42:43], s[6:7], v[44:45]
	global_store_dwordx2 v[46:47], v[42:43], off
	v_lshl_add_u64 v[42:43], v[110:111], 3, v[66:67]
	flat_load_dwordx2 v[42:43], v[42:43]
	s_waitcnt vmcnt(0) lgkmcnt(0)
	v_mul_f64 v[42:43], v[42:43], s[6:7]
.LBB199_131:
	v_add_f64 v[40:41], v[40:41], v[42:43]
	v_lshl_add_u64 v[42:43], v[110:111], 3, v[64:65]
	s_mov_b64 vcc, s[4:5]
	global_store_dwordx2 v[42:43], v[40:41], off
	s_cbranch_vccz .LBB199_134
; %bb.132:
	v_add_f64 v[40:41], v[38:39], 0
	v_lshl_add_u64 v[42:43], v[108:109], 3, v[64:65]
	s_mov_b64 s[0:1], 0
	global_store_dwordx2 v[42:43], v[40:41], off
	s_cbranch_execz .LBB199_135
; %bb.133:
	v_mov_b64_e32 v[38:39], s[0:1]
	s_branch .LBB199_136
.LBB199_134:
	s_mov_b64 s[0:1], -1
.LBB199_135:
	v_lshl_add_u64 v[40:41], v[66:67], 0, v[150:151]
	flat_load_dwordx2 v[40:41], v[40:41]
	v_lshl_add_u64 v[42:43], v[64:65], 0, v[150:151]
	s_waitcnt vmcnt(0) lgkmcnt(0)
	v_fmac_f64_e32 v[38:39], s[6:7], v[40:41]
	global_store_dwordx2 v[42:43], v[38:39], off
	v_lshl_add_u64 v[38:39], v[106:107], 3, v[66:67]
	flat_load_dwordx2 v[38:39], v[38:39]
	s_waitcnt vmcnt(0) lgkmcnt(0)
	v_mul_f64 v[38:39], v[38:39], s[6:7]
.LBB199_136:
	v_add_f64 v[36:37], v[36:37], v[38:39]
	v_lshl_add_u64 v[38:39], v[106:107], 3, v[64:65]
	s_mov_b64 vcc, s[4:5]
	global_store_dwordx2 v[38:39], v[36:37], off
	s_cbranch_vccz .LBB199_139
; %bb.137:
	v_add_f64 v[36:37], v[34:35], 0
	v_lshl_add_u64 v[38:39], v[104:105], 3, v[64:65]
	s_mov_b64 s[0:1], 0
	global_store_dwordx2 v[38:39], v[36:37], off
	s_cbranch_execz .LBB199_140
; %bb.138:
	v_mov_b64_e32 v[34:35], s[0:1]
	s_branch .LBB199_141
.LBB199_139:
	s_mov_b64 s[0:1], -1
.LBB199_140:
	v_lshl_add_u64 v[36:37], v[66:67], 0, v[152:153]
	flat_load_dwordx2 v[36:37], v[36:37]
	v_lshl_add_u64 v[38:39], v[64:65], 0, v[152:153]
	s_waitcnt vmcnt(0) lgkmcnt(0)
	v_fmac_f64_e32 v[34:35], s[6:7], v[36:37]
	global_store_dwordx2 v[38:39], v[34:35], off
	v_lshl_add_u64 v[34:35], v[102:103], 3, v[66:67]
	flat_load_dwordx2 v[34:35], v[34:35]
	s_waitcnt vmcnt(0) lgkmcnt(0)
	v_mul_f64 v[34:35], v[34:35], s[6:7]
.LBB199_141:
	v_add_f64 v[32:33], v[32:33], v[34:35]
	v_lshl_add_u64 v[34:35], v[102:103], 3, v[64:65]
	s_mov_b64 vcc, s[4:5]
	global_store_dwordx2 v[34:35], v[32:33], off
	s_cbranch_vccz .LBB199_144
; %bb.142:
	v_add_f64 v[32:33], v[30:31], 0
	v_lshl_add_u64 v[34:35], v[100:101], 3, v[64:65]
	s_mov_b64 s[0:1], 0
	global_store_dwordx2 v[34:35], v[32:33], off
	s_cbranch_execz .LBB199_145
; %bb.143:
	v_mov_b64_e32 v[30:31], s[0:1]
	s_branch .LBB199_146
.LBB199_144:
	s_mov_b64 s[0:1], -1
.LBB199_145:
	v_lshl_add_u64 v[32:33], v[66:67], 0, v[154:155]
	flat_load_dwordx2 v[32:33], v[32:33]
	v_lshl_add_u64 v[34:35], v[64:65], 0, v[154:155]
	s_waitcnt vmcnt(0) lgkmcnt(0)
	v_fmac_f64_e32 v[30:31], s[6:7], v[32:33]
	global_store_dwordx2 v[34:35], v[30:31], off
	v_lshl_add_u64 v[30:31], v[98:99], 3, v[66:67]
	flat_load_dwordx2 v[30:31], v[30:31]
	s_waitcnt vmcnt(0) lgkmcnt(0)
	v_mul_f64 v[30:31], v[30:31], s[6:7]
.LBB199_146:
	v_add_f64 v[28:29], v[28:29], v[30:31]
	v_lshl_add_u64 v[30:31], v[98:99], 3, v[64:65]
	s_mov_b64 vcc, s[4:5]
	global_store_dwordx2 v[30:31], v[28:29], off
	s_cbranch_vccz .LBB199_149
; %bb.147:
	v_add_f64 v[28:29], v[26:27], 0
	v_lshl_add_u64 v[30:31], v[96:97], 3, v[64:65]
	s_mov_b64 s[0:1], 0
	global_store_dwordx2 v[30:31], v[28:29], off
	s_cbranch_execz .LBB199_150
; %bb.148:
	v_mov_b64_e32 v[26:27], s[0:1]
	s_branch .LBB199_151
.LBB199_149:
	s_mov_b64 s[0:1], -1
.LBB199_150:
	v_lshl_add_u64 v[28:29], v[66:67], 0, v[156:157]
	flat_load_dwordx2 v[28:29], v[28:29]
	v_lshl_add_u64 v[30:31], v[64:65], 0, v[156:157]
	s_waitcnt vmcnt(0) lgkmcnt(0)
	v_fmac_f64_e32 v[26:27], s[6:7], v[28:29]
	global_store_dwordx2 v[30:31], v[26:27], off
	v_lshl_add_u64 v[26:27], v[94:95], 3, v[66:67]
	flat_load_dwordx2 v[26:27], v[26:27]
	s_waitcnt vmcnt(0) lgkmcnt(0)
	v_mul_f64 v[26:27], v[26:27], s[6:7]
.LBB199_151:
	v_add_f64 v[24:25], v[24:25], v[26:27]
	v_lshl_add_u64 v[26:27], v[94:95], 3, v[64:65]
	s_mov_b64 vcc, s[4:5]
	global_store_dwordx2 v[26:27], v[24:25], off
	s_cbranch_vccz .LBB199_154
; %bb.152:
	v_add_f64 v[24:25], v[22:23], 0
	v_lshl_add_u64 v[26:27], v[92:93], 3, v[64:65]
	s_mov_b64 s[0:1], 0
	global_store_dwordx2 v[26:27], v[24:25], off
	s_cbranch_execz .LBB199_155
; %bb.153:
	v_mov_b64_e32 v[22:23], s[0:1]
	s_branch .LBB199_156
.LBB199_154:
	s_mov_b64 s[0:1], -1
.LBB199_155:
	v_lshl_add_u64 v[24:25], v[66:67], 0, v[158:159]
	flat_load_dwordx2 v[24:25], v[24:25]
	v_lshl_add_u64 v[26:27], v[64:65], 0, v[158:159]
	s_waitcnt vmcnt(0) lgkmcnt(0)
	v_fmac_f64_e32 v[22:23], s[6:7], v[24:25]
	global_store_dwordx2 v[26:27], v[22:23], off
	v_lshl_add_u64 v[22:23], v[90:91], 3, v[66:67]
	flat_load_dwordx2 v[22:23], v[22:23]
	s_waitcnt vmcnt(0) lgkmcnt(0)
	v_mul_f64 v[22:23], v[22:23], s[6:7]
.LBB199_156:
	v_add_f64 v[20:21], v[20:21], v[22:23]
	v_lshl_add_u64 v[22:23], v[90:91], 3, v[64:65]
	s_mov_b64 vcc, s[4:5]
	global_store_dwordx2 v[22:23], v[20:21], off
	s_cbranch_vccz .LBB199_159
; %bb.157:
	v_add_f64 v[20:21], v[18:19], 0
	v_lshl_add_u64 v[22:23], v[88:89], 3, v[64:65]
	s_mov_b64 s[0:1], 0
	global_store_dwordx2 v[22:23], v[20:21], off
	s_cbranch_execz .LBB199_160
; %bb.158:
	v_mov_b64_e32 v[18:19], s[0:1]
	s_branch .LBB199_161
.LBB199_159:
	s_mov_b64 s[0:1], -1
.LBB199_160:
	v_lshl_add_u64 v[20:21], v[66:67], 0, v[160:161]
	flat_load_dwordx2 v[20:21], v[20:21]
	v_lshl_add_u64 v[22:23], v[64:65], 0, v[160:161]
	s_waitcnt vmcnt(0) lgkmcnt(0)
	v_fmac_f64_e32 v[18:19], s[6:7], v[20:21]
	global_store_dwordx2 v[22:23], v[18:19], off
	v_lshl_add_u64 v[18:19], v[86:87], 3, v[66:67]
	flat_load_dwordx2 v[18:19], v[18:19]
	s_waitcnt vmcnt(0) lgkmcnt(0)
	v_mul_f64 v[18:19], v[18:19], s[6:7]
.LBB199_161:
	v_add_f64 v[16:17], v[16:17], v[18:19]
	v_lshl_add_u64 v[18:19], v[86:87], 3, v[64:65]
	s_mov_b64 vcc, s[4:5]
	global_store_dwordx2 v[18:19], v[16:17], off
	s_cbranch_vccz .LBB199_164
; %bb.162:
	v_add_f64 v[16:17], v[14:15], 0
	v_lshl_add_u64 v[18:19], v[84:85], 3, v[64:65]
	s_mov_b64 s[0:1], 0
	global_store_dwordx2 v[18:19], v[16:17], off
	s_cbranch_execz .LBB199_165
; %bb.163:
	v_mov_b64_e32 v[14:15], s[0:1]
	s_branch .LBB199_166
.LBB199_164:
	s_mov_b64 s[0:1], -1
.LBB199_165:
	v_lshl_add_u64 v[16:17], v[66:67], 0, v[162:163]
	flat_load_dwordx2 v[16:17], v[16:17]
	v_lshl_add_u64 v[18:19], v[64:65], 0, v[162:163]
	s_waitcnt vmcnt(0) lgkmcnt(0)
	v_fmac_f64_e32 v[14:15], s[6:7], v[16:17]
	global_store_dwordx2 v[18:19], v[14:15], off
	v_lshl_add_u64 v[14:15], v[82:83], 3, v[66:67]
	flat_load_dwordx2 v[14:15], v[14:15]
	s_waitcnt vmcnt(0) lgkmcnt(0)
	v_mul_f64 v[14:15], v[14:15], s[6:7]
.LBB199_166:
	v_add_f64 v[12:13], v[12:13], v[14:15]
	v_lshl_add_u64 v[14:15], v[82:83], 3, v[64:65]
	s_mov_b64 vcc, s[4:5]
	global_store_dwordx2 v[14:15], v[12:13], off
	s_cbranch_vccz .LBB199_169
; %bb.167:
	v_add_f64 v[12:13], v[10:11], 0
	v_lshl_add_u64 v[14:15], v[80:81], 3, v[64:65]
	s_mov_b64 s[0:1], 0
	global_store_dwordx2 v[14:15], v[12:13], off
	s_cbranch_execz .LBB199_170
; %bb.168:
	v_mov_b64_e32 v[10:11], s[0:1]
	s_branch .LBB199_171
.LBB199_169:
	s_mov_b64 s[0:1], -1
.LBB199_170:
	v_lshl_add_u64 v[12:13], v[66:67], 0, v[164:165]
	flat_load_dwordx2 v[12:13], v[12:13]
	v_lshl_add_u64 v[14:15], v[64:65], 0, v[164:165]
	s_waitcnt vmcnt(0) lgkmcnt(0)
	v_fmac_f64_e32 v[10:11], s[6:7], v[12:13]
	global_store_dwordx2 v[14:15], v[10:11], off
	v_lshl_add_u64 v[10:11], v[78:79], 3, v[66:67]
	flat_load_dwordx2 v[10:11], v[10:11]
	s_waitcnt vmcnt(0) lgkmcnt(0)
	v_mul_f64 v[10:11], v[10:11], s[6:7]
.LBB199_171:
	v_add_f64 v[8:9], v[8:9], v[10:11]
	v_lshl_add_u64 v[10:11], v[78:79], 3, v[64:65]
	s_mov_b64 vcc, s[4:5]
	global_store_dwordx2 v[10:11], v[8:9], off
	s_cbranch_vccz .LBB199_174
; %bb.172:
	v_add_f64 v[8:9], v[6:7], 0
	v_lshl_add_u64 v[10:11], v[76:77], 3, v[64:65]
	s_mov_b64 s[0:1], 0
	global_store_dwordx2 v[10:11], v[8:9], off
	s_cbranch_execz .LBB199_175
; %bb.173:
	v_mov_b64_e32 v[6:7], s[0:1]
	s_branch .LBB199_176
.LBB199_174:
	s_mov_b64 s[0:1], -1
.LBB199_175:
	v_lshl_add_u64 v[8:9], v[66:67], 0, v[166:167]
	flat_load_dwordx2 v[8:9], v[8:9]
	v_lshl_add_u64 v[10:11], v[64:65], 0, v[166:167]
	s_waitcnt vmcnt(0) lgkmcnt(0)
	v_fmac_f64_e32 v[6:7], s[6:7], v[8:9]
	global_store_dwordx2 v[10:11], v[6:7], off
	v_lshl_add_u64 v[6:7], v[74:75], 3, v[66:67]
	flat_load_dwordx2 v[6:7], v[6:7]
	s_waitcnt vmcnt(0) lgkmcnt(0)
	v_mul_f64 v[6:7], v[6:7], s[6:7]
.LBB199_176:
	v_add_f64 v[4:5], v[4:5], v[6:7]
	v_lshl_add_u64 v[6:7], v[74:75], 3, v[64:65]
	s_mov_b64 vcc, s[4:5]
	global_store_dwordx2 v[6:7], v[4:5], off
	s_cbranch_vccz .LBB199_179
; %bb.177:
	v_add_f64 v[4:5], v[2:3], 0
	v_lshl_add_u64 v[6:7], v[72:73], 3, v[64:65]
	s_mov_b64 s[0:1], 0
	global_store_dwordx2 v[6:7], v[4:5], off
	s_cbranch_execz .LBB199_180
; %bb.178:
	v_mov_b64_e32 v[2:3], s[0:1]
	v_add_f64 v[0:1], v[0:1], v[2:3]
	v_lshl_add_u64 v[2:3], v[70:71], 3, v[64:65]
	global_store_dwordx2 v[2:3], v[0:1], off
	s_endpgm
.LBB199_179:
	s_mov_b64 s[0:1], -1
.LBB199_180:
	v_lshl_add_u64 v[4:5], v[66:67], 0, v[68:69]
	flat_load_dwordx2 v[4:5], v[4:5]
	v_lshl_add_u64 v[6:7], v[64:65], 0, v[68:69]
	s_waitcnt vmcnt(0) lgkmcnt(0)
	v_fmac_f64_e32 v[2:3], s[6:7], v[4:5]
	global_store_dwordx2 v[6:7], v[2:3], off
	v_lshl_add_u64 v[2:3], v[70:71], 3, v[66:67]
	flat_load_dwordx2 v[2:3], v[2:3]
	s_waitcnt vmcnt(0) lgkmcnt(0)
	v_mul_f64 v[2:3], v[2:3], s[6:7]
	v_add_f64 v[0:1], v[0:1], v[2:3]
	v_lshl_add_u64 v[2:3], v[70:71], 3, v[64:65]
	global_store_dwordx2 v[2:3], v[0:1], off
	s_endpgm
	.section	.rodata,"a",@progbits
	.p2align	6, 0x0
	.amdhsa_kernel _ZN12_GLOBAL__N_120geam_min_plus_kernelIdddLi4ELi64ELi128ELi128ELi4ELi4ELi64ELi64ELi4ELc84ELc84ELb1ELb0ELb0EdKddEEviiiT16_PT17_ilS4_ilS2_S4_ilPT18_ili26rocblas_geam_ex_operation_
		.amdhsa_group_segment_fixed_size 16384
		.amdhsa_private_segment_fixed_size 0
		.amdhsa_kernarg_size 136
		.amdhsa_user_sgpr_count 2
		.amdhsa_user_sgpr_dispatch_ptr 0
		.amdhsa_user_sgpr_queue_ptr 0
		.amdhsa_user_sgpr_kernarg_segment_ptr 1
		.amdhsa_user_sgpr_dispatch_id 0
		.amdhsa_user_sgpr_kernarg_preload_length 0
		.amdhsa_user_sgpr_kernarg_preload_offset 0
		.amdhsa_user_sgpr_private_segment_size 0
		.amdhsa_uses_dynamic_stack 0
		.amdhsa_enable_private_segment 0
		.amdhsa_system_sgpr_workgroup_id_x 1
		.amdhsa_system_sgpr_workgroup_id_y 0
		.amdhsa_system_sgpr_workgroup_id_z 1
		.amdhsa_system_sgpr_workgroup_info 0
		.amdhsa_system_vgpr_workitem_id 1
		.amdhsa_next_free_vgpr 254
		.amdhsa_next_free_sgpr 25
		.amdhsa_accum_offset 256
		.amdhsa_reserve_vcc 1
		.amdhsa_float_round_mode_32 0
		.amdhsa_float_round_mode_16_64 0
		.amdhsa_float_denorm_mode_32 3
		.amdhsa_float_denorm_mode_16_64 3
		.amdhsa_dx10_clamp 1
		.amdhsa_ieee_mode 1
		.amdhsa_fp16_overflow 0
		.amdhsa_tg_split 0
		.amdhsa_exception_fp_ieee_invalid_op 0
		.amdhsa_exception_fp_denorm_src 0
		.amdhsa_exception_fp_ieee_div_zero 0
		.amdhsa_exception_fp_ieee_overflow 0
		.amdhsa_exception_fp_ieee_underflow 0
		.amdhsa_exception_fp_ieee_inexact 0
		.amdhsa_exception_int_div_zero 0
	.end_amdhsa_kernel
	.section	.text._ZN12_GLOBAL__N_120geam_min_plus_kernelIdddLi4ELi64ELi128ELi128ELi4ELi4ELi64ELi64ELi4ELc84ELc84ELb1ELb0ELb0EdKddEEviiiT16_PT17_ilS4_ilS2_S4_ilPT18_ili26rocblas_geam_ex_operation_,"axG",@progbits,_ZN12_GLOBAL__N_120geam_min_plus_kernelIdddLi4ELi64ELi128ELi128ELi4ELi4ELi64ELi64ELi4ELc84ELc84ELb1ELb0ELb0EdKddEEviiiT16_PT17_ilS4_ilS2_S4_ilPT18_ili26rocblas_geam_ex_operation_,comdat
.Lfunc_end199:
	.size	_ZN12_GLOBAL__N_120geam_min_plus_kernelIdddLi4ELi64ELi128ELi128ELi4ELi4ELi64ELi64ELi4ELc84ELc84ELb1ELb0ELb0EdKddEEviiiT16_PT17_ilS4_ilS2_S4_ilPT18_ili26rocblas_geam_ex_operation_, .Lfunc_end199-_ZN12_GLOBAL__N_120geam_min_plus_kernelIdddLi4ELi64ELi128ELi128ELi4ELi4ELi64ELi64ELi4ELc84ELc84ELb1ELb0ELb0EdKddEEviiiT16_PT17_ilS4_ilS2_S4_ilPT18_ili26rocblas_geam_ex_operation_
                                        ; -- End function
	.section	.AMDGPU.csdata,"",@progbits
; Kernel info:
; codeLenInByte = 12624
; NumSgprs: 31
; NumVgprs: 254
; NumAgprs: 0
; TotalNumVgprs: 254
; ScratchSize: 0
; MemoryBound: 0
; FloatMode: 240
; IeeeMode: 1
; LDSByteSize: 16384 bytes/workgroup (compile time only)
; SGPRBlocks: 3
; VGPRBlocks: 31
; NumSGPRsForWavesPerEU: 31
; NumVGPRsForWavesPerEU: 254
; AccumOffset: 256
; Occupancy: 2
; WaveLimiterHint : 1
; COMPUTE_PGM_RSRC2:SCRATCH_EN: 0
; COMPUTE_PGM_RSRC2:USER_SGPR: 2
; COMPUTE_PGM_RSRC2:TRAP_HANDLER: 0
; COMPUTE_PGM_RSRC2:TGID_X_EN: 1
; COMPUTE_PGM_RSRC2:TGID_Y_EN: 0
; COMPUTE_PGM_RSRC2:TGID_Z_EN: 1
; COMPUTE_PGM_RSRC2:TIDIG_COMP_CNT: 1
; COMPUTE_PGM_RSRC3_GFX90A:ACCUM_OFFSET: 63
; COMPUTE_PGM_RSRC3_GFX90A:TG_SPLIT: 0
	.section	.text._ZN12_GLOBAL__N_120geam_min_plus_kernelIdddLi4ELi64ELi128ELi128ELi4ELi4ELi64ELi64ELi4ELc84ELc84ELb0ELb0ELb0EdKddEEviiiT16_PT17_ilS4_ilS2_S4_ilPT18_ili26rocblas_geam_ex_operation_,"axG",@progbits,_ZN12_GLOBAL__N_120geam_min_plus_kernelIdddLi4ELi64ELi128ELi128ELi4ELi4ELi64ELi64ELi4ELc84ELc84ELb0ELb0ELb0EdKddEEviiiT16_PT17_ilS4_ilS2_S4_ilPT18_ili26rocblas_geam_ex_operation_,comdat
	.globl	_ZN12_GLOBAL__N_120geam_min_plus_kernelIdddLi4ELi64ELi128ELi128ELi4ELi4ELi64ELi64ELi4ELc84ELc84ELb0ELb0ELb0EdKddEEviiiT16_PT17_ilS4_ilS2_S4_ilPT18_ili26rocblas_geam_ex_operation_ ; -- Begin function _ZN12_GLOBAL__N_120geam_min_plus_kernelIdddLi4ELi64ELi128ELi128ELi4ELi4ELi64ELi64ELi4ELc84ELc84ELb0ELb0ELb0EdKddEEviiiT16_PT17_ilS4_ilS2_S4_ilPT18_ili26rocblas_geam_ex_operation_
	.p2align	8
	.type	_ZN12_GLOBAL__N_120geam_min_plus_kernelIdddLi4ELi64ELi128ELi128ELi4ELi4ELi64ELi64ELi4ELc84ELc84ELb0ELb0ELb0EdKddEEviiiT16_PT17_ilS4_ilS2_S4_ilPT18_ili26rocblas_geam_ex_operation_,@function
_ZN12_GLOBAL__N_120geam_min_plus_kernelIdddLi4ELi64ELi128ELi128ELi4ELi4ELi64ELi64ELi4ELc84ELc84ELb0ELb0ELb0EdKddEEviiiT16_PT17_ilS4_ilS2_S4_ilPT18_ili26rocblas_geam_ex_operation_: ; @_ZN12_GLOBAL__N_120geam_min_plus_kernelIdddLi4ELi64ELi128ELi128ELi4ELi4ELi64ELi64ELi4ELc84ELc84ELb0ELb0ELb0EdKddEEviiiT16_PT17_ilS4_ilS2_S4_ilPT18_ili26rocblas_geam_ex_operation_
; %bb.0:
	s_load_dwordx4 s[16:19], s[0:1], 0x10
	s_load_dwordx4 s[4:7], s[0:1], 0x28
	s_mov_b64 s[20:21], 0
	s_waitcnt lgkmcnt(0)
	v_cmp_eq_f64_e64 s[12:13], s[16:17], 0
	s_and_b64 vcc, exec, s[12:13]
	s_cbranch_vccnz .LBB200_2
; %bb.1:
	s_mul_i32 s5, s3, s5
	s_mul_hi_u32 s8, s3, s4
	s_add_i32 s5, s8, s5
	s_mul_i32 s4, s3, s4
	s_lshl_b64 s[4:5], s[4:5], 3
	s_add_u32 s20, s18, s4
	s_addc_u32 s21, s19, s5
.LBB200_2:
	s_load_dwordx4 s[8:11], s[0:1], 0x40
	s_load_dwordx2 s[4:5], s[0:1], 0x50
	s_andn2_b64 vcc, exec, s[12:13]
	s_cbranch_vccnz .LBB200_4
; %bb.3:
	s_mov_b32 s19, 0
	s_mov_b64 s[22:23], 0
	s_cbranch_execz .LBB200_5
	s_branch .LBB200_6
.LBB200_4:
                                        ; implicit-def: $sgpr22_sgpr23
                                        ; implicit-def: $sgpr18_sgpr19
.LBB200_5:
	s_waitcnt lgkmcnt(0)
	s_mul_i32 s9, s3, s9
	s_mul_hi_u32 s12, s3, s8
	s_add_i32 s9, s12, s9
	s_mul_i32 s8, s3, s8
	s_lshl_b64 s[8:9], s[8:9], 3
	s_add_u32 s22, s6, s8
	s_mov_b32 s19, 0
	s_addc_u32 s23, s7, s9
.LBB200_6:
	s_load_dwordx4 s[12:15], s[0:1], 0x60
	s_waitcnt lgkmcnt(0)
	v_cmp_eq_f64_e64 s[6:7], s[10:11], 0
	s_and_b64 s[6:7], exec, s[6:7]
	v_cmp_neq_f64_e64 s[24:25], s[16:17], 0
	s_mov_b64 s[8:9], 0
	s_mov_b64 vcc, s[6:7]
	s_cbranch_vccnz .LBB200_8
; %bb.7:
	s_mul_i32 s8, s3, s13
	s_mul_hi_u32 s9, s3, s12
	s_add_i32 s8, s9, s8
	s_mul_i32 s9, s19, s12
	s_add_i32 s9, s8, s9
	s_mul_i32 s8, s3, s12
	s_lshl_b64 s[8:9], s[8:9], 3
	s_add_u32 s8, s4, s8
	s_addc_u32 s9, s5, s9
.LBB200_8:
	s_load_dword s4, s[0:1], 0x0
	s_load_dword s26, s[0:1], 0x20
	v_and_b32_e32 v144, 0x3ff, v0
	v_bfe_u32 v145, v0, 10, 10
	v_lshl_add_u32 v6, v145, 2, v144
	s_waitcnt lgkmcnt(0)
	s_add_i32 s4, s4, -1
	s_ashr_i32 s5, s4, 31
	s_lshr_b32 s5, s5, 25
	s_add_i32 s4, s4, s5
	s_ashr_i32 s12, s4, 7
	s_add_i32 s13, s12, 1
	v_cvt_f32_u32_e32 v1, s13
	s_not_b32 s12, s12
	v_lshrrev_b32_e32 v10, 2, v6
	v_and_b32_e32 v146, 3, v144
	v_rcp_iflag_f32_e32 v0, v1
	v_cndmask_b32_e64 v1, 0, 1, s[24:25]
	v_cmp_ne_u32_e64 s[4:5], 1, v1
	v_mul_f32_e32 v0, 0x4f7ffffe, v0
	v_cvt_u32_f32_e32 v0, v0
	s_nop 0
	v_readfirstlane_b32 s18, v0
	s_mul_i32 s12, s12, s18
	s_mul_hi_u32 s12, s18, s12
	s_add_i32 s18, s18, s12
	s_mul_hi_u32 s12, s2, s18
	s_mul_i32 s18, s12, s13
	s_sub_i32 s18, s2, s18
	s_add_i32 s27, s12, 1
	s_sub_i32 s28, s18, s13
	s_cmp_ge_u32 s18, s13
	s_cselect_b32 s12, s27, s12
	s_cselect_b32 s18, s28, s18
	s_add_i32 s27, s12, 1
	s_cmp_ge_u32 s18, s13
	s_cselect_b32 s12, s27, s12
	s_mul_i32 s13, s12, s13
	s_sub_i32 s2, s2, s13
	s_lshl_b32 s2, s2, 7
	v_add_u32_e32 v139, s2, v10
	s_andn2_b64 vcc, exec, s[24:25]
	v_lshlrev_b32_e32 v0, 3, v146
	v_add_u32_e32 v138, 64, v139
	s_cbranch_vccnz .LBB200_10
; %bb.9:
	v_mov_b32_e32 v1, 0
	v_lshl_add_u64 v[2:3], s[20:21], 0, v[0:1]
	v_mad_i64_i32 v[4:5], s[24:25], v139, s26, 0
	v_lshl_add_u64 v[4:5], v[4:5], 3, v[2:3]
	v_mad_i64_i32 v[8:9], s[24:25], v138, s26, 0
	v_lshl_add_u64 v[2:3], v[8:9], 3, v[2:3]
	flat_load_dwordx2 v[8:9], v[4:5]
	flat_load_dwordx2 v[12:13], v[2:3]
	s_waitcnt vmcnt(0) lgkmcnt(0)
	v_mul_f64 v[2:3], v[8:9], s[16:17]
	v_mul_f64 v[4:5], v[12:13], s[16:17]
	s_branch .LBB200_11
.LBB200_10:
	v_mov_b64_e32 v[2:3], 0
	v_mov_b64_e32 v[4:5], 0
.LBB200_11:
	s_load_dword s24, s[0:1], 0x38
	v_and_b32_e32 v11, 63, v6
	s_lshl_b32 s18, s12, 7
	v_or_b32_e32 v132, s18, v11
	v_lshrrev_b32_e32 v147, 6, v6
	s_and_b64 vcc, exec, s[4:5]
	s_waitcnt lgkmcnt(0)
	s_ashr_i32 s25, s24, 31
	v_ashrrev_i32_e32 v133, 31, v132
	s_cbranch_vccnz .LBB200_15
; %bb.12:
	v_mad_i64_i32 v[6:7], s[12:13], s24, v147, 0
	v_lshl_add_u64 v[6:7], v[6:7], 3, s[22:23]
	v_lshl_add_u64 v[6:7], v[132:133], 3, v[6:7]
	flat_load_dwordx2 v[8:9], v[6:7]
	flat_load_dwordx2 v[12:13], v[6:7] offset:512
	s_waitcnt vmcnt(0) lgkmcnt(0)
	v_mul_f64 v[6:7], v[8:9], s[16:17]
	v_mul_f64 v[8:9], v[12:13], s[16:17]
	s_and_b64 vcc, exec, s[4:5]
	s_cbranch_vccnz .LBB200_16
.LBB200_13:
	v_mov_b32_e32 v1, 0
	v_lshl_add_u64 v[12:13], s[20:21], 0, v[0:1]
	v_mad_i64_i32 v[14:15], s[12:13], v139, s26, 0
	v_lshl_add_u64 v[14:15], v[14:15], 3, v[12:13]
	v_mad_i64_i32 v[16:17], s[12:13], v138, s26, 0
	v_lshl_add_u64 v[12:13], v[16:17], 3, v[12:13]
	flat_load_dwordx2 v[16:17], v[14:15] offset:32
	flat_load_dwordx2 v[18:19], v[12:13] offset:32
	s_waitcnt vmcnt(0) lgkmcnt(0)
	v_mul_f64 v[128:129], v[16:17], s[16:17]
	v_mul_f64 v[130:131], v[18:19], s[16:17]
	s_and_b64 vcc, exec, s[4:5]
	v_add_u32_e32 v148, 4, v147
	s_cbranch_vccnz .LBB200_17
.LBB200_14:
	v_mad_i64_i32 v[12:13], s[12:13], s24, v148, 0
	v_lshl_add_u64 v[12:13], v[12:13], 3, s[22:23]
	v_lshl_add_u64 v[12:13], v[132:133], 3, v[12:13]
	flat_load_dwordx2 v[14:15], v[12:13]
	flat_load_dwordx2 v[16:17], v[12:13] offset:512
	s_waitcnt vmcnt(0) lgkmcnt(0)
	v_mul_f64 v[134:135], v[14:15], s[16:17]
	v_mul_f64 v[136:137], v[16:17], s[16:17]
	s_branch .LBB200_18
.LBB200_15:
	v_mov_b64_e32 v[6:7], 0
	v_mov_b64_e32 v[8:9], 0
	s_and_b64 vcc, exec, s[4:5]
	s_cbranch_vccz .LBB200_13
.LBB200_16:
	v_mov_b64_e32 v[128:129], 0
	v_mov_b64_e32 v[130:131], 0
	s_and_b64 vcc, exec, s[4:5]
	v_add_u32_e32 v148, 4, v147
	s_cbranch_vccz .LBB200_14
.LBB200_17:
	v_mov_b64_e32 v[134:135], 0
	v_mov_b64_e32 v[136:137], 0
.LBB200_18:
	v_lshl_or_b32 v149, v10, 5, v0
	v_lshlrev_b32_e32 v0, 5, v11
	v_lshl_add_u32 v141, v147, 3, v0
	v_lshlrev_b32_e32 v140, 5, v145
	ds_write2st64_b64 v149, v[2:3], v[4:5] offset1:4
	v_or_b32_e32 v150, 0x2000, v141
	ds_write2st64_b64 v141, v[6:7], v[8:9] offset0:16 offset1:20
	v_lshlrev_b32_e32 v151, 5, v144
	v_add_u32_e32 v152, 0x2000, v140
	s_mov_b32 s12, 0
	v_mov_b64_e32 v[126:127], 0
	v_mov_b64_e32 v[124:125], 0
	v_mov_b64_e32 v[122:123], 0
	v_mov_b64_e32 v[120:121], 0
	v_mov_b64_e32 v[118:119], 0
	v_mov_b64_e32 v[116:117], 0
	v_mov_b64_e32 v[114:115], 0
	v_mov_b64_e32 v[112:113], 0
	v_mov_b64_e32 v[110:111], 0
	v_mov_b64_e32 v[108:109], 0
	v_mov_b64_e32 v[106:107], 0
	v_mov_b64_e32 v[104:105], 0
	v_mov_b64_e32 v[102:103], 0
	v_mov_b64_e32 v[100:101], 0
	v_mov_b64_e32 v[98:99], 0
	v_mov_b64_e32 v[96:97], 0
	v_mov_b64_e32 v[94:95], 0
	v_mov_b64_e32 v[92:93], 0
	v_mov_b64_e32 v[90:91], 0
	v_mov_b64_e32 v[88:89], 0
	v_mov_b64_e32 v[86:87], 0
	v_mov_b64_e32 v[84:85], 0
	v_mov_b64_e32 v[82:83], 0
	v_mov_b64_e32 v[80:81], 0
	v_mov_b64_e32 v[78:79], 0
	v_mov_b64_e32 v[76:77], 0
	v_mov_b64_e32 v[74:75], 0
	v_mov_b64_e32 v[72:73], 0
	v_mov_b64_e32 v[70:71], 0
	v_mov_b64_e32 v[68:69], 0
	v_mov_b64_e32 v[66:67], 0
	v_mov_b64_e32 v[64:65], 0
	v_mov_b64_e32 v[62:63], 0
	v_mov_b64_e32 v[60:61], 0
	v_mov_b64_e32 v[58:59], 0
	v_mov_b64_e32 v[56:57], 0
	v_mov_b64_e32 v[54:55], 0
	v_mov_b64_e32 v[52:53], 0
	v_mov_b64_e32 v[50:51], 0
	v_mov_b64_e32 v[48:49], 0
	v_mov_b64_e32 v[46:47], 0
	v_mov_b64_e32 v[44:45], 0
	v_mov_b64_e32 v[42:43], 0
	v_mov_b64_e32 v[40:41], 0
	v_mov_b64_e32 v[38:39], 0
	v_mov_b64_e32 v[36:37], 0
	v_mov_b64_e32 v[34:35], 0
	v_mov_b64_e32 v[32:33], 0
	v_mov_b64_e32 v[30:31], 0
	v_mov_b64_e32 v[28:29], 0
	v_mov_b64_e32 v[26:27], 0
	v_mov_b64_e32 v[24:25], 0
	v_mov_b64_e32 v[22:23], 0
	v_mov_b64_e32 v[20:21], 0
	v_mov_b64_e32 v[18:19], 0
	v_mov_b64_e32 v[16:17], 0
	v_mov_b64_e32 v[14:15], 0
	v_mov_b64_e32 v[12:13], 0
	v_mov_b64_e32 v[10:11], 0
	v_mov_b64_e32 v[8:9], 0
	v_mov_b64_e32 v[6:7], 0
	v_mov_b64_e32 v[4:5], 0
	v_mov_b64_e32 v[2:3], 0
	v_mov_b64_e32 v[0:1], 0
	s_waitcnt lgkmcnt(0)
	s_barrier
.LBB200_19:                             ; =>This Inner Loop Header: Depth=1
	v_add_u32_e32 v142, s12, v151
	v_add_u32_e32 v143, s12, v152
	ds_read2_b64 v[154:157], v142 offset1:16
	ds_read2_b64 v[158:161], v142 offset0:32 offset1:48
	ds_read2_b64 v[162:165], v142 offset0:64 offset1:80
	;; [unrolled: 1-line block ×7, first 2 shown]
	ds_read2st64_b64 v[186:189], v143 offset1:4
	v_add_u32_e32 v142, 0x800, v142
	ds_read2_b64 v[190:193], v142 offset1:16
	ds_read2_b64 v[194:197], v142 offset0:32 offset1:48
	ds_read2_b64 v[198:201], v142 offset0:64 offset1:80
	;; [unrolled: 1-line block ×7, first 2 shown]
	s_waitcnt lgkmcnt(14)
	v_max_f64 v[142:143], v[154:155], v[154:155]
	v_max_f64 v[154:155], v[156:157], v[156:157]
	;; [unrolled: 1-line block ×6, first 2 shown]
	s_waitcnt lgkmcnt(13)
	v_max_f64 v[164:165], v[166:167], v[166:167]
	v_max_f64 v[166:167], v[168:169], v[168:169]
	s_waitcnt lgkmcnt(12)
	v_max_f64 v[168:169], v[170:171], v[170:171]
	v_max_f64 v[170:171], v[172:173], v[172:173]
	s_waitcnt lgkmcnt(11)
	v_max_f64 v[172:173], v[174:175], v[174:175]
	v_max_f64 v[174:175], v[176:177], v[176:177]
	s_waitcnt lgkmcnt(10)
	v_max_f64 v[176:177], v[178:179], v[178:179]
	v_max_f64 v[178:179], v[180:181], v[180:181]
	s_waitcnt lgkmcnt(9)
	v_max_f64 v[180:181], v[182:183], v[182:183]
	v_max_f64 v[182:183], v[184:185], v[184:185]
	s_waitcnt lgkmcnt(8)
	v_max_f64 v[184:185], v[186:187], v[186:187]
	v_max_f64 v[186:187], v[188:189], v[188:189]
	s_waitcnt lgkmcnt(7)
	v_max_f64 v[188:189], v[190:191], v[190:191]
	v_max_f64 v[190:191], v[192:193], v[192:193]
	s_waitcnt lgkmcnt(6)
	v_max_f64 v[192:193], v[194:195], v[194:195]
	v_max_f64 v[194:195], v[196:197], v[196:197]
	s_waitcnt lgkmcnt(5)
	v_max_f64 v[196:197], v[198:199], v[198:199]
	v_max_f64 v[198:199], v[200:201], v[200:201]
	s_waitcnt lgkmcnt(4)
	v_max_f64 v[200:201], v[202:203], v[202:203]
	v_max_f64 v[202:203], v[204:205], v[204:205]
	s_waitcnt lgkmcnt(3)
	v_max_f64 v[204:205], v[206:207], v[206:207]
	v_max_f64 v[206:207], v[208:209], v[208:209]
	s_waitcnt lgkmcnt(2)
	v_max_f64 v[208:209], v[210:211], v[210:211]
	v_max_f64 v[210:211], v[212:213], v[212:213]
	s_waitcnt lgkmcnt(1)
	v_max_f64 v[212:213], v[214:215], v[214:215]
	v_max_f64 v[214:215], v[216:217], v[216:217]
	s_waitcnt lgkmcnt(0)
	v_max_f64 v[216:217], v[218:219], v[218:219]
	v_max_f64 v[218:219], v[220:221], v[220:221]
	v_min_f64 v[220:221], v[142:143], v[184:185]
	v_min_f64 v[222:223], v[154:155], v[184:185]
	;; [unrolled: 1-line block ×32, first 2 shown]
	s_add_i32 s12, s12, 8
	v_add_f64 v[62:63], v[142:143], v[62:63]
	v_add_f64 v[60:61], v[154:155], v[60:61]
	;; [unrolled: 1-line block ×16, first 2 shown]
	v_min_f64 v[142:143], v[188:189], v[184:185]
	v_min_f64 v[154:155], v[190:191], v[184:185]
	;; [unrolled: 1-line block ×32, first 2 shown]
	s_cmp_eq_u32 s12, 32
	v_add_f64 v[126:127], v[220:221], v[126:127]
	v_add_f64 v[124:125], v[222:223], v[124:125]
	v_add_f64 v[122:123], v[224:225], v[122:123]
	v_add_f64 v[120:121], v[226:227], v[120:121]
	v_add_f64 v[118:119], v[228:229], v[118:119]
	v_add_f64 v[116:117], v[230:231], v[116:117]
	v_add_f64 v[114:115], v[232:233], v[114:115]
	v_add_f64 v[112:113], v[234:235], v[112:113]
	v_add_f64 v[110:111], v[236:237], v[110:111]
	v_add_f64 v[108:109], v[238:239], v[108:109]
	v_add_f64 v[106:107], v[240:241], v[106:107]
	v_add_f64 v[104:105], v[242:243], v[104:105]
	v_add_f64 v[102:103], v[244:245], v[102:103]
	v_add_f64 v[100:101], v[246:247], v[100:101]
	v_add_f64 v[98:99], v[248:249], v[98:99]
	v_add_f64 v[96:97], v[250:251], v[96:97]
	v_add_f64 v[94:95], v[142:143], v[94:95]
	v_add_f64 v[92:93], v[154:155], v[92:93]
	v_add_f64 v[90:91], v[156:157], v[90:91]
	v_add_f64 v[88:89], v[158:159], v[88:89]
	v_add_f64 v[86:87], v[160:161], v[86:87]
	v_add_f64 v[84:85], v[162:163], v[84:85]
	v_add_f64 v[82:83], v[164:165], v[82:83]
	v_add_f64 v[80:81], v[166:167], v[80:81]
	v_add_f64 v[78:79], v[168:169], v[78:79]
	v_add_f64 v[76:77], v[170:171], v[76:77]
	v_add_f64 v[74:75], v[172:173], v[74:75]
	v_add_f64 v[72:73], v[174:175], v[72:73]
	v_add_f64 v[70:71], v[176:177], v[70:71]
	v_add_f64 v[68:69], v[178:179], v[68:69]
	v_add_f64 v[66:67], v[180:181], v[66:67]
	v_add_f64 v[64:65], v[182:183], v[64:65]
	v_add_f64 v[30:31], v[184:185], v[30:31]
	v_add_f64 v[28:29], v[188:189], v[28:29]
	v_add_f64 v[26:27], v[190:191], v[26:27]
	v_add_f64 v[24:25], v[192:193], v[24:25]
	v_add_f64 v[22:23], v[194:195], v[22:23]
	v_add_f64 v[20:21], v[196:197], v[20:21]
	v_add_f64 v[18:19], v[198:199], v[18:19]
	v_add_f64 v[16:17], v[200:201], v[16:17]
	v_add_f64 v[14:15], v[202:203], v[14:15]
	v_add_f64 v[12:13], v[204:205], v[12:13]
	v_add_f64 v[10:11], v[206:207], v[10:11]
	v_add_f64 v[8:9], v[208:209], v[8:9]
	v_add_f64 v[6:7], v[210:211], v[6:7]
	v_add_f64 v[4:5], v[212:213], v[4:5]
	v_add_f64 v[2:3], v[214:215], v[2:3]
	v_add_f64 v[0:1], v[186:187], v[0:1]
	s_cbranch_scc0 .LBB200_19
; %bb.20:
	s_load_dword s27, s[0:1], 0x8
	ds_write2st64_b64 v149, v[128:129], v[130:131] offset0:8 offset1:12
	ds_write2st64_b64 v141, v[134:135], v[136:137] offset0:24 offset1:28
	s_waitcnt lgkmcnt(0)
	s_barrier
	s_cmp_gt_i32 s27, 8
	s_cbranch_scc1 .LBB200_22
; %bb.21:
	v_add_u32_e32 v153, 0x1000, v151
	v_add_u32_e32 v154, 0x3000, v140
	s_cbranch_execz .LBB200_23
	s_branch .LBB200_39
.LBB200_22:
                                        ; implicit-def: $vgpr153
                                        ; implicit-def: $vgpr154
.LBB200_23:
	v_add_u32_e32 v155, 0x1000, v149
	v_or_b32_e32 v156, 0x3000, v141
	s_add_i32 s12, s27, -8
	v_mad_i64_i32 v[128:129], s[28:29], v139, s26, 0
	v_mad_i64_i32 v[130:131], s[26:27], v138, s26, 0
	v_lshl_add_u64 v[132:133], v[132:133], 3, s[22:23]
	v_add_u32_e32 v153, 0x1000, v151
	v_add_u32_e32 v154, 0x3000, v140
	s_mov_b32 s13, 8
	s_mov_b32 s22, 0
	v_mov_b32_e32 v135, 0
.LBB200_24:                             ; =>This Loop Header: Depth=1
                                        ;     Child Loop BB200_30 Depth 2
                                        ;     Child Loop BB200_37 Depth 2
	s_and_b64 vcc, exec, s[4:5]
	s_cbranch_vccnz .LBB200_27
; %bb.25:                               ;   in Loop: Header=BB200_24 Depth=1
	v_or_b32_e32 v134, s13, v146
	v_lshl_add_u64 v[136:137], v[134:135], 3, s[20:21]
	v_lshl_add_u64 v[138:139], v[128:129], 3, v[136:137]
	;; [unrolled: 1-line block ×3, first 2 shown]
	flat_load_dwordx2 v[138:139], v[138:139]
	s_nop 0
	flat_load_dwordx2 v[140:141], v[136:137]
	s_waitcnt vmcnt(0) lgkmcnt(0)
	v_mul_f64 v[136:137], v[138:139], s[16:17]
	v_mul_f64 v[138:139], v[140:141], s[16:17]
	s_and_b64 vcc, exec, s[4:5]
	s_cbranch_vccnz .LBB200_28
.LBB200_26:                             ;   in Loop: Header=BB200_24 Depth=1
	v_add_u32_e32 v142, s13, v147
	v_mad_u64_u32 v[140:141], s[26:27], v142, s24, 0
	v_mov_b32_e32 v134, v141
	v_mad_u64_u32 v[142:143], s[26:27], v142, s25, v[134:135]
	v_mov_b32_e32 v141, v142
	v_lshl_add_u64 v[140:141], v[140:141], 3, v[132:133]
	flat_load_dwordx2 v[142:143], v[140:141]
	flat_load_dwordx2 v[158:159], v[140:141] offset:512
	s_waitcnt vmcnt(0) lgkmcnt(0)
	v_mul_f64 v[140:141], v[142:143], s[16:17]
	v_mul_f64 v[142:143], v[158:159], s[16:17]
	s_branch .LBB200_29
.LBB200_27:                             ;   in Loop: Header=BB200_24 Depth=1
	v_mov_b64_e32 v[136:137], 0
	v_mov_b64_e32 v[138:139], 0
	s_and_b64 vcc, exec, s[4:5]
	s_cbranch_vccz .LBB200_26
.LBB200_28:                             ;   in Loop: Header=BB200_24 Depth=1
	v_mov_b64_e32 v[140:141], 0
	v_mov_b64_e32 v[142:143], 0
.LBB200_29:                             ;   in Loop: Header=BB200_24 Depth=1
	s_mov_b32 s23, 0
.LBB200_30:                             ;   Parent Loop BB200_24 Depth=1
                                        ; =>  This Inner Loop Header: Depth=2
	v_add_u32_e32 v134, s23, v153
	ds_read2_b64 v[158:161], v134 offset1:16
	ds_read2_b64 v[162:165], v134 offset0:32 offset1:48
	ds_read2_b64 v[166:169], v134 offset0:64 offset1:80
	ds_read2_b64 v[170:173], v134 offset0:96 offset1:112
	ds_read2_b64 v[174:177], v134 offset0:128 offset1:144
	ds_read2_b64 v[178:181], v134 offset0:160 offset1:176
	ds_read2_b64 v[182:185], v134 offset0:192 offset1:208
	ds_read2_b64 v[186:189], v134 offset0:224 offset1:240
	v_add_u32_e32 v134, 0x800, v134
	ds_read2_b64 v[190:193], v134 offset1:16
	ds_read2_b64 v[194:197], v134 offset0:32 offset1:48
	ds_read2_b64 v[198:201], v134 offset0:64 offset1:80
	;; [unrolled: 1-line block ×7, first 2 shown]
	v_add_u32_e32 v134, s23, v154
	ds_read2st64_b64 v[222:225], v134 offset1:4
	s_waitcnt lgkmcnt(14)
	v_max_f64 v[158:159], v[158:159], v[158:159]
	v_max_f64 v[160:161], v[160:161], v[160:161]
	;; [unrolled: 1-line block ×4, first 2 shown]
	s_waitcnt lgkmcnt(0)
	v_max_f64 v[222:223], v[222:223], v[222:223]
	v_min_f64 v[226:227], v[158:159], v[222:223]
	v_add_f64 v[126:127], v[226:227], v[126:127]
	v_min_f64 v[226:227], v[160:161], v[222:223]
	v_add_f64 v[124:125], v[226:227], v[124:125]
	;; [unrolled: 2-line block ×3, first 2 shown]
	v_min_f64 v[226:227], v[164:165], v[222:223]
	v_max_f64 v[166:167], v[166:167], v[166:167]
	v_add_f64 v[120:121], v[226:227], v[120:121]
	v_min_f64 v[226:227], v[166:167], v[222:223]
	v_max_f64 v[168:169], v[168:169], v[168:169]
	v_add_f64 v[118:119], v[226:227], v[118:119]
	;; [unrolled: 3-line block ×26, first 2 shown]
	v_min_f64 v[226:227], v[216:217], v[222:223]
	v_max_f64 v[218:219], v[218:219], v[218:219]
	v_max_f64 v[220:221], v[220:221], v[220:221]
	v_add_f64 v[68:69], v[226:227], v[68:69]
	v_min_f64 v[226:227], v[218:219], v[222:223]
	v_min_f64 v[222:223], v[220:221], v[222:223]
	v_add_f64 v[64:65], v[222:223], v[64:65]
	v_max_f64 v[222:223], v[224:225], v[224:225]
	v_min_f64 v[158:159], v[158:159], v[222:223]
	v_add_f64 v[62:63], v[158:159], v[62:63]
	v_min_f64 v[158:159], v[160:161], v[222:223]
	v_add_f64 v[60:61], v[158:159], v[60:61]
	v_min_f64 v[158:159], v[162:163], v[222:223]
	v_add_f64 v[58:59], v[158:159], v[58:59]
	v_min_f64 v[158:159], v[164:165], v[222:223]
	v_add_f64 v[56:57], v[158:159], v[56:57]
	v_min_f64 v[158:159], v[166:167], v[222:223]
	v_add_f64 v[54:55], v[158:159], v[54:55]
	v_min_f64 v[158:159], v[168:169], v[222:223]
	v_add_f64 v[52:53], v[158:159], v[52:53]
	v_min_f64 v[158:159], v[170:171], v[222:223]
	v_add_f64 v[50:51], v[158:159], v[50:51]
	v_min_f64 v[158:159], v[172:173], v[222:223]
	v_add_f64 v[48:49], v[158:159], v[48:49]
	v_min_f64 v[158:159], v[174:175], v[222:223]
	v_add_f64 v[46:47], v[158:159], v[46:47]
	v_min_f64 v[158:159], v[176:177], v[222:223]
	v_add_f64 v[44:45], v[158:159], v[44:45]
	v_min_f64 v[158:159], v[178:179], v[222:223]
	v_add_f64 v[42:43], v[158:159], v[42:43]
	v_min_f64 v[158:159], v[180:181], v[222:223]
	v_add_f64 v[40:41], v[158:159], v[40:41]
	v_min_f64 v[158:159], v[182:183], v[222:223]
	v_add_f64 v[38:39], v[158:159], v[38:39]
	v_min_f64 v[158:159], v[184:185], v[222:223]
	v_add_f64 v[36:37], v[158:159], v[36:37]
	v_min_f64 v[158:159], v[186:187], v[222:223]
	v_add_f64 v[34:35], v[158:159], v[34:35]
	v_min_f64 v[158:159], v[188:189], v[222:223]
	v_add_f64 v[32:33], v[158:159], v[32:33]
	v_min_f64 v[158:159], v[190:191], v[222:223]
	v_add_f64 v[30:31], v[158:159], v[30:31]
	v_min_f64 v[158:159], v[192:193], v[222:223]
	v_add_f64 v[28:29], v[158:159], v[28:29]
	v_min_f64 v[158:159], v[194:195], v[222:223]
	v_add_f64 v[26:27], v[158:159], v[26:27]
	v_min_f64 v[158:159], v[196:197], v[222:223]
	v_add_f64 v[24:25], v[158:159], v[24:25]
	v_min_f64 v[158:159], v[198:199], v[222:223]
	v_add_f64 v[22:23], v[158:159], v[22:23]
	v_min_f64 v[158:159], v[200:201], v[222:223]
	v_add_f64 v[20:21], v[158:159], v[20:21]
	v_min_f64 v[158:159], v[202:203], v[222:223]
	v_add_f64 v[18:19], v[158:159], v[18:19]
	v_min_f64 v[158:159], v[204:205], v[222:223]
	v_add_f64 v[16:17], v[158:159], v[16:17]
	v_min_f64 v[158:159], v[206:207], v[222:223]
	v_add_f64 v[14:15], v[158:159], v[14:15]
	v_min_f64 v[158:159], v[208:209], v[222:223]
	v_add_f64 v[12:13], v[158:159], v[12:13]
	v_min_f64 v[158:159], v[210:211], v[222:223]
	v_add_f64 v[10:11], v[158:159], v[10:11]
	v_min_f64 v[158:159], v[212:213], v[222:223]
	v_add_f64 v[8:9], v[158:159], v[8:9]
	v_min_f64 v[158:159], v[214:215], v[222:223]
	v_add_f64 v[6:7], v[158:159], v[6:7]
	v_min_f64 v[158:159], v[216:217], v[222:223]
	v_add_f64 v[4:5], v[158:159], v[4:5]
	v_min_f64 v[158:159], v[218:219], v[222:223]
	v_add_f64 v[2:3], v[158:159], v[2:3]
	v_min_f64 v[158:159], v[220:221], v[222:223]
	s_add_i32 s23, s23, 8
	v_add_f64 v[66:67], v[226:227], v[66:67]
	v_add_f64 v[0:1], v[158:159], v[0:1]
	s_cmp_eq_u32 s23, 32
	s_cbranch_scc0 .LBB200_30
; %bb.31:                               ;   in Loop: Header=BB200_24 Depth=1
	s_and_b64 vcc, exec, s[4:5]
	ds_write2st64_b64 v149, v[136:137], v[138:139] offset1:4
	ds_write2st64_b64 v150, v[140:141], v[142:143] offset1:4
	s_waitcnt lgkmcnt(0)
	s_barrier
	s_cbranch_vccnz .LBB200_34
; %bb.32:                               ;   in Loop: Header=BB200_24 Depth=1
	v_or_b32_e32 v134, s13, v146
	v_lshl_add_u64 v[136:137], v[134:135], 3, s[20:21]
	v_lshl_add_u64 v[138:139], v[128:129], 3, v[136:137]
	;; [unrolled: 1-line block ×3, first 2 shown]
	flat_load_dwordx2 v[138:139], v[138:139] offset:32
	s_nop 0
	flat_load_dwordx2 v[140:141], v[136:137] offset:32
	s_waitcnt vmcnt(0) lgkmcnt(0)
	v_mul_f64 v[136:137], v[138:139], s[16:17]
	v_mul_f64 v[138:139], v[140:141], s[16:17]
	s_and_b64 vcc, exec, s[4:5]
	s_cbranch_vccnz .LBB200_35
.LBB200_33:                             ;   in Loop: Header=BB200_24 Depth=1
	v_add_u32_e32 v142, s13, v148
	v_mad_u64_u32 v[140:141], s[26:27], v142, s24, 0
	v_mov_b32_e32 v134, v141
	v_mad_u64_u32 v[142:143], s[26:27], v142, s25, v[134:135]
	v_mov_b32_e32 v141, v142
	v_lshl_add_u64 v[140:141], v[140:141], 3, v[132:133]
	flat_load_dwordx2 v[142:143], v[140:141]
	flat_load_dwordx2 v[158:159], v[140:141] offset:512
	s_waitcnt vmcnt(0) lgkmcnt(0)
	v_mul_f64 v[140:141], v[142:143], s[16:17]
	v_mul_f64 v[142:143], v[158:159], s[16:17]
	s_branch .LBB200_36
.LBB200_34:                             ;   in Loop: Header=BB200_24 Depth=1
	v_mov_b64_e32 v[136:137], 0
	v_mov_b64_e32 v[138:139], 0
	s_and_b64 vcc, exec, s[4:5]
	s_cbranch_vccz .LBB200_33
.LBB200_35:                             ;   in Loop: Header=BB200_24 Depth=1
	v_mov_b64_e32 v[140:141], 0
	v_mov_b64_e32 v[142:143], 0
.LBB200_36:                             ;   in Loop: Header=BB200_24 Depth=1
	s_mov_b32 s23, 0
.LBB200_37:                             ;   Parent Loop BB200_24 Depth=1
                                        ; =>  This Inner Loop Header: Depth=2
	v_add_u32_e32 v134, s23, v151
	ds_read2_b64 v[158:161], v134 offset1:16
	ds_read2_b64 v[162:165], v134 offset0:32 offset1:48
	ds_read2_b64 v[166:169], v134 offset0:64 offset1:80
	;; [unrolled: 1-line block ×7, first 2 shown]
	v_add_u32_e32 v134, 0x800, v134
	ds_read2_b64 v[190:193], v134 offset1:16
	ds_read2_b64 v[194:197], v134 offset0:32 offset1:48
	ds_read2_b64 v[198:201], v134 offset0:64 offset1:80
	;; [unrolled: 1-line block ×7, first 2 shown]
	v_add_u32_e32 v134, s23, v152
	ds_read2st64_b64 v[222:225], v134 offset1:4
	s_waitcnt lgkmcnt(14)
	v_max_f64 v[158:159], v[158:159], v[158:159]
	v_max_f64 v[160:161], v[160:161], v[160:161]
	;; [unrolled: 1-line block ×4, first 2 shown]
	s_waitcnt lgkmcnt(0)
	v_max_f64 v[222:223], v[222:223], v[222:223]
	v_min_f64 v[226:227], v[158:159], v[222:223]
	v_add_f64 v[126:127], v[226:227], v[126:127]
	v_min_f64 v[226:227], v[160:161], v[222:223]
	v_add_f64 v[124:125], v[226:227], v[124:125]
	;; [unrolled: 2-line block ×3, first 2 shown]
	v_min_f64 v[226:227], v[164:165], v[222:223]
	v_max_f64 v[166:167], v[166:167], v[166:167]
	v_add_f64 v[120:121], v[226:227], v[120:121]
	v_min_f64 v[226:227], v[166:167], v[222:223]
	v_max_f64 v[168:169], v[168:169], v[168:169]
	v_add_f64 v[118:119], v[226:227], v[118:119]
	;; [unrolled: 3-line block ×26, first 2 shown]
	v_min_f64 v[226:227], v[216:217], v[222:223]
	v_max_f64 v[218:219], v[218:219], v[218:219]
	v_max_f64 v[220:221], v[220:221], v[220:221]
	v_add_f64 v[68:69], v[226:227], v[68:69]
	v_min_f64 v[226:227], v[218:219], v[222:223]
	v_min_f64 v[222:223], v[220:221], v[222:223]
	v_add_f64 v[64:65], v[222:223], v[64:65]
	v_max_f64 v[222:223], v[224:225], v[224:225]
	v_min_f64 v[158:159], v[158:159], v[222:223]
	v_add_f64 v[62:63], v[158:159], v[62:63]
	v_min_f64 v[158:159], v[160:161], v[222:223]
	v_add_f64 v[60:61], v[158:159], v[60:61]
	;; [unrolled: 2-line block ×31, first 2 shown]
	v_min_f64 v[158:159], v[220:221], v[222:223]
	s_add_i32 s23, s23, 8
	v_add_f64 v[66:67], v[226:227], v[66:67]
	v_add_f64 v[0:1], v[158:159], v[0:1]
	s_cmp_eq_u32 s23, 32
	s_cbranch_scc0 .LBB200_37
; %bb.38:                               ;   in Loop: Header=BB200_24 Depth=1
	s_add_i32 s13, s13, 8
	s_add_i32 s22, s22, 8
	s_cmp_ge_i32 s22, s12
	ds_write2st64_b64 v155, v[136:137], v[138:139] offset1:4
	ds_write2st64_b64 v156, v[140:141], v[142:143] offset1:4
	s_waitcnt lgkmcnt(0)
	s_barrier
	s_cbranch_scc0 .LBB200_24
.LBB200_39:
	s_mov_b32 s4, 0
.LBB200_40:                             ; =>This Inner Loop Header: Depth=1
	v_add_u32_e32 v150, s4, v153
	v_add_u32_e32 v151, s4, v154
	ds_read2_b64 v[128:131], v150 offset1:16
	ds_read2_b64 v[132:135], v150 offset0:32 offset1:48
	ds_read2_b64 v[136:139], v150 offset0:64 offset1:80
	;; [unrolled: 1-line block ×7, first 2 shown]
	v_add_u32_e32 v150, 0x800, v150
	ds_read2st64_b64 v[168:171], v151 offset1:4
	ds_read2_b64 v[172:175], v150 offset1:16
	ds_read2_b64 v[176:179], v150 offset0:32 offset1:48
	ds_read2_b64 v[180:183], v150 offset0:64 offset1:80
	;; [unrolled: 1-line block ×7, first 2 shown]
	s_waitcnt lgkmcnt(14)
	v_max_f64 v[128:129], v[128:129], v[128:129]
	v_max_f64 v[130:131], v[130:131], v[130:131]
	;; [unrolled: 1-line block ×3, first 2 shown]
	s_waitcnt lgkmcnt(8)
	v_max_f64 v[150:151], v[168:169], v[168:169]
	v_max_f64 v[134:135], v[134:135], v[134:135]
	v_max_f64 v[136:137], v[136:137], v[136:137]
	v_max_f64 v[138:139], v[138:139], v[138:139]
	v_max_f64 v[140:141], v[140:141], v[140:141]
	v_max_f64 v[142:143], v[142:143], v[142:143]
	v_max_f64 v[146:147], v[146:147], v[146:147]
	v_max_f64 v[148:149], v[148:149], v[148:149]
	v_max_f64 v[156:157], v[156:157], v[156:157]
	v_max_f64 v[158:159], v[158:159], v[158:159]
	v_max_f64 v[160:161], v[160:161], v[160:161]
	v_max_f64 v[162:163], v[162:163], v[162:163]
	v_max_f64 v[164:165], v[164:165], v[164:165]
	v_max_f64 v[166:167], v[166:167], v[166:167]
	v_max_f64 v[168:169], v[170:171], v[170:171]
	v_min_f64 v[170:171], v[128:129], v[150:151]
	v_min_f64 v[204:205], v[130:131], v[150:151]
	;; [unrolled: 1-line block ×16, first 2 shown]
	s_waitcnt lgkmcnt(7)
	v_max_f64 v[172:173], v[172:173], v[172:173]
	v_max_f64 v[174:175], v[174:175], v[174:175]
	s_waitcnt lgkmcnt(6)
	v_max_f64 v[176:177], v[176:177], v[176:177]
	v_max_f64 v[178:179], v[178:179], v[178:179]
	;; [unrolled: 3-line block ×8, first 2 shown]
	v_min_f64 v[128:129], v[128:129], v[168:169]
	v_min_f64 v[130:131], v[130:131], v[168:169]
	;; [unrolled: 1-line block ×16, first 2 shown]
	s_add_i32 s4, s4, 8
	v_add_f64 v[126:127], v[170:171], v[126:127]
	v_add_f64 v[124:125], v[204:205], v[124:125]
	;; [unrolled: 1-line block ×15, first 2 shown]
	v_min_f64 v[170:171], v[172:173], v[150:151]
	v_min_f64 v[204:205], v[174:175], v[150:151]
	;; [unrolled: 1-line block ×16, first 2 shown]
	v_add_f64 v[62:63], v[128:129], v[62:63]
	v_add_f64 v[60:61], v[130:131], v[60:61]
	;; [unrolled: 1-line block ×16, first 2 shown]
	v_min_f64 v[128:129], v[172:173], v[168:169]
	v_min_f64 v[130:131], v[174:175], v[168:169]
	;; [unrolled: 1-line block ×16, first 2 shown]
	s_cmp_eq_u32 s4, 32
	v_add_f64 v[96:97], v[232:233], v[96:97]
	v_add_f64 v[94:95], v[170:171], v[94:95]
	;; [unrolled: 1-line block ×33, first 2 shown]
	s_cbranch_scc0 .LBB200_40
; %bb.41:
	s_load_dwordx2 s[12:13], s[0:1], 0x78
	s_load_dword s4, s[0:1], 0x58
	s_load_dword s5, s[0:1], 0x70
	v_add_u32_e32 v130, s2, v144
	v_add_u32_e32 v170, s18, v145
	s_waitcnt lgkmcnt(0)
	s_mul_i32 s0, s3, s13
	s_mul_hi_u32 s1, s3, s12
	s_mul_i32 s13, s19, s12
	s_add_i32 s0, s1, s0
	s_add_i32 s1, s0, s13
	s_mul_i32 s0, s3, s12
	s_lshl_b64 s[0:1], s[0:1], 3
	s_add_u32 s0, s14, s0
	s_addc_u32 s1, s15, s1
	v_add_u32_e32 v128, 4, v130
	v_mad_i64_i32 v[132:133], s[2:3], v170, s5, 0
	v_ashrrev_i32_e32 v131, 31, v130
	v_ashrrev_i32_e32 v129, 31, v128
	v_lshl_add_u64 v[138:139], v[132:133], 3, s[0:1]
	v_mad_i64_i32 v[132:133], s[2:3], v170, s4, 0
	s_mov_b64 vcc, s[6:7]
	s_cbranch_vccz .LBB200_44
; %bb.42:
	v_add_f64 v[134:135], v[126:127], 0
	v_lshl_add_u64 v[136:137], v[130:131], 3, v[138:139]
	s_mov_b64 s[2:3], 0
	global_store_dwordx2 v[136:137], v[134:135], off
	v_lshl_add_u64 v[146:147], v[132:133], 3, s[8:9]
	v_lshlrev_b64 v[134:135], 3, v[130:131]
	s_cbranch_execz .LBB200_45
; %bb.43:
	v_mov_b64_e32 v[136:137], s[2:3]
	s_branch .LBB200_46
.LBB200_44:
	s_mov_b64 s[2:3], -1
	v_lshl_add_u64 v[146:147], v[132:133], 3, s[8:9]
	v_lshlrev_b64 v[134:135], 3, v[130:131]
.LBB200_45:
	v_lshl_add_u64 v[132:133], v[146:147], 0, v[134:135]
	flat_load_dwordx2 v[132:133], v[132:133]
	v_lshl_add_u64 v[136:137], v[138:139], 0, v[134:135]
	s_waitcnt vmcnt(0) lgkmcnt(0)
	v_fmac_f64_e32 v[126:127], s[10:11], v[132:133]
	global_store_dwordx2 v[136:137], v[126:127], off
	v_lshl_add_u64 v[126:127], v[128:129], 3, v[146:147]
	flat_load_dwordx2 v[126:127], v[126:127]
	s_waitcnt vmcnt(0) lgkmcnt(0)
	v_mul_f64 v[136:137], v[126:127], s[10:11]
.LBB200_46:
	v_add_u32_e32 v132, 8, v130
	v_add_u32_e32 v126, 12, v130
	v_ashrrev_i32_e32 v133, 31, v132
	v_ashrrev_i32_e32 v127, 31, v126
	v_add_f64 v[124:125], v[124:125], v[136:137]
	v_lshl_add_u64 v[136:137], v[128:129], 3, v[138:139]
	s_mov_b64 vcc, s[6:7]
	global_store_dwordx2 v[136:137], v[124:125], off
	s_cbranch_vccz .LBB200_49
; %bb.47:
	v_add_f64 v[124:125], v[122:123], 0
	v_lshl_add_u64 v[136:137], v[132:133], 3, v[138:139]
	s_mov_b64 s[2:3], 0
	global_store_dwordx2 v[136:137], v[124:125], off
	v_lshlrev_b64 v[136:137], 3, v[132:133]
	s_cbranch_execz .LBB200_50
; %bb.48:
	v_mov_b64_e32 v[140:141], s[2:3]
	s_branch .LBB200_51
.LBB200_49:
	s_mov_b64 s[2:3], -1
	v_lshlrev_b64 v[136:137], 3, v[132:133]
.LBB200_50:
	v_lshl_add_u64 v[124:125], v[146:147], 0, v[136:137]
	flat_load_dwordx2 v[124:125], v[124:125]
	v_lshl_add_u64 v[140:141], v[138:139], 0, v[136:137]
	s_waitcnt vmcnt(0) lgkmcnt(0)
	v_fmac_f64_e32 v[122:123], s[10:11], v[124:125]
	global_store_dwordx2 v[140:141], v[122:123], off
	v_lshl_add_u64 v[122:123], v[126:127], 3, v[146:147]
	flat_load_dwordx2 v[122:123], v[122:123]
	s_waitcnt vmcnt(0) lgkmcnt(0)
	v_mul_f64 v[140:141], v[122:123], s[10:11]
.LBB200_51:
	v_add_u32_e32 v124, 16, v130
	v_add_u32_e32 v122, 20, v130
	v_ashrrev_i32_e32 v125, 31, v124
	v_ashrrev_i32_e32 v123, 31, v122
	v_add_f64 v[120:121], v[120:121], v[140:141]
	v_lshl_add_u64 v[140:141], v[126:127], 3, v[138:139]
	s_mov_b64 vcc, s[6:7]
	global_store_dwordx2 v[140:141], v[120:121], off
	s_cbranch_vccz .LBB200_54
; %bb.52:
	v_add_f64 v[120:121], v[118:119], 0
	v_lshl_add_u64 v[140:141], v[124:125], 3, v[138:139]
	s_mov_b64 s[2:3], 0
	global_store_dwordx2 v[140:141], v[120:121], off
	v_lshlrev_b64 v[140:141], 3, v[124:125]
	s_cbranch_execz .LBB200_55
; %bb.53:
	v_mov_b64_e32 v[142:143], s[2:3]
	s_branch .LBB200_56
.LBB200_54:
	s_mov_b64 s[2:3], -1
	v_lshlrev_b64 v[140:141], 3, v[124:125]
.LBB200_55:
	v_lshl_add_u64 v[120:121], v[146:147], 0, v[140:141]
	flat_load_dwordx2 v[120:121], v[120:121]
	v_lshl_add_u64 v[142:143], v[138:139], 0, v[140:141]
	s_waitcnt vmcnt(0) lgkmcnt(0)
	v_fmac_f64_e32 v[118:119], s[10:11], v[120:121]
	global_store_dwordx2 v[142:143], v[118:119], off
	v_lshl_add_u64 v[118:119], v[122:123], 3, v[146:147]
	flat_load_dwordx2 v[118:119], v[118:119]
	s_waitcnt vmcnt(0) lgkmcnt(0)
	v_mul_f64 v[142:143], v[118:119], s[10:11]
.LBB200_56:
	;; [unrolled: 34-line block ×15, first 2 shown]
	v_add_f64 v[64:65], v[64:65], v[66:67]
	v_lshl_add_u64 v[66:67], v[70:71], 3, v[138:139]
	global_store_dwordx2 v[66:67], v[64:65], off
	v_add_u32_e32 v66, 64, v170
	v_mad_i64_i32 v[64:65], s[2:3], v66, s5, 0
	v_lshl_add_u64 v[64:65], v[64:65], 3, s[0:1]
	v_mad_i64_i32 v[66:67], s[0:1], v66, s4, 0
	s_mov_b64 vcc, s[6:7]
	s_cbranch_vccz .LBB200_124
; %bb.122:
	v_add_f64 v[138:139], v[62:63], 0
	v_lshl_add_u64 v[130:131], v[130:131], 3, v[64:65]
	s_mov_b64 s[0:1], 0
	global_store_dwordx2 v[130:131], v[138:139], off
	v_lshl_add_u64 v[66:67], v[66:67], 3, s[8:9]
	s_cbranch_execz .LBB200_125
; %bb.123:
	v_mov_b64_e32 v[62:63], s[0:1]
	s_branch .LBB200_126
.LBB200_124:
	s_mov_b64 s[0:1], -1
	v_lshl_add_u64 v[66:67], v[66:67], 3, s[8:9]
.LBB200_125:
	v_lshl_add_u64 v[130:131], v[66:67], 0, v[134:135]
	flat_load_dwordx2 v[130:131], v[130:131]
	v_lshl_add_u64 v[134:135], v[64:65], 0, v[134:135]
	s_waitcnt vmcnt(0) lgkmcnt(0)
	v_fmac_f64_e32 v[62:63], s[10:11], v[130:131]
	global_store_dwordx2 v[134:135], v[62:63], off
	v_lshl_add_u64 v[62:63], v[128:129], 3, v[66:67]
	flat_load_dwordx2 v[62:63], v[62:63]
	s_waitcnt vmcnt(0) lgkmcnt(0)
	v_mul_f64 v[62:63], v[62:63], s[10:11]
.LBB200_126:
	v_add_f64 v[60:61], v[60:61], v[62:63]
	v_lshl_add_u64 v[62:63], v[128:129], 3, v[64:65]
	s_mov_b64 vcc, s[6:7]
	global_store_dwordx2 v[62:63], v[60:61], off
	s_cbranch_vccz .LBB200_129
; %bb.127:
	v_add_f64 v[60:61], v[58:59], 0
	v_lshl_add_u64 v[62:63], v[132:133], 3, v[64:65]
	s_mov_b64 s[0:1], 0
	global_store_dwordx2 v[62:63], v[60:61], off
	s_cbranch_execz .LBB200_130
; %bb.128:
	v_mov_b64_e32 v[58:59], s[0:1]
	s_branch .LBB200_131
.LBB200_129:
	s_mov_b64 s[0:1], -1
.LBB200_130:
	v_lshl_add_u64 v[60:61], v[66:67], 0, v[136:137]
	flat_load_dwordx2 v[60:61], v[60:61]
	v_lshl_add_u64 v[62:63], v[64:65], 0, v[136:137]
	s_waitcnt vmcnt(0) lgkmcnt(0)
	v_fmac_f64_e32 v[58:59], s[10:11], v[60:61]
	global_store_dwordx2 v[62:63], v[58:59], off
	v_lshl_add_u64 v[58:59], v[126:127], 3, v[66:67]
	flat_load_dwordx2 v[58:59], v[58:59]
	s_waitcnt vmcnt(0) lgkmcnt(0)
	v_mul_f64 v[58:59], v[58:59], s[10:11]
.LBB200_131:
	v_add_f64 v[56:57], v[56:57], v[58:59]
	v_lshl_add_u64 v[58:59], v[126:127], 3, v[64:65]
	s_mov_b64 vcc, s[6:7]
	global_store_dwordx2 v[58:59], v[56:57], off
	s_cbranch_vccz .LBB200_134
; %bb.132:
	v_add_f64 v[56:57], v[54:55], 0
	v_lshl_add_u64 v[58:59], v[124:125], 3, v[64:65]
	s_mov_b64 s[0:1], 0
	global_store_dwordx2 v[58:59], v[56:57], off
	s_cbranch_execz .LBB200_135
; %bb.133:
	v_mov_b64_e32 v[54:55], s[0:1]
	s_branch .LBB200_136
.LBB200_134:
	s_mov_b64 s[0:1], -1
.LBB200_135:
	v_lshl_add_u64 v[56:57], v[66:67], 0, v[140:141]
	flat_load_dwordx2 v[56:57], v[56:57]
	v_lshl_add_u64 v[58:59], v[64:65], 0, v[140:141]
	s_waitcnt vmcnt(0) lgkmcnt(0)
	v_fmac_f64_e32 v[54:55], s[10:11], v[56:57]
	global_store_dwordx2 v[58:59], v[54:55], off
	v_lshl_add_u64 v[54:55], v[122:123], 3, v[66:67]
	flat_load_dwordx2 v[54:55], v[54:55]
	s_waitcnt vmcnt(0) lgkmcnt(0)
	v_mul_f64 v[54:55], v[54:55], s[10:11]
.LBB200_136:
	;; [unrolled: 28-line block ×14, first 2 shown]
	v_add_f64 v[4:5], v[4:5], v[6:7]
	v_lshl_add_u64 v[6:7], v[74:75], 3, v[64:65]
	s_mov_b64 vcc, s[6:7]
	global_store_dwordx2 v[6:7], v[4:5], off
	s_cbranch_vccz .LBB200_199
; %bb.197:
	v_add_f64 v[4:5], v[2:3], 0
	v_lshl_add_u64 v[6:7], v[72:73], 3, v[64:65]
	s_mov_b64 s[0:1], 0
	global_store_dwordx2 v[6:7], v[4:5], off
	s_cbranch_execz .LBB200_200
; %bb.198:
	v_mov_b64_e32 v[2:3], s[0:1]
	v_add_f64 v[0:1], v[0:1], v[2:3]
	v_lshl_add_u64 v[2:3], v[70:71], 3, v[64:65]
	global_store_dwordx2 v[2:3], v[0:1], off
	s_endpgm
.LBB200_199:
	s_mov_b64 s[0:1], -1
.LBB200_200:
	v_lshl_add_u64 v[4:5], v[66:67], 0, v[68:69]
	flat_load_dwordx2 v[4:5], v[4:5]
	v_lshl_add_u64 v[6:7], v[64:65], 0, v[68:69]
	s_waitcnt vmcnt(0) lgkmcnt(0)
	v_fmac_f64_e32 v[2:3], s[10:11], v[4:5]
	global_store_dwordx2 v[6:7], v[2:3], off
	v_lshl_add_u64 v[2:3], v[70:71], 3, v[66:67]
	flat_load_dwordx2 v[2:3], v[2:3]
	s_waitcnt vmcnt(0) lgkmcnt(0)
	v_mul_f64 v[2:3], v[2:3], s[10:11]
	v_add_f64 v[0:1], v[0:1], v[2:3]
	v_lshl_add_u64 v[2:3], v[70:71], 3, v[64:65]
	global_store_dwordx2 v[2:3], v[0:1], off
	s_endpgm
	.section	.rodata,"a",@progbits
	.p2align	6, 0x0
	.amdhsa_kernel _ZN12_GLOBAL__N_120geam_min_plus_kernelIdddLi4ELi64ELi128ELi128ELi4ELi4ELi64ELi64ELi4ELc84ELc84ELb0ELb0ELb0EdKddEEviiiT16_PT17_ilS4_ilS2_S4_ilPT18_ili26rocblas_geam_ex_operation_
		.amdhsa_group_segment_fixed_size 16384
		.amdhsa_private_segment_fixed_size 0
		.amdhsa_kernarg_size 136
		.amdhsa_user_sgpr_count 2
		.amdhsa_user_sgpr_dispatch_ptr 0
		.amdhsa_user_sgpr_queue_ptr 0
		.amdhsa_user_sgpr_kernarg_segment_ptr 1
		.amdhsa_user_sgpr_dispatch_id 0
		.amdhsa_user_sgpr_kernarg_preload_length 0
		.amdhsa_user_sgpr_kernarg_preload_offset 0
		.amdhsa_user_sgpr_private_segment_size 0
		.amdhsa_uses_dynamic_stack 0
		.amdhsa_enable_private_segment 0
		.amdhsa_system_sgpr_workgroup_id_x 1
		.amdhsa_system_sgpr_workgroup_id_y 0
		.amdhsa_system_sgpr_workgroup_id_z 1
		.amdhsa_system_sgpr_workgroup_info 0
		.amdhsa_system_vgpr_workitem_id 1
		.amdhsa_next_free_vgpr 252
		.amdhsa_next_free_sgpr 30
		.amdhsa_accum_offset 252
		.amdhsa_reserve_vcc 1
		.amdhsa_float_round_mode_32 0
		.amdhsa_float_round_mode_16_64 0
		.amdhsa_float_denorm_mode_32 3
		.amdhsa_float_denorm_mode_16_64 3
		.amdhsa_dx10_clamp 1
		.amdhsa_ieee_mode 1
		.amdhsa_fp16_overflow 0
		.amdhsa_tg_split 0
		.amdhsa_exception_fp_ieee_invalid_op 0
		.amdhsa_exception_fp_denorm_src 0
		.amdhsa_exception_fp_ieee_div_zero 0
		.amdhsa_exception_fp_ieee_overflow 0
		.amdhsa_exception_fp_ieee_underflow 0
		.amdhsa_exception_fp_ieee_inexact 0
		.amdhsa_exception_int_div_zero 0
	.end_amdhsa_kernel
	.section	.text._ZN12_GLOBAL__N_120geam_min_plus_kernelIdddLi4ELi64ELi128ELi128ELi4ELi4ELi64ELi64ELi4ELc84ELc84ELb0ELb0ELb0EdKddEEviiiT16_PT17_ilS4_ilS2_S4_ilPT18_ili26rocblas_geam_ex_operation_,"axG",@progbits,_ZN12_GLOBAL__N_120geam_min_plus_kernelIdddLi4ELi64ELi128ELi128ELi4ELi4ELi64ELi64ELi4ELc84ELc84ELb0ELb0ELb0EdKddEEviiiT16_PT17_ilS4_ilS2_S4_ilPT18_ili26rocblas_geam_ex_operation_,comdat
.Lfunc_end200:
	.size	_ZN12_GLOBAL__N_120geam_min_plus_kernelIdddLi4ELi64ELi128ELi128ELi4ELi4ELi64ELi64ELi4ELc84ELc84ELb0ELb0ELb0EdKddEEviiiT16_PT17_ilS4_ilS2_S4_ilPT18_ili26rocblas_geam_ex_operation_, .Lfunc_end200-_ZN12_GLOBAL__N_120geam_min_plus_kernelIdddLi4ELi64ELi128ELi128ELi4ELi4ELi64ELi64ELi4ELc84ELc84ELb0ELb0ELb0EdKddEEviiiT16_PT17_ilS4_ilS2_S4_ilPT18_ili26rocblas_geam_ex_operation_
                                        ; -- End function
	.section	.AMDGPU.csdata,"",@progbits
; Kernel info:
; codeLenInByte = 13064
; NumSgprs: 36
; NumVgprs: 252
; NumAgprs: 0
; TotalNumVgprs: 252
; ScratchSize: 0
; MemoryBound: 0
; FloatMode: 240
; IeeeMode: 1
; LDSByteSize: 16384 bytes/workgroup (compile time only)
; SGPRBlocks: 4
; VGPRBlocks: 31
; NumSGPRsForWavesPerEU: 36
; NumVGPRsForWavesPerEU: 252
; AccumOffset: 252
; Occupancy: 2
; WaveLimiterHint : 1
; COMPUTE_PGM_RSRC2:SCRATCH_EN: 0
; COMPUTE_PGM_RSRC2:USER_SGPR: 2
; COMPUTE_PGM_RSRC2:TRAP_HANDLER: 0
; COMPUTE_PGM_RSRC2:TGID_X_EN: 1
; COMPUTE_PGM_RSRC2:TGID_Y_EN: 0
; COMPUTE_PGM_RSRC2:TGID_Z_EN: 1
; COMPUTE_PGM_RSRC2:TIDIG_COMP_CNT: 1
; COMPUTE_PGM_RSRC3_GFX90A:ACCUM_OFFSET: 62
; COMPUTE_PGM_RSRC3_GFX90A:TG_SPLIT: 0
	.section	.text._ZN12_GLOBAL__N_120geam_min_plus_kernelIdddLi4ELi64ELi128ELi128ELi4ELi4ELi64ELi64ELi4ELc84ELc84ELb0ELb1ELb0EPKdS1_dEEviiiT16_PT17_ilS5_ilS3_S5_ilPT18_ili26rocblas_geam_ex_operation_,"axG",@progbits,_ZN12_GLOBAL__N_120geam_min_plus_kernelIdddLi4ELi64ELi128ELi128ELi4ELi4ELi64ELi64ELi4ELc84ELc84ELb0ELb1ELb0EPKdS1_dEEviiiT16_PT17_ilS5_ilS3_S5_ilPT18_ili26rocblas_geam_ex_operation_,comdat
	.globl	_ZN12_GLOBAL__N_120geam_min_plus_kernelIdddLi4ELi64ELi128ELi128ELi4ELi4ELi64ELi64ELi4ELc84ELc84ELb0ELb1ELb0EPKdS1_dEEviiiT16_PT17_ilS5_ilS3_S5_ilPT18_ili26rocblas_geam_ex_operation_ ; -- Begin function _ZN12_GLOBAL__N_120geam_min_plus_kernelIdddLi4ELi64ELi128ELi128ELi4ELi4ELi64ELi64ELi4ELc84ELc84ELb0ELb1ELb0EPKdS1_dEEviiiT16_PT17_ilS5_ilS3_S5_ilPT18_ili26rocblas_geam_ex_operation_
	.p2align	8
	.type	_ZN12_GLOBAL__N_120geam_min_plus_kernelIdddLi4ELi64ELi128ELi128ELi4ELi4ELi64ELi64ELi4ELc84ELc84ELb0ELb1ELb0EPKdS1_dEEviiiT16_PT17_ilS5_ilS3_S5_ilPT18_ili26rocblas_geam_ex_operation_,@function
_ZN12_GLOBAL__N_120geam_min_plus_kernelIdddLi4ELi64ELi128ELi128ELi4ELi4ELi64ELi64ELi4ELc84ELc84ELb0ELb1ELb0EPKdS1_dEEviiiT16_PT17_ilS5_ilS3_S5_ilPT18_ili26rocblas_geam_ex_operation_: ; @_ZN12_GLOBAL__N_120geam_min_plus_kernelIdddLi4ELi64ELi128ELi128ELi4ELi4ELi64ELi64ELi4ELc84ELc84ELb0ELb1ELb0EPKdS1_dEEviiiT16_PT17_ilS5_ilS3_S5_ilPT18_ili26rocblas_geam_ex_operation_
; %bb.0:
	s_load_dwordx4 s[12:15], s[0:1], 0x10
	s_load_dwordx4 s[4:7], s[0:1], 0x28
	s_mov_b32 s16, s3
	s_mov_b32 s17, 0
	s_lshl_b64 s[20:21], s[16:17], 3
	s_waitcnt lgkmcnt(0)
	s_add_u32 s12, s12, s20
	s_load_dwordx4 s[8:11], s[0:1], 0x40
	s_addc_u32 s13, s13, s21
	s_load_dwordx2 s[18:19], s[12:13], 0x0
	s_load_dwordx2 s[24:25], s[0:1], 0x50
	s_waitcnt lgkmcnt(0)
	s_add_u32 s10, s10, s20
	v_cmp_eq_f64_e64 s[22:23], s[18:19], 0
	s_addc_u32 s11, s11, s21
	s_mov_b64 s[20:21], 0
	v_cmp_neq_f64_e64 s[12:13], s[18:19], 0
	s_and_b64 vcc, exec, s[22:23]
	s_mov_b64 s[22:23], 0
	s_cbranch_vccnz .LBB201_2
; %bb.1:
	s_mul_i32 s3, s16, s5
	s_mul_hi_u32 s5, s16, s4
	s_add_i32 s5, s5, s3
	s_mul_i32 s4, s16, s4
	s_lshl_b64 s[4:5], s[4:5], 3
	s_add_u32 s22, s14, s4
	s_addc_u32 s23, s15, s5
.LBB201_2:
	s_load_dwordx2 s[70:71], s[10:11], 0x0
	s_andn2_b64 vcc, exec, s[12:13]
	s_cbranch_vccnz .LBB201_4
; %bb.3:
	s_mul_i32 s3, s16, s9
	s_mul_hi_u32 s4, s16, s8
	s_add_i32 s5, s4, s3
	s_mul_i32 s4, s16, s8
	s_lshl_b64 s[4:5], s[4:5], 3
	s_add_u32 s20, s6, s4
	s_addc_u32 s21, s7, s5
.LBB201_4:
	s_load_dwordx4 s[8:11], s[0:1], 0x60
	s_waitcnt lgkmcnt(0)
	v_cmp_eq_f64_e64 s[4:5], s[70:71], 0
	s_mov_b64 s[76:77], 0
	v_cmp_neq_f64_e64 s[12:13], s[70:71], 0
	s_and_b64 vcc, exec, s[4:5]
	s_cbranch_vccnz .LBB201_6
; %bb.5:
	s_mul_i32 s3, s16, s9
	s_mul_hi_u32 s4, s16, s8
	s_add_i32 s5, s4, s3
	s_mul_i32 s4, s16, s8
	s_lshl_b64 s[4:5], s[4:5], 3
	s_add_u32 s76, s24, s4
	s_addc_u32 s77, s25, s5
.LBB201_6:
	s_load_dwordx4 s[72:75], s[0:1], 0x0
	s_load_dword s30, s[0:1], 0x20
	v_and_b32_e32 v144, 0x3ff, v0
	v_bfe_u32 v145, v0, 10, 10
	v_lshl_add_u32 v8, v145, 2, v144
	s_waitcnt lgkmcnt(0)
	s_add_i32 s3, s72, -1
	s_ashr_i32 s4, s3, 31
	s_lshr_b32 s4, s4, 25
	s_add_i32 s3, s3, s4
	s_ashr_i32 s3, s3, 7
	s_add_i32 s4, s3, 1
	v_cvt_f32_u32_e32 v1, s4
	s_not_b32 s3, s3
	v_lshrrev_b32_e32 v10, 2, v8
	v_and_b32_e32 v146, 3, v144
	v_rcp_iflag_f32_e32 v2, v1
	v_cmp_le_i32_e32 vcc, s74, v146
	v_cmp_eq_f64_e64 s[14:15], s[18:19], 0
	v_mov_b64_e32 v[0:1], 0
	v_mul_f32_e32 v2, 0x4f7ffffe, v2
	v_cvt_u32_f32_e32 v2, v2
	s_nop 0
	v_readfirstlane_b32 s5, v2
	s_mul_i32 s3, s3, s5
	s_mul_hi_u32 s3, s5, s3
	s_add_i32 s5, s5, s3
	s_mul_hi_u32 s3, s2, s5
	s_mul_i32 s5, s3, s4
	s_sub_i32 s5, s2, s5
	s_add_i32 s6, s3, 1
	s_sub_i32 s7, s5, s4
	s_cmp_ge_u32 s5, s4
	s_cselect_b32 s3, s6, s3
	s_cselect_b32 s5, s7, s5
	s_add_i32 s6, s3, 1
	s_cmp_ge_u32 s5, s4
	s_cselect_b32 s8, s6, s3
	s_mul_i32 s3, s8, s4
	s_sub_i32 s2, s2, s3
	s_lshl_b32 s17, s2, 7
	v_add_u32_e32 v138, s17, v10
	s_add_i32 s27, s74, -1
	v_cmp_le_i32_e64 s[2:3], s72, v138
	v_min_i32_e32 v2, s27, v146
	s_or_b64 s[4:5], vcc, s[2:3]
	v_ashrrev_i32_e32 v3, 31, v2
	s_or_b64 s[4:5], s[14:15], s[4:5]
	v_lshl_add_u64 v[6:7], v[2:3], 3, s[22:23]
	s_xor_b64 s[6:7], s[4:5], -1
	v_mov_b64_e32 v[2:3], v[0:1]
	s_and_saveexec_b64 s[4:5], s[6:7]
	s_cbranch_execz .LBB201_8
; %bb.7:
	v_mad_i64_i32 v[2:3], s[6:7], v138, s30, 0
	v_lshl_add_u64 v[2:3], v[2:3], 3, v[6:7]
	flat_load_dwordx2 v[2:3], v[2:3]
	s_waitcnt vmcnt(0) lgkmcnt(0)
	v_mul_f64 v[2:3], s[18:19], v[2:3]
.LBB201_8:
	s_or_b64 exec, exec, s[4:5]
	v_add_u32_e32 v139, 64, v138
	v_cmp_le_i32_e64 s[4:5], s72, v139
	s_or_b64 s[6:7], vcc, s[4:5]
	s_or_b64 s[6:7], s[14:15], s[6:7]
	s_xor_b64 s[24:25], s[6:7], -1
	v_mov_b64_e32 v[4:5], v[0:1]
	s_and_saveexec_b64 s[6:7], s[24:25]
	s_cbranch_execz .LBB201_10
; %bb.9:
	v_mad_i64_i32 v[4:5], s[24:25], v139, s30, 0
	v_lshl_add_u64 v[4:5], v[4:5], 3, v[6:7]
	flat_load_dwordx2 v[4:5], v[4:5]
	s_waitcnt vmcnt(0) lgkmcnt(0)
	v_mul_f64 v[4:5], s[18:19], v[4:5]
.LBB201_10:
	s_or_b64 exec, exec, s[6:7]
	s_load_dword s28, s[0:1], 0x38
	v_lshrrev_b32_e32 v147, 6, v8
	v_and_b32_e32 v11, 63, v8
	s_lshl_b32 s26, s8, 7
	v_min_i32_e32 v6, s27, v147
	v_or_b32_e32 v128, s26, v11
	s_waitcnt lgkmcnt(0)
	v_mad_i64_i32 v[6:7], s[6:7], s28, v6, 0
	v_cmp_le_i32_e32 vcc, s74, v147
	v_cmp_le_i32_e64 s[6:7], s73, v128
	s_or_b64 s[8:9], s[6:7], vcc
	s_or_b64 s[8:9], s[14:15], s[8:9]
	v_lshl_add_u64 v[8:9], v[6:7], 3, s[20:21]
	s_xor_b64 s[24:25], s[8:9], -1
	v_ashrrev_i32_e32 v129, 31, v128
	s_and_saveexec_b64 s[8:9], s[24:25]
	s_cbranch_execz .LBB201_12
; %bb.11:
	v_lshl_add_u64 v[0:1], v[128:129], 3, v[8:9]
	flat_load_dwordx2 v[0:1], v[0:1]
	s_waitcnt vmcnt(0) lgkmcnt(0)
	v_mul_f64 v[0:1], s[18:19], v[0:1]
.LBB201_12:
	s_or_b64 exec, exec, s[8:9]
	v_or_b32_e32 v6, 64, v128
	v_cmp_le_i32_e64 s[8:9], s73, v6
	s_or_b64 s[24:25], s[8:9], vcc
	s_or_b64 s[24:25], s[14:15], s[24:25]
	v_mov_b64_e32 v[130:131], 0
	s_xor_b64 s[34:35], s[24:25], -1
	v_mov_b64_e32 v[6:7], v[130:131]
	s_and_saveexec_b64 s[24:25], s[34:35]
	s_cbranch_execz .LBB201_14
; %bb.13:
	v_lshl_add_u64 v[6:7], v[128:129], 3, v[8:9]
	flat_load_dwordx2 v[6:7], v[6:7] offset:512
	s_waitcnt vmcnt(0) lgkmcnt(0)
	v_mul_f64 v[6:7], s[18:19], v[6:7]
.LBB201_14:
	s_or_b64 exec, exec, s[24:25]
	v_or_b32_e32 v8, 4, v146
	v_cmp_le_i32_e32 vcc, s74, v8
	v_min_i32_e32 v8, s27, v8
	s_or_b64 s[24:25], vcc, s[2:3]
	v_ashrrev_i32_e32 v9, 31, v8
	s_or_b64 s[24:25], s[14:15], s[24:25]
	v_lshl_add_u64 v[8:9], v[8:9], 3, s[22:23]
	s_xor_b64 s[34:35], s[24:25], -1
	s_and_saveexec_b64 s[24:25], s[34:35]
	s_cbranch_execz .LBB201_16
; %bb.15:
	v_mad_i64_i32 v[12:13], s[34:35], v138, s30, 0
	v_lshl_add_u64 v[12:13], v[12:13], 3, v[8:9]
	flat_load_dwordx2 v[12:13], v[12:13]
	s_waitcnt vmcnt(0) lgkmcnt(0)
	v_mul_f64 v[130:131], s[18:19], v[12:13]
.LBB201_16:
	s_or_b64 exec, exec, s[24:25]
	s_or_b64 s[24:25], vcc, s[4:5]
	s_or_b64 s[24:25], s[14:15], s[24:25]
	v_mov_b64_e32 v[132:133], 0
	s_xor_b64 s[34:35], s[24:25], -1
	v_mov_b64_e32 v[134:135], v[132:133]
	s_and_saveexec_b64 s[24:25], s[34:35]
	s_cbranch_execz .LBB201_18
; %bb.17:
	v_mad_i64_i32 v[12:13], s[34:35], v139, s30, 0
	v_lshl_add_u64 v[8:9], v[12:13], 3, v[8:9]
	flat_load_dwordx2 v[8:9], v[8:9]
	s_waitcnt vmcnt(0) lgkmcnt(0)
	v_mul_f64 v[134:135], s[18:19], v[8:9]
.LBB201_18:
	s_or_b64 exec, exec, s[24:25]
	v_add_u32_e32 v8, 4, v147
	v_cmp_le_i32_e32 vcc, s74, v8
	v_min_i32_e32 v8, s27, v8
	v_mad_i64_i32 v[8:9], s[24:25], s28, v8, 0
	s_or_b64 s[24:25], s[6:7], vcc
	s_or_b64 s[24:25], s[14:15], s[24:25]
	v_lshl_add_u64 v[8:9], v[8:9], 3, s[20:21]
	s_xor_b64 s[34:35], s[24:25], -1
	s_and_saveexec_b64 s[24:25], s[34:35]
	s_cbranch_execz .LBB201_20
; %bb.19:
	v_lshl_add_u64 v[12:13], v[128:129], 3, v[8:9]
	flat_load_dwordx2 v[12:13], v[12:13]
	s_waitcnt vmcnt(0) lgkmcnt(0)
	v_mul_f64 v[132:133], s[18:19], v[12:13]
.LBB201_20:
	s_or_b64 exec, exec, s[24:25]
	s_or_b64 s[24:25], s[8:9], vcc
	s_or_b64 s[24:25], s[14:15], s[24:25]
	v_mov_b64_e32 v[126:127], 0
	s_xor_b64 s[34:35], s[24:25], -1
	v_mov_b64_e32 v[136:137], v[126:127]
	s_and_saveexec_b64 s[24:25], s[34:35]
	s_cbranch_execz .LBB201_22
; %bb.21:
	v_lshl_add_u64 v[8:9], v[128:129], 3, v[8:9]
	flat_load_dwordx2 v[8:9], v[8:9] offset:512
	s_waitcnt vmcnt(0) lgkmcnt(0)
	v_mul_f64 v[136:137], s[18:19], v[8:9]
.LBB201_22:
	s_or_b64 exec, exec, s[24:25]
	v_lshlrev_b32_e32 v8, 3, v146
	v_lshl_or_b32 v148, v10, 5, v8
	ds_write2st64_b64 v148, v[2:3], v[4:5] offset1:4
	v_lshlrev_b32_e32 v2, 5, v11
	v_lshl_add_u32 v141, v147, 3, v2
	v_lshlrev_b32_e32 v140, 5, v145
	v_or_b32_e32 v149, 0x2000, v141
	ds_write2st64_b64 v141, v[0:1], v[6:7] offset0:16 offset1:20
	v_lshlrev_b32_e32 v150, 5, v144
	v_add_u32_e32 v151, 0x2000, v140
	s_mov_b32 s24, 0
	v_mov_b64_e32 v[124:125], v[126:127]
	v_mov_b64_e32 v[122:123], v[126:127]
	;; [unrolled: 1-line block ×63, first 2 shown]
	s_waitcnt lgkmcnt(0)
	s_barrier
.LBB201_23:                             ; =>This Inner Loop Header: Depth=1
	v_add_u32_e32 v142, s24, v150
	v_add_u32_e32 v143, s24, v151
	ds_read2_b64 v[152:155], v142 offset1:16
	ds_read2_b64 v[156:159], v142 offset0:32 offset1:48
	ds_read2_b64 v[160:163], v142 offset0:64 offset1:80
	;; [unrolled: 1-line block ×7, first 2 shown]
	ds_read2st64_b64 v[184:187], v143 offset1:4
	v_add_u32_e32 v142, 0x800, v142
	ds_read2_b64 v[188:191], v142 offset1:16
	ds_read2_b64 v[192:195], v142 offset0:32 offset1:48
	ds_read2_b64 v[196:199], v142 offset0:64 offset1:80
	;; [unrolled: 1-line block ×7, first 2 shown]
	s_waitcnt lgkmcnt(14)
	v_max_f64 v[142:143], v[152:153], v[152:153]
	v_max_f64 v[152:153], v[154:155], v[154:155]
	;; [unrolled: 1-line block ×6, first 2 shown]
	s_waitcnt lgkmcnt(13)
	v_max_f64 v[162:163], v[164:165], v[164:165]
	v_max_f64 v[164:165], v[166:167], v[166:167]
	s_waitcnt lgkmcnt(12)
	v_max_f64 v[166:167], v[168:169], v[168:169]
	v_max_f64 v[168:169], v[170:171], v[170:171]
	;; [unrolled: 3-line block ×14, first 2 shown]
	v_min_f64 v[218:219], v[142:143], v[182:183]
	v_min_f64 v[220:221], v[152:153], v[182:183]
	;; [unrolled: 1-line block ×32, first 2 shown]
	s_add_i32 s24, s24, 8
	v_add_f64 v[62:63], v[142:143], v[62:63]
	v_add_f64 v[60:61], v[152:153], v[60:61]
	;; [unrolled: 1-line block ×16, first 2 shown]
	v_min_f64 v[142:143], v[186:187], v[182:183]
	v_min_f64 v[152:153], v[188:189], v[182:183]
	v_min_f64 v[154:155], v[190:191], v[182:183]
	v_min_f64 v[156:157], v[192:193], v[182:183]
	v_min_f64 v[158:159], v[194:195], v[182:183]
	v_min_f64 v[160:161], v[196:197], v[182:183]
	v_min_f64 v[162:163], v[198:199], v[182:183]
	v_min_f64 v[164:165], v[200:201], v[182:183]
	v_min_f64 v[166:167], v[202:203], v[182:183]
	v_min_f64 v[168:169], v[204:205], v[182:183]
	v_min_f64 v[170:171], v[206:207], v[182:183]
	v_min_f64 v[172:173], v[208:209], v[182:183]
	v_min_f64 v[174:175], v[210:211], v[182:183]
	v_min_f64 v[176:177], v[212:213], v[182:183]
	v_min_f64 v[178:179], v[214:215], v[182:183]
	v_min_f64 v[180:181], v[216:217], v[182:183]
	v_min_f64 v[182:183], v[186:187], v[184:185]
	v_min_f64 v[186:187], v[188:189], v[184:185]
	v_min_f64 v[188:189], v[190:191], v[184:185]
	v_min_f64 v[190:191], v[192:193], v[184:185]
	v_min_f64 v[192:193], v[194:195], v[184:185]
	v_min_f64 v[194:195], v[196:197], v[184:185]
	v_min_f64 v[196:197], v[198:199], v[184:185]
	v_min_f64 v[198:199], v[200:201], v[184:185]
	v_min_f64 v[200:201], v[202:203], v[184:185]
	v_min_f64 v[202:203], v[204:205], v[184:185]
	v_min_f64 v[204:205], v[206:207], v[184:185]
	v_min_f64 v[206:207], v[208:209], v[184:185]
	v_min_f64 v[208:209], v[210:211], v[184:185]
	v_min_f64 v[210:211], v[212:213], v[184:185]
	v_min_f64 v[212:213], v[214:215], v[184:185]
	v_min_f64 v[184:185], v[216:217], v[184:185]
	s_cmp_eq_u32 s24, 32
	v_add_f64 v[126:127], v[218:219], v[126:127]
	v_add_f64 v[124:125], v[220:221], v[124:125]
	;; [unrolled: 1-line block ×48, first 2 shown]
	s_cbranch_scc0 .LBB201_23
; %bb.24:
	s_cmp_gt_i32 s74, 8
	ds_write2st64_b64 v148, v[130:131], v[134:135] offset0:8 offset1:12
	ds_write2st64_b64 v141, v[132:133], v[136:137] offset0:24 offset1:28
	s_waitcnt lgkmcnt(0)
	s_barrier
	s_cbranch_scc1 .LBB201_26
; %bb.25:
	v_add_u32_e32 v152, 0x1000, v150
	v_add_u32_e32 v153, 0x3000, v140
	s_cbranch_execz .LBB201_27
	s_branch .LBB201_49
.LBB201_26:
                                        ; implicit-def: $vgpr152
                                        ; implicit-def: $vgpr153
.LBB201_27:
	v_add_u32_e32 v154, 0x1000, v148
	v_or_b32_e32 v155, 0x3000, v141
	s_add_i32 s29, s74, -8
	v_mad_i64_i32 v[130:131], s[24:25], v138, s30, 0
	v_mad_i64_i32 v[132:133], s[24:25], v139, s30, 0
	v_add_u32_e32 v152, 0x1000, v150
	v_add_u32_e32 v153, 0x3000, v140
	s_mov_b32 s30, 8
	s_mov_b32 s31, 0
.LBB201_28:                             ; =>This Loop Header: Depth=1
                                        ;     Child Loop BB201_37 Depth 2
                                        ;     Child Loop BB201_47 Depth 2
	v_or_b32_e32 v156, s30, v146
	v_cmp_le_i32_e32 vcc, s74, v156
	v_min_i32_e32 v134, s27, v156
	v_ashrrev_i32_e32 v135, 31, v134
	s_or_b64 s[24:25], s[2:3], vcc
	v_lshl_add_u64 v[138:139], v[134:135], 3, s[22:23]
	s_or_b64 s[24:25], s[14:15], s[24:25]
	v_mov_b64_e32 v[134:135], 0
	s_xor_b64 s[34:35], s[24:25], -1
	v_mov_b64_e32 v[136:137], v[134:135]
	s_and_saveexec_b64 s[24:25], s[34:35]
	s_cbranch_execz .LBB201_30
; %bb.29:                               ;   in Loop: Header=BB201_28 Depth=1
	v_lshl_add_u64 v[136:137], v[130:131], 3, v[138:139]
	flat_load_dwordx2 v[136:137], v[136:137]
	s_waitcnt vmcnt(0) lgkmcnt(0)
	v_mul_f64 v[136:137], s[18:19], v[136:137]
.LBB201_30:                             ;   in Loop: Header=BB201_28 Depth=1
	s_or_b64 exec, exec, s[24:25]
	s_or_b64 s[24:25], s[4:5], vcc
	s_or_b64 s[24:25], s[14:15], s[24:25]
	s_xor_b64 s[34:35], s[24:25], -1
	s_and_saveexec_b64 s[24:25], s[34:35]
	s_cbranch_execz .LBB201_32
; %bb.31:                               ;   in Loop: Header=BB201_28 Depth=1
	v_lshl_add_u64 v[134:135], v[132:133], 3, v[138:139]
	flat_load_dwordx2 v[134:135], v[134:135]
	s_waitcnt vmcnt(0) lgkmcnt(0)
	v_mul_f64 v[134:135], s[18:19], v[134:135]
.LBB201_32:                             ;   in Loop: Header=BB201_28 Depth=1
	s_or_b64 exec, exec, s[24:25]
	v_add_u32_e32 v138, s30, v147
	v_cmp_le_i32_e32 vcc, s74, v138
	v_min_i32_e32 v138, s27, v138
	v_mad_i64_i32 v[138:139], s[24:25], v138, s28, 0
	s_or_b64 s[24:25], s[6:7], vcc
	v_lshl_add_u64 v[140:141], v[138:139], 3, s[20:21]
	s_or_b64 s[24:25], s[14:15], s[24:25]
	v_mov_b64_e32 v[138:139], 0
	s_xor_b64 s[34:35], s[24:25], -1
	v_lshl_add_u64 v[142:143], v[128:129], 3, v[140:141]
	v_mov_b64_e32 v[140:141], v[138:139]
	s_and_saveexec_b64 s[24:25], s[34:35]
	s_cbranch_execz .LBB201_34
; %bb.33:                               ;   in Loop: Header=BB201_28 Depth=1
	flat_load_dwordx2 v[140:141], v[142:143]
	s_waitcnt vmcnt(0) lgkmcnt(0)
	v_mul_f64 v[140:141], s[18:19], v[140:141]
.LBB201_34:                             ;   in Loop: Header=BB201_28 Depth=1
	s_or_b64 exec, exec, s[24:25]
	s_or_b64 s[24:25], s[8:9], vcc
	s_or_b64 s[24:25], s[14:15], s[24:25]
	s_xor_b64 s[34:35], s[24:25], -1
	s_and_saveexec_b64 s[24:25], s[34:35]
	s_cbranch_execz .LBB201_36
; %bb.35:                               ;   in Loop: Header=BB201_28 Depth=1
	flat_load_dwordx2 v[138:139], v[142:143] offset:512
	s_waitcnt vmcnt(0) lgkmcnt(0)
	v_mul_f64 v[138:139], s[18:19], v[138:139]
.LBB201_36:                             ;   in Loop: Header=BB201_28 Depth=1
	s_or_b64 exec, exec, s[24:25]
	s_mov_b32 s24, 0
.LBB201_37:                             ;   Parent Loop BB201_28 Depth=1
                                        ; =>  This Inner Loop Header: Depth=2
	v_add_u32_e32 v142, s24, v152
	ds_read2_b64 v[158:161], v142 offset1:16
	ds_read2_b64 v[162:165], v142 offset0:32 offset1:48
	ds_read2_b64 v[166:169], v142 offset0:64 offset1:80
	;; [unrolled: 1-line block ×7, first 2 shown]
	v_add_u32_e32 v142, 0x800, v142
	ds_read2_b64 v[190:193], v142 offset1:16
	ds_read2_b64 v[194:197], v142 offset0:32 offset1:48
	ds_read2_b64 v[198:201], v142 offset0:64 offset1:80
	;; [unrolled: 1-line block ×7, first 2 shown]
	v_add_u32_e32 v142, s24, v153
	ds_read2st64_b64 v[222:225], v142 offset1:4
	s_waitcnt lgkmcnt(14)
	v_max_f64 v[158:159], v[158:159], v[158:159]
	v_max_f64 v[160:161], v[160:161], v[160:161]
	;; [unrolled: 1-line block ×4, first 2 shown]
	s_waitcnt lgkmcnt(0)
	v_max_f64 v[142:143], v[222:223], v[222:223]
	v_min_f64 v[222:223], v[158:159], v[142:143]
	v_add_f64 v[126:127], v[222:223], v[126:127]
	v_min_f64 v[222:223], v[160:161], v[142:143]
	v_add_f64 v[124:125], v[222:223], v[124:125]
	;; [unrolled: 2-line block ×3, first 2 shown]
	v_min_f64 v[222:223], v[164:165], v[142:143]
	v_max_f64 v[166:167], v[166:167], v[166:167]
	v_add_f64 v[120:121], v[222:223], v[120:121]
	v_min_f64 v[222:223], v[166:167], v[142:143]
	v_max_f64 v[168:169], v[168:169], v[168:169]
	v_add_f64 v[118:119], v[222:223], v[118:119]
	v_min_f64 v[222:223], v[168:169], v[142:143]
	v_max_f64 v[170:171], v[170:171], v[170:171]
	v_add_f64 v[116:117], v[222:223], v[116:117]
	v_min_f64 v[222:223], v[170:171], v[142:143]
	v_max_f64 v[172:173], v[172:173], v[172:173]
	v_add_f64 v[114:115], v[222:223], v[114:115]
	v_min_f64 v[222:223], v[172:173], v[142:143]
	v_max_f64 v[174:175], v[174:175], v[174:175]
	v_add_f64 v[112:113], v[222:223], v[112:113]
	v_min_f64 v[222:223], v[174:175], v[142:143]
	v_max_f64 v[176:177], v[176:177], v[176:177]
	v_add_f64 v[110:111], v[222:223], v[110:111]
	v_min_f64 v[222:223], v[176:177], v[142:143]
	v_max_f64 v[178:179], v[178:179], v[178:179]
	v_add_f64 v[108:109], v[222:223], v[108:109]
	v_min_f64 v[222:223], v[178:179], v[142:143]
	v_max_f64 v[180:181], v[180:181], v[180:181]
	v_add_f64 v[106:107], v[222:223], v[106:107]
	v_min_f64 v[222:223], v[180:181], v[142:143]
	v_max_f64 v[182:183], v[182:183], v[182:183]
	v_add_f64 v[104:105], v[222:223], v[104:105]
	v_min_f64 v[222:223], v[182:183], v[142:143]
	v_max_f64 v[184:185], v[184:185], v[184:185]
	v_add_f64 v[102:103], v[222:223], v[102:103]
	v_min_f64 v[222:223], v[184:185], v[142:143]
	v_max_f64 v[186:187], v[186:187], v[186:187]
	v_add_f64 v[100:101], v[222:223], v[100:101]
	v_min_f64 v[222:223], v[186:187], v[142:143]
	v_max_f64 v[188:189], v[188:189], v[188:189]
	v_add_f64 v[98:99], v[222:223], v[98:99]
	v_min_f64 v[222:223], v[188:189], v[142:143]
	v_max_f64 v[190:191], v[190:191], v[190:191]
	v_add_f64 v[96:97], v[222:223], v[96:97]
	v_min_f64 v[222:223], v[190:191], v[142:143]
	v_max_f64 v[192:193], v[192:193], v[192:193]
	v_add_f64 v[94:95], v[222:223], v[94:95]
	v_min_f64 v[222:223], v[192:193], v[142:143]
	v_max_f64 v[194:195], v[194:195], v[194:195]
	v_add_f64 v[92:93], v[222:223], v[92:93]
	v_min_f64 v[222:223], v[194:195], v[142:143]
	v_max_f64 v[196:197], v[196:197], v[196:197]
	v_add_f64 v[90:91], v[222:223], v[90:91]
	v_min_f64 v[222:223], v[196:197], v[142:143]
	v_max_f64 v[198:199], v[198:199], v[198:199]
	v_add_f64 v[88:89], v[222:223], v[88:89]
	v_min_f64 v[222:223], v[198:199], v[142:143]
	v_max_f64 v[200:201], v[200:201], v[200:201]
	v_add_f64 v[86:87], v[222:223], v[86:87]
	v_min_f64 v[222:223], v[200:201], v[142:143]
	v_max_f64 v[202:203], v[202:203], v[202:203]
	v_add_f64 v[84:85], v[222:223], v[84:85]
	v_min_f64 v[222:223], v[202:203], v[142:143]
	v_max_f64 v[204:205], v[204:205], v[204:205]
	v_add_f64 v[82:83], v[222:223], v[82:83]
	v_min_f64 v[222:223], v[204:205], v[142:143]
	v_max_f64 v[206:207], v[206:207], v[206:207]
	v_add_f64 v[80:81], v[222:223], v[80:81]
	v_min_f64 v[222:223], v[206:207], v[142:143]
	v_max_f64 v[208:209], v[208:209], v[208:209]
	v_add_f64 v[78:79], v[222:223], v[78:79]
	v_min_f64 v[222:223], v[208:209], v[142:143]
	v_max_f64 v[210:211], v[210:211], v[210:211]
	v_add_f64 v[76:77], v[222:223], v[76:77]
	v_min_f64 v[222:223], v[210:211], v[142:143]
	v_max_f64 v[212:213], v[212:213], v[212:213]
	v_add_f64 v[74:75], v[222:223], v[74:75]
	v_min_f64 v[222:223], v[212:213], v[142:143]
	v_max_f64 v[214:215], v[214:215], v[214:215]
	v_add_f64 v[72:73], v[222:223], v[72:73]
	v_min_f64 v[222:223], v[214:215], v[142:143]
	v_max_f64 v[216:217], v[216:217], v[216:217]
	v_add_f64 v[70:71], v[222:223], v[70:71]
	v_min_f64 v[222:223], v[216:217], v[142:143]
	v_max_f64 v[218:219], v[218:219], v[218:219]
	v_max_f64 v[220:221], v[220:221], v[220:221]
	v_add_f64 v[68:69], v[222:223], v[68:69]
	v_min_f64 v[222:223], v[218:219], v[142:143]
	v_min_f64 v[142:143], v[220:221], v[142:143]
	v_add_f64 v[64:65], v[142:143], v[64:65]
	v_max_f64 v[142:143], v[224:225], v[224:225]
	v_min_f64 v[158:159], v[158:159], v[142:143]
	v_add_f64 v[62:63], v[158:159], v[62:63]
	v_min_f64 v[158:159], v[160:161], v[142:143]
	v_add_f64 v[60:61], v[158:159], v[60:61]
	;; [unrolled: 2-line block ×30, first 2 shown]
	v_min_f64 v[158:159], v[218:219], v[142:143]
	v_min_f64 v[142:143], v[220:221], v[142:143]
	s_add_i32 s24, s24, 8
	v_add_f64 v[66:67], v[222:223], v[66:67]
	v_add_f64 v[2:3], v[158:159], v[2:3]
	;; [unrolled: 1-line block ×3, first 2 shown]
	s_cmp_eq_u32 s24, 32
	s_cbranch_scc0 .LBB201_37
; %bb.38:                               ;   in Loop: Header=BB201_28 Depth=1
	ds_write2st64_b64 v148, v[136:137], v[134:135] offset1:4
	ds_write2st64_b64 v149, v[140:141], v[138:139] offset1:4
	v_or_b32_e32 v134, 4, v156
	v_cmp_le_i32_e32 vcc, s74, v134
	v_min_i32_e32 v134, s27, v134
	v_ashrrev_i32_e32 v135, 31, v134
	s_or_b64 s[24:25], s[2:3], vcc
	v_lshl_add_u64 v[138:139], v[134:135], 3, s[22:23]
	s_or_b64 s[24:25], s[14:15], s[24:25]
	v_mov_b64_e32 v[134:135], 0
	s_xor_b64 s[34:35], s[24:25], -1
	v_mov_b64_e32 v[136:137], v[134:135]
	s_waitcnt lgkmcnt(0)
	s_barrier
	s_and_saveexec_b64 s[24:25], s[34:35]
	s_cbranch_execz .LBB201_40
; %bb.39:                               ;   in Loop: Header=BB201_28 Depth=1
	v_lshl_add_u64 v[136:137], v[130:131], 3, v[138:139]
	flat_load_dwordx2 v[136:137], v[136:137]
	s_waitcnt vmcnt(0) lgkmcnt(0)
	v_mul_f64 v[136:137], s[18:19], v[136:137]
.LBB201_40:                             ;   in Loop: Header=BB201_28 Depth=1
	s_or_b64 exec, exec, s[24:25]
	s_or_b64 s[24:25], s[4:5], vcc
	s_or_b64 s[24:25], s[14:15], s[24:25]
	s_xor_b64 s[34:35], s[24:25], -1
	s_and_saveexec_b64 s[24:25], s[34:35]
	s_cbranch_execz .LBB201_42
; %bb.41:                               ;   in Loop: Header=BB201_28 Depth=1
	v_lshl_add_u64 v[134:135], v[132:133], 3, v[138:139]
	flat_load_dwordx2 v[134:135], v[134:135]
	s_waitcnt vmcnt(0) lgkmcnt(0)
	v_mul_f64 v[134:135], s[18:19], v[134:135]
.LBB201_42:                             ;   in Loop: Header=BB201_28 Depth=1
	s_or_b64 exec, exec, s[24:25]
	v_add3_u32 v138, v147, s30, 4
	v_cmp_le_i32_e32 vcc, s74, v138
	v_min_i32_e32 v138, s27, v138
	v_mad_i64_i32 v[138:139], s[24:25], v138, s28, 0
	s_or_b64 s[24:25], s[6:7], vcc
	v_lshl_add_u64 v[140:141], v[138:139], 3, s[20:21]
	s_or_b64 s[24:25], s[14:15], s[24:25]
	v_mov_b64_e32 v[138:139], 0
	s_xor_b64 s[34:35], s[24:25], -1
	v_lshl_add_u64 v[142:143], v[128:129], 3, v[140:141]
	v_mov_b64_e32 v[140:141], v[138:139]
	s_and_saveexec_b64 s[24:25], s[34:35]
	s_cbranch_execz .LBB201_44
; %bb.43:                               ;   in Loop: Header=BB201_28 Depth=1
	flat_load_dwordx2 v[140:141], v[142:143]
	s_waitcnt vmcnt(0) lgkmcnt(0)
	v_mul_f64 v[140:141], s[18:19], v[140:141]
.LBB201_44:                             ;   in Loop: Header=BB201_28 Depth=1
	s_or_b64 exec, exec, s[24:25]
	s_or_b64 s[24:25], s[8:9], vcc
	s_or_b64 s[24:25], s[14:15], s[24:25]
	s_xor_b64 s[34:35], s[24:25], -1
	s_and_saveexec_b64 s[24:25], s[34:35]
	s_cbranch_execz .LBB201_46
; %bb.45:                               ;   in Loop: Header=BB201_28 Depth=1
	flat_load_dwordx2 v[138:139], v[142:143] offset:512
	s_waitcnt vmcnt(0) lgkmcnt(0)
	v_mul_f64 v[138:139], s[18:19], v[138:139]
.LBB201_46:                             ;   in Loop: Header=BB201_28 Depth=1
	s_or_b64 exec, exec, s[24:25]
	s_mov_b32 s24, 0
.LBB201_47:                             ;   Parent Loop BB201_28 Depth=1
                                        ; =>  This Inner Loop Header: Depth=2
	v_add_u32_e32 v142, s24, v150
	v_add_u32_e32 v143, s24, v151
	ds_read2_b64 v[156:159], v142 offset1:16
	ds_read2_b64 v[160:163], v142 offset0:32 offset1:48
	ds_read2_b64 v[164:167], v142 offset0:64 offset1:80
	;; [unrolled: 1-line block ×7, first 2 shown]
	v_add_u32_e32 v142, 0x800, v142
	ds_read2st64_b64 v[188:191], v143 offset1:4
	ds_read2_b64 v[192:195], v142 offset1:16
	ds_read2_b64 v[196:199], v142 offset0:32 offset1:48
	ds_read2_b64 v[200:203], v142 offset0:64 offset1:80
	;; [unrolled: 1-line block ×7, first 2 shown]
	s_waitcnt lgkmcnt(14)
	v_max_f64 v[156:157], v[156:157], v[156:157]
	v_max_f64 v[158:159], v[158:159], v[158:159]
	;; [unrolled: 1-line block ×3, first 2 shown]
	s_waitcnt lgkmcnt(8)
	v_max_f64 v[142:143], v[188:189], v[188:189]
	v_max_f64 v[162:163], v[162:163], v[162:163]
	v_max_f64 v[164:165], v[164:165], v[164:165]
	v_max_f64 v[166:167], v[166:167], v[166:167]
	v_max_f64 v[168:169], v[168:169], v[168:169]
	v_max_f64 v[170:171], v[170:171], v[170:171]
	v_max_f64 v[172:173], v[172:173], v[172:173]
	v_max_f64 v[174:175], v[174:175], v[174:175]
	v_max_f64 v[176:177], v[176:177], v[176:177]
	v_max_f64 v[178:179], v[178:179], v[178:179]
	v_max_f64 v[180:181], v[180:181], v[180:181]
	v_max_f64 v[182:183], v[182:183], v[182:183]
	v_max_f64 v[184:185], v[184:185], v[184:185]
	v_max_f64 v[186:187], v[186:187], v[186:187]
	v_max_f64 v[188:189], v[190:191], v[190:191]
	v_min_f64 v[190:191], v[156:157], v[142:143]
	v_min_f64 v[224:225], v[158:159], v[142:143]
	;; [unrolled: 1-line block ×16, first 2 shown]
	s_waitcnt lgkmcnt(7)
	v_max_f64 v[192:193], v[192:193], v[192:193]
	v_max_f64 v[194:195], v[194:195], v[194:195]
	s_waitcnt lgkmcnt(6)
	v_max_f64 v[196:197], v[196:197], v[196:197]
	v_max_f64 v[198:199], v[198:199], v[198:199]
	;; [unrolled: 3-line block ×8, first 2 shown]
	v_min_f64 v[156:157], v[156:157], v[188:189]
	v_min_f64 v[158:159], v[158:159], v[188:189]
	;; [unrolled: 1-line block ×16, first 2 shown]
	s_add_i32 s24, s24, 8
	v_add_f64 v[126:127], v[190:191], v[126:127]
	v_add_f64 v[124:125], v[224:225], v[124:125]
	;; [unrolled: 1-line block ×15, first 2 shown]
	v_min_f64 v[190:191], v[192:193], v[142:143]
	v_min_f64 v[224:225], v[194:195], v[142:143]
	;; [unrolled: 1-line block ×16, first 2 shown]
	v_add_f64 v[62:63], v[156:157], v[62:63]
	v_add_f64 v[60:61], v[158:159], v[60:61]
	;; [unrolled: 1-line block ×16, first 2 shown]
	v_min_f64 v[156:157], v[192:193], v[188:189]
	v_min_f64 v[158:159], v[194:195], v[188:189]
	;; [unrolled: 1-line block ×16, first 2 shown]
	s_cmp_eq_u32 s24, 32
	v_add_f64 v[96:97], v[252:253], v[96:97]
	v_add_f64 v[94:95], v[190:191], v[94:95]
	;; [unrolled: 1-line block ×33, first 2 shown]
	s_cbranch_scc0 .LBB201_47
; %bb.48:                               ;   in Loop: Header=BB201_28 Depth=1
	s_add_i32 s30, s30, 8
	s_add_i32 s31, s31, 8
	s_cmp_ge_i32 s31, s29
	ds_write2st64_b64 v154, v[136:137], v[134:135] offset1:4
	ds_write2st64_b64 v155, v[140:141], v[138:139] offset1:4
	s_waitcnt lgkmcnt(0)
	s_barrier
	s_cbranch_scc0 .LBB201_28
.LBB201_49:
	s_mov_b32 s2, 0
.LBB201_50:                             ; =>This Inner Loop Header: Depth=1
	v_add_u32_e32 v150, s2, v152
	v_add_u32_e32 v151, s2, v153
	ds_read2_b64 v[128:131], v150 offset1:16
	ds_read2_b64 v[132:135], v150 offset0:32 offset1:48
	ds_read2_b64 v[136:139], v150 offset0:64 offset1:80
	;; [unrolled: 1-line block ×7, first 2 shown]
	v_add_u32_e32 v150, 0x800, v150
	ds_read2st64_b64 v[166:169], v151 offset1:4
	ds_read2_b64 v[170:173], v150 offset1:16
	ds_read2_b64 v[174:177], v150 offset0:32 offset1:48
	ds_read2_b64 v[178:181], v150 offset0:64 offset1:80
	;; [unrolled: 1-line block ×7, first 2 shown]
	s_waitcnt lgkmcnt(14)
	v_max_f64 v[128:129], v[128:129], v[128:129]
	v_max_f64 v[130:131], v[130:131], v[130:131]
	;; [unrolled: 1-line block ×3, first 2 shown]
	s_waitcnt lgkmcnt(8)
	v_max_f64 v[150:151], v[166:167], v[166:167]
	v_max_f64 v[134:135], v[134:135], v[134:135]
	;; [unrolled: 1-line block ×15, first 2 shown]
	v_min_f64 v[168:169], v[128:129], v[150:151]
	v_min_f64 v[202:203], v[130:131], v[150:151]
	;; [unrolled: 1-line block ×16, first 2 shown]
	s_waitcnt lgkmcnt(7)
	v_max_f64 v[170:171], v[170:171], v[170:171]
	v_max_f64 v[172:173], v[172:173], v[172:173]
	s_waitcnt lgkmcnt(6)
	v_max_f64 v[174:175], v[174:175], v[174:175]
	v_max_f64 v[176:177], v[176:177], v[176:177]
	;; [unrolled: 3-line block ×8, first 2 shown]
	v_min_f64 v[128:129], v[128:129], v[166:167]
	v_min_f64 v[130:131], v[130:131], v[166:167]
	;; [unrolled: 1-line block ×16, first 2 shown]
	s_add_i32 s2, s2, 8
	v_add_f64 v[126:127], v[168:169], v[126:127]
	v_add_f64 v[124:125], v[202:203], v[124:125]
	;; [unrolled: 1-line block ×15, first 2 shown]
	v_min_f64 v[168:169], v[170:171], v[150:151]
	v_min_f64 v[202:203], v[172:173], v[150:151]
	v_min_f64 v[204:205], v[174:175], v[150:151]
	v_min_f64 v[206:207], v[176:177], v[150:151]
	v_min_f64 v[208:209], v[178:179], v[150:151]
	v_min_f64 v[210:211], v[180:181], v[150:151]
	v_min_f64 v[212:213], v[182:183], v[150:151]
	v_min_f64 v[214:215], v[184:185], v[150:151]
	v_min_f64 v[216:217], v[186:187], v[150:151]
	v_min_f64 v[218:219], v[188:189], v[150:151]
	v_min_f64 v[220:221], v[190:191], v[150:151]
	v_min_f64 v[222:223], v[192:193], v[150:151]
	v_min_f64 v[224:225], v[194:195], v[150:151]
	v_min_f64 v[226:227], v[196:197], v[150:151]
	v_min_f64 v[228:229], v[198:199], v[150:151]
	v_min_f64 v[150:151], v[200:201], v[150:151]
	v_add_f64 v[62:63], v[128:129], v[62:63]
	v_add_f64 v[60:61], v[130:131], v[60:61]
	;; [unrolled: 1-line block ×16, first 2 shown]
	v_min_f64 v[128:129], v[170:171], v[166:167]
	v_min_f64 v[130:131], v[172:173], v[166:167]
	;; [unrolled: 1-line block ×16, first 2 shown]
	s_cmp_eq_u32 s2, 32
	v_add_f64 v[96:97], v[230:231], v[96:97]
	v_add_f64 v[94:95], v[168:169], v[94:95]
	;; [unrolled: 1-line block ×33, first 2 shown]
	s_cbranch_scc0 .LBB201_50
; %bb.51:
	s_load_dwordx2 s[2:3], s[0:1], 0x78
	s_load_dword s78, s[0:1], 0x58
	s_load_dword s33, s[0:1], 0x70
	v_add_u32_e32 v136, s26, v145
	v_add_u32_e32 v128, s17, v144
	s_waitcnt lgkmcnt(0)
	s_mul_i32 s1, s16, s3
	s_mul_hi_u32 s3, s16, s2
	s_mul_i32 s0, s16, s2
	s_add_i32 s1, s3, s1
	s_lshl_b64 s[0:1], s[0:1], 3
	s_add_u32 s74, s10, s0
	s_addc_u32 s75, s11, s1
	v_mad_i64_i32 v[130:131], s[0:1], v136, s78, 0
	v_cmp_gt_i32_e64 s[24:25], s73, v136
	v_lshl_add_u64 v[132:133], v[130:131], 3, s[76:77]
	v_mad_i64_i32 v[130:131], s[0:1], v136, s33, 0
	v_cmp_gt_i32_e64 s[2:3], s72, v128
	v_cndmask_b32_e64 v134, 0, 1, s[12:13]
	v_lshl_add_u64 v[130:131], v[130:131], 3, s[74:75]
	s_and_b64 s[6:7], s[24:25], s[2:3]
	v_ashrrev_i32_e32 v129, 31, v128
	v_cmp_ne_u32_e64 s[0:1], 1, v134
	s_and_saveexec_b64 s[4:5], s[6:7]
	s_cbranch_execz .LBB201_56
; %bb.52:
	s_and_b64 vcc, exec, s[0:1]
	s_cbranch_vccnz .LBB201_54
; %bb.53:
	v_lshl_add_u64 v[134:135], v[128:129], 3, v[132:133]
	flat_load_dwordx2 v[134:135], v[134:135]
	s_waitcnt vmcnt(0) lgkmcnt(0)
	v_mul_f64 v[134:135], s[70:71], v[134:135]
	s_branch .LBB201_55
.LBB201_54:
	v_mov_b64_e32 v[134:135], 0
.LBB201_55:
	v_add_f64 v[126:127], v[126:127], v[134:135]
	v_lshl_add_u64 v[134:135], v[128:129], 3, v[130:131]
	global_store_dwordx2 v[134:135], v[126:127], off
.LBB201_56:
	s_or_b64 exec, exec, s[4:5]
	v_add_u32_e32 v126, 4, v128
	v_cmp_gt_i32_e64 s[4:5], s72, v126
	s_and_b64 s[8:9], s[24:25], s[4:5]
	v_ashrrev_i32_e32 v127, 31, v126
	s_and_saveexec_b64 s[6:7], s[8:9]
	s_cbranch_execz .LBB201_61
; %bb.57:
	s_and_b64 vcc, exec, s[0:1]
	s_cbranch_vccnz .LBB201_59
; %bb.58:
	v_lshl_add_u64 v[134:135], v[126:127], 3, v[132:133]
	flat_load_dwordx2 v[134:135], v[134:135]
	s_waitcnt vmcnt(0) lgkmcnt(0)
	v_mul_f64 v[134:135], s[70:71], v[134:135]
	s_branch .LBB201_60
.LBB201_59:
	v_mov_b64_e32 v[134:135], 0
.LBB201_60:
	v_add_f64 v[124:125], v[124:125], v[134:135]
	v_lshl_add_u64 v[134:135], v[126:127], 3, v[130:131]
	global_store_dwordx2 v[134:135], v[124:125], off
.LBB201_61:
	s_or_b64 exec, exec, s[6:7]
	v_add_u32_e32 v124, 8, v128
	v_cmp_gt_i32_e64 s[6:7], s72, v124
	s_and_b64 s[10:11], s[24:25], s[6:7]
	v_ashrrev_i32_e32 v125, 31, v124
	s_and_saveexec_b64 s[8:9], s[10:11]
	s_cbranch_execz .LBB201_66
; %bb.62:
	s_and_b64 vcc, exec, s[0:1]
	s_cbranch_vccnz .LBB201_64
; %bb.63:
	v_lshl_add_u64 v[134:135], v[124:125], 3, v[132:133]
	flat_load_dwordx2 v[134:135], v[134:135]
	s_waitcnt vmcnt(0) lgkmcnt(0)
	v_mul_f64 v[134:135], s[70:71], v[134:135]
	s_branch .LBB201_65
.LBB201_64:
	v_mov_b64_e32 v[134:135], 0
.LBB201_65:
	v_add_f64 v[122:123], v[122:123], v[134:135]
	v_lshl_add_u64 v[134:135], v[124:125], 3, v[130:131]
	global_store_dwordx2 v[134:135], v[122:123], off
.LBB201_66:
	s_or_b64 exec, exec, s[8:9]
	v_add_u32_e32 v122, 12, v128
	v_cmp_gt_i32_e64 s[8:9], s72, v122
	s_and_b64 s[12:13], s[24:25], s[8:9]
	v_ashrrev_i32_e32 v123, 31, v122
	s_and_saveexec_b64 s[10:11], s[12:13]
	s_cbranch_execz .LBB201_71
; %bb.67:
	s_and_b64 vcc, exec, s[0:1]
	s_cbranch_vccnz .LBB201_69
; %bb.68:
	v_lshl_add_u64 v[134:135], v[122:123], 3, v[132:133]
	flat_load_dwordx2 v[134:135], v[134:135]
	s_waitcnt vmcnt(0) lgkmcnt(0)
	v_mul_f64 v[134:135], s[70:71], v[134:135]
	s_branch .LBB201_70
.LBB201_69:
	v_mov_b64_e32 v[134:135], 0
.LBB201_70:
	v_add_f64 v[120:121], v[120:121], v[134:135]
	v_lshl_add_u64 v[134:135], v[122:123], 3, v[130:131]
	global_store_dwordx2 v[134:135], v[120:121], off
.LBB201_71:
	s_or_b64 exec, exec, s[10:11]
	v_add_u32_e32 v120, 16, v128
	v_cmp_gt_i32_e64 s[10:11], s72, v120
	s_and_b64 s[14:15], s[24:25], s[10:11]
	v_ashrrev_i32_e32 v121, 31, v120
	s_and_saveexec_b64 s[12:13], s[14:15]
	s_cbranch_execz .LBB201_76
; %bb.72:
	s_and_b64 vcc, exec, s[0:1]
	s_cbranch_vccnz .LBB201_74
; %bb.73:
	v_lshl_add_u64 v[134:135], v[120:121], 3, v[132:133]
	flat_load_dwordx2 v[134:135], v[134:135]
	s_waitcnt vmcnt(0) lgkmcnt(0)
	v_mul_f64 v[134:135], s[70:71], v[134:135]
	s_branch .LBB201_75
.LBB201_74:
	v_mov_b64_e32 v[134:135], 0
.LBB201_75:
	v_add_f64 v[118:119], v[118:119], v[134:135]
	v_lshl_add_u64 v[134:135], v[120:121], 3, v[130:131]
	global_store_dwordx2 v[134:135], v[118:119], off
.LBB201_76:
	s_or_b64 exec, exec, s[12:13]
	v_add_u32_e32 v118, 20, v128
	v_cmp_gt_i32_e64 s[12:13], s72, v118
	s_and_b64 s[16:17], s[24:25], s[12:13]
	v_ashrrev_i32_e32 v119, 31, v118
	s_and_saveexec_b64 s[14:15], s[16:17]
	s_cbranch_execz .LBB201_81
; %bb.77:
	s_and_b64 vcc, exec, s[0:1]
	s_cbranch_vccnz .LBB201_79
; %bb.78:
	v_lshl_add_u64 v[134:135], v[118:119], 3, v[132:133]
	flat_load_dwordx2 v[134:135], v[134:135]
	s_waitcnt vmcnt(0) lgkmcnt(0)
	v_mul_f64 v[134:135], s[70:71], v[134:135]
	s_branch .LBB201_80
.LBB201_79:
	v_mov_b64_e32 v[134:135], 0
.LBB201_80:
	v_add_f64 v[116:117], v[116:117], v[134:135]
	v_lshl_add_u64 v[134:135], v[118:119], 3, v[130:131]
	global_store_dwordx2 v[134:135], v[116:117], off
.LBB201_81:
	s_or_b64 exec, exec, s[14:15]
	v_add_u32_e32 v116, 24, v128
	v_cmp_gt_i32_e64 s[14:15], s72, v116
	s_and_b64 s[18:19], s[24:25], s[14:15]
	v_ashrrev_i32_e32 v117, 31, v116
	s_and_saveexec_b64 s[16:17], s[18:19]
	s_cbranch_execz .LBB201_86
; %bb.82:
	s_and_b64 vcc, exec, s[0:1]
	s_cbranch_vccnz .LBB201_84
; %bb.83:
	v_lshl_add_u64 v[134:135], v[116:117], 3, v[132:133]
	flat_load_dwordx2 v[134:135], v[134:135]
	s_waitcnt vmcnt(0) lgkmcnt(0)
	v_mul_f64 v[134:135], s[70:71], v[134:135]
	s_branch .LBB201_85
.LBB201_84:
	v_mov_b64_e32 v[134:135], 0
.LBB201_85:
	v_add_f64 v[114:115], v[114:115], v[134:135]
	v_lshl_add_u64 v[134:135], v[116:117], 3, v[130:131]
	global_store_dwordx2 v[134:135], v[114:115], off
.LBB201_86:
	s_or_b64 exec, exec, s[16:17]
	v_add_u32_e32 v114, 28, v128
	v_cmp_gt_i32_e64 s[16:17], s72, v114
	s_and_b64 s[20:21], s[24:25], s[16:17]
	v_ashrrev_i32_e32 v115, 31, v114
	s_and_saveexec_b64 s[18:19], s[20:21]
	s_cbranch_execz .LBB201_91
; %bb.87:
	s_and_b64 vcc, exec, s[0:1]
	s_cbranch_vccnz .LBB201_89
; %bb.88:
	v_lshl_add_u64 v[134:135], v[114:115], 3, v[132:133]
	flat_load_dwordx2 v[134:135], v[134:135]
	s_waitcnt vmcnt(0) lgkmcnt(0)
	v_mul_f64 v[134:135], s[70:71], v[134:135]
	s_branch .LBB201_90
.LBB201_89:
	v_mov_b64_e32 v[134:135], 0
.LBB201_90:
	v_add_f64 v[112:113], v[112:113], v[134:135]
	v_lshl_add_u64 v[134:135], v[114:115], 3, v[130:131]
	global_store_dwordx2 v[134:135], v[112:113], off
.LBB201_91:
	s_or_b64 exec, exec, s[18:19]
	v_add_u32_e32 v112, 32, v128
	v_cmp_gt_i32_e64 s[18:19], s72, v112
	s_and_b64 s[22:23], s[24:25], s[18:19]
	v_ashrrev_i32_e32 v113, 31, v112
	s_and_saveexec_b64 s[20:21], s[22:23]
	s_cbranch_execz .LBB201_96
; %bb.92:
	s_and_b64 vcc, exec, s[0:1]
	s_cbranch_vccnz .LBB201_94
; %bb.93:
	v_lshl_add_u64 v[134:135], v[112:113], 3, v[132:133]
	flat_load_dwordx2 v[134:135], v[134:135]
	s_waitcnt vmcnt(0) lgkmcnt(0)
	v_mul_f64 v[134:135], s[70:71], v[134:135]
	s_branch .LBB201_95
.LBB201_94:
	v_mov_b64_e32 v[134:135], 0
.LBB201_95:
	v_add_f64 v[110:111], v[110:111], v[134:135]
	v_lshl_add_u64 v[134:135], v[112:113], 3, v[130:131]
	global_store_dwordx2 v[134:135], v[110:111], off
.LBB201_96:
	s_or_b64 exec, exec, s[20:21]
	v_add_u32_e32 v110, 36, v128
	v_cmp_gt_i32_e64 s[20:21], s72, v110
	s_and_b64 s[26:27], s[24:25], s[20:21]
	v_ashrrev_i32_e32 v111, 31, v110
	s_and_saveexec_b64 s[22:23], s[26:27]
	s_cbranch_execz .LBB201_101
; %bb.97:
	s_and_b64 vcc, exec, s[0:1]
	s_cbranch_vccnz .LBB201_99
; %bb.98:
	v_lshl_add_u64 v[134:135], v[110:111], 3, v[132:133]
	flat_load_dwordx2 v[134:135], v[134:135]
	s_waitcnt vmcnt(0) lgkmcnt(0)
	v_mul_f64 v[134:135], s[70:71], v[134:135]
	s_branch .LBB201_100
.LBB201_99:
	v_mov_b64_e32 v[134:135], 0
.LBB201_100:
	v_add_f64 v[108:109], v[108:109], v[134:135]
	v_lshl_add_u64 v[134:135], v[110:111], 3, v[130:131]
	global_store_dwordx2 v[134:135], v[108:109], off
.LBB201_101:
	s_or_b64 exec, exec, s[22:23]
	v_add_u32_e32 v108, 40, v128
	v_cmp_gt_i32_e64 s[22:23], s72, v108
	s_and_b64 s[28:29], s[24:25], s[22:23]
	v_ashrrev_i32_e32 v109, 31, v108
	s_and_saveexec_b64 s[26:27], s[28:29]
	s_cbranch_execz .LBB201_106
; %bb.102:
	s_and_b64 vcc, exec, s[0:1]
	s_cbranch_vccnz .LBB201_104
; %bb.103:
	v_lshl_add_u64 v[134:135], v[108:109], 3, v[132:133]
	flat_load_dwordx2 v[134:135], v[134:135]
	s_waitcnt vmcnt(0) lgkmcnt(0)
	v_mul_f64 v[134:135], s[70:71], v[134:135]
	s_branch .LBB201_105
.LBB201_104:
	v_mov_b64_e32 v[134:135], 0
.LBB201_105:
	v_add_f64 v[106:107], v[106:107], v[134:135]
	v_lshl_add_u64 v[134:135], v[108:109], 3, v[130:131]
	global_store_dwordx2 v[134:135], v[106:107], off
.LBB201_106:
	s_or_b64 exec, exec, s[26:27]
	v_add_u32_e32 v106, 44, v128
	v_cmp_gt_i32_e64 s[26:27], s72, v106
	s_and_b64 s[30:31], s[24:25], s[26:27]
	v_ashrrev_i32_e32 v107, 31, v106
	s_and_saveexec_b64 s[28:29], s[30:31]
	s_cbranch_execz .LBB201_111
; %bb.107:
	s_and_b64 vcc, exec, s[0:1]
	s_cbranch_vccnz .LBB201_109
; %bb.108:
	v_lshl_add_u64 v[134:135], v[106:107], 3, v[132:133]
	flat_load_dwordx2 v[134:135], v[134:135]
	s_waitcnt vmcnt(0) lgkmcnt(0)
	v_mul_f64 v[134:135], s[70:71], v[134:135]
	s_branch .LBB201_110
.LBB201_109:
	v_mov_b64_e32 v[134:135], 0
.LBB201_110:
	v_add_f64 v[104:105], v[104:105], v[134:135]
	v_lshl_add_u64 v[134:135], v[106:107], 3, v[130:131]
	global_store_dwordx2 v[134:135], v[104:105], off
.LBB201_111:
	s_or_b64 exec, exec, s[28:29]
	v_add_u32_e32 v104, 48, v128
	v_cmp_gt_i32_e64 s[28:29], s72, v104
	s_and_b64 s[34:35], s[24:25], s[28:29]
	v_ashrrev_i32_e32 v105, 31, v104
	s_and_saveexec_b64 s[30:31], s[34:35]
	s_cbranch_execz .LBB201_116
; %bb.112:
	s_and_b64 vcc, exec, s[0:1]
	s_cbranch_vccnz .LBB201_114
; %bb.113:
	v_lshl_add_u64 v[134:135], v[104:105], 3, v[132:133]
	flat_load_dwordx2 v[134:135], v[134:135]
	s_waitcnt vmcnt(0) lgkmcnt(0)
	v_mul_f64 v[134:135], s[70:71], v[134:135]
	s_branch .LBB201_115
.LBB201_114:
	v_mov_b64_e32 v[134:135], 0
.LBB201_115:
	v_add_f64 v[102:103], v[102:103], v[134:135]
	v_lshl_add_u64 v[134:135], v[104:105], 3, v[130:131]
	global_store_dwordx2 v[134:135], v[102:103], off
.LBB201_116:
	s_or_b64 exec, exec, s[30:31]
	v_add_u32_e32 v102, 52, v128
	v_cmp_gt_i32_e64 s[30:31], s72, v102
	s_and_b64 s[36:37], s[24:25], s[30:31]
	v_ashrrev_i32_e32 v103, 31, v102
	s_and_saveexec_b64 s[34:35], s[36:37]
	s_cbranch_execz .LBB201_121
; %bb.117:
	s_and_b64 vcc, exec, s[0:1]
	s_cbranch_vccnz .LBB201_119
; %bb.118:
	v_lshl_add_u64 v[134:135], v[102:103], 3, v[132:133]
	flat_load_dwordx2 v[134:135], v[134:135]
	s_waitcnt vmcnt(0) lgkmcnt(0)
	v_mul_f64 v[134:135], s[70:71], v[134:135]
	s_branch .LBB201_120
.LBB201_119:
	v_mov_b64_e32 v[134:135], 0
.LBB201_120:
	v_add_f64 v[100:101], v[100:101], v[134:135]
	v_lshl_add_u64 v[134:135], v[102:103], 3, v[130:131]
	global_store_dwordx2 v[134:135], v[100:101], off
.LBB201_121:
	s_or_b64 exec, exec, s[34:35]
	v_add_u32_e32 v100, 56, v128
	v_cmp_gt_i32_e64 s[34:35], s72, v100
	s_and_b64 s[38:39], s[24:25], s[34:35]
	v_ashrrev_i32_e32 v101, 31, v100
	s_and_saveexec_b64 s[36:37], s[38:39]
	s_cbranch_execz .LBB201_126
; %bb.122:
	s_and_b64 vcc, exec, s[0:1]
	s_cbranch_vccnz .LBB201_124
; %bb.123:
	v_lshl_add_u64 v[134:135], v[100:101], 3, v[132:133]
	flat_load_dwordx2 v[134:135], v[134:135]
	s_waitcnt vmcnt(0) lgkmcnt(0)
	v_mul_f64 v[134:135], s[70:71], v[134:135]
	s_branch .LBB201_125
.LBB201_124:
	v_mov_b64_e32 v[134:135], 0
.LBB201_125:
	v_add_f64 v[98:99], v[98:99], v[134:135]
	v_lshl_add_u64 v[134:135], v[100:101], 3, v[130:131]
	global_store_dwordx2 v[134:135], v[98:99], off
.LBB201_126:
	s_or_b64 exec, exec, s[36:37]
	v_add_u32_e32 v98, 60, v128
	v_cmp_gt_i32_e64 s[36:37], s72, v98
	s_and_b64 s[40:41], s[24:25], s[36:37]
	v_ashrrev_i32_e32 v99, 31, v98
	s_and_saveexec_b64 s[38:39], s[40:41]
	s_cbranch_execz .LBB201_131
; %bb.127:
	s_and_b64 vcc, exec, s[0:1]
	s_cbranch_vccnz .LBB201_129
; %bb.128:
	v_lshl_add_u64 v[134:135], v[98:99], 3, v[132:133]
	flat_load_dwordx2 v[134:135], v[134:135]
	s_waitcnt vmcnt(0) lgkmcnt(0)
	v_mul_f64 v[134:135], s[70:71], v[134:135]
	s_branch .LBB201_130
.LBB201_129:
	v_mov_b64_e32 v[134:135], 0
.LBB201_130:
	v_add_f64 v[96:97], v[96:97], v[134:135]
	v_lshl_add_u64 v[134:135], v[98:99], 3, v[130:131]
	global_store_dwordx2 v[134:135], v[96:97], off
.LBB201_131:
	s_or_b64 exec, exec, s[38:39]
	v_add_u32_e32 v96, 64, v128
	v_cmp_gt_i32_e64 s[38:39], s72, v96
	s_and_b64 s[42:43], s[24:25], s[38:39]
	v_ashrrev_i32_e32 v97, 31, v96
	s_and_saveexec_b64 s[40:41], s[42:43]
	s_cbranch_execz .LBB201_136
; %bb.132:
	s_and_b64 vcc, exec, s[0:1]
	s_cbranch_vccnz .LBB201_134
; %bb.133:
	v_lshl_add_u64 v[134:135], v[96:97], 3, v[132:133]
	flat_load_dwordx2 v[134:135], v[134:135]
	s_waitcnt vmcnt(0) lgkmcnt(0)
	v_mul_f64 v[134:135], s[70:71], v[134:135]
	s_branch .LBB201_135
.LBB201_134:
	v_mov_b64_e32 v[134:135], 0
.LBB201_135:
	v_add_f64 v[94:95], v[94:95], v[134:135]
	v_lshl_add_u64 v[134:135], v[96:97], 3, v[130:131]
	global_store_dwordx2 v[134:135], v[94:95], off
.LBB201_136:
	s_or_b64 exec, exec, s[40:41]
	v_add_u32_e32 v94, 0x44, v128
	v_cmp_gt_i32_e64 s[40:41], s72, v94
	s_and_b64 s[44:45], s[24:25], s[40:41]
	v_ashrrev_i32_e32 v95, 31, v94
	s_and_saveexec_b64 s[42:43], s[44:45]
	s_cbranch_execz .LBB201_141
; %bb.137:
	s_and_b64 vcc, exec, s[0:1]
	s_cbranch_vccnz .LBB201_139
; %bb.138:
	v_lshl_add_u64 v[134:135], v[94:95], 3, v[132:133]
	flat_load_dwordx2 v[134:135], v[134:135]
	s_waitcnt vmcnt(0) lgkmcnt(0)
	v_mul_f64 v[134:135], s[70:71], v[134:135]
	s_branch .LBB201_140
.LBB201_139:
	v_mov_b64_e32 v[134:135], 0
.LBB201_140:
	v_add_f64 v[92:93], v[92:93], v[134:135]
	v_lshl_add_u64 v[134:135], v[94:95], 3, v[130:131]
	global_store_dwordx2 v[134:135], v[92:93], off
.LBB201_141:
	s_or_b64 exec, exec, s[42:43]
	v_add_u32_e32 v92, 0x48, v128
	v_cmp_gt_i32_e64 s[42:43], s72, v92
	s_and_b64 s[46:47], s[24:25], s[42:43]
	v_ashrrev_i32_e32 v93, 31, v92
	s_and_saveexec_b64 s[44:45], s[46:47]
	s_cbranch_execz .LBB201_146
; %bb.142:
	s_and_b64 vcc, exec, s[0:1]
	s_cbranch_vccnz .LBB201_144
; %bb.143:
	v_lshl_add_u64 v[134:135], v[92:93], 3, v[132:133]
	flat_load_dwordx2 v[134:135], v[134:135]
	s_waitcnt vmcnt(0) lgkmcnt(0)
	v_mul_f64 v[134:135], s[70:71], v[134:135]
	s_branch .LBB201_145
.LBB201_144:
	v_mov_b64_e32 v[134:135], 0
.LBB201_145:
	v_add_f64 v[90:91], v[90:91], v[134:135]
	v_lshl_add_u64 v[134:135], v[92:93], 3, v[130:131]
	global_store_dwordx2 v[134:135], v[90:91], off
.LBB201_146:
	s_or_b64 exec, exec, s[44:45]
	v_add_u32_e32 v90, 0x4c, v128
	v_cmp_gt_i32_e64 s[44:45], s72, v90
	s_and_b64 s[48:49], s[24:25], s[44:45]
	v_ashrrev_i32_e32 v91, 31, v90
	s_and_saveexec_b64 s[46:47], s[48:49]
	s_cbranch_execz .LBB201_151
; %bb.147:
	s_and_b64 vcc, exec, s[0:1]
	s_cbranch_vccnz .LBB201_149
; %bb.148:
	v_lshl_add_u64 v[134:135], v[90:91], 3, v[132:133]
	flat_load_dwordx2 v[134:135], v[134:135]
	s_waitcnt vmcnt(0) lgkmcnt(0)
	v_mul_f64 v[134:135], s[70:71], v[134:135]
	s_branch .LBB201_150
.LBB201_149:
	v_mov_b64_e32 v[134:135], 0
.LBB201_150:
	v_add_f64 v[88:89], v[88:89], v[134:135]
	v_lshl_add_u64 v[134:135], v[90:91], 3, v[130:131]
	global_store_dwordx2 v[134:135], v[88:89], off
.LBB201_151:
	s_or_b64 exec, exec, s[46:47]
	v_add_u32_e32 v88, 0x50, v128
	v_cmp_gt_i32_e64 s[46:47], s72, v88
	s_and_b64 s[50:51], s[24:25], s[46:47]
	v_ashrrev_i32_e32 v89, 31, v88
	s_and_saveexec_b64 s[48:49], s[50:51]
	s_cbranch_execz .LBB201_156
; %bb.152:
	s_and_b64 vcc, exec, s[0:1]
	s_cbranch_vccnz .LBB201_154
; %bb.153:
	v_lshl_add_u64 v[134:135], v[88:89], 3, v[132:133]
	flat_load_dwordx2 v[134:135], v[134:135]
	s_waitcnt vmcnt(0) lgkmcnt(0)
	v_mul_f64 v[134:135], s[70:71], v[134:135]
	s_branch .LBB201_155
.LBB201_154:
	v_mov_b64_e32 v[134:135], 0
.LBB201_155:
	v_add_f64 v[86:87], v[86:87], v[134:135]
	v_lshl_add_u64 v[134:135], v[88:89], 3, v[130:131]
	global_store_dwordx2 v[134:135], v[86:87], off
.LBB201_156:
	s_or_b64 exec, exec, s[48:49]
	v_add_u32_e32 v86, 0x54, v128
	v_cmp_gt_i32_e64 s[48:49], s72, v86
	s_and_b64 s[52:53], s[24:25], s[48:49]
	v_ashrrev_i32_e32 v87, 31, v86
	s_and_saveexec_b64 s[50:51], s[52:53]
	s_cbranch_execz .LBB201_161
; %bb.157:
	s_and_b64 vcc, exec, s[0:1]
	s_cbranch_vccnz .LBB201_159
; %bb.158:
	v_lshl_add_u64 v[134:135], v[86:87], 3, v[132:133]
	flat_load_dwordx2 v[134:135], v[134:135]
	s_waitcnt vmcnt(0) lgkmcnt(0)
	v_mul_f64 v[134:135], s[70:71], v[134:135]
	s_branch .LBB201_160
.LBB201_159:
	v_mov_b64_e32 v[134:135], 0
.LBB201_160:
	v_add_f64 v[84:85], v[84:85], v[134:135]
	v_lshl_add_u64 v[134:135], v[86:87], 3, v[130:131]
	global_store_dwordx2 v[134:135], v[84:85], off
.LBB201_161:
	s_or_b64 exec, exec, s[50:51]
	v_add_u32_e32 v84, 0x58, v128
	v_cmp_gt_i32_e64 s[50:51], s72, v84
	s_and_b64 s[54:55], s[24:25], s[50:51]
	v_ashrrev_i32_e32 v85, 31, v84
	s_and_saveexec_b64 s[52:53], s[54:55]
	s_cbranch_execz .LBB201_166
; %bb.162:
	s_and_b64 vcc, exec, s[0:1]
	s_cbranch_vccnz .LBB201_164
; %bb.163:
	v_lshl_add_u64 v[134:135], v[84:85], 3, v[132:133]
	flat_load_dwordx2 v[134:135], v[134:135]
	s_waitcnt vmcnt(0) lgkmcnt(0)
	v_mul_f64 v[134:135], s[70:71], v[134:135]
	s_branch .LBB201_165
.LBB201_164:
	v_mov_b64_e32 v[134:135], 0
.LBB201_165:
	v_add_f64 v[82:83], v[82:83], v[134:135]
	v_lshl_add_u64 v[134:135], v[84:85], 3, v[130:131]
	global_store_dwordx2 v[134:135], v[82:83], off
.LBB201_166:
	s_or_b64 exec, exec, s[52:53]
	v_add_u32_e32 v82, 0x5c, v128
	v_cmp_gt_i32_e64 s[52:53], s72, v82
	s_and_b64 s[56:57], s[24:25], s[52:53]
	v_ashrrev_i32_e32 v83, 31, v82
	s_and_saveexec_b64 s[54:55], s[56:57]
	s_cbranch_execz .LBB201_171
; %bb.167:
	s_and_b64 vcc, exec, s[0:1]
	s_cbranch_vccnz .LBB201_169
; %bb.168:
	v_lshl_add_u64 v[134:135], v[82:83], 3, v[132:133]
	flat_load_dwordx2 v[134:135], v[134:135]
	s_waitcnt vmcnt(0) lgkmcnt(0)
	v_mul_f64 v[134:135], s[70:71], v[134:135]
	s_branch .LBB201_170
.LBB201_169:
	v_mov_b64_e32 v[134:135], 0
.LBB201_170:
	v_add_f64 v[80:81], v[80:81], v[134:135]
	v_lshl_add_u64 v[134:135], v[82:83], 3, v[130:131]
	global_store_dwordx2 v[134:135], v[80:81], off
.LBB201_171:
	s_or_b64 exec, exec, s[54:55]
	v_add_u32_e32 v80, 0x60, v128
	v_cmp_gt_i32_e64 s[54:55], s72, v80
	s_and_b64 s[58:59], s[24:25], s[54:55]
	v_ashrrev_i32_e32 v81, 31, v80
	s_and_saveexec_b64 s[56:57], s[58:59]
	s_cbranch_execz .LBB201_176
; %bb.172:
	s_and_b64 vcc, exec, s[0:1]
	s_cbranch_vccnz .LBB201_174
; %bb.173:
	v_lshl_add_u64 v[134:135], v[80:81], 3, v[132:133]
	flat_load_dwordx2 v[134:135], v[134:135]
	s_waitcnt vmcnt(0) lgkmcnt(0)
	v_mul_f64 v[134:135], s[70:71], v[134:135]
	s_branch .LBB201_175
.LBB201_174:
	v_mov_b64_e32 v[134:135], 0
.LBB201_175:
	v_add_f64 v[78:79], v[78:79], v[134:135]
	v_lshl_add_u64 v[134:135], v[80:81], 3, v[130:131]
	global_store_dwordx2 v[134:135], v[78:79], off
.LBB201_176:
	s_or_b64 exec, exec, s[56:57]
	v_add_u32_e32 v78, 0x64, v128
	v_cmp_gt_i32_e64 s[56:57], s72, v78
	s_and_b64 s[60:61], s[24:25], s[56:57]
	v_ashrrev_i32_e32 v79, 31, v78
	s_and_saveexec_b64 s[58:59], s[60:61]
	s_cbranch_execz .LBB201_181
; %bb.177:
	s_and_b64 vcc, exec, s[0:1]
	s_cbranch_vccnz .LBB201_179
; %bb.178:
	v_lshl_add_u64 v[134:135], v[78:79], 3, v[132:133]
	flat_load_dwordx2 v[134:135], v[134:135]
	s_waitcnt vmcnt(0) lgkmcnt(0)
	v_mul_f64 v[134:135], s[70:71], v[134:135]
	s_branch .LBB201_180
.LBB201_179:
	v_mov_b64_e32 v[134:135], 0
.LBB201_180:
	v_add_f64 v[76:77], v[76:77], v[134:135]
	v_lshl_add_u64 v[134:135], v[78:79], 3, v[130:131]
	global_store_dwordx2 v[134:135], v[76:77], off
.LBB201_181:
	s_or_b64 exec, exec, s[58:59]
	v_add_u32_e32 v76, 0x68, v128
	v_cmp_gt_i32_e64 s[58:59], s72, v76
	s_and_b64 s[62:63], s[24:25], s[58:59]
	v_ashrrev_i32_e32 v77, 31, v76
	s_and_saveexec_b64 s[60:61], s[62:63]
	s_cbranch_execz .LBB201_186
; %bb.182:
	s_and_b64 vcc, exec, s[0:1]
	s_cbranch_vccnz .LBB201_184
; %bb.183:
	v_lshl_add_u64 v[134:135], v[76:77], 3, v[132:133]
	flat_load_dwordx2 v[134:135], v[134:135]
	s_waitcnt vmcnt(0) lgkmcnt(0)
	v_mul_f64 v[134:135], s[70:71], v[134:135]
	s_branch .LBB201_185
.LBB201_184:
	v_mov_b64_e32 v[134:135], 0
.LBB201_185:
	v_add_f64 v[74:75], v[74:75], v[134:135]
	v_lshl_add_u64 v[134:135], v[76:77], 3, v[130:131]
	global_store_dwordx2 v[134:135], v[74:75], off
.LBB201_186:
	s_or_b64 exec, exec, s[60:61]
	v_add_u32_e32 v74, 0x6c, v128
	v_cmp_gt_i32_e64 s[60:61], s72, v74
	s_and_b64 s[64:65], s[24:25], s[60:61]
	v_ashrrev_i32_e32 v75, 31, v74
	s_and_saveexec_b64 s[62:63], s[64:65]
	s_cbranch_execz .LBB201_191
; %bb.187:
	s_and_b64 vcc, exec, s[0:1]
	s_cbranch_vccnz .LBB201_189
; %bb.188:
	v_lshl_add_u64 v[134:135], v[74:75], 3, v[132:133]
	flat_load_dwordx2 v[134:135], v[134:135]
	s_waitcnt vmcnt(0) lgkmcnt(0)
	v_mul_f64 v[134:135], s[70:71], v[134:135]
	s_branch .LBB201_190
.LBB201_189:
	v_mov_b64_e32 v[134:135], 0
.LBB201_190:
	v_add_f64 v[72:73], v[72:73], v[134:135]
	v_lshl_add_u64 v[134:135], v[74:75], 3, v[130:131]
	global_store_dwordx2 v[134:135], v[72:73], off
.LBB201_191:
	s_or_b64 exec, exec, s[62:63]
	v_add_u32_e32 v72, 0x70, v128
	v_cmp_gt_i32_e64 s[62:63], s72, v72
	s_and_b64 s[66:67], s[24:25], s[62:63]
	v_ashrrev_i32_e32 v73, 31, v72
	s_and_saveexec_b64 s[64:65], s[66:67]
	s_cbranch_execz .LBB201_196
; %bb.192:
	s_and_b64 vcc, exec, s[0:1]
	s_cbranch_vccnz .LBB201_194
; %bb.193:
	v_lshl_add_u64 v[134:135], v[72:73], 3, v[132:133]
	flat_load_dwordx2 v[134:135], v[134:135]
	s_waitcnt vmcnt(0) lgkmcnt(0)
	v_mul_f64 v[134:135], s[70:71], v[134:135]
	s_branch .LBB201_195
.LBB201_194:
	v_mov_b64_e32 v[134:135], 0
.LBB201_195:
	v_add_f64 v[70:71], v[70:71], v[134:135]
	v_lshl_add_u64 v[134:135], v[72:73], 3, v[130:131]
	global_store_dwordx2 v[134:135], v[70:71], off
.LBB201_196:
	s_or_b64 exec, exec, s[64:65]
	v_add_u32_e32 v70, 0x74, v128
	v_cmp_gt_i32_e64 s[64:65], s72, v70
	s_and_b64 s[68:69], s[24:25], s[64:65]
	v_ashrrev_i32_e32 v71, 31, v70
	s_and_saveexec_b64 s[66:67], s[68:69]
	s_cbranch_execz .LBB201_201
; %bb.197:
	s_and_b64 vcc, exec, s[0:1]
	s_cbranch_vccnz .LBB201_199
; %bb.198:
	v_lshl_add_u64 v[134:135], v[70:71], 3, v[132:133]
	flat_load_dwordx2 v[134:135], v[134:135]
	s_waitcnt vmcnt(0) lgkmcnt(0)
	v_mul_f64 v[134:135], s[70:71], v[134:135]
	s_branch .LBB201_200
.LBB201_199:
	v_mov_b64_e32 v[134:135], 0
.LBB201_200:
	v_add_f64 v[68:69], v[68:69], v[134:135]
	v_lshl_add_u64 v[134:135], v[70:71], 3, v[130:131]
	global_store_dwordx2 v[134:135], v[68:69], off
.LBB201_201:
	s_or_b64 exec, exec, s[66:67]
	v_add_u32_e32 v68, 0x78, v128
	v_cmp_gt_i32_e64 s[66:67], s72, v68
	s_and_b64 s[80:81], s[24:25], s[66:67]
	v_ashrrev_i32_e32 v69, 31, v68
	s_and_saveexec_b64 s[68:69], s[80:81]
	s_cbranch_execz .LBB201_206
; %bb.202:
	s_and_b64 vcc, exec, s[0:1]
	s_cbranch_vccnz .LBB201_204
; %bb.203:
	v_lshl_add_u64 v[134:135], v[68:69], 3, v[132:133]
	flat_load_dwordx2 v[134:135], v[134:135]
	s_waitcnt vmcnt(0) lgkmcnt(0)
	v_mul_f64 v[134:135], s[70:71], v[134:135]
	s_branch .LBB201_205
.LBB201_204:
	v_mov_b64_e32 v[134:135], 0
.LBB201_205:
	v_add_f64 v[66:67], v[66:67], v[134:135]
	v_lshl_add_u64 v[134:135], v[68:69], 3, v[130:131]
	global_store_dwordx2 v[134:135], v[66:67], off
.LBB201_206:
	s_or_b64 exec, exec, s[68:69]
	v_add_u32_e32 v66, 0x7c, v128
	v_cmp_gt_i32_e64 s[68:69], s72, v66
	s_and_b64 s[80:81], s[24:25], s[68:69]
	v_ashrrev_i32_e32 v67, 31, v66
	s_and_saveexec_b64 s[24:25], s[80:81]
	s_cbranch_execz .LBB201_211
; %bb.207:
	s_and_b64 vcc, exec, s[0:1]
	s_cbranch_vccnz .LBB201_209
; %bb.208:
	v_lshl_add_u64 v[132:133], v[66:67], 3, v[132:133]
	flat_load_dwordx2 v[132:133], v[132:133]
	s_waitcnt vmcnt(0) lgkmcnt(0)
	v_mul_f64 v[132:133], s[70:71], v[132:133]
	s_branch .LBB201_210
.LBB201_209:
	v_mov_b64_e32 v[132:133], 0
.LBB201_210:
	v_add_f64 v[64:65], v[64:65], v[132:133]
	v_lshl_add_u64 v[130:131], v[66:67], 3, v[130:131]
	global_store_dwordx2 v[130:131], v[64:65], off
.LBB201_211:
	s_or_b64 exec, exec, s[24:25]
	v_add_u32_e32 v132, 64, v136
	v_cmp_gt_i32_e64 s[24:25], s73, v132
	v_mad_i64_i32 v[64:65], s[72:73], v132, s78, 0
	v_lshl_add_u64 v[130:131], v[64:65], 3, s[76:77]
	v_mad_i64_i32 v[64:65], s[72:73], v132, s33, 0
	v_lshl_add_u64 v[64:65], v[64:65], 3, s[74:75]
	s_and_b64 s[2:3], s[24:25], s[2:3]
	s_and_saveexec_b64 s[72:73], s[2:3]
	s_xor_b64 s[2:3], exec, s[72:73]
	s_cbranch_execnz .LBB201_244
; %bb.212:
	s_or_b64 exec, exec, s[2:3]
	s_and_b64 s[4:5], s[24:25], s[4:5]
	s_and_saveexec_b64 s[2:3], s[4:5]
	s_cbranch_execnz .LBB201_248
.LBB201_213:
	s_or_b64 exec, exec, s[2:3]
	s_and_b64 s[4:5], s[24:25], s[6:7]
	s_and_saveexec_b64 s[2:3], s[4:5]
	s_cbranch_execnz .LBB201_252
.LBB201_214:
	s_or_b64 exec, exec, s[2:3]
	s_and_b64 s[4:5], s[24:25], s[8:9]
	s_and_saveexec_b64 s[2:3], s[4:5]
	s_cbranch_execnz .LBB201_256
.LBB201_215:
	s_or_b64 exec, exec, s[2:3]
	s_and_b64 s[4:5], s[24:25], s[10:11]
	s_and_saveexec_b64 s[2:3], s[4:5]
	s_cbranch_execnz .LBB201_260
.LBB201_216:
	s_or_b64 exec, exec, s[2:3]
	s_and_b64 s[4:5], s[24:25], s[12:13]
	s_and_saveexec_b64 s[2:3], s[4:5]
	s_cbranch_execnz .LBB201_264
.LBB201_217:
	s_or_b64 exec, exec, s[2:3]
	s_and_b64 s[4:5], s[24:25], s[14:15]
	s_and_saveexec_b64 s[2:3], s[4:5]
	s_cbranch_execnz .LBB201_268
.LBB201_218:
	s_or_b64 exec, exec, s[2:3]
	s_and_b64 s[4:5], s[24:25], s[16:17]
	s_and_saveexec_b64 s[2:3], s[4:5]
	s_cbranch_execnz .LBB201_272
.LBB201_219:
	s_or_b64 exec, exec, s[2:3]
	s_and_b64 s[4:5], s[24:25], s[18:19]
	s_and_saveexec_b64 s[2:3], s[4:5]
	s_cbranch_execnz .LBB201_276
.LBB201_220:
	s_or_b64 exec, exec, s[2:3]
	s_and_b64 s[4:5], s[24:25], s[20:21]
	s_and_saveexec_b64 s[2:3], s[4:5]
	s_cbranch_execnz .LBB201_280
.LBB201_221:
	s_or_b64 exec, exec, s[2:3]
	s_and_b64 s[4:5], s[24:25], s[22:23]
	s_and_saveexec_b64 s[2:3], s[4:5]
	s_cbranch_execnz .LBB201_284
.LBB201_222:
	s_or_b64 exec, exec, s[2:3]
	s_and_b64 s[4:5], s[24:25], s[26:27]
	s_and_saveexec_b64 s[2:3], s[4:5]
	s_cbranch_execnz .LBB201_288
.LBB201_223:
	s_or_b64 exec, exec, s[2:3]
	s_and_b64 s[4:5], s[24:25], s[28:29]
	s_and_saveexec_b64 s[2:3], s[4:5]
	s_cbranch_execnz .LBB201_292
.LBB201_224:
	s_or_b64 exec, exec, s[2:3]
	s_and_b64 s[4:5], s[24:25], s[30:31]
	s_and_saveexec_b64 s[2:3], s[4:5]
	s_cbranch_execnz .LBB201_296
.LBB201_225:
	s_or_b64 exec, exec, s[2:3]
	s_and_b64 s[4:5], s[24:25], s[34:35]
	s_and_saveexec_b64 s[2:3], s[4:5]
	s_cbranch_execnz .LBB201_300
.LBB201_226:
	s_or_b64 exec, exec, s[2:3]
	s_and_b64 s[4:5], s[24:25], s[36:37]
	s_and_saveexec_b64 s[2:3], s[4:5]
	s_cbranch_execnz .LBB201_304
.LBB201_227:
	s_or_b64 exec, exec, s[2:3]
	s_and_b64 s[4:5], s[24:25], s[38:39]
	s_and_saveexec_b64 s[2:3], s[4:5]
	s_cbranch_execnz .LBB201_308
.LBB201_228:
	s_or_b64 exec, exec, s[2:3]
	s_and_b64 s[4:5], s[24:25], s[40:41]
	s_and_saveexec_b64 s[2:3], s[4:5]
	s_cbranch_execnz .LBB201_312
.LBB201_229:
	s_or_b64 exec, exec, s[2:3]
	s_and_b64 s[4:5], s[24:25], s[42:43]
	s_and_saveexec_b64 s[2:3], s[4:5]
	s_cbranch_execnz .LBB201_316
.LBB201_230:
	s_or_b64 exec, exec, s[2:3]
	s_and_b64 s[4:5], s[24:25], s[44:45]
	s_and_saveexec_b64 s[2:3], s[4:5]
	s_cbranch_execnz .LBB201_320
.LBB201_231:
	s_or_b64 exec, exec, s[2:3]
	s_and_b64 s[4:5], s[24:25], s[46:47]
	s_and_saveexec_b64 s[2:3], s[4:5]
	s_cbranch_execnz .LBB201_324
.LBB201_232:
	s_or_b64 exec, exec, s[2:3]
	s_and_b64 s[4:5], s[24:25], s[48:49]
	s_and_saveexec_b64 s[2:3], s[4:5]
	s_cbranch_execnz .LBB201_328
.LBB201_233:
	s_or_b64 exec, exec, s[2:3]
	s_and_b64 s[4:5], s[24:25], s[50:51]
	s_and_saveexec_b64 s[2:3], s[4:5]
	s_cbranch_execnz .LBB201_332
.LBB201_234:
	s_or_b64 exec, exec, s[2:3]
	s_and_b64 s[4:5], s[24:25], s[52:53]
	s_and_saveexec_b64 s[2:3], s[4:5]
	s_cbranch_execnz .LBB201_336
.LBB201_235:
	s_or_b64 exec, exec, s[2:3]
	s_and_b64 s[4:5], s[24:25], s[54:55]
	s_and_saveexec_b64 s[2:3], s[4:5]
	s_cbranch_execnz .LBB201_340
.LBB201_236:
	s_or_b64 exec, exec, s[2:3]
	s_and_b64 s[4:5], s[24:25], s[56:57]
	s_and_saveexec_b64 s[2:3], s[4:5]
	s_cbranch_execnz .LBB201_344
.LBB201_237:
	s_or_b64 exec, exec, s[2:3]
	s_and_b64 s[4:5], s[24:25], s[58:59]
	s_and_saveexec_b64 s[2:3], s[4:5]
	s_cbranch_execnz .LBB201_348
.LBB201_238:
	s_or_b64 exec, exec, s[2:3]
	s_and_b64 s[4:5], s[24:25], s[60:61]
	s_and_saveexec_b64 s[2:3], s[4:5]
	s_cbranch_execnz .LBB201_352
.LBB201_239:
	s_or_b64 exec, exec, s[2:3]
	s_and_b64 s[4:5], s[24:25], s[62:63]
	s_and_saveexec_b64 s[2:3], s[4:5]
	s_cbranch_execnz .LBB201_356
.LBB201_240:
	s_or_b64 exec, exec, s[2:3]
	s_and_b64 s[4:5], s[24:25], s[64:65]
	s_and_saveexec_b64 s[2:3], s[4:5]
	s_cbranch_execnz .LBB201_360
.LBB201_241:
	s_or_b64 exec, exec, s[2:3]
	s_and_b64 s[4:5], s[24:25], s[66:67]
	s_and_saveexec_b64 s[2:3], s[4:5]
	s_cbranch_execnz .LBB201_364
.LBB201_242:
	s_or_b64 exec, exec, s[2:3]
	s_and_b64 s[2:3], s[24:25], s[68:69]
	s_and_saveexec_b64 s[4:5], s[2:3]
	s_cbranch_execnz .LBB201_368
.LBB201_243:
	s_endpgm
.LBB201_244:
	s_and_b64 vcc, exec, s[0:1]
	s_cbranch_vccnz .LBB201_246
; %bb.245:
	v_lshl_add_u64 v[132:133], v[128:129], 3, v[130:131]
	flat_load_dwordx2 v[132:133], v[132:133]
	s_waitcnt vmcnt(0) lgkmcnt(0)
	v_mul_f64 v[132:133], s[70:71], v[132:133]
	s_branch .LBB201_247
.LBB201_246:
	v_mov_b64_e32 v[132:133], 0
.LBB201_247:
	v_add_f64 v[62:63], v[62:63], v[132:133]
	v_lshl_add_u64 v[128:129], v[128:129], 3, v[64:65]
	global_store_dwordx2 v[128:129], v[62:63], off
	s_or_b64 exec, exec, s[2:3]
	s_and_b64 s[4:5], s[24:25], s[4:5]
	s_and_saveexec_b64 s[2:3], s[4:5]
	s_cbranch_execz .LBB201_213
.LBB201_248:
	s_and_b64 vcc, exec, s[0:1]
	s_cbranch_vccnz .LBB201_250
; %bb.249:
	v_lshl_add_u64 v[62:63], v[126:127], 3, v[130:131]
	flat_load_dwordx2 v[62:63], v[62:63]
	s_waitcnt vmcnt(0) lgkmcnt(0)
	v_mul_f64 v[62:63], s[70:71], v[62:63]
	s_branch .LBB201_251
.LBB201_250:
	v_mov_b64_e32 v[62:63], 0
.LBB201_251:
	v_add_f64 v[60:61], v[60:61], v[62:63]
	v_lshl_add_u64 v[62:63], v[126:127], 3, v[64:65]
	global_store_dwordx2 v[62:63], v[60:61], off
	s_or_b64 exec, exec, s[2:3]
	s_and_b64 s[4:5], s[24:25], s[6:7]
	s_and_saveexec_b64 s[2:3], s[4:5]
	s_cbranch_execz .LBB201_214
.LBB201_252:
	s_and_b64 vcc, exec, s[0:1]
	s_cbranch_vccnz .LBB201_254
; %bb.253:
	v_lshl_add_u64 v[60:61], v[124:125], 3, v[130:131]
	flat_load_dwordx2 v[60:61], v[60:61]
	s_waitcnt vmcnt(0) lgkmcnt(0)
	v_mul_f64 v[60:61], s[70:71], v[60:61]
	s_branch .LBB201_255
.LBB201_254:
	v_mov_b64_e32 v[60:61], 0
.LBB201_255:
	v_add_f64 v[58:59], v[58:59], v[60:61]
	v_lshl_add_u64 v[60:61], v[124:125], 3, v[64:65]
	global_store_dwordx2 v[60:61], v[58:59], off
	s_or_b64 exec, exec, s[2:3]
	s_and_b64 s[4:5], s[24:25], s[8:9]
	s_and_saveexec_b64 s[2:3], s[4:5]
	s_cbranch_execz .LBB201_215
.LBB201_256:
	s_and_b64 vcc, exec, s[0:1]
	s_cbranch_vccnz .LBB201_258
; %bb.257:
	v_lshl_add_u64 v[58:59], v[122:123], 3, v[130:131]
	flat_load_dwordx2 v[58:59], v[58:59]
	s_waitcnt vmcnt(0) lgkmcnt(0)
	v_mul_f64 v[58:59], s[70:71], v[58:59]
	s_branch .LBB201_259
.LBB201_258:
	v_mov_b64_e32 v[58:59], 0
.LBB201_259:
	v_add_f64 v[56:57], v[56:57], v[58:59]
	v_lshl_add_u64 v[58:59], v[122:123], 3, v[64:65]
	global_store_dwordx2 v[58:59], v[56:57], off
	s_or_b64 exec, exec, s[2:3]
	s_and_b64 s[4:5], s[24:25], s[10:11]
	s_and_saveexec_b64 s[2:3], s[4:5]
	s_cbranch_execz .LBB201_216
.LBB201_260:
	s_and_b64 vcc, exec, s[0:1]
	s_cbranch_vccnz .LBB201_262
; %bb.261:
	v_lshl_add_u64 v[56:57], v[120:121], 3, v[130:131]
	flat_load_dwordx2 v[56:57], v[56:57]
	s_waitcnt vmcnt(0) lgkmcnt(0)
	v_mul_f64 v[56:57], s[70:71], v[56:57]
	s_branch .LBB201_263
.LBB201_262:
	v_mov_b64_e32 v[56:57], 0
.LBB201_263:
	v_add_f64 v[54:55], v[54:55], v[56:57]
	v_lshl_add_u64 v[56:57], v[120:121], 3, v[64:65]
	global_store_dwordx2 v[56:57], v[54:55], off
	s_or_b64 exec, exec, s[2:3]
	s_and_b64 s[4:5], s[24:25], s[12:13]
	s_and_saveexec_b64 s[2:3], s[4:5]
	s_cbranch_execz .LBB201_217
.LBB201_264:
	s_and_b64 vcc, exec, s[0:1]
	s_cbranch_vccnz .LBB201_266
; %bb.265:
	v_lshl_add_u64 v[54:55], v[118:119], 3, v[130:131]
	flat_load_dwordx2 v[54:55], v[54:55]
	s_waitcnt vmcnt(0) lgkmcnt(0)
	v_mul_f64 v[54:55], s[70:71], v[54:55]
	s_branch .LBB201_267
.LBB201_266:
	v_mov_b64_e32 v[54:55], 0
.LBB201_267:
	v_add_f64 v[52:53], v[52:53], v[54:55]
	v_lshl_add_u64 v[54:55], v[118:119], 3, v[64:65]
	global_store_dwordx2 v[54:55], v[52:53], off
	s_or_b64 exec, exec, s[2:3]
	s_and_b64 s[4:5], s[24:25], s[14:15]
	s_and_saveexec_b64 s[2:3], s[4:5]
	s_cbranch_execz .LBB201_218
.LBB201_268:
	s_and_b64 vcc, exec, s[0:1]
	s_cbranch_vccnz .LBB201_270
; %bb.269:
	v_lshl_add_u64 v[52:53], v[116:117], 3, v[130:131]
	flat_load_dwordx2 v[52:53], v[52:53]
	s_waitcnt vmcnt(0) lgkmcnt(0)
	v_mul_f64 v[52:53], s[70:71], v[52:53]
	s_branch .LBB201_271
.LBB201_270:
	v_mov_b64_e32 v[52:53], 0
.LBB201_271:
	v_add_f64 v[50:51], v[50:51], v[52:53]
	v_lshl_add_u64 v[52:53], v[116:117], 3, v[64:65]
	global_store_dwordx2 v[52:53], v[50:51], off
	s_or_b64 exec, exec, s[2:3]
	s_and_b64 s[4:5], s[24:25], s[16:17]
	s_and_saveexec_b64 s[2:3], s[4:5]
	s_cbranch_execz .LBB201_219
.LBB201_272:
	s_and_b64 vcc, exec, s[0:1]
	s_cbranch_vccnz .LBB201_274
; %bb.273:
	v_lshl_add_u64 v[50:51], v[114:115], 3, v[130:131]
	flat_load_dwordx2 v[50:51], v[50:51]
	s_waitcnt vmcnt(0) lgkmcnt(0)
	v_mul_f64 v[50:51], s[70:71], v[50:51]
	s_branch .LBB201_275
.LBB201_274:
	v_mov_b64_e32 v[50:51], 0
.LBB201_275:
	v_add_f64 v[48:49], v[48:49], v[50:51]
	v_lshl_add_u64 v[50:51], v[114:115], 3, v[64:65]
	global_store_dwordx2 v[50:51], v[48:49], off
	s_or_b64 exec, exec, s[2:3]
	s_and_b64 s[4:5], s[24:25], s[18:19]
	s_and_saveexec_b64 s[2:3], s[4:5]
	s_cbranch_execz .LBB201_220
.LBB201_276:
	s_and_b64 vcc, exec, s[0:1]
	s_cbranch_vccnz .LBB201_278
; %bb.277:
	v_lshl_add_u64 v[48:49], v[112:113], 3, v[130:131]
	flat_load_dwordx2 v[48:49], v[48:49]
	s_waitcnt vmcnt(0) lgkmcnt(0)
	v_mul_f64 v[48:49], s[70:71], v[48:49]
	s_branch .LBB201_279
.LBB201_278:
	v_mov_b64_e32 v[48:49], 0
.LBB201_279:
	v_add_f64 v[46:47], v[46:47], v[48:49]
	v_lshl_add_u64 v[48:49], v[112:113], 3, v[64:65]
	global_store_dwordx2 v[48:49], v[46:47], off
	s_or_b64 exec, exec, s[2:3]
	s_and_b64 s[4:5], s[24:25], s[20:21]
	s_and_saveexec_b64 s[2:3], s[4:5]
	s_cbranch_execz .LBB201_221
.LBB201_280:
	s_and_b64 vcc, exec, s[0:1]
	s_cbranch_vccnz .LBB201_282
; %bb.281:
	v_lshl_add_u64 v[46:47], v[110:111], 3, v[130:131]
	flat_load_dwordx2 v[46:47], v[46:47]
	s_waitcnt vmcnt(0) lgkmcnt(0)
	v_mul_f64 v[46:47], s[70:71], v[46:47]
	s_branch .LBB201_283
.LBB201_282:
	v_mov_b64_e32 v[46:47], 0
.LBB201_283:
	v_add_f64 v[44:45], v[44:45], v[46:47]
	v_lshl_add_u64 v[46:47], v[110:111], 3, v[64:65]
	global_store_dwordx2 v[46:47], v[44:45], off
	s_or_b64 exec, exec, s[2:3]
	s_and_b64 s[4:5], s[24:25], s[22:23]
	s_and_saveexec_b64 s[2:3], s[4:5]
	s_cbranch_execz .LBB201_222
.LBB201_284:
	s_and_b64 vcc, exec, s[0:1]
	s_cbranch_vccnz .LBB201_286
; %bb.285:
	v_lshl_add_u64 v[44:45], v[108:109], 3, v[130:131]
	flat_load_dwordx2 v[44:45], v[44:45]
	s_waitcnt vmcnt(0) lgkmcnt(0)
	v_mul_f64 v[44:45], s[70:71], v[44:45]
	s_branch .LBB201_287
.LBB201_286:
	v_mov_b64_e32 v[44:45], 0
.LBB201_287:
	v_add_f64 v[42:43], v[42:43], v[44:45]
	v_lshl_add_u64 v[44:45], v[108:109], 3, v[64:65]
	global_store_dwordx2 v[44:45], v[42:43], off
	s_or_b64 exec, exec, s[2:3]
	s_and_b64 s[4:5], s[24:25], s[26:27]
	s_and_saveexec_b64 s[2:3], s[4:5]
	s_cbranch_execz .LBB201_223
.LBB201_288:
	s_and_b64 vcc, exec, s[0:1]
	s_cbranch_vccnz .LBB201_290
; %bb.289:
	v_lshl_add_u64 v[42:43], v[106:107], 3, v[130:131]
	flat_load_dwordx2 v[42:43], v[42:43]
	s_waitcnt vmcnt(0) lgkmcnt(0)
	v_mul_f64 v[42:43], s[70:71], v[42:43]
	s_branch .LBB201_291
.LBB201_290:
	v_mov_b64_e32 v[42:43], 0
.LBB201_291:
	v_add_f64 v[40:41], v[40:41], v[42:43]
	v_lshl_add_u64 v[42:43], v[106:107], 3, v[64:65]
	global_store_dwordx2 v[42:43], v[40:41], off
	s_or_b64 exec, exec, s[2:3]
	s_and_b64 s[4:5], s[24:25], s[28:29]
	s_and_saveexec_b64 s[2:3], s[4:5]
	s_cbranch_execz .LBB201_224
.LBB201_292:
	s_and_b64 vcc, exec, s[0:1]
	s_cbranch_vccnz .LBB201_294
; %bb.293:
	v_lshl_add_u64 v[40:41], v[104:105], 3, v[130:131]
	flat_load_dwordx2 v[40:41], v[40:41]
	s_waitcnt vmcnt(0) lgkmcnt(0)
	v_mul_f64 v[40:41], s[70:71], v[40:41]
	s_branch .LBB201_295
.LBB201_294:
	v_mov_b64_e32 v[40:41], 0
.LBB201_295:
	v_add_f64 v[38:39], v[38:39], v[40:41]
	v_lshl_add_u64 v[40:41], v[104:105], 3, v[64:65]
	global_store_dwordx2 v[40:41], v[38:39], off
	s_or_b64 exec, exec, s[2:3]
	s_and_b64 s[4:5], s[24:25], s[30:31]
	s_and_saveexec_b64 s[2:3], s[4:5]
	s_cbranch_execz .LBB201_225
.LBB201_296:
	s_and_b64 vcc, exec, s[0:1]
	s_cbranch_vccnz .LBB201_298
; %bb.297:
	v_lshl_add_u64 v[38:39], v[102:103], 3, v[130:131]
	flat_load_dwordx2 v[38:39], v[38:39]
	s_waitcnt vmcnt(0) lgkmcnt(0)
	v_mul_f64 v[38:39], s[70:71], v[38:39]
	s_branch .LBB201_299
.LBB201_298:
	v_mov_b64_e32 v[38:39], 0
.LBB201_299:
	v_add_f64 v[36:37], v[36:37], v[38:39]
	v_lshl_add_u64 v[38:39], v[102:103], 3, v[64:65]
	global_store_dwordx2 v[38:39], v[36:37], off
	s_or_b64 exec, exec, s[2:3]
	s_and_b64 s[4:5], s[24:25], s[34:35]
	s_and_saveexec_b64 s[2:3], s[4:5]
	s_cbranch_execz .LBB201_226
.LBB201_300:
	s_and_b64 vcc, exec, s[0:1]
	s_cbranch_vccnz .LBB201_302
; %bb.301:
	v_lshl_add_u64 v[36:37], v[100:101], 3, v[130:131]
	flat_load_dwordx2 v[36:37], v[36:37]
	s_waitcnt vmcnt(0) lgkmcnt(0)
	v_mul_f64 v[36:37], s[70:71], v[36:37]
	s_branch .LBB201_303
.LBB201_302:
	v_mov_b64_e32 v[36:37], 0
.LBB201_303:
	v_add_f64 v[34:35], v[34:35], v[36:37]
	v_lshl_add_u64 v[36:37], v[100:101], 3, v[64:65]
	global_store_dwordx2 v[36:37], v[34:35], off
	s_or_b64 exec, exec, s[2:3]
	s_and_b64 s[4:5], s[24:25], s[36:37]
	s_and_saveexec_b64 s[2:3], s[4:5]
	s_cbranch_execz .LBB201_227
.LBB201_304:
	s_and_b64 vcc, exec, s[0:1]
	s_cbranch_vccnz .LBB201_306
; %bb.305:
	v_lshl_add_u64 v[34:35], v[98:99], 3, v[130:131]
	flat_load_dwordx2 v[34:35], v[34:35]
	s_waitcnt vmcnt(0) lgkmcnt(0)
	v_mul_f64 v[34:35], s[70:71], v[34:35]
	s_branch .LBB201_307
.LBB201_306:
	v_mov_b64_e32 v[34:35], 0
.LBB201_307:
	v_add_f64 v[32:33], v[32:33], v[34:35]
	v_lshl_add_u64 v[34:35], v[98:99], 3, v[64:65]
	global_store_dwordx2 v[34:35], v[32:33], off
	s_or_b64 exec, exec, s[2:3]
	s_and_b64 s[4:5], s[24:25], s[38:39]
	s_and_saveexec_b64 s[2:3], s[4:5]
	s_cbranch_execz .LBB201_228
.LBB201_308:
	s_and_b64 vcc, exec, s[0:1]
	s_cbranch_vccnz .LBB201_310
; %bb.309:
	v_lshl_add_u64 v[32:33], v[96:97], 3, v[130:131]
	flat_load_dwordx2 v[32:33], v[32:33]
	s_waitcnt vmcnt(0) lgkmcnt(0)
	v_mul_f64 v[32:33], s[70:71], v[32:33]
	s_branch .LBB201_311
.LBB201_310:
	v_mov_b64_e32 v[32:33], 0
.LBB201_311:
	v_add_f64 v[30:31], v[30:31], v[32:33]
	v_lshl_add_u64 v[32:33], v[96:97], 3, v[64:65]
	global_store_dwordx2 v[32:33], v[30:31], off
	s_or_b64 exec, exec, s[2:3]
	s_and_b64 s[4:5], s[24:25], s[40:41]
	s_and_saveexec_b64 s[2:3], s[4:5]
	s_cbranch_execz .LBB201_229
.LBB201_312:
	s_and_b64 vcc, exec, s[0:1]
	s_cbranch_vccnz .LBB201_314
; %bb.313:
	v_lshl_add_u64 v[30:31], v[94:95], 3, v[130:131]
	flat_load_dwordx2 v[30:31], v[30:31]
	s_waitcnt vmcnt(0) lgkmcnt(0)
	v_mul_f64 v[30:31], s[70:71], v[30:31]
	s_branch .LBB201_315
.LBB201_314:
	v_mov_b64_e32 v[30:31], 0
.LBB201_315:
	v_add_f64 v[28:29], v[28:29], v[30:31]
	v_lshl_add_u64 v[30:31], v[94:95], 3, v[64:65]
	global_store_dwordx2 v[30:31], v[28:29], off
	s_or_b64 exec, exec, s[2:3]
	s_and_b64 s[4:5], s[24:25], s[42:43]
	s_and_saveexec_b64 s[2:3], s[4:5]
	s_cbranch_execz .LBB201_230
.LBB201_316:
	s_and_b64 vcc, exec, s[0:1]
	s_cbranch_vccnz .LBB201_318
; %bb.317:
	v_lshl_add_u64 v[28:29], v[92:93], 3, v[130:131]
	flat_load_dwordx2 v[28:29], v[28:29]
	s_waitcnt vmcnt(0) lgkmcnt(0)
	v_mul_f64 v[28:29], s[70:71], v[28:29]
	s_branch .LBB201_319
.LBB201_318:
	v_mov_b64_e32 v[28:29], 0
.LBB201_319:
	v_add_f64 v[26:27], v[26:27], v[28:29]
	v_lshl_add_u64 v[28:29], v[92:93], 3, v[64:65]
	global_store_dwordx2 v[28:29], v[26:27], off
	s_or_b64 exec, exec, s[2:3]
	s_and_b64 s[4:5], s[24:25], s[44:45]
	s_and_saveexec_b64 s[2:3], s[4:5]
	s_cbranch_execz .LBB201_231
.LBB201_320:
	s_and_b64 vcc, exec, s[0:1]
	s_cbranch_vccnz .LBB201_322
; %bb.321:
	v_lshl_add_u64 v[26:27], v[90:91], 3, v[130:131]
	flat_load_dwordx2 v[26:27], v[26:27]
	s_waitcnt vmcnt(0) lgkmcnt(0)
	v_mul_f64 v[26:27], s[70:71], v[26:27]
	s_branch .LBB201_323
.LBB201_322:
	v_mov_b64_e32 v[26:27], 0
.LBB201_323:
	v_add_f64 v[24:25], v[24:25], v[26:27]
	v_lshl_add_u64 v[26:27], v[90:91], 3, v[64:65]
	global_store_dwordx2 v[26:27], v[24:25], off
	s_or_b64 exec, exec, s[2:3]
	s_and_b64 s[4:5], s[24:25], s[46:47]
	s_and_saveexec_b64 s[2:3], s[4:5]
	s_cbranch_execz .LBB201_232
.LBB201_324:
	s_and_b64 vcc, exec, s[0:1]
	s_cbranch_vccnz .LBB201_326
; %bb.325:
	v_lshl_add_u64 v[24:25], v[88:89], 3, v[130:131]
	flat_load_dwordx2 v[24:25], v[24:25]
	s_waitcnt vmcnt(0) lgkmcnt(0)
	v_mul_f64 v[24:25], s[70:71], v[24:25]
	s_branch .LBB201_327
.LBB201_326:
	v_mov_b64_e32 v[24:25], 0
.LBB201_327:
	v_add_f64 v[22:23], v[22:23], v[24:25]
	v_lshl_add_u64 v[24:25], v[88:89], 3, v[64:65]
	global_store_dwordx2 v[24:25], v[22:23], off
	s_or_b64 exec, exec, s[2:3]
	s_and_b64 s[4:5], s[24:25], s[48:49]
	s_and_saveexec_b64 s[2:3], s[4:5]
	s_cbranch_execz .LBB201_233
.LBB201_328:
	s_and_b64 vcc, exec, s[0:1]
	s_cbranch_vccnz .LBB201_330
; %bb.329:
	v_lshl_add_u64 v[22:23], v[86:87], 3, v[130:131]
	flat_load_dwordx2 v[22:23], v[22:23]
	s_waitcnt vmcnt(0) lgkmcnt(0)
	v_mul_f64 v[22:23], s[70:71], v[22:23]
	s_branch .LBB201_331
.LBB201_330:
	v_mov_b64_e32 v[22:23], 0
.LBB201_331:
	v_add_f64 v[20:21], v[20:21], v[22:23]
	v_lshl_add_u64 v[22:23], v[86:87], 3, v[64:65]
	global_store_dwordx2 v[22:23], v[20:21], off
	s_or_b64 exec, exec, s[2:3]
	s_and_b64 s[4:5], s[24:25], s[50:51]
	s_and_saveexec_b64 s[2:3], s[4:5]
	s_cbranch_execz .LBB201_234
.LBB201_332:
	s_and_b64 vcc, exec, s[0:1]
	s_cbranch_vccnz .LBB201_334
; %bb.333:
	v_lshl_add_u64 v[20:21], v[84:85], 3, v[130:131]
	flat_load_dwordx2 v[20:21], v[20:21]
	s_waitcnt vmcnt(0) lgkmcnt(0)
	v_mul_f64 v[20:21], s[70:71], v[20:21]
	s_branch .LBB201_335
.LBB201_334:
	v_mov_b64_e32 v[20:21], 0
.LBB201_335:
	v_add_f64 v[18:19], v[18:19], v[20:21]
	v_lshl_add_u64 v[20:21], v[84:85], 3, v[64:65]
	global_store_dwordx2 v[20:21], v[18:19], off
	s_or_b64 exec, exec, s[2:3]
	s_and_b64 s[4:5], s[24:25], s[52:53]
	s_and_saveexec_b64 s[2:3], s[4:5]
	s_cbranch_execz .LBB201_235
.LBB201_336:
	s_and_b64 vcc, exec, s[0:1]
	s_cbranch_vccnz .LBB201_338
; %bb.337:
	v_lshl_add_u64 v[18:19], v[82:83], 3, v[130:131]
	flat_load_dwordx2 v[18:19], v[18:19]
	s_waitcnt vmcnt(0) lgkmcnt(0)
	v_mul_f64 v[18:19], s[70:71], v[18:19]
	s_branch .LBB201_339
.LBB201_338:
	v_mov_b64_e32 v[18:19], 0
.LBB201_339:
	v_add_f64 v[16:17], v[16:17], v[18:19]
	v_lshl_add_u64 v[18:19], v[82:83], 3, v[64:65]
	global_store_dwordx2 v[18:19], v[16:17], off
	s_or_b64 exec, exec, s[2:3]
	s_and_b64 s[4:5], s[24:25], s[54:55]
	s_and_saveexec_b64 s[2:3], s[4:5]
	s_cbranch_execz .LBB201_236
.LBB201_340:
	s_and_b64 vcc, exec, s[0:1]
	s_cbranch_vccnz .LBB201_342
; %bb.341:
	v_lshl_add_u64 v[16:17], v[80:81], 3, v[130:131]
	flat_load_dwordx2 v[16:17], v[16:17]
	s_waitcnt vmcnt(0) lgkmcnt(0)
	v_mul_f64 v[16:17], s[70:71], v[16:17]
	s_branch .LBB201_343
.LBB201_342:
	v_mov_b64_e32 v[16:17], 0
.LBB201_343:
	v_add_f64 v[14:15], v[14:15], v[16:17]
	v_lshl_add_u64 v[16:17], v[80:81], 3, v[64:65]
	global_store_dwordx2 v[16:17], v[14:15], off
	s_or_b64 exec, exec, s[2:3]
	s_and_b64 s[4:5], s[24:25], s[56:57]
	s_and_saveexec_b64 s[2:3], s[4:5]
	s_cbranch_execz .LBB201_237
.LBB201_344:
	s_and_b64 vcc, exec, s[0:1]
	s_cbranch_vccnz .LBB201_346
; %bb.345:
	v_lshl_add_u64 v[14:15], v[78:79], 3, v[130:131]
	flat_load_dwordx2 v[14:15], v[14:15]
	s_waitcnt vmcnt(0) lgkmcnt(0)
	v_mul_f64 v[14:15], s[70:71], v[14:15]
	s_branch .LBB201_347
.LBB201_346:
	v_mov_b64_e32 v[14:15], 0
.LBB201_347:
	v_add_f64 v[12:13], v[12:13], v[14:15]
	v_lshl_add_u64 v[14:15], v[78:79], 3, v[64:65]
	global_store_dwordx2 v[14:15], v[12:13], off
	s_or_b64 exec, exec, s[2:3]
	s_and_b64 s[4:5], s[24:25], s[58:59]
	s_and_saveexec_b64 s[2:3], s[4:5]
	s_cbranch_execz .LBB201_238
.LBB201_348:
	s_and_b64 vcc, exec, s[0:1]
	s_cbranch_vccnz .LBB201_350
; %bb.349:
	v_lshl_add_u64 v[12:13], v[76:77], 3, v[130:131]
	flat_load_dwordx2 v[12:13], v[12:13]
	s_waitcnt vmcnt(0) lgkmcnt(0)
	v_mul_f64 v[12:13], s[70:71], v[12:13]
	s_branch .LBB201_351
.LBB201_350:
	v_mov_b64_e32 v[12:13], 0
.LBB201_351:
	v_add_f64 v[10:11], v[10:11], v[12:13]
	v_lshl_add_u64 v[12:13], v[76:77], 3, v[64:65]
	global_store_dwordx2 v[12:13], v[10:11], off
	s_or_b64 exec, exec, s[2:3]
	s_and_b64 s[4:5], s[24:25], s[60:61]
	s_and_saveexec_b64 s[2:3], s[4:5]
	s_cbranch_execz .LBB201_239
.LBB201_352:
	s_and_b64 vcc, exec, s[0:1]
	s_cbranch_vccnz .LBB201_354
; %bb.353:
	v_lshl_add_u64 v[10:11], v[74:75], 3, v[130:131]
	flat_load_dwordx2 v[10:11], v[10:11]
	s_waitcnt vmcnt(0) lgkmcnt(0)
	v_mul_f64 v[10:11], s[70:71], v[10:11]
	s_branch .LBB201_355
.LBB201_354:
	v_mov_b64_e32 v[10:11], 0
.LBB201_355:
	v_add_f64 v[8:9], v[8:9], v[10:11]
	v_lshl_add_u64 v[10:11], v[74:75], 3, v[64:65]
	global_store_dwordx2 v[10:11], v[8:9], off
	s_or_b64 exec, exec, s[2:3]
	s_and_b64 s[4:5], s[24:25], s[62:63]
	s_and_saveexec_b64 s[2:3], s[4:5]
	s_cbranch_execz .LBB201_240
.LBB201_356:
	s_and_b64 vcc, exec, s[0:1]
	s_cbranch_vccnz .LBB201_358
; %bb.357:
	v_lshl_add_u64 v[8:9], v[72:73], 3, v[130:131]
	flat_load_dwordx2 v[8:9], v[8:9]
	s_waitcnt vmcnt(0) lgkmcnt(0)
	v_mul_f64 v[8:9], s[70:71], v[8:9]
	s_branch .LBB201_359
.LBB201_358:
	v_mov_b64_e32 v[8:9], 0
.LBB201_359:
	v_add_f64 v[6:7], v[6:7], v[8:9]
	v_lshl_add_u64 v[8:9], v[72:73], 3, v[64:65]
	global_store_dwordx2 v[8:9], v[6:7], off
	s_or_b64 exec, exec, s[2:3]
	s_and_b64 s[4:5], s[24:25], s[64:65]
	s_and_saveexec_b64 s[2:3], s[4:5]
	s_cbranch_execz .LBB201_241
.LBB201_360:
	s_and_b64 vcc, exec, s[0:1]
	s_cbranch_vccnz .LBB201_362
; %bb.361:
	v_lshl_add_u64 v[6:7], v[70:71], 3, v[130:131]
	flat_load_dwordx2 v[6:7], v[6:7]
	s_waitcnt vmcnt(0) lgkmcnt(0)
	v_mul_f64 v[6:7], s[70:71], v[6:7]
	s_branch .LBB201_363
.LBB201_362:
	v_mov_b64_e32 v[6:7], 0
.LBB201_363:
	v_add_f64 v[4:5], v[4:5], v[6:7]
	v_lshl_add_u64 v[6:7], v[70:71], 3, v[64:65]
	global_store_dwordx2 v[6:7], v[4:5], off
	s_or_b64 exec, exec, s[2:3]
	s_and_b64 s[4:5], s[24:25], s[66:67]
	s_and_saveexec_b64 s[2:3], s[4:5]
	s_cbranch_execz .LBB201_242
.LBB201_364:
	s_and_b64 vcc, exec, s[0:1]
	s_cbranch_vccnz .LBB201_366
; %bb.365:
	v_lshl_add_u64 v[4:5], v[68:69], 3, v[130:131]
	flat_load_dwordx2 v[4:5], v[4:5]
	s_waitcnt vmcnt(0) lgkmcnt(0)
	v_mul_f64 v[4:5], s[70:71], v[4:5]
	s_branch .LBB201_367
.LBB201_366:
	v_mov_b64_e32 v[4:5], 0
.LBB201_367:
	v_add_f64 v[2:3], v[2:3], v[4:5]
	v_lshl_add_u64 v[4:5], v[68:69], 3, v[64:65]
	global_store_dwordx2 v[4:5], v[2:3], off
	s_or_b64 exec, exec, s[2:3]
	s_and_b64 s[2:3], s[24:25], s[68:69]
	s_and_saveexec_b64 s[4:5], s[2:3]
	s_cbranch_execz .LBB201_243
.LBB201_368:
	s_and_b64 vcc, exec, s[0:1]
	s_cbranch_vccnz .LBB201_370
; %bb.369:
	v_lshl_add_u64 v[2:3], v[66:67], 3, v[130:131]
	flat_load_dwordx2 v[2:3], v[2:3]
	s_waitcnt vmcnt(0) lgkmcnt(0)
	v_mul_f64 v[2:3], s[70:71], v[2:3]
	v_add_f64 v[0:1], v[0:1], v[2:3]
	v_lshl_add_u64 v[2:3], v[66:67], 3, v[64:65]
	global_store_dwordx2 v[2:3], v[0:1], off
	s_endpgm
.LBB201_370:
	v_mov_b64_e32 v[2:3], 0
	v_add_f64 v[0:1], v[0:1], v[2:3]
	v_lshl_add_u64 v[2:3], v[66:67], 3, v[64:65]
	global_store_dwordx2 v[2:3], v[0:1], off
	s_endpgm
	.section	.rodata,"a",@progbits
	.p2align	6, 0x0
	.amdhsa_kernel _ZN12_GLOBAL__N_120geam_min_plus_kernelIdddLi4ELi64ELi128ELi128ELi4ELi4ELi64ELi64ELi4ELc84ELc84ELb0ELb1ELb0EPKdS1_dEEviiiT16_PT17_ilS5_ilS3_S5_ilPT18_ili26rocblas_geam_ex_operation_
		.amdhsa_group_segment_fixed_size 16384
		.amdhsa_private_segment_fixed_size 0
		.amdhsa_kernarg_size 136
		.amdhsa_user_sgpr_count 2
		.amdhsa_user_sgpr_dispatch_ptr 0
		.amdhsa_user_sgpr_queue_ptr 0
		.amdhsa_user_sgpr_kernarg_segment_ptr 1
		.amdhsa_user_sgpr_dispatch_id 0
		.amdhsa_user_sgpr_kernarg_preload_length 0
		.amdhsa_user_sgpr_kernarg_preload_offset 0
		.amdhsa_user_sgpr_private_segment_size 0
		.amdhsa_uses_dynamic_stack 0
		.amdhsa_enable_private_segment 0
		.amdhsa_system_sgpr_workgroup_id_x 1
		.amdhsa_system_sgpr_workgroup_id_y 0
		.amdhsa_system_sgpr_workgroup_id_z 1
		.amdhsa_system_sgpr_workgroup_info 0
		.amdhsa_system_vgpr_workitem_id 1
		.amdhsa_next_free_vgpr 254
		.amdhsa_next_free_sgpr 82
		.amdhsa_accum_offset 256
		.amdhsa_reserve_vcc 1
		.amdhsa_float_round_mode_32 0
		.amdhsa_float_round_mode_16_64 0
		.amdhsa_float_denorm_mode_32 3
		.amdhsa_float_denorm_mode_16_64 3
		.amdhsa_dx10_clamp 1
		.amdhsa_ieee_mode 1
		.amdhsa_fp16_overflow 0
		.amdhsa_tg_split 0
		.amdhsa_exception_fp_ieee_invalid_op 0
		.amdhsa_exception_fp_denorm_src 0
		.amdhsa_exception_fp_ieee_div_zero 0
		.amdhsa_exception_fp_ieee_overflow 0
		.amdhsa_exception_fp_ieee_underflow 0
		.amdhsa_exception_fp_ieee_inexact 0
		.amdhsa_exception_int_div_zero 0
	.end_amdhsa_kernel
	.section	.text._ZN12_GLOBAL__N_120geam_min_plus_kernelIdddLi4ELi64ELi128ELi128ELi4ELi4ELi64ELi64ELi4ELc84ELc84ELb0ELb1ELb0EPKdS1_dEEviiiT16_PT17_ilS5_ilS3_S5_ilPT18_ili26rocblas_geam_ex_operation_,"axG",@progbits,_ZN12_GLOBAL__N_120geam_min_plus_kernelIdddLi4ELi64ELi128ELi128ELi4ELi4ELi64ELi64ELi4ELc84ELc84ELb0ELb1ELb0EPKdS1_dEEviiiT16_PT17_ilS5_ilS3_S5_ilPT18_ili26rocblas_geam_ex_operation_,comdat
.Lfunc_end201:
	.size	_ZN12_GLOBAL__N_120geam_min_plus_kernelIdddLi4ELi64ELi128ELi128ELi4ELi4ELi64ELi64ELi4ELc84ELc84ELb0ELb1ELb0EPKdS1_dEEviiiT16_PT17_ilS5_ilS3_S5_ilPT18_ili26rocblas_geam_ex_operation_, .Lfunc_end201-_ZN12_GLOBAL__N_120geam_min_plus_kernelIdddLi4ELi64ELi128ELi128ELi4ELi4ELi64ELi64ELi4ELc84ELc84ELb0ELb1ELb0EPKdS1_dEEviiiT16_PT17_ilS5_ilS3_S5_ilPT18_ili26rocblas_geam_ex_operation_
                                        ; -- End function
	.section	.AMDGPU.csdata,"",@progbits
; Kernel info:
; codeLenInByte = 14776
; NumSgprs: 88
; NumVgprs: 254
; NumAgprs: 0
; TotalNumVgprs: 254
; ScratchSize: 0
; MemoryBound: 0
; FloatMode: 240
; IeeeMode: 1
; LDSByteSize: 16384 bytes/workgroup (compile time only)
; SGPRBlocks: 10
; VGPRBlocks: 31
; NumSGPRsForWavesPerEU: 88
; NumVGPRsForWavesPerEU: 254
; AccumOffset: 256
; Occupancy: 2
; WaveLimiterHint : 0
; COMPUTE_PGM_RSRC2:SCRATCH_EN: 0
; COMPUTE_PGM_RSRC2:USER_SGPR: 2
; COMPUTE_PGM_RSRC2:TRAP_HANDLER: 0
; COMPUTE_PGM_RSRC2:TGID_X_EN: 1
; COMPUTE_PGM_RSRC2:TGID_Y_EN: 0
; COMPUTE_PGM_RSRC2:TGID_Z_EN: 1
; COMPUTE_PGM_RSRC2:TIDIG_COMP_CNT: 1
; COMPUTE_PGM_RSRC3_GFX90A:ACCUM_OFFSET: 63
; COMPUTE_PGM_RSRC3_GFX90A:TG_SPLIT: 0
	.section	.text._ZN12_GLOBAL__N_120geam_min_plus_kernelIdddLi4ELi64ELi128ELi128ELi4ELi4ELi64ELi64ELi4ELc84ELc84ELb1ELb1ELb0EdKddEEviiiT16_PT17_ilS4_ilS2_S4_ilPT18_ili26rocblas_geam_ex_operation_,"axG",@progbits,_ZN12_GLOBAL__N_120geam_min_plus_kernelIdddLi4ELi64ELi128ELi128ELi4ELi4ELi64ELi64ELi4ELc84ELc84ELb1ELb1ELb0EdKddEEviiiT16_PT17_ilS4_ilS2_S4_ilPT18_ili26rocblas_geam_ex_operation_,comdat
	.globl	_ZN12_GLOBAL__N_120geam_min_plus_kernelIdddLi4ELi64ELi128ELi128ELi4ELi4ELi64ELi64ELi4ELc84ELc84ELb1ELb1ELb0EdKddEEviiiT16_PT17_ilS4_ilS2_S4_ilPT18_ili26rocblas_geam_ex_operation_ ; -- Begin function _ZN12_GLOBAL__N_120geam_min_plus_kernelIdddLi4ELi64ELi128ELi128ELi4ELi4ELi64ELi64ELi4ELc84ELc84ELb1ELb1ELb0EdKddEEviiiT16_PT17_ilS4_ilS2_S4_ilPT18_ili26rocblas_geam_ex_operation_
	.p2align	8
	.type	_ZN12_GLOBAL__N_120geam_min_plus_kernelIdddLi4ELi64ELi128ELi128ELi4ELi4ELi64ELi64ELi4ELc84ELc84ELb1ELb1ELb0EdKddEEviiiT16_PT17_ilS4_ilS2_S4_ilPT18_ili26rocblas_geam_ex_operation_,@function
_ZN12_GLOBAL__N_120geam_min_plus_kernelIdddLi4ELi64ELi128ELi128ELi4ELi4ELi64ELi64ELi4ELc84ELc84ELb1ELb1ELb0EdKddEEviiiT16_PT17_ilS4_ilS2_S4_ilPT18_ili26rocblas_geam_ex_operation_: ; @_ZN12_GLOBAL__N_120geam_min_plus_kernelIdddLi4ELi64ELi128ELi128ELi4ELi4ELi64ELi64ELi4ELc84ELc84ELb1ELb1ELb0EdKddEEviiiT16_PT17_ilS4_ilS2_S4_ilPT18_ili26rocblas_geam_ex_operation_
; %bb.0:
	s_load_dwordx4 s[8:11], s[0:1], 0x10
	s_load_dwordx4 s[4:7], s[0:1], 0x28
	s_mov_b64 s[20:21], 0
	s_waitcnt lgkmcnt(0)
	v_cmp_eq_f64_e64 s[8:9], s[8:9], 0
	s_and_b64 vcc, exec, s[8:9]
	s_cbranch_vccnz .LBB202_2
; %bb.1:
	s_mul_i32 s5, s3, s5
	s_mul_hi_u32 s12, s3, s4
	s_add_i32 s5, s12, s5
	s_mul_i32 s4, s3, s4
	s_lshl_b64 s[4:5], s[4:5], 3
	s_add_u32 s20, s10, s4
	s_addc_u32 s21, s11, s5
.LBB202_2:
	s_load_dwordx4 s[68:71], s[0:1], 0x40
	s_load_dwordx2 s[4:5], s[0:1], 0x50
	s_andn2_b64 vcc, exec, s[8:9]
	s_cbranch_vccnz .LBB202_4
; %bb.3:
	s_mov_b32 s17, 0
	s_mov_b64 s[22:23], 0
	s_cbranch_execz .LBB202_5
	s_branch .LBB202_6
.LBB202_4:
                                        ; implicit-def: $sgpr22_sgpr23
                                        ; implicit-def: $sgpr16_sgpr17
.LBB202_5:
	s_waitcnt lgkmcnt(0)
	s_mul_i32 s8, s3, s69
	s_mul_hi_u32 s9, s3, s68
	s_add_i32 s9, s9, s8
	s_mul_i32 s8, s3, s68
	s_lshl_b64 s[8:9], s[8:9], 3
	s_add_u32 s22, s6, s8
	s_mov_b32 s17, 0
	s_addc_u32 s23, s7, s9
.LBB202_6:
	s_load_dwordx4 s[12:15], s[0:1], 0x60
	s_waitcnt lgkmcnt(0)
	v_cmp_eq_f64_e64 s[6:7], s[70:71], 0
	s_mov_b64 s[76:77], 0
	v_cmp_neq_f64_e64 s[18:19], s[70:71], 0
	s_and_b64 vcc, exec, s[6:7]
	s_cbranch_vccnz .LBB202_8
; %bb.7:
	s_mul_i32 s6, s3, s13
	s_mul_hi_u32 s7, s3, s12
	s_add_i32 s6, s7, s6
	s_mul_i32 s7, s17, s12
	s_add_i32 s7, s6, s7
	s_mul_i32 s6, s3, s12
	s_lshl_b64 s[6:7], s[6:7], 3
	s_add_u32 s76, s4, s6
	s_addc_u32 s77, s5, s7
.LBB202_8:
	s_load_dwordx4 s[72:75], s[0:1], 0x0
	s_load_dword s27, s[0:1], 0x20
	v_and_b32_e32 v150, 0x3ff, v0
	v_bfe_u32 v151, v0, 10, 10
	v_lshl_add_u32 v8, v151, 2, v150
	s_waitcnt lgkmcnt(0)
	s_add_i32 s4, s72, -1
	s_ashr_i32 s5, s4, 31
	s_lshr_b32 s5, s5, 25
	s_add_i32 s4, s4, s5
	s_ashr_i32 s4, s4, 7
	s_add_i32 s5, s4, 1
	v_cvt_f32_u32_e32 v2, s5
	s_not_b32 s4, s4
	v_lshrrev_b32_e32 v14, 2, v8
	v_and_b32_e32 v152, 3, v150
	v_rcp_iflag_f32_e32 v2, v2
	v_cmp_le_i32_e32 vcc, s74, v152
	v_mov_b32_e32 v1, 0
	v_lshlrev_b32_e32 v0, 3, v152
	v_mul_f32_e32 v2, 0x4f7ffffe, v2
	v_cvt_u32_f32_e32 v2, v2
	v_lshl_add_u64 v[6:7], s[20:21], 0, v[0:1]
	v_readfirstlane_b32 s6, v2
	s_mul_i32 s4, s4, s6
	s_mul_hi_u32 s4, s6, s4
	s_add_i32 s6, s6, s4
	s_mul_hi_u32 s4, s2, s6
	s_mul_i32 s6, s4, s5
	s_sub_i32 s6, s2, s6
	s_add_i32 s7, s4, 1
	s_sub_i32 s8, s6, s5
	s_cmp_ge_u32 s6, s5
	s_cselect_b32 s4, s7, s4
	s_cselect_b32 s6, s8, s6
	s_add_i32 s7, s4, 1
	s_cmp_ge_u32 s6, s5
	s_cselect_b32 s8, s7, s4
	s_mul_i32 s4, s8, s5
	s_sub_i32 s2, s2, s4
	s_lshl_b32 s2, s2, 7
	v_add_u32_e32 v138, s2, v14
	v_cmp_le_i32_e64 s[10:11], s72, v138
	s_or_b64 s[4:5], vcc, s[10:11]
	v_mov_b64_e32 v[2:3], 0
	s_xor_b64 s[6:7], s[4:5], -1
	v_mov_b64_e32 v[4:5], v[2:3]
	s_and_saveexec_b64 s[4:5], s[6:7]
	s_cbranch_execz .LBB202_10
; %bb.9:
	v_mad_i64_i32 v[4:5], s[6:7], v138, s27, 0
	v_lshl_add_u64 v[4:5], v[4:5], 3, v[6:7]
	flat_load_dwordx2 v[4:5], v[4:5]
.LBB202_10:
	s_or_b64 exec, exec, s[4:5]
	v_add_u32_e32 v139, 64, v138
	v_cmp_le_i32_e64 s[4:5], s72, v139
	s_or_b64 s[6:7], vcc, s[4:5]
	s_xor_b64 s[12:13], s[6:7], -1
	s_and_saveexec_b64 s[6:7], s[12:13]
	s_cbranch_execz .LBB202_12
; %bb.11:
	v_mad_i64_i32 v[2:3], s[12:13], v139, s27, 0
	v_lshl_add_u64 v[2:3], v[2:3], 3, v[6:7]
	flat_load_dwordx2 v[2:3], v[2:3]
.LBB202_12:
	s_or_b64 exec, exec, s[6:7]
	s_load_dword s24, s[0:1], 0x38
	v_and_b32_e32 v1, 63, v8
	v_lshrrev_b32_e32 v153, 6, v8
	s_lshl_b32 s16, s8, 7
	v_or_b32_e32 v128, s16, v1
	s_waitcnt lgkmcnt(0)
	v_mad_i64_i32 v[8:9], s[6:7], s24, v153, 0
	v_cmp_le_i32_e32 vcc, s74, v153
	v_cmp_le_i32_e64 s[6:7], s73, v128
	v_lshl_add_u64 v[12:13], v[8:9], 3, s[22:23]
	s_or_b64 s[8:9], s[6:7], vcc
	v_mov_b64_e32 v[8:9], 0
	s_xor_b64 s[12:13], s[8:9], -1
	v_ashrrev_i32_e32 v129, 31, v128
	v_mov_b64_e32 v[10:11], v[8:9]
	s_and_saveexec_b64 s[8:9], s[12:13]
	s_cbranch_execz .LBB202_14
; %bb.13:
	v_lshl_add_u64 v[10:11], v[128:129], 3, v[12:13]
	flat_load_dwordx2 v[10:11], v[10:11]
.LBB202_14:
	s_or_b64 exec, exec, s[8:9]
	v_or_b32_e32 v15, 64, v128
	v_cmp_le_i32_e64 s[8:9], s73, v15
	s_or_b64 s[12:13], s[8:9], vcc
	s_ashr_i32 s25, s24, 31
	s_xor_b64 s[28:29], s[12:13], -1
	s_and_saveexec_b64 s[12:13], s[28:29]
	s_cbranch_execz .LBB202_16
; %bb.15:
	v_lshl_add_u64 v[8:9], v[128:129], 3, v[12:13]
	flat_load_dwordx2 v[8:9], v[8:9] offset:512
.LBB202_16:
	s_or_b64 exec, exec, s[12:13]
	v_or_b32_e32 v12, 4, v152
	v_cmp_le_i32_e32 vcc, s74, v12
	s_or_b64 s[12:13], vcc, s[10:11]
	v_mov_b64_e32 v[130:131], 0
	s_xor_b64 s[28:29], s[12:13], -1
	v_mov_b64_e32 v[132:133], v[130:131]
	s_and_saveexec_b64 s[12:13], s[28:29]
	s_cbranch_execz .LBB202_18
; %bb.17:
	v_mad_i64_i32 v[12:13], s[28:29], v138, s27, 0
	v_lshl_add_u64 v[12:13], v[12:13], 3, v[6:7]
	flat_load_dwordx2 v[132:133], v[12:13] offset:32
.LBB202_18:
	s_or_b64 exec, exec, s[12:13]
	s_or_b64 s[12:13], vcc, s[4:5]
	s_xor_b64 s[28:29], s[12:13], -1
	s_and_saveexec_b64 s[12:13], s[28:29]
	s_cbranch_execz .LBB202_20
; %bb.19:
	v_mad_i64_i32 v[12:13], s[28:29], v139, s27, 0
	v_lshl_add_u64 v[6:7], v[12:13], 3, v[6:7]
	flat_load_dwordx2 v[130:131], v[6:7] offset:32
.LBB202_20:
	s_or_b64 exec, exec, s[12:13]
	v_add_u32_e32 v6, 4, v153
	v_cmp_le_i32_e32 vcc, s74, v6
	v_mad_i64_i32 v[6:7], s[12:13], s24, v6, 0
	s_or_b64 s[12:13], s[6:7], vcc
	v_mov_b64_e32 v[134:135], 0
	v_lshl_add_u64 v[6:7], v[6:7], 3, s[22:23]
	s_xor_b64 s[28:29], s[12:13], -1
	v_mov_b64_e32 v[136:137], v[134:135]
	s_and_saveexec_b64 s[12:13], s[28:29]
	s_cbranch_execz .LBB202_22
; %bb.21:
	v_lshl_add_u64 v[12:13], v[128:129], 3, v[6:7]
	flat_load_dwordx2 v[136:137], v[12:13]
.LBB202_22:
	s_or_b64 exec, exec, s[12:13]
	s_or_b64 s[12:13], s[8:9], vcc
	s_xor_b64 s[28:29], s[12:13], -1
	s_and_saveexec_b64 s[12:13], s[28:29]
	s_cbranch_execz .LBB202_24
; %bb.23:
	v_lshl_add_u64 v[6:7], v[128:129], 3, v[6:7]
	flat_load_dwordx2 v[134:135], v[6:7] offset:512
.LBB202_24:
	s_or_b64 exec, exec, s[12:13]
	v_lshl_or_b32 v154, v14, 5, v0
	v_lshlrev_b32_e32 v0, 5, v1
	v_lshl_add_u32 v141, v153, 3, v0
	v_lshlrev_b32_e32 v140, 5, v151
	v_mov_b64_e32 v[126:127], 0
	s_waitcnt vmcnt(0)
	ds_write2st64_b64 v154, v[4:5], v[2:3] offset1:4
	v_or_b32_e32 v155, 0x2000, v141
	s_waitcnt lgkmcnt(0)
	ds_write2st64_b64 v141, v[10:11], v[8:9] offset0:16 offset1:20
	v_lshlrev_b32_e32 v156, 5, v150
	v_add_u32_e32 v157, 0x2000, v140
	s_mov_b32 s12, 0
	v_mov_b64_e32 v[124:125], v[126:127]
	v_mov_b64_e32 v[122:123], v[126:127]
	;; [unrolled: 1-line block ×63, first 2 shown]
	s_waitcnt lgkmcnt(0)
	s_barrier
.LBB202_25:                             ; =>This Inner Loop Header: Depth=1
	v_add_u32_e32 v186, s12, v156
	v_add_u32_e32 v182, s12, v157
	ds_read2_b64 v[142:145], v186 offset1:16
	ds_read2_b64 v[146:149], v186 offset0:32 offset1:48
	ds_read2_b64 v[158:161], v186 offset0:64 offset1:80
	;; [unrolled: 1-line block ×7, first 2 shown]
	ds_read2st64_b64 v[182:185], v182 offset1:4
	v_add_u32_e32 v214, 0x800, v186
	ds_read2_b64 v[186:189], v214 offset1:16
	ds_read2_b64 v[190:193], v214 offset0:32 offset1:48
	ds_read2_b64 v[194:197], v214 offset0:64 offset1:80
	;; [unrolled: 1-line block ×7, first 2 shown]
	s_waitcnt lgkmcnt(14)
	v_max_f64 v[142:143], v[142:143], v[142:143]
	v_max_f64 v[144:145], v[144:145], v[144:145]
	;; [unrolled: 1-line block ×6, first 2 shown]
	s_waitcnt lgkmcnt(13)
	v_max_f64 v[162:163], v[162:163], v[162:163]
	v_max_f64 v[164:165], v[164:165], v[164:165]
	s_waitcnt lgkmcnt(12)
	v_max_f64 v[166:167], v[166:167], v[166:167]
	v_max_f64 v[168:169], v[168:169], v[168:169]
	;; [unrolled: 3-line block ×14, first 2 shown]
	v_min_f64 v[218:219], v[142:143], v[182:183]
	v_min_f64 v[220:221], v[144:145], v[182:183]
	;; [unrolled: 1-line block ×32, first 2 shown]
	s_add_i32 s12, s12, 8
	v_add_f64 v[62:63], v[142:143], v[62:63]
	v_add_f64 v[60:61], v[144:145], v[60:61]
	;; [unrolled: 1-line block ×16, first 2 shown]
	v_min_f64 v[142:143], v[186:187], v[182:183]
	v_min_f64 v[144:145], v[188:189], v[182:183]
	;; [unrolled: 1-line block ×32, first 2 shown]
	s_cmp_eq_u32 s12, 32
	v_add_f64 v[126:127], v[218:219], v[126:127]
	v_add_f64 v[124:125], v[220:221], v[124:125]
	;; [unrolled: 1-line block ×48, first 2 shown]
	s_cbranch_scc0 .LBB202_25
; %bb.26:
	s_cmp_gt_i32 s74, 8
	ds_write2st64_b64 v154, v[132:133], v[130:131] offset0:8 offset1:12
	ds_write2st64_b64 v141, v[136:137], v[134:135] offset0:24 offset1:28
	s_waitcnt lgkmcnt(0)
	s_barrier
	s_cbranch_scc1 .LBB202_28
; %bb.27:
	v_add_u32_e32 v158, 0x1000, v156
	v_add_u32_e32 v159, 0x3000, v140
	s_cbranch_execz .LBB202_29
	s_branch .LBB202_51
.LBB202_28:
                                        ; implicit-def: $vgpr158
                                        ; implicit-def: $vgpr159
.LBB202_29:
	v_add_u32_e32 v160, 0x1000, v154
	v_or_b32_e32 v161, 0x3000, v141
	s_add_i32 s26, s74, -8
	v_mad_i64_i32 v[130:131], s[12:13], v138, s27, 0
	v_mad_i64_i32 v[132:133], s[12:13], v139, s27, 0
	v_add_u32_e32 v158, 0x1000, v156
	v_add_u32_e32 v159, 0x3000, v140
	s_mov_b32 s27, 8
	s_mov_b32 s28, 0
	v_mov_b32_e32 v135, 0
.LBB202_30:                             ; =>This Loop Header: Depth=1
                                        ;     Child Loop BB202_39 Depth 2
                                        ;     Child Loop BB202_49 Depth 2
	v_or_b32_e32 v134, s27, v152
	v_cmp_le_i32_e32 vcc, s74, v134
	v_lshl_add_u64 v[138:139], v[134:135], 3, s[20:21]
	s_or_b64 s[12:13], s[10:11], vcc
	v_mov_b64_e32 v[140:141], 0
	s_xor_b64 s[30:31], s[12:13], -1
	v_lshl_add_u64 v[136:137], v[130:131], 3, v[138:139]
	v_mov_b64_e32 v[142:143], v[140:141]
	s_and_saveexec_b64 s[12:13], s[30:31]
	s_cbranch_execz .LBB202_32
; %bb.31:                               ;   in Loop: Header=BB202_30 Depth=1
	flat_load_dwordx2 v[142:143], v[136:137]
.LBB202_32:                             ;   in Loop: Header=BB202_30 Depth=1
	s_or_b64 exec, exec, s[12:13]
	s_or_b64 s[12:13], s[4:5], vcc
	s_xor_b64 s[30:31], s[12:13], -1
	v_lshl_add_u64 v[138:139], v[132:133], 3, v[138:139]
	s_and_saveexec_b64 s[12:13], s[30:31]
	s_cbranch_execz .LBB202_34
; %bb.33:                               ;   in Loop: Header=BB202_30 Depth=1
	flat_load_dwordx2 v[140:141], v[138:139]
.LBB202_34:                             ;   in Loop: Header=BB202_30 Depth=1
	s_or_b64 exec, exec, s[12:13]
	v_add_u32_e32 v147, s27, v153
	v_mad_u64_u32 v[144:145], s[12:13], v147, s24, 0
	v_mov_b32_e32 v146, v145
	v_cmp_le_i32_e32 vcc, s74, v147
	v_mad_u64_u32 v[146:147], s[12:13], v147, s25, v[146:147]
	v_mov_b32_e32 v145, v146
	v_lshl_add_u64 v[146:147], v[144:145], 3, s[22:23]
	s_or_b64 s[12:13], s[6:7], vcc
	v_mov_b64_e32 v[144:145], 0
	s_xor_b64 s[30:31], s[12:13], -1
	v_lshl_add_u64 v[148:149], v[128:129], 3, v[146:147]
	v_mov_b64_e32 v[146:147], v[144:145]
	s_and_saveexec_b64 s[12:13], s[30:31]
	s_cbranch_execz .LBB202_36
; %bb.35:                               ;   in Loop: Header=BB202_30 Depth=1
	flat_load_dwordx2 v[146:147], v[148:149]
.LBB202_36:                             ;   in Loop: Header=BB202_30 Depth=1
	s_or_b64 exec, exec, s[12:13]
	s_or_b64 s[12:13], s[8:9], vcc
	s_xor_b64 s[30:31], s[12:13], -1
	s_and_saveexec_b64 s[12:13], s[30:31]
	s_cbranch_execz .LBB202_38
; %bb.37:                               ;   in Loop: Header=BB202_30 Depth=1
	flat_load_dwordx2 v[144:145], v[148:149] offset:512
.LBB202_38:                             ;   in Loop: Header=BB202_30 Depth=1
	s_or_b64 exec, exec, s[12:13]
	s_mov_b32 s12, 0
.LBB202_39:                             ;   Parent Loop BB202_30 Depth=1
                                        ; =>  This Inner Loop Header: Depth=2
	v_add_u32_e32 v148, s12, v158
	ds_read2_b64 v[162:165], v148 offset1:16
	ds_read2_b64 v[166:169], v148 offset0:32 offset1:48
	ds_read2_b64 v[170:173], v148 offset0:64 offset1:80
	;; [unrolled: 1-line block ×7, first 2 shown]
	v_add_u32_e32 v148, 0x800, v148
	ds_read2_b64 v[194:197], v148 offset1:16
	ds_read2_b64 v[198:201], v148 offset0:32 offset1:48
	ds_read2_b64 v[202:205], v148 offset0:64 offset1:80
	;; [unrolled: 1-line block ×7, first 2 shown]
	v_add_u32_e32 v148, s12, v159
	ds_read2st64_b64 v[226:229], v148 offset1:4
	s_waitcnt lgkmcnt(0)
	v_max_f64 v[162:163], v[162:163], v[162:163]
	v_max_f64 v[164:165], v[164:165], v[164:165]
	;; [unrolled: 1-line block ×5, first 2 shown]
	v_min_f64 v[226:227], v[162:163], v[148:149]
	v_add_f64 v[126:127], v[226:227], v[126:127]
	v_min_f64 v[226:227], v[164:165], v[148:149]
	v_add_f64 v[124:125], v[226:227], v[124:125]
	;; [unrolled: 2-line block ×3, first 2 shown]
	v_min_f64 v[226:227], v[168:169], v[148:149]
	v_max_f64 v[170:171], v[170:171], v[170:171]
	v_add_f64 v[120:121], v[226:227], v[120:121]
	v_min_f64 v[226:227], v[170:171], v[148:149]
	v_max_f64 v[172:173], v[172:173], v[172:173]
	v_add_f64 v[118:119], v[226:227], v[118:119]
	;; [unrolled: 3-line block ×26, first 2 shown]
	v_min_f64 v[226:227], v[220:221], v[148:149]
	v_max_f64 v[222:223], v[222:223], v[222:223]
	v_max_f64 v[224:225], v[224:225], v[224:225]
	v_add_f64 v[68:69], v[226:227], v[68:69]
	v_min_f64 v[226:227], v[222:223], v[148:149]
	v_min_f64 v[148:149], v[224:225], v[148:149]
	v_add_f64 v[64:65], v[148:149], v[64:65]
	v_max_f64 v[148:149], v[228:229], v[228:229]
	v_min_f64 v[162:163], v[162:163], v[148:149]
	v_add_f64 v[62:63], v[162:163], v[62:63]
	v_min_f64 v[162:163], v[164:165], v[148:149]
	v_add_f64 v[60:61], v[162:163], v[60:61]
	v_min_f64 v[162:163], v[166:167], v[148:149]
	v_add_f64 v[58:59], v[162:163], v[58:59]
	v_min_f64 v[162:163], v[168:169], v[148:149]
	v_add_f64 v[56:57], v[162:163], v[56:57]
	v_min_f64 v[162:163], v[170:171], v[148:149]
	v_add_f64 v[54:55], v[162:163], v[54:55]
	v_min_f64 v[162:163], v[172:173], v[148:149]
	v_add_f64 v[52:53], v[162:163], v[52:53]
	v_min_f64 v[162:163], v[174:175], v[148:149]
	v_add_f64 v[50:51], v[162:163], v[50:51]
	v_min_f64 v[162:163], v[176:177], v[148:149]
	v_add_f64 v[48:49], v[162:163], v[48:49]
	v_min_f64 v[162:163], v[178:179], v[148:149]
	v_add_f64 v[46:47], v[162:163], v[46:47]
	v_min_f64 v[162:163], v[180:181], v[148:149]
	v_add_f64 v[44:45], v[162:163], v[44:45]
	v_min_f64 v[162:163], v[182:183], v[148:149]
	v_add_f64 v[42:43], v[162:163], v[42:43]
	v_min_f64 v[162:163], v[184:185], v[148:149]
	v_add_f64 v[40:41], v[162:163], v[40:41]
	v_min_f64 v[162:163], v[186:187], v[148:149]
	v_add_f64 v[38:39], v[162:163], v[38:39]
	v_min_f64 v[162:163], v[188:189], v[148:149]
	v_add_f64 v[36:37], v[162:163], v[36:37]
	v_min_f64 v[162:163], v[190:191], v[148:149]
	v_add_f64 v[34:35], v[162:163], v[34:35]
	v_min_f64 v[162:163], v[192:193], v[148:149]
	v_add_f64 v[32:33], v[162:163], v[32:33]
	v_min_f64 v[162:163], v[194:195], v[148:149]
	v_add_f64 v[30:31], v[162:163], v[30:31]
	v_min_f64 v[162:163], v[196:197], v[148:149]
	v_add_f64 v[28:29], v[162:163], v[28:29]
	v_min_f64 v[162:163], v[198:199], v[148:149]
	v_add_f64 v[26:27], v[162:163], v[26:27]
	v_min_f64 v[162:163], v[200:201], v[148:149]
	v_add_f64 v[24:25], v[162:163], v[24:25]
	v_min_f64 v[162:163], v[202:203], v[148:149]
	v_add_f64 v[22:23], v[162:163], v[22:23]
	v_min_f64 v[162:163], v[204:205], v[148:149]
	v_add_f64 v[20:21], v[162:163], v[20:21]
	v_min_f64 v[162:163], v[206:207], v[148:149]
	v_add_f64 v[18:19], v[162:163], v[18:19]
	v_min_f64 v[162:163], v[208:209], v[148:149]
	v_add_f64 v[16:17], v[162:163], v[16:17]
	v_min_f64 v[162:163], v[210:211], v[148:149]
	v_add_f64 v[14:15], v[162:163], v[14:15]
	v_min_f64 v[162:163], v[212:213], v[148:149]
	v_add_f64 v[12:13], v[162:163], v[12:13]
	v_min_f64 v[162:163], v[214:215], v[148:149]
	v_add_f64 v[10:11], v[162:163], v[10:11]
	v_min_f64 v[162:163], v[216:217], v[148:149]
	v_add_f64 v[8:9], v[162:163], v[8:9]
	v_min_f64 v[162:163], v[218:219], v[148:149]
	v_add_f64 v[6:7], v[162:163], v[6:7]
	v_min_f64 v[162:163], v[220:221], v[148:149]
	v_add_f64 v[4:5], v[162:163], v[4:5]
	v_min_f64 v[162:163], v[222:223], v[148:149]
	v_min_f64 v[148:149], v[224:225], v[148:149]
	s_add_i32 s12, s12, 8
	v_add_f64 v[66:67], v[226:227], v[66:67]
	v_add_f64 v[2:3], v[162:163], v[2:3]
	;; [unrolled: 1-line block ×3, first 2 shown]
	s_cmp_eq_u32 s12, 32
	s_cbranch_scc0 .LBB202_39
; %bb.40:                               ;   in Loop: Header=BB202_30 Depth=1
	v_or_b32_e32 v134, 4, v134
	v_cmp_le_i32_e32 vcc, s74, v134
	s_waitcnt vmcnt(0)
	ds_write2st64_b64 v154, v[142:143], v[140:141] offset1:4
	ds_write2st64_b64 v155, v[146:147], v[144:145] offset1:4
	s_or_b64 s[12:13], s[10:11], vcc
	v_mov_b64_e32 v[140:141], 0
	s_xor_b64 s[30:31], s[12:13], -1
	v_mov_b64_e32 v[142:143], v[140:141]
	s_waitcnt lgkmcnt(0)
	s_barrier
	s_and_saveexec_b64 s[12:13], s[30:31]
	s_cbranch_execz .LBB202_42
; %bb.41:                               ;   in Loop: Header=BB202_30 Depth=1
	flat_load_dwordx2 v[142:143], v[136:137] offset:32
.LBB202_42:                             ;   in Loop: Header=BB202_30 Depth=1
	s_or_b64 exec, exec, s[12:13]
	s_or_b64 s[12:13], s[4:5], vcc
	s_xor_b64 s[30:31], s[12:13], -1
	s_and_saveexec_b64 s[12:13], s[30:31]
	s_cbranch_execz .LBB202_44
; %bb.43:                               ;   in Loop: Header=BB202_30 Depth=1
	flat_load_dwordx2 v[140:141], v[138:139] offset:32
.LBB202_44:                             ;   in Loop: Header=BB202_30 Depth=1
	s_or_b64 exec, exec, s[12:13]
	v_add3_u32 v138, v153, s27, 4
	v_mad_u64_u32 v[136:137], s[12:13], v138, s24, 0
	v_mov_b32_e32 v134, v137
	v_cmp_le_i32_e32 vcc, s74, v138
	v_mad_u64_u32 v[138:139], s[12:13], v138, s25, v[134:135]
	v_mov_b32_e32 v137, v138
	v_lshl_add_u64 v[138:139], v[136:137], 3, s[22:23]
	s_or_b64 s[12:13], s[6:7], vcc
	v_mov_b64_e32 v[136:137], 0
	s_xor_b64 s[30:31], s[12:13], -1
	v_lshl_add_u64 v[144:145], v[128:129], 3, v[138:139]
	v_mov_b64_e32 v[138:139], v[136:137]
	s_and_saveexec_b64 s[12:13], s[30:31]
	s_cbranch_execz .LBB202_46
; %bb.45:                               ;   in Loop: Header=BB202_30 Depth=1
	flat_load_dwordx2 v[138:139], v[144:145]
.LBB202_46:                             ;   in Loop: Header=BB202_30 Depth=1
	s_or_b64 exec, exec, s[12:13]
	s_or_b64 s[12:13], s[8:9], vcc
	s_xor_b64 s[30:31], s[12:13], -1
	s_and_saveexec_b64 s[12:13], s[30:31]
	s_cbranch_execz .LBB202_48
; %bb.47:                               ;   in Loop: Header=BB202_30 Depth=1
	flat_load_dwordx2 v[136:137], v[144:145] offset:512
.LBB202_48:                             ;   in Loop: Header=BB202_30 Depth=1
	s_or_b64 exec, exec, s[12:13]
	s_mov_b32 s12, 0
.LBB202_49:                             ;   Parent Loop BB202_30 Depth=1
                                        ; =>  This Inner Loop Header: Depth=2
	v_add_u32_e32 v134, s12, v156
	ds_read2_b64 v[144:147], v134 offset1:16
	ds_read2_b64 v[162:165], v134 offset0:32 offset1:48
	ds_read2_b64 v[166:169], v134 offset0:64 offset1:80
	;; [unrolled: 1-line block ×7, first 2 shown]
	v_add_u32_e32 v134, 0x800, v134
	ds_read2_b64 v[190:193], v134 offset1:16
	ds_read2_b64 v[194:197], v134 offset0:32 offset1:48
	ds_read2_b64 v[198:201], v134 offset0:64 offset1:80
	;; [unrolled: 1-line block ×7, first 2 shown]
	v_add_u32_e32 v134, s12, v157
	ds_read2st64_b64 v[222:225], v134 offset1:4
	s_waitcnt lgkmcnt(0)
	v_max_f64 v[144:145], v[144:145], v[144:145]
	v_max_f64 v[146:147], v[146:147], v[146:147]
	;; [unrolled: 1-line block ×5, first 2 shown]
	v_min_f64 v[222:223], v[144:145], v[148:149]
	v_add_f64 v[126:127], v[222:223], v[126:127]
	v_min_f64 v[222:223], v[146:147], v[148:149]
	v_add_f64 v[124:125], v[222:223], v[124:125]
	;; [unrolled: 2-line block ×3, first 2 shown]
	v_min_f64 v[222:223], v[164:165], v[148:149]
	v_max_f64 v[166:167], v[166:167], v[166:167]
	v_add_f64 v[120:121], v[222:223], v[120:121]
	v_min_f64 v[222:223], v[166:167], v[148:149]
	v_max_f64 v[168:169], v[168:169], v[168:169]
	v_add_f64 v[118:119], v[222:223], v[118:119]
	;; [unrolled: 3-line block ×26, first 2 shown]
	v_min_f64 v[222:223], v[216:217], v[148:149]
	v_max_f64 v[218:219], v[218:219], v[218:219]
	v_max_f64 v[220:221], v[220:221], v[220:221]
	v_add_f64 v[68:69], v[222:223], v[68:69]
	v_min_f64 v[222:223], v[218:219], v[148:149]
	v_min_f64 v[148:149], v[220:221], v[148:149]
	v_add_f64 v[64:65], v[148:149], v[64:65]
	v_max_f64 v[148:149], v[224:225], v[224:225]
	v_min_f64 v[144:145], v[144:145], v[148:149]
	v_add_f64 v[62:63], v[144:145], v[62:63]
	v_min_f64 v[144:145], v[146:147], v[148:149]
	v_add_f64 v[60:61], v[144:145], v[60:61]
	;; [unrolled: 2-line block ×31, first 2 shown]
	v_min_f64 v[144:145], v[220:221], v[148:149]
	s_add_i32 s12, s12, 8
	v_add_f64 v[66:67], v[222:223], v[66:67]
	v_add_f64 v[0:1], v[144:145], v[0:1]
	s_cmp_eq_u32 s12, 32
	s_cbranch_scc0 .LBB202_49
; %bb.50:                               ;   in Loop: Header=BB202_30 Depth=1
	s_add_i32 s27, s27, 8
	s_add_i32 s28, s28, 8
	s_cmp_ge_i32 s28, s26
	s_waitcnt vmcnt(0)
	ds_write2st64_b64 v160, v[142:143], v[140:141] offset1:4
	ds_write2st64_b64 v161, v[138:139], v[136:137] offset1:4
	s_waitcnt lgkmcnt(0)
	s_barrier
	s_cbranch_scc0 .LBB202_30
.LBB202_51:
	s_mov_b32 s4, 0
.LBB202_52:                             ; =>This Inner Loop Header: Depth=1
	v_add_u32_e32 v148, s4, v158
	v_add_u32_e32 v149, s4, v159
	ds_read2_b64 v[128:131], v148 offset1:16
	ds_read2_b64 v[132:135], v148 offset0:32 offset1:48
	ds_read2_b64 v[136:139], v148 offset0:64 offset1:80
	;; [unrolled: 1-line block ×7, first 2 shown]
	v_add_u32_e32 v148, 0x800, v148
	ds_read2st64_b64 v[168:171], v149 offset1:4
	ds_read2_b64 v[172:175], v148 offset1:16
	ds_read2_b64 v[176:179], v148 offset0:32 offset1:48
	ds_read2_b64 v[180:183], v148 offset0:64 offset1:80
	;; [unrolled: 1-line block ×7, first 2 shown]
	s_waitcnt lgkmcnt(14)
	v_max_f64 v[128:129], v[128:129], v[128:129]
	v_max_f64 v[130:131], v[130:131], v[130:131]
	v_max_f64 v[132:133], v[132:133], v[132:133]
	s_waitcnt lgkmcnt(8)
	v_max_f64 v[148:149], v[168:169], v[168:169]
	v_max_f64 v[134:135], v[134:135], v[134:135]
	;; [unrolled: 1-line block ×15, first 2 shown]
	v_min_f64 v[168:169], v[128:129], v[148:149]
	v_min_f64 v[170:171], v[130:131], v[148:149]
	;; [unrolled: 1-line block ×16, first 2 shown]
	s_waitcnt lgkmcnt(7)
	v_max_f64 v[172:173], v[172:173], v[172:173]
	v_max_f64 v[174:175], v[174:175], v[174:175]
	s_waitcnt lgkmcnt(6)
	v_max_f64 v[176:177], v[176:177], v[176:177]
	v_max_f64 v[178:179], v[178:179], v[178:179]
	;; [unrolled: 3-line block ×8, first 2 shown]
	v_min_f64 v[128:129], v[128:129], v[166:167]
	v_min_f64 v[130:131], v[130:131], v[166:167]
	;; [unrolled: 1-line block ×16, first 2 shown]
	s_add_i32 s4, s4, 8
	v_add_f64 v[126:127], v[168:169], v[126:127]
	v_add_f64 v[124:125], v[170:171], v[124:125]
	;; [unrolled: 1-line block ×15, first 2 shown]
	v_min_f64 v[168:169], v[172:173], v[148:149]
	v_min_f64 v[170:171], v[174:175], v[148:149]
	;; [unrolled: 1-line block ×16, first 2 shown]
	v_add_f64 v[62:63], v[128:129], v[62:63]
	v_add_f64 v[60:61], v[130:131], v[60:61]
	;; [unrolled: 1-line block ×16, first 2 shown]
	v_min_f64 v[128:129], v[172:173], v[166:167]
	v_min_f64 v[130:131], v[174:175], v[166:167]
	v_min_f64 v[132:133], v[176:177], v[166:167]
	v_min_f64 v[134:135], v[178:179], v[166:167]
	v_min_f64 v[136:137], v[180:181], v[166:167]
	v_min_f64 v[138:139], v[182:183], v[166:167]
	v_min_f64 v[140:141], v[184:185], v[166:167]
	v_min_f64 v[142:143], v[186:187], v[166:167]
	v_min_f64 v[144:145], v[188:189], v[166:167]
	v_min_f64 v[146:147], v[190:191], v[166:167]
	v_min_f64 v[152:153], v[192:193], v[166:167]
	v_min_f64 v[154:155], v[194:195], v[166:167]
	v_min_f64 v[156:157], v[196:197], v[166:167]
	v_min_f64 v[160:161], v[198:199], v[166:167]
	v_min_f64 v[162:163], v[200:201], v[166:167]
	v_min_f64 v[164:165], v[202:203], v[166:167]
	s_cmp_eq_u32 s4, 32
	v_add_f64 v[96:97], v[230:231], v[96:97]
	v_add_f64 v[94:95], v[168:169], v[94:95]
	;; [unrolled: 1-line block ×33, first 2 shown]
	s_cbranch_scc0 .LBB202_52
; %bb.53:
	s_load_dwordx2 s[4:5], s[0:1], 0x78
	s_load_dword s78, s[0:1], 0x58
	s_load_dword s33, s[0:1], 0x70
	v_add_u32_e32 v136, s16, v151
	v_add_u32_e32 v128, s2, v150
	s_waitcnt lgkmcnt(0)
	s_mul_i32 s0, s3, s5
	s_mul_hi_u32 s1, s3, s4
	s_mul_i32 s5, s17, s4
	s_add_i32 s0, s1, s0
	s_add_i32 s1, s0, s5
	s_mul_i32 s0, s3, s4
	s_lshl_b64 s[0:1], s[0:1], 3
	s_add_u32 s74, s14, s0
	s_addc_u32 s75, s15, s1
	v_mad_i64_i32 v[130:131], s[0:1], v136, s78, 0
	v_cmp_gt_i32_e64 s[24:25], s73, v136
	v_lshl_add_u64 v[132:133], v[130:131], 3, s[76:77]
	v_mad_i64_i32 v[130:131], s[0:1], v136, s33, 0
	v_cmp_gt_i32_e64 s[2:3], s72, v128
	v_cndmask_b32_e64 v134, 0, 1, s[18:19]
	v_lshl_add_u64 v[130:131], v[130:131], 3, s[74:75]
	s_and_b64 s[6:7], s[24:25], s[2:3]
	v_ashrrev_i32_e32 v129, 31, v128
	v_cmp_ne_u32_e64 s[0:1], 1, v134
	s_and_saveexec_b64 s[4:5], s[6:7]
	s_cbranch_execz .LBB202_58
; %bb.54:
	s_and_b64 vcc, exec, s[0:1]
	s_cbranch_vccnz .LBB202_56
; %bb.55:
	v_lshl_add_u64 v[134:135], v[128:129], 3, v[132:133]
	flat_load_dwordx2 v[134:135], v[134:135]
	s_waitcnt vmcnt(0) lgkmcnt(0)
	v_mul_f64 v[134:135], v[134:135], s[70:71]
	s_branch .LBB202_57
.LBB202_56:
	v_mov_b64_e32 v[134:135], 0
.LBB202_57:
	v_add_f64 v[126:127], v[126:127], v[134:135]
	v_lshl_add_u64 v[134:135], v[128:129], 3, v[130:131]
	global_store_dwordx2 v[134:135], v[126:127], off
.LBB202_58:
	s_or_b64 exec, exec, s[4:5]
	v_add_u32_e32 v126, 4, v128
	v_cmp_gt_i32_e64 s[4:5], s72, v126
	s_and_b64 s[8:9], s[24:25], s[4:5]
	v_ashrrev_i32_e32 v127, 31, v126
	s_and_saveexec_b64 s[6:7], s[8:9]
	s_cbranch_execz .LBB202_63
; %bb.59:
	s_and_b64 vcc, exec, s[0:1]
	s_cbranch_vccnz .LBB202_61
; %bb.60:
	v_lshl_add_u64 v[134:135], v[126:127], 3, v[132:133]
	flat_load_dwordx2 v[134:135], v[134:135]
	s_waitcnt vmcnt(0) lgkmcnt(0)
	v_mul_f64 v[134:135], v[134:135], s[70:71]
	s_branch .LBB202_62
.LBB202_61:
	v_mov_b64_e32 v[134:135], 0
.LBB202_62:
	v_add_f64 v[124:125], v[124:125], v[134:135]
	v_lshl_add_u64 v[134:135], v[126:127], 3, v[130:131]
	global_store_dwordx2 v[134:135], v[124:125], off
.LBB202_63:
	s_or_b64 exec, exec, s[6:7]
	v_add_u32_e32 v124, 8, v128
	v_cmp_gt_i32_e64 s[6:7], s72, v124
	s_and_b64 s[10:11], s[24:25], s[6:7]
	v_ashrrev_i32_e32 v125, 31, v124
	;; [unrolled: 23-line block ×31, first 2 shown]
	s_and_saveexec_b64 s[24:25], s[80:81]
	s_cbranch_execz .LBB202_213
; %bb.209:
	s_and_b64 vcc, exec, s[0:1]
	s_cbranch_vccnz .LBB202_211
; %bb.210:
	v_lshl_add_u64 v[132:133], v[66:67], 3, v[132:133]
	flat_load_dwordx2 v[132:133], v[132:133]
	s_waitcnt vmcnt(0) lgkmcnt(0)
	v_mul_f64 v[132:133], v[132:133], s[70:71]
	s_branch .LBB202_212
.LBB202_211:
	v_mov_b64_e32 v[132:133], 0
.LBB202_212:
	v_add_f64 v[64:65], v[64:65], v[132:133]
	v_lshl_add_u64 v[130:131], v[66:67], 3, v[130:131]
	global_store_dwordx2 v[130:131], v[64:65], off
.LBB202_213:
	s_or_b64 exec, exec, s[24:25]
	v_add_u32_e32 v132, 64, v136
	v_cmp_gt_i32_e64 s[24:25], s73, v132
	v_mad_i64_i32 v[64:65], s[72:73], v132, s78, 0
	v_lshl_add_u64 v[130:131], v[64:65], 3, s[76:77]
	v_mad_i64_i32 v[64:65], s[72:73], v132, s33, 0
	v_lshl_add_u64 v[64:65], v[64:65], 3, s[74:75]
	s_and_b64 s[2:3], s[24:25], s[2:3]
	s_and_saveexec_b64 s[72:73], s[2:3]
	s_xor_b64 s[2:3], exec, s[72:73]
	s_cbranch_execnz .LBB202_246
; %bb.214:
	s_or_b64 exec, exec, s[2:3]
	s_and_b64 s[4:5], s[24:25], s[4:5]
	s_and_saveexec_b64 s[2:3], s[4:5]
	s_cbranch_execnz .LBB202_250
.LBB202_215:
	s_or_b64 exec, exec, s[2:3]
	s_and_b64 s[4:5], s[24:25], s[6:7]
	s_and_saveexec_b64 s[2:3], s[4:5]
	s_cbranch_execnz .LBB202_254
.LBB202_216:
	s_or_b64 exec, exec, s[2:3]
	s_and_b64 s[4:5], s[24:25], s[8:9]
	s_and_saveexec_b64 s[2:3], s[4:5]
	s_cbranch_execnz .LBB202_258
.LBB202_217:
	s_or_b64 exec, exec, s[2:3]
	s_and_b64 s[4:5], s[24:25], s[10:11]
	s_and_saveexec_b64 s[2:3], s[4:5]
	s_cbranch_execnz .LBB202_262
.LBB202_218:
	s_or_b64 exec, exec, s[2:3]
	s_and_b64 s[4:5], s[24:25], s[12:13]
	s_and_saveexec_b64 s[2:3], s[4:5]
	s_cbranch_execnz .LBB202_266
.LBB202_219:
	s_or_b64 exec, exec, s[2:3]
	s_and_b64 s[4:5], s[24:25], s[14:15]
	s_and_saveexec_b64 s[2:3], s[4:5]
	s_cbranch_execnz .LBB202_270
.LBB202_220:
	s_or_b64 exec, exec, s[2:3]
	s_and_b64 s[4:5], s[24:25], s[16:17]
	s_and_saveexec_b64 s[2:3], s[4:5]
	s_cbranch_execnz .LBB202_274
.LBB202_221:
	s_or_b64 exec, exec, s[2:3]
	s_and_b64 s[4:5], s[24:25], s[18:19]
	s_and_saveexec_b64 s[2:3], s[4:5]
	s_cbranch_execnz .LBB202_278
.LBB202_222:
	s_or_b64 exec, exec, s[2:3]
	s_and_b64 s[4:5], s[24:25], s[20:21]
	s_and_saveexec_b64 s[2:3], s[4:5]
	s_cbranch_execnz .LBB202_282
.LBB202_223:
	s_or_b64 exec, exec, s[2:3]
	s_and_b64 s[4:5], s[24:25], s[22:23]
	s_and_saveexec_b64 s[2:3], s[4:5]
	s_cbranch_execnz .LBB202_286
.LBB202_224:
	s_or_b64 exec, exec, s[2:3]
	s_and_b64 s[4:5], s[24:25], s[26:27]
	s_and_saveexec_b64 s[2:3], s[4:5]
	s_cbranch_execnz .LBB202_290
.LBB202_225:
	s_or_b64 exec, exec, s[2:3]
	s_and_b64 s[4:5], s[24:25], s[28:29]
	s_and_saveexec_b64 s[2:3], s[4:5]
	s_cbranch_execnz .LBB202_294
.LBB202_226:
	s_or_b64 exec, exec, s[2:3]
	s_and_b64 s[4:5], s[24:25], s[30:31]
	s_and_saveexec_b64 s[2:3], s[4:5]
	s_cbranch_execnz .LBB202_298
.LBB202_227:
	s_or_b64 exec, exec, s[2:3]
	s_and_b64 s[4:5], s[24:25], s[34:35]
	s_and_saveexec_b64 s[2:3], s[4:5]
	s_cbranch_execnz .LBB202_302
.LBB202_228:
	s_or_b64 exec, exec, s[2:3]
	s_and_b64 s[4:5], s[24:25], s[36:37]
	s_and_saveexec_b64 s[2:3], s[4:5]
	s_cbranch_execnz .LBB202_306
.LBB202_229:
	s_or_b64 exec, exec, s[2:3]
	s_and_b64 s[4:5], s[24:25], s[38:39]
	s_and_saveexec_b64 s[2:3], s[4:5]
	s_cbranch_execnz .LBB202_310
.LBB202_230:
	s_or_b64 exec, exec, s[2:3]
	s_and_b64 s[4:5], s[24:25], s[40:41]
	s_and_saveexec_b64 s[2:3], s[4:5]
	s_cbranch_execnz .LBB202_314
.LBB202_231:
	s_or_b64 exec, exec, s[2:3]
	s_and_b64 s[4:5], s[24:25], s[42:43]
	s_and_saveexec_b64 s[2:3], s[4:5]
	s_cbranch_execnz .LBB202_318
.LBB202_232:
	s_or_b64 exec, exec, s[2:3]
	s_and_b64 s[4:5], s[24:25], s[44:45]
	s_and_saveexec_b64 s[2:3], s[4:5]
	s_cbranch_execnz .LBB202_322
.LBB202_233:
	s_or_b64 exec, exec, s[2:3]
	s_and_b64 s[4:5], s[24:25], s[46:47]
	s_and_saveexec_b64 s[2:3], s[4:5]
	s_cbranch_execnz .LBB202_326
.LBB202_234:
	s_or_b64 exec, exec, s[2:3]
	s_and_b64 s[4:5], s[24:25], s[48:49]
	s_and_saveexec_b64 s[2:3], s[4:5]
	s_cbranch_execnz .LBB202_330
.LBB202_235:
	s_or_b64 exec, exec, s[2:3]
	s_and_b64 s[4:5], s[24:25], s[50:51]
	s_and_saveexec_b64 s[2:3], s[4:5]
	s_cbranch_execnz .LBB202_334
.LBB202_236:
	s_or_b64 exec, exec, s[2:3]
	s_and_b64 s[4:5], s[24:25], s[52:53]
	s_and_saveexec_b64 s[2:3], s[4:5]
	s_cbranch_execnz .LBB202_338
.LBB202_237:
	s_or_b64 exec, exec, s[2:3]
	s_and_b64 s[4:5], s[24:25], s[54:55]
	s_and_saveexec_b64 s[2:3], s[4:5]
	s_cbranch_execnz .LBB202_342
.LBB202_238:
	s_or_b64 exec, exec, s[2:3]
	s_and_b64 s[4:5], s[24:25], s[56:57]
	s_and_saveexec_b64 s[2:3], s[4:5]
	s_cbranch_execnz .LBB202_346
.LBB202_239:
	s_or_b64 exec, exec, s[2:3]
	s_and_b64 s[4:5], s[24:25], s[58:59]
	s_and_saveexec_b64 s[2:3], s[4:5]
	s_cbranch_execnz .LBB202_350
.LBB202_240:
	s_or_b64 exec, exec, s[2:3]
	s_and_b64 s[4:5], s[24:25], s[60:61]
	s_and_saveexec_b64 s[2:3], s[4:5]
	s_cbranch_execnz .LBB202_354
.LBB202_241:
	s_or_b64 exec, exec, s[2:3]
	s_and_b64 s[4:5], s[24:25], s[62:63]
	s_and_saveexec_b64 s[2:3], s[4:5]
	s_cbranch_execnz .LBB202_358
.LBB202_242:
	s_or_b64 exec, exec, s[2:3]
	s_and_b64 s[4:5], s[24:25], s[64:65]
	s_and_saveexec_b64 s[2:3], s[4:5]
	s_cbranch_execnz .LBB202_362
.LBB202_243:
	s_or_b64 exec, exec, s[2:3]
	s_and_b64 s[4:5], s[24:25], s[66:67]
	s_and_saveexec_b64 s[2:3], s[4:5]
	s_cbranch_execnz .LBB202_366
.LBB202_244:
	s_or_b64 exec, exec, s[2:3]
	s_and_b64 s[2:3], s[24:25], s[68:69]
	s_and_saveexec_b64 s[4:5], s[2:3]
	s_cbranch_execnz .LBB202_370
.LBB202_245:
	s_endpgm
.LBB202_246:
	s_and_b64 vcc, exec, s[0:1]
	s_cbranch_vccnz .LBB202_248
; %bb.247:
	v_lshl_add_u64 v[132:133], v[128:129], 3, v[130:131]
	flat_load_dwordx2 v[132:133], v[132:133]
	s_waitcnt vmcnt(0) lgkmcnt(0)
	v_mul_f64 v[132:133], v[132:133], s[70:71]
	s_branch .LBB202_249
.LBB202_248:
	v_mov_b64_e32 v[132:133], 0
.LBB202_249:
	v_add_f64 v[62:63], v[62:63], v[132:133]
	v_lshl_add_u64 v[128:129], v[128:129], 3, v[64:65]
	global_store_dwordx2 v[128:129], v[62:63], off
	s_or_b64 exec, exec, s[2:3]
	s_and_b64 s[4:5], s[24:25], s[4:5]
	s_and_saveexec_b64 s[2:3], s[4:5]
	s_cbranch_execz .LBB202_215
.LBB202_250:
	s_and_b64 vcc, exec, s[0:1]
	s_cbranch_vccnz .LBB202_252
; %bb.251:
	v_lshl_add_u64 v[62:63], v[126:127], 3, v[130:131]
	flat_load_dwordx2 v[62:63], v[62:63]
	s_waitcnt vmcnt(0) lgkmcnt(0)
	v_mul_f64 v[62:63], v[62:63], s[70:71]
	s_branch .LBB202_253
.LBB202_252:
	v_mov_b64_e32 v[62:63], 0
.LBB202_253:
	v_add_f64 v[60:61], v[60:61], v[62:63]
	v_lshl_add_u64 v[62:63], v[126:127], 3, v[64:65]
	global_store_dwordx2 v[62:63], v[60:61], off
	s_or_b64 exec, exec, s[2:3]
	s_and_b64 s[4:5], s[24:25], s[6:7]
	s_and_saveexec_b64 s[2:3], s[4:5]
	s_cbranch_execz .LBB202_216
.LBB202_254:
	s_and_b64 vcc, exec, s[0:1]
	s_cbranch_vccnz .LBB202_256
; %bb.255:
	v_lshl_add_u64 v[60:61], v[124:125], 3, v[130:131]
	flat_load_dwordx2 v[60:61], v[60:61]
	s_waitcnt vmcnt(0) lgkmcnt(0)
	v_mul_f64 v[60:61], v[60:61], s[70:71]
	s_branch .LBB202_257
.LBB202_256:
	v_mov_b64_e32 v[60:61], 0
.LBB202_257:
	v_add_f64 v[58:59], v[58:59], v[60:61]
	v_lshl_add_u64 v[60:61], v[124:125], 3, v[64:65]
	global_store_dwordx2 v[60:61], v[58:59], off
	s_or_b64 exec, exec, s[2:3]
	s_and_b64 s[4:5], s[24:25], s[8:9]
	s_and_saveexec_b64 s[2:3], s[4:5]
	s_cbranch_execz .LBB202_217
.LBB202_258:
	s_and_b64 vcc, exec, s[0:1]
	s_cbranch_vccnz .LBB202_260
; %bb.259:
	v_lshl_add_u64 v[58:59], v[122:123], 3, v[130:131]
	flat_load_dwordx2 v[58:59], v[58:59]
	s_waitcnt vmcnt(0) lgkmcnt(0)
	v_mul_f64 v[58:59], v[58:59], s[70:71]
	s_branch .LBB202_261
.LBB202_260:
	v_mov_b64_e32 v[58:59], 0
.LBB202_261:
	v_add_f64 v[56:57], v[56:57], v[58:59]
	v_lshl_add_u64 v[58:59], v[122:123], 3, v[64:65]
	global_store_dwordx2 v[58:59], v[56:57], off
	s_or_b64 exec, exec, s[2:3]
	s_and_b64 s[4:5], s[24:25], s[10:11]
	s_and_saveexec_b64 s[2:3], s[4:5]
	s_cbranch_execz .LBB202_218
.LBB202_262:
	s_and_b64 vcc, exec, s[0:1]
	s_cbranch_vccnz .LBB202_264
; %bb.263:
	v_lshl_add_u64 v[56:57], v[120:121], 3, v[130:131]
	flat_load_dwordx2 v[56:57], v[56:57]
	s_waitcnt vmcnt(0) lgkmcnt(0)
	v_mul_f64 v[56:57], v[56:57], s[70:71]
	s_branch .LBB202_265
.LBB202_264:
	v_mov_b64_e32 v[56:57], 0
.LBB202_265:
	v_add_f64 v[54:55], v[54:55], v[56:57]
	v_lshl_add_u64 v[56:57], v[120:121], 3, v[64:65]
	global_store_dwordx2 v[56:57], v[54:55], off
	s_or_b64 exec, exec, s[2:3]
	s_and_b64 s[4:5], s[24:25], s[12:13]
	s_and_saveexec_b64 s[2:3], s[4:5]
	s_cbranch_execz .LBB202_219
.LBB202_266:
	s_and_b64 vcc, exec, s[0:1]
	s_cbranch_vccnz .LBB202_268
; %bb.267:
	v_lshl_add_u64 v[54:55], v[118:119], 3, v[130:131]
	flat_load_dwordx2 v[54:55], v[54:55]
	s_waitcnt vmcnt(0) lgkmcnt(0)
	v_mul_f64 v[54:55], v[54:55], s[70:71]
	s_branch .LBB202_269
.LBB202_268:
	v_mov_b64_e32 v[54:55], 0
.LBB202_269:
	v_add_f64 v[52:53], v[52:53], v[54:55]
	v_lshl_add_u64 v[54:55], v[118:119], 3, v[64:65]
	global_store_dwordx2 v[54:55], v[52:53], off
	s_or_b64 exec, exec, s[2:3]
	s_and_b64 s[4:5], s[24:25], s[14:15]
	s_and_saveexec_b64 s[2:3], s[4:5]
	s_cbranch_execz .LBB202_220
.LBB202_270:
	s_and_b64 vcc, exec, s[0:1]
	s_cbranch_vccnz .LBB202_272
; %bb.271:
	v_lshl_add_u64 v[52:53], v[116:117], 3, v[130:131]
	flat_load_dwordx2 v[52:53], v[52:53]
	s_waitcnt vmcnt(0) lgkmcnt(0)
	v_mul_f64 v[52:53], v[52:53], s[70:71]
	s_branch .LBB202_273
.LBB202_272:
	v_mov_b64_e32 v[52:53], 0
.LBB202_273:
	v_add_f64 v[50:51], v[50:51], v[52:53]
	v_lshl_add_u64 v[52:53], v[116:117], 3, v[64:65]
	global_store_dwordx2 v[52:53], v[50:51], off
	s_or_b64 exec, exec, s[2:3]
	s_and_b64 s[4:5], s[24:25], s[16:17]
	s_and_saveexec_b64 s[2:3], s[4:5]
	s_cbranch_execz .LBB202_221
.LBB202_274:
	s_and_b64 vcc, exec, s[0:1]
	s_cbranch_vccnz .LBB202_276
; %bb.275:
	v_lshl_add_u64 v[50:51], v[114:115], 3, v[130:131]
	flat_load_dwordx2 v[50:51], v[50:51]
	s_waitcnt vmcnt(0) lgkmcnt(0)
	v_mul_f64 v[50:51], v[50:51], s[70:71]
	s_branch .LBB202_277
.LBB202_276:
	v_mov_b64_e32 v[50:51], 0
.LBB202_277:
	v_add_f64 v[48:49], v[48:49], v[50:51]
	v_lshl_add_u64 v[50:51], v[114:115], 3, v[64:65]
	global_store_dwordx2 v[50:51], v[48:49], off
	s_or_b64 exec, exec, s[2:3]
	s_and_b64 s[4:5], s[24:25], s[18:19]
	s_and_saveexec_b64 s[2:3], s[4:5]
	s_cbranch_execz .LBB202_222
.LBB202_278:
	s_and_b64 vcc, exec, s[0:1]
	s_cbranch_vccnz .LBB202_280
; %bb.279:
	v_lshl_add_u64 v[48:49], v[112:113], 3, v[130:131]
	flat_load_dwordx2 v[48:49], v[48:49]
	s_waitcnt vmcnt(0) lgkmcnt(0)
	v_mul_f64 v[48:49], v[48:49], s[70:71]
	s_branch .LBB202_281
.LBB202_280:
	v_mov_b64_e32 v[48:49], 0
.LBB202_281:
	v_add_f64 v[46:47], v[46:47], v[48:49]
	v_lshl_add_u64 v[48:49], v[112:113], 3, v[64:65]
	global_store_dwordx2 v[48:49], v[46:47], off
	s_or_b64 exec, exec, s[2:3]
	s_and_b64 s[4:5], s[24:25], s[20:21]
	s_and_saveexec_b64 s[2:3], s[4:5]
	s_cbranch_execz .LBB202_223
.LBB202_282:
	s_and_b64 vcc, exec, s[0:1]
	s_cbranch_vccnz .LBB202_284
; %bb.283:
	v_lshl_add_u64 v[46:47], v[110:111], 3, v[130:131]
	flat_load_dwordx2 v[46:47], v[46:47]
	s_waitcnt vmcnt(0) lgkmcnt(0)
	v_mul_f64 v[46:47], v[46:47], s[70:71]
	s_branch .LBB202_285
.LBB202_284:
	v_mov_b64_e32 v[46:47], 0
.LBB202_285:
	v_add_f64 v[44:45], v[44:45], v[46:47]
	v_lshl_add_u64 v[46:47], v[110:111], 3, v[64:65]
	global_store_dwordx2 v[46:47], v[44:45], off
	s_or_b64 exec, exec, s[2:3]
	s_and_b64 s[4:5], s[24:25], s[22:23]
	s_and_saveexec_b64 s[2:3], s[4:5]
	s_cbranch_execz .LBB202_224
.LBB202_286:
	s_and_b64 vcc, exec, s[0:1]
	s_cbranch_vccnz .LBB202_288
; %bb.287:
	v_lshl_add_u64 v[44:45], v[108:109], 3, v[130:131]
	flat_load_dwordx2 v[44:45], v[44:45]
	s_waitcnt vmcnt(0) lgkmcnt(0)
	v_mul_f64 v[44:45], v[44:45], s[70:71]
	s_branch .LBB202_289
.LBB202_288:
	v_mov_b64_e32 v[44:45], 0
.LBB202_289:
	v_add_f64 v[42:43], v[42:43], v[44:45]
	v_lshl_add_u64 v[44:45], v[108:109], 3, v[64:65]
	global_store_dwordx2 v[44:45], v[42:43], off
	s_or_b64 exec, exec, s[2:3]
	s_and_b64 s[4:5], s[24:25], s[26:27]
	s_and_saveexec_b64 s[2:3], s[4:5]
	s_cbranch_execz .LBB202_225
.LBB202_290:
	s_and_b64 vcc, exec, s[0:1]
	s_cbranch_vccnz .LBB202_292
; %bb.291:
	v_lshl_add_u64 v[42:43], v[106:107], 3, v[130:131]
	flat_load_dwordx2 v[42:43], v[42:43]
	s_waitcnt vmcnt(0) lgkmcnt(0)
	v_mul_f64 v[42:43], v[42:43], s[70:71]
	s_branch .LBB202_293
.LBB202_292:
	v_mov_b64_e32 v[42:43], 0
.LBB202_293:
	v_add_f64 v[40:41], v[40:41], v[42:43]
	v_lshl_add_u64 v[42:43], v[106:107], 3, v[64:65]
	global_store_dwordx2 v[42:43], v[40:41], off
	s_or_b64 exec, exec, s[2:3]
	s_and_b64 s[4:5], s[24:25], s[28:29]
	s_and_saveexec_b64 s[2:3], s[4:5]
	s_cbranch_execz .LBB202_226
.LBB202_294:
	s_and_b64 vcc, exec, s[0:1]
	s_cbranch_vccnz .LBB202_296
; %bb.295:
	v_lshl_add_u64 v[40:41], v[104:105], 3, v[130:131]
	flat_load_dwordx2 v[40:41], v[40:41]
	s_waitcnt vmcnt(0) lgkmcnt(0)
	v_mul_f64 v[40:41], v[40:41], s[70:71]
	s_branch .LBB202_297
.LBB202_296:
	v_mov_b64_e32 v[40:41], 0
.LBB202_297:
	v_add_f64 v[38:39], v[38:39], v[40:41]
	v_lshl_add_u64 v[40:41], v[104:105], 3, v[64:65]
	global_store_dwordx2 v[40:41], v[38:39], off
	s_or_b64 exec, exec, s[2:3]
	s_and_b64 s[4:5], s[24:25], s[30:31]
	s_and_saveexec_b64 s[2:3], s[4:5]
	s_cbranch_execz .LBB202_227
.LBB202_298:
	s_and_b64 vcc, exec, s[0:1]
	s_cbranch_vccnz .LBB202_300
; %bb.299:
	v_lshl_add_u64 v[38:39], v[102:103], 3, v[130:131]
	flat_load_dwordx2 v[38:39], v[38:39]
	s_waitcnt vmcnt(0) lgkmcnt(0)
	v_mul_f64 v[38:39], v[38:39], s[70:71]
	s_branch .LBB202_301
.LBB202_300:
	v_mov_b64_e32 v[38:39], 0
.LBB202_301:
	v_add_f64 v[36:37], v[36:37], v[38:39]
	v_lshl_add_u64 v[38:39], v[102:103], 3, v[64:65]
	global_store_dwordx2 v[38:39], v[36:37], off
	s_or_b64 exec, exec, s[2:3]
	s_and_b64 s[4:5], s[24:25], s[34:35]
	s_and_saveexec_b64 s[2:3], s[4:5]
	s_cbranch_execz .LBB202_228
.LBB202_302:
	s_and_b64 vcc, exec, s[0:1]
	s_cbranch_vccnz .LBB202_304
; %bb.303:
	v_lshl_add_u64 v[36:37], v[100:101], 3, v[130:131]
	flat_load_dwordx2 v[36:37], v[36:37]
	s_waitcnt vmcnt(0) lgkmcnt(0)
	v_mul_f64 v[36:37], v[36:37], s[70:71]
	s_branch .LBB202_305
.LBB202_304:
	v_mov_b64_e32 v[36:37], 0
.LBB202_305:
	v_add_f64 v[34:35], v[34:35], v[36:37]
	v_lshl_add_u64 v[36:37], v[100:101], 3, v[64:65]
	global_store_dwordx2 v[36:37], v[34:35], off
	s_or_b64 exec, exec, s[2:3]
	s_and_b64 s[4:5], s[24:25], s[36:37]
	s_and_saveexec_b64 s[2:3], s[4:5]
	s_cbranch_execz .LBB202_229
.LBB202_306:
	s_and_b64 vcc, exec, s[0:1]
	s_cbranch_vccnz .LBB202_308
; %bb.307:
	v_lshl_add_u64 v[34:35], v[98:99], 3, v[130:131]
	flat_load_dwordx2 v[34:35], v[34:35]
	s_waitcnt vmcnt(0) lgkmcnt(0)
	v_mul_f64 v[34:35], v[34:35], s[70:71]
	s_branch .LBB202_309
.LBB202_308:
	v_mov_b64_e32 v[34:35], 0
.LBB202_309:
	v_add_f64 v[32:33], v[32:33], v[34:35]
	v_lshl_add_u64 v[34:35], v[98:99], 3, v[64:65]
	global_store_dwordx2 v[34:35], v[32:33], off
	s_or_b64 exec, exec, s[2:3]
	s_and_b64 s[4:5], s[24:25], s[38:39]
	s_and_saveexec_b64 s[2:3], s[4:5]
	s_cbranch_execz .LBB202_230
.LBB202_310:
	s_and_b64 vcc, exec, s[0:1]
	s_cbranch_vccnz .LBB202_312
; %bb.311:
	v_lshl_add_u64 v[32:33], v[96:97], 3, v[130:131]
	flat_load_dwordx2 v[32:33], v[32:33]
	s_waitcnt vmcnt(0) lgkmcnt(0)
	v_mul_f64 v[32:33], v[32:33], s[70:71]
	s_branch .LBB202_313
.LBB202_312:
	v_mov_b64_e32 v[32:33], 0
.LBB202_313:
	v_add_f64 v[30:31], v[30:31], v[32:33]
	v_lshl_add_u64 v[32:33], v[96:97], 3, v[64:65]
	global_store_dwordx2 v[32:33], v[30:31], off
	s_or_b64 exec, exec, s[2:3]
	s_and_b64 s[4:5], s[24:25], s[40:41]
	s_and_saveexec_b64 s[2:3], s[4:5]
	s_cbranch_execz .LBB202_231
.LBB202_314:
	s_and_b64 vcc, exec, s[0:1]
	s_cbranch_vccnz .LBB202_316
; %bb.315:
	v_lshl_add_u64 v[30:31], v[94:95], 3, v[130:131]
	flat_load_dwordx2 v[30:31], v[30:31]
	s_waitcnt vmcnt(0) lgkmcnt(0)
	v_mul_f64 v[30:31], v[30:31], s[70:71]
	s_branch .LBB202_317
.LBB202_316:
	v_mov_b64_e32 v[30:31], 0
.LBB202_317:
	v_add_f64 v[28:29], v[28:29], v[30:31]
	v_lshl_add_u64 v[30:31], v[94:95], 3, v[64:65]
	global_store_dwordx2 v[30:31], v[28:29], off
	s_or_b64 exec, exec, s[2:3]
	s_and_b64 s[4:5], s[24:25], s[42:43]
	s_and_saveexec_b64 s[2:3], s[4:5]
	s_cbranch_execz .LBB202_232
.LBB202_318:
	s_and_b64 vcc, exec, s[0:1]
	s_cbranch_vccnz .LBB202_320
; %bb.319:
	v_lshl_add_u64 v[28:29], v[92:93], 3, v[130:131]
	flat_load_dwordx2 v[28:29], v[28:29]
	s_waitcnt vmcnt(0) lgkmcnt(0)
	v_mul_f64 v[28:29], v[28:29], s[70:71]
	s_branch .LBB202_321
.LBB202_320:
	v_mov_b64_e32 v[28:29], 0
.LBB202_321:
	v_add_f64 v[26:27], v[26:27], v[28:29]
	v_lshl_add_u64 v[28:29], v[92:93], 3, v[64:65]
	global_store_dwordx2 v[28:29], v[26:27], off
	s_or_b64 exec, exec, s[2:3]
	s_and_b64 s[4:5], s[24:25], s[44:45]
	s_and_saveexec_b64 s[2:3], s[4:5]
	s_cbranch_execz .LBB202_233
.LBB202_322:
	s_and_b64 vcc, exec, s[0:1]
	s_cbranch_vccnz .LBB202_324
; %bb.323:
	v_lshl_add_u64 v[26:27], v[90:91], 3, v[130:131]
	flat_load_dwordx2 v[26:27], v[26:27]
	s_waitcnt vmcnt(0) lgkmcnt(0)
	v_mul_f64 v[26:27], v[26:27], s[70:71]
	s_branch .LBB202_325
.LBB202_324:
	v_mov_b64_e32 v[26:27], 0
.LBB202_325:
	v_add_f64 v[24:25], v[24:25], v[26:27]
	v_lshl_add_u64 v[26:27], v[90:91], 3, v[64:65]
	global_store_dwordx2 v[26:27], v[24:25], off
	s_or_b64 exec, exec, s[2:3]
	s_and_b64 s[4:5], s[24:25], s[46:47]
	s_and_saveexec_b64 s[2:3], s[4:5]
	s_cbranch_execz .LBB202_234
.LBB202_326:
	s_and_b64 vcc, exec, s[0:1]
	s_cbranch_vccnz .LBB202_328
; %bb.327:
	v_lshl_add_u64 v[24:25], v[88:89], 3, v[130:131]
	flat_load_dwordx2 v[24:25], v[24:25]
	s_waitcnt vmcnt(0) lgkmcnt(0)
	v_mul_f64 v[24:25], v[24:25], s[70:71]
	s_branch .LBB202_329
.LBB202_328:
	v_mov_b64_e32 v[24:25], 0
.LBB202_329:
	v_add_f64 v[22:23], v[22:23], v[24:25]
	v_lshl_add_u64 v[24:25], v[88:89], 3, v[64:65]
	global_store_dwordx2 v[24:25], v[22:23], off
	s_or_b64 exec, exec, s[2:3]
	s_and_b64 s[4:5], s[24:25], s[48:49]
	s_and_saveexec_b64 s[2:3], s[4:5]
	s_cbranch_execz .LBB202_235
.LBB202_330:
	s_and_b64 vcc, exec, s[0:1]
	s_cbranch_vccnz .LBB202_332
; %bb.331:
	v_lshl_add_u64 v[22:23], v[86:87], 3, v[130:131]
	flat_load_dwordx2 v[22:23], v[22:23]
	s_waitcnt vmcnt(0) lgkmcnt(0)
	v_mul_f64 v[22:23], v[22:23], s[70:71]
	s_branch .LBB202_333
.LBB202_332:
	v_mov_b64_e32 v[22:23], 0
.LBB202_333:
	v_add_f64 v[20:21], v[20:21], v[22:23]
	v_lshl_add_u64 v[22:23], v[86:87], 3, v[64:65]
	global_store_dwordx2 v[22:23], v[20:21], off
	s_or_b64 exec, exec, s[2:3]
	s_and_b64 s[4:5], s[24:25], s[50:51]
	s_and_saveexec_b64 s[2:3], s[4:5]
	s_cbranch_execz .LBB202_236
.LBB202_334:
	s_and_b64 vcc, exec, s[0:1]
	s_cbranch_vccnz .LBB202_336
; %bb.335:
	v_lshl_add_u64 v[20:21], v[84:85], 3, v[130:131]
	flat_load_dwordx2 v[20:21], v[20:21]
	s_waitcnt vmcnt(0) lgkmcnt(0)
	v_mul_f64 v[20:21], v[20:21], s[70:71]
	s_branch .LBB202_337
.LBB202_336:
	v_mov_b64_e32 v[20:21], 0
.LBB202_337:
	v_add_f64 v[18:19], v[18:19], v[20:21]
	v_lshl_add_u64 v[20:21], v[84:85], 3, v[64:65]
	global_store_dwordx2 v[20:21], v[18:19], off
	s_or_b64 exec, exec, s[2:3]
	s_and_b64 s[4:5], s[24:25], s[52:53]
	s_and_saveexec_b64 s[2:3], s[4:5]
	s_cbranch_execz .LBB202_237
.LBB202_338:
	s_and_b64 vcc, exec, s[0:1]
	s_cbranch_vccnz .LBB202_340
; %bb.339:
	v_lshl_add_u64 v[18:19], v[82:83], 3, v[130:131]
	flat_load_dwordx2 v[18:19], v[18:19]
	s_waitcnt vmcnt(0) lgkmcnt(0)
	v_mul_f64 v[18:19], v[18:19], s[70:71]
	s_branch .LBB202_341
.LBB202_340:
	v_mov_b64_e32 v[18:19], 0
.LBB202_341:
	v_add_f64 v[16:17], v[16:17], v[18:19]
	v_lshl_add_u64 v[18:19], v[82:83], 3, v[64:65]
	global_store_dwordx2 v[18:19], v[16:17], off
	s_or_b64 exec, exec, s[2:3]
	s_and_b64 s[4:5], s[24:25], s[54:55]
	s_and_saveexec_b64 s[2:3], s[4:5]
	s_cbranch_execz .LBB202_238
.LBB202_342:
	s_and_b64 vcc, exec, s[0:1]
	s_cbranch_vccnz .LBB202_344
; %bb.343:
	v_lshl_add_u64 v[16:17], v[80:81], 3, v[130:131]
	flat_load_dwordx2 v[16:17], v[16:17]
	s_waitcnt vmcnt(0) lgkmcnt(0)
	v_mul_f64 v[16:17], v[16:17], s[70:71]
	s_branch .LBB202_345
.LBB202_344:
	v_mov_b64_e32 v[16:17], 0
.LBB202_345:
	v_add_f64 v[14:15], v[14:15], v[16:17]
	v_lshl_add_u64 v[16:17], v[80:81], 3, v[64:65]
	global_store_dwordx2 v[16:17], v[14:15], off
	s_or_b64 exec, exec, s[2:3]
	s_and_b64 s[4:5], s[24:25], s[56:57]
	s_and_saveexec_b64 s[2:3], s[4:5]
	s_cbranch_execz .LBB202_239
.LBB202_346:
	s_and_b64 vcc, exec, s[0:1]
	s_cbranch_vccnz .LBB202_348
; %bb.347:
	v_lshl_add_u64 v[14:15], v[78:79], 3, v[130:131]
	flat_load_dwordx2 v[14:15], v[14:15]
	s_waitcnt vmcnt(0) lgkmcnt(0)
	v_mul_f64 v[14:15], v[14:15], s[70:71]
	s_branch .LBB202_349
.LBB202_348:
	v_mov_b64_e32 v[14:15], 0
.LBB202_349:
	v_add_f64 v[12:13], v[12:13], v[14:15]
	v_lshl_add_u64 v[14:15], v[78:79], 3, v[64:65]
	global_store_dwordx2 v[14:15], v[12:13], off
	s_or_b64 exec, exec, s[2:3]
	s_and_b64 s[4:5], s[24:25], s[58:59]
	s_and_saveexec_b64 s[2:3], s[4:5]
	s_cbranch_execz .LBB202_240
.LBB202_350:
	s_and_b64 vcc, exec, s[0:1]
	s_cbranch_vccnz .LBB202_352
; %bb.351:
	v_lshl_add_u64 v[12:13], v[76:77], 3, v[130:131]
	flat_load_dwordx2 v[12:13], v[12:13]
	s_waitcnt vmcnt(0) lgkmcnt(0)
	v_mul_f64 v[12:13], v[12:13], s[70:71]
	s_branch .LBB202_353
.LBB202_352:
	v_mov_b64_e32 v[12:13], 0
.LBB202_353:
	v_add_f64 v[10:11], v[10:11], v[12:13]
	v_lshl_add_u64 v[12:13], v[76:77], 3, v[64:65]
	global_store_dwordx2 v[12:13], v[10:11], off
	s_or_b64 exec, exec, s[2:3]
	s_and_b64 s[4:5], s[24:25], s[60:61]
	s_and_saveexec_b64 s[2:3], s[4:5]
	s_cbranch_execz .LBB202_241
.LBB202_354:
	s_and_b64 vcc, exec, s[0:1]
	s_cbranch_vccnz .LBB202_356
; %bb.355:
	v_lshl_add_u64 v[10:11], v[74:75], 3, v[130:131]
	flat_load_dwordx2 v[10:11], v[10:11]
	s_waitcnt vmcnt(0) lgkmcnt(0)
	v_mul_f64 v[10:11], v[10:11], s[70:71]
	s_branch .LBB202_357
.LBB202_356:
	v_mov_b64_e32 v[10:11], 0
.LBB202_357:
	v_add_f64 v[8:9], v[8:9], v[10:11]
	v_lshl_add_u64 v[10:11], v[74:75], 3, v[64:65]
	global_store_dwordx2 v[10:11], v[8:9], off
	s_or_b64 exec, exec, s[2:3]
	s_and_b64 s[4:5], s[24:25], s[62:63]
	s_and_saveexec_b64 s[2:3], s[4:5]
	s_cbranch_execz .LBB202_242
.LBB202_358:
	s_and_b64 vcc, exec, s[0:1]
	s_cbranch_vccnz .LBB202_360
; %bb.359:
	v_lshl_add_u64 v[8:9], v[72:73], 3, v[130:131]
	flat_load_dwordx2 v[8:9], v[8:9]
	s_waitcnt vmcnt(0) lgkmcnt(0)
	v_mul_f64 v[8:9], v[8:9], s[70:71]
	s_branch .LBB202_361
.LBB202_360:
	v_mov_b64_e32 v[8:9], 0
.LBB202_361:
	v_add_f64 v[6:7], v[6:7], v[8:9]
	v_lshl_add_u64 v[8:9], v[72:73], 3, v[64:65]
	global_store_dwordx2 v[8:9], v[6:7], off
	s_or_b64 exec, exec, s[2:3]
	s_and_b64 s[4:5], s[24:25], s[64:65]
	s_and_saveexec_b64 s[2:3], s[4:5]
	s_cbranch_execz .LBB202_243
.LBB202_362:
	s_and_b64 vcc, exec, s[0:1]
	s_cbranch_vccnz .LBB202_364
; %bb.363:
	v_lshl_add_u64 v[6:7], v[70:71], 3, v[130:131]
	flat_load_dwordx2 v[6:7], v[6:7]
	s_waitcnt vmcnt(0) lgkmcnt(0)
	v_mul_f64 v[6:7], v[6:7], s[70:71]
	s_branch .LBB202_365
.LBB202_364:
	v_mov_b64_e32 v[6:7], 0
.LBB202_365:
	v_add_f64 v[4:5], v[4:5], v[6:7]
	v_lshl_add_u64 v[6:7], v[70:71], 3, v[64:65]
	global_store_dwordx2 v[6:7], v[4:5], off
	s_or_b64 exec, exec, s[2:3]
	s_and_b64 s[4:5], s[24:25], s[66:67]
	s_and_saveexec_b64 s[2:3], s[4:5]
	s_cbranch_execz .LBB202_244
.LBB202_366:
	s_and_b64 vcc, exec, s[0:1]
	s_cbranch_vccnz .LBB202_368
; %bb.367:
	v_lshl_add_u64 v[4:5], v[68:69], 3, v[130:131]
	flat_load_dwordx2 v[4:5], v[4:5]
	s_waitcnt vmcnt(0) lgkmcnt(0)
	v_mul_f64 v[4:5], v[4:5], s[70:71]
	s_branch .LBB202_369
.LBB202_368:
	v_mov_b64_e32 v[4:5], 0
.LBB202_369:
	v_add_f64 v[2:3], v[2:3], v[4:5]
	v_lshl_add_u64 v[4:5], v[68:69], 3, v[64:65]
	global_store_dwordx2 v[4:5], v[2:3], off
	s_or_b64 exec, exec, s[2:3]
	s_and_b64 s[2:3], s[24:25], s[68:69]
	s_and_saveexec_b64 s[4:5], s[2:3]
	s_cbranch_execz .LBB202_245
.LBB202_370:
	s_and_b64 vcc, exec, s[0:1]
	s_cbranch_vccnz .LBB202_372
; %bb.371:
	v_lshl_add_u64 v[2:3], v[66:67], 3, v[130:131]
	flat_load_dwordx2 v[2:3], v[2:3]
	s_waitcnt vmcnt(0) lgkmcnt(0)
	v_mul_f64 v[2:3], v[2:3], s[70:71]
	v_add_f64 v[0:1], v[0:1], v[2:3]
	v_lshl_add_u64 v[2:3], v[66:67], 3, v[64:65]
	global_store_dwordx2 v[2:3], v[0:1], off
	s_endpgm
.LBB202_372:
	v_mov_b64_e32 v[2:3], 0
	v_add_f64 v[0:1], v[0:1], v[2:3]
	v_lshl_add_u64 v[2:3], v[66:67], 3, v[64:65]
	global_store_dwordx2 v[2:3], v[0:1], off
	s_endpgm
	.section	.rodata,"a",@progbits
	.p2align	6, 0x0
	.amdhsa_kernel _ZN12_GLOBAL__N_120geam_min_plus_kernelIdddLi4ELi64ELi128ELi128ELi4ELi4ELi64ELi64ELi4ELc84ELc84ELb1ELb1ELb0EdKddEEviiiT16_PT17_ilS4_ilS2_S4_ilPT18_ili26rocblas_geam_ex_operation_
		.amdhsa_group_segment_fixed_size 16384
		.amdhsa_private_segment_fixed_size 0
		.amdhsa_kernarg_size 136
		.amdhsa_user_sgpr_count 2
		.amdhsa_user_sgpr_dispatch_ptr 0
		.amdhsa_user_sgpr_queue_ptr 0
		.amdhsa_user_sgpr_kernarg_segment_ptr 1
		.amdhsa_user_sgpr_dispatch_id 0
		.amdhsa_user_sgpr_kernarg_preload_length 0
		.amdhsa_user_sgpr_kernarg_preload_offset 0
		.amdhsa_user_sgpr_private_segment_size 0
		.amdhsa_uses_dynamic_stack 0
		.amdhsa_enable_private_segment 0
		.amdhsa_system_sgpr_workgroup_id_x 1
		.amdhsa_system_sgpr_workgroup_id_y 0
		.amdhsa_system_sgpr_workgroup_id_z 1
		.amdhsa_system_sgpr_workgroup_info 0
		.amdhsa_system_vgpr_workitem_id 1
		.amdhsa_next_free_vgpr 250
		.amdhsa_next_free_sgpr 82
		.amdhsa_accum_offset 252
		.amdhsa_reserve_vcc 1
		.amdhsa_float_round_mode_32 0
		.amdhsa_float_round_mode_16_64 0
		.amdhsa_float_denorm_mode_32 3
		.amdhsa_float_denorm_mode_16_64 3
		.amdhsa_dx10_clamp 1
		.amdhsa_ieee_mode 1
		.amdhsa_fp16_overflow 0
		.amdhsa_tg_split 0
		.amdhsa_exception_fp_ieee_invalid_op 0
		.amdhsa_exception_fp_denorm_src 0
		.amdhsa_exception_fp_ieee_div_zero 0
		.amdhsa_exception_fp_ieee_overflow 0
		.amdhsa_exception_fp_ieee_underflow 0
		.amdhsa_exception_fp_ieee_inexact 0
		.amdhsa_exception_int_div_zero 0
	.end_amdhsa_kernel
	.section	.text._ZN12_GLOBAL__N_120geam_min_plus_kernelIdddLi4ELi64ELi128ELi128ELi4ELi4ELi64ELi64ELi4ELc84ELc84ELb1ELb1ELb0EdKddEEviiiT16_PT17_ilS4_ilS2_S4_ilPT18_ili26rocblas_geam_ex_operation_,"axG",@progbits,_ZN12_GLOBAL__N_120geam_min_plus_kernelIdddLi4ELi64ELi128ELi128ELi4ELi4ELi64ELi64ELi4ELc84ELc84ELb1ELb1ELb0EdKddEEviiiT16_PT17_ilS4_ilS2_S4_ilPT18_ili26rocblas_geam_ex_operation_,comdat
.Lfunc_end202:
	.size	_ZN12_GLOBAL__N_120geam_min_plus_kernelIdddLi4ELi64ELi128ELi128ELi4ELi4ELi64ELi64ELi4ELc84ELc84ELb1ELb1ELb0EdKddEEviiiT16_PT17_ilS4_ilS2_S4_ilPT18_ili26rocblas_geam_ex_operation_, .Lfunc_end202-_ZN12_GLOBAL__N_120geam_min_plus_kernelIdddLi4ELi64ELi128ELi128ELi4ELi4ELi64ELi64ELi4ELc84ELc84ELb1ELb1ELb0EdKddEEviiiT16_PT17_ilS4_ilS2_S4_ilPT18_ili26rocblas_geam_ex_operation_
                                        ; -- End function
	.section	.AMDGPU.csdata,"",@progbits
; Kernel info:
; codeLenInByte = 14424
; NumSgprs: 88
; NumVgprs: 250
; NumAgprs: 0
; TotalNumVgprs: 250
; ScratchSize: 0
; MemoryBound: 0
; FloatMode: 240
; IeeeMode: 1
; LDSByteSize: 16384 bytes/workgroup (compile time only)
; SGPRBlocks: 10
; VGPRBlocks: 31
; NumSGPRsForWavesPerEU: 88
; NumVGPRsForWavesPerEU: 250
; AccumOffset: 252
; Occupancy: 2
; WaveLimiterHint : 0
; COMPUTE_PGM_RSRC2:SCRATCH_EN: 0
; COMPUTE_PGM_RSRC2:USER_SGPR: 2
; COMPUTE_PGM_RSRC2:TRAP_HANDLER: 0
; COMPUTE_PGM_RSRC2:TGID_X_EN: 1
; COMPUTE_PGM_RSRC2:TGID_Y_EN: 0
; COMPUTE_PGM_RSRC2:TGID_Z_EN: 1
; COMPUTE_PGM_RSRC2:TIDIG_COMP_CNT: 1
; COMPUTE_PGM_RSRC3_GFX90A:ACCUM_OFFSET: 62
; COMPUTE_PGM_RSRC3_GFX90A:TG_SPLIT: 0
	.section	.text._ZN12_GLOBAL__N_120geam_min_plus_kernelIdddLi4ELi64ELi128ELi128ELi4ELi4ELi64ELi64ELi4ELc84ELc84ELb0ELb1ELb0EdKddEEviiiT16_PT17_ilS4_ilS2_S4_ilPT18_ili26rocblas_geam_ex_operation_,"axG",@progbits,_ZN12_GLOBAL__N_120geam_min_plus_kernelIdddLi4ELi64ELi128ELi128ELi4ELi4ELi64ELi64ELi4ELc84ELc84ELb0ELb1ELb0EdKddEEviiiT16_PT17_ilS4_ilS2_S4_ilPT18_ili26rocblas_geam_ex_operation_,comdat
	.globl	_ZN12_GLOBAL__N_120geam_min_plus_kernelIdddLi4ELi64ELi128ELi128ELi4ELi4ELi64ELi64ELi4ELc84ELc84ELb0ELb1ELb0EdKddEEviiiT16_PT17_ilS4_ilS2_S4_ilPT18_ili26rocblas_geam_ex_operation_ ; -- Begin function _ZN12_GLOBAL__N_120geam_min_plus_kernelIdddLi4ELi64ELi128ELi128ELi4ELi4ELi64ELi64ELi4ELc84ELc84ELb0ELb1ELb0EdKddEEviiiT16_PT17_ilS4_ilS2_S4_ilPT18_ili26rocblas_geam_ex_operation_
	.p2align	8
	.type	_ZN12_GLOBAL__N_120geam_min_plus_kernelIdddLi4ELi64ELi128ELi128ELi4ELi4ELi64ELi64ELi4ELc84ELc84ELb0ELb1ELb0EdKddEEviiiT16_PT17_ilS4_ilS2_S4_ilPT18_ili26rocblas_geam_ex_operation_,@function
_ZN12_GLOBAL__N_120geam_min_plus_kernelIdddLi4ELi64ELi128ELi128ELi4ELi4ELi64ELi64ELi4ELc84ELc84ELb0ELb1ELb0EdKddEEviiiT16_PT17_ilS4_ilS2_S4_ilPT18_ili26rocblas_geam_ex_operation_: ; @_ZN12_GLOBAL__N_120geam_min_plus_kernelIdddLi4ELi64ELi128ELi128ELi4ELi4ELi64ELi64ELi4ELc84ELc84ELb0ELb1ELb0EdKddEEviiiT16_PT17_ilS4_ilS2_S4_ilPT18_ili26rocblas_geam_ex_operation_
; %bb.0:
	s_load_dwordx4 s[16:19], s[0:1], 0x10
	s_load_dwordx4 s[4:7], s[0:1], 0x28
	s_mov_b64 s[22:23], 0
	s_waitcnt lgkmcnt(0)
	v_cmp_eq_f64_e64 s[8:9], s[16:17], 0
	s_and_b64 vcc, exec, s[8:9]
	s_cbranch_vccnz .LBB203_2
; %bb.1:
	s_mul_i32 s5, s3, s5
	s_mul_hi_u32 s10, s3, s4
	s_add_i32 s5, s10, s5
	s_mul_i32 s4, s3, s4
	s_lshl_b64 s[4:5], s[4:5], 3
	s_add_u32 s22, s18, s4
	s_addc_u32 s23, s19, s5
.LBB203_2:
	s_load_dwordx4 s[68:71], s[0:1], 0x40
	s_load_dwordx2 s[4:5], s[0:1], 0x50
	s_andn2_b64 vcc, exec, s[8:9]
	s_cbranch_vccnz .LBB203_4
; %bb.3:
	s_mov_b32 s19, 0
	s_mov_b64 s[24:25], 0
	s_cbranch_execz .LBB203_5
	s_branch .LBB203_6
.LBB203_4:
                                        ; implicit-def: $sgpr24_sgpr25
                                        ; implicit-def: $sgpr18_sgpr19
.LBB203_5:
	s_waitcnt lgkmcnt(0)
	s_mul_i32 s8, s3, s69
	s_mul_hi_u32 s9, s3, s68
	s_add_i32 s9, s9, s8
	s_mul_i32 s8, s3, s68
	s_lshl_b64 s[8:9], s[8:9], 3
	s_add_u32 s24, s6, s8
	s_mov_b32 s19, 0
	s_addc_u32 s25, s7, s9
.LBB203_6:
	s_load_dwordx4 s[12:15], s[0:1], 0x60
	s_waitcnt lgkmcnt(0)
	v_cmp_eq_f64_e64 s[6:7], s[70:71], 0
	s_mov_b64 s[76:77], 0
	v_cmp_neq_f64_e64 s[20:21], s[70:71], 0
	s_and_b64 vcc, exec, s[6:7]
	s_cbranch_vccnz .LBB203_8
; %bb.7:
	s_mul_i32 s6, s3, s13
	s_mul_hi_u32 s7, s3, s12
	s_add_i32 s6, s7, s6
	s_mul_i32 s7, s19, s12
	s_add_i32 s7, s6, s7
	s_mul_i32 s6, s3, s12
	s_lshl_b64 s[6:7], s[6:7], 3
	s_add_u32 s76, s4, s6
	s_addc_u32 s77, s5, s7
.LBB203_8:
	s_load_dwordx4 s[72:75], s[0:1], 0x0
	s_load_dword s31, s[0:1], 0x20
	v_and_b32_e32 v144, 0x3ff, v0
	v_bfe_u32 v145, v0, 10, 10
	v_lshl_add_u32 v8, v145, 2, v144
	s_waitcnt lgkmcnt(0)
	s_add_i32 s4, s72, -1
	s_ashr_i32 s5, s4, 31
	s_lshr_b32 s5, s5, 25
	s_add_i32 s4, s4, s5
	s_ashr_i32 s4, s4, 7
	s_add_i32 s5, s4, 1
	v_cvt_f32_u32_e32 v1, s5
	s_not_b32 s4, s4
	v_lshrrev_b32_e32 v10, 2, v8
	v_and_b32_e32 v146, 3, v144
	v_rcp_iflag_f32_e32 v2, v1
	v_cmp_le_i32_e32 vcc, s74, v146
	v_cmp_eq_f64_e64 s[12:13], s[16:17], 0
	v_mov_b64_e32 v[0:1], 0
	v_mul_f32_e32 v2, 0x4f7ffffe, v2
	v_cvt_u32_f32_e32 v2, v2
	s_nop 0
	v_readfirstlane_b32 s6, v2
	s_mul_i32 s4, s4, s6
	s_mul_hi_u32 s4, s6, s4
	s_add_i32 s6, s6, s4
	s_mul_hi_u32 s4, s2, s6
	s_mul_i32 s6, s4, s5
	s_sub_i32 s6, s2, s6
	s_add_i32 s7, s4, 1
	s_sub_i32 s8, s6, s5
	s_cmp_ge_u32 s6, s5
	s_cselect_b32 s4, s7, s4
	s_cselect_b32 s6, s8, s6
	s_add_i32 s7, s4, 1
	s_cmp_ge_u32 s6, s5
	s_cselect_b32 s8, s7, s4
	s_mul_i32 s4, s8, s5
	s_sub_i32 s2, s2, s4
	s_lshl_b32 s2, s2, 7
	v_add_u32_e32 v138, s2, v10
	s_add_i32 s28, s74, -1
	v_cmp_le_i32_e64 s[10:11], s72, v138
	v_min_i32_e32 v2, s28, v146
	s_or_b64 s[4:5], vcc, s[10:11]
	v_ashrrev_i32_e32 v3, 31, v2
	s_or_b64 s[4:5], s[12:13], s[4:5]
	v_lshl_add_u64 v[6:7], v[2:3], 3, s[22:23]
	s_xor_b64 s[6:7], s[4:5], -1
	v_mov_b64_e32 v[2:3], v[0:1]
	s_and_saveexec_b64 s[4:5], s[6:7]
	s_cbranch_execz .LBB203_10
; %bb.9:
	v_mad_i64_i32 v[2:3], s[6:7], v138, s31, 0
	v_lshl_add_u64 v[2:3], v[2:3], 3, v[6:7]
	flat_load_dwordx2 v[2:3], v[2:3]
	s_waitcnt vmcnt(0) lgkmcnt(0)
	v_mul_f64 v[2:3], v[2:3], s[16:17]
.LBB203_10:
	s_or_b64 exec, exec, s[4:5]
	v_add_u32_e32 v139, 64, v138
	v_cmp_le_i32_e64 s[4:5], s72, v139
	s_or_b64 s[6:7], vcc, s[4:5]
	s_or_b64 s[6:7], s[12:13], s[6:7]
	s_xor_b64 s[26:27], s[6:7], -1
	v_mov_b64_e32 v[4:5], v[0:1]
	s_and_saveexec_b64 s[6:7], s[26:27]
	s_cbranch_execz .LBB203_12
; %bb.11:
	v_mad_i64_i32 v[4:5], s[26:27], v139, s31, 0
	v_lshl_add_u64 v[4:5], v[4:5], 3, v[6:7]
	flat_load_dwordx2 v[4:5], v[4:5]
	s_waitcnt vmcnt(0) lgkmcnt(0)
	v_mul_f64 v[4:5], v[4:5], s[16:17]
.LBB203_12:
	s_or_b64 exec, exec, s[6:7]
	s_load_dword s29, s[0:1], 0x38
	v_lshrrev_b32_e32 v147, 6, v8
	v_and_b32_e32 v11, 63, v8
	s_lshl_b32 s18, s8, 7
	v_min_i32_e32 v6, s28, v147
	v_or_b32_e32 v128, s18, v11
	s_waitcnt lgkmcnt(0)
	v_mad_i64_i32 v[6:7], s[6:7], s29, v6, 0
	v_cmp_le_i32_e32 vcc, s74, v147
	v_cmp_le_i32_e64 s[6:7], s73, v128
	s_or_b64 s[8:9], s[6:7], vcc
	s_or_b64 s[8:9], s[12:13], s[8:9]
	v_lshl_add_u64 v[8:9], v[6:7], 3, s[24:25]
	s_xor_b64 s[26:27], s[8:9], -1
	v_ashrrev_i32_e32 v129, 31, v128
	s_and_saveexec_b64 s[8:9], s[26:27]
	s_cbranch_execz .LBB203_14
; %bb.13:
	v_lshl_add_u64 v[0:1], v[128:129], 3, v[8:9]
	flat_load_dwordx2 v[0:1], v[0:1]
	s_waitcnt vmcnt(0) lgkmcnt(0)
	v_mul_f64 v[0:1], v[0:1], s[16:17]
.LBB203_14:
	s_or_b64 exec, exec, s[8:9]
	v_or_b32_e32 v6, 64, v128
	v_cmp_le_i32_e64 s[8:9], s73, v6
	s_or_b64 s[26:27], s[8:9], vcc
	s_or_b64 s[26:27], s[12:13], s[26:27]
	v_mov_b64_e32 v[130:131], 0
	s_xor_b64 s[34:35], s[26:27], -1
	v_mov_b64_e32 v[6:7], v[130:131]
	s_and_saveexec_b64 s[26:27], s[34:35]
	s_cbranch_execz .LBB203_16
; %bb.15:
	v_lshl_add_u64 v[6:7], v[128:129], 3, v[8:9]
	flat_load_dwordx2 v[6:7], v[6:7] offset:512
	s_waitcnt vmcnt(0) lgkmcnt(0)
	v_mul_f64 v[6:7], v[6:7], s[16:17]
.LBB203_16:
	s_or_b64 exec, exec, s[26:27]
	v_or_b32_e32 v8, 4, v146
	v_cmp_le_i32_e32 vcc, s74, v8
	v_min_i32_e32 v8, s28, v8
	s_or_b64 s[26:27], vcc, s[10:11]
	v_ashrrev_i32_e32 v9, 31, v8
	s_or_b64 s[26:27], s[12:13], s[26:27]
	v_lshl_add_u64 v[8:9], v[8:9], 3, s[22:23]
	s_xor_b64 s[34:35], s[26:27], -1
	s_and_saveexec_b64 s[26:27], s[34:35]
	s_cbranch_execz .LBB203_18
; %bb.17:
	v_mad_i64_i32 v[12:13], s[34:35], v138, s31, 0
	v_lshl_add_u64 v[12:13], v[12:13], 3, v[8:9]
	flat_load_dwordx2 v[12:13], v[12:13]
	s_waitcnt vmcnt(0) lgkmcnt(0)
	v_mul_f64 v[130:131], v[12:13], s[16:17]
.LBB203_18:
	s_or_b64 exec, exec, s[26:27]
	s_or_b64 s[26:27], vcc, s[4:5]
	s_or_b64 s[26:27], s[12:13], s[26:27]
	v_mov_b64_e32 v[132:133], 0
	s_xor_b64 s[34:35], s[26:27], -1
	v_mov_b64_e32 v[134:135], v[132:133]
	s_and_saveexec_b64 s[26:27], s[34:35]
	s_cbranch_execz .LBB203_20
; %bb.19:
	v_mad_i64_i32 v[12:13], s[34:35], v139, s31, 0
	v_lshl_add_u64 v[8:9], v[12:13], 3, v[8:9]
	flat_load_dwordx2 v[8:9], v[8:9]
	s_waitcnt vmcnt(0) lgkmcnt(0)
	v_mul_f64 v[134:135], v[8:9], s[16:17]
.LBB203_20:
	s_or_b64 exec, exec, s[26:27]
	v_add_u32_e32 v8, 4, v147
	v_cmp_le_i32_e32 vcc, s74, v8
	v_min_i32_e32 v8, s28, v8
	v_mad_i64_i32 v[8:9], s[26:27], s29, v8, 0
	s_or_b64 s[26:27], s[6:7], vcc
	s_or_b64 s[26:27], s[12:13], s[26:27]
	v_lshl_add_u64 v[8:9], v[8:9], 3, s[24:25]
	s_xor_b64 s[34:35], s[26:27], -1
	s_and_saveexec_b64 s[26:27], s[34:35]
	s_cbranch_execz .LBB203_22
; %bb.21:
	v_lshl_add_u64 v[12:13], v[128:129], 3, v[8:9]
	flat_load_dwordx2 v[12:13], v[12:13]
	s_waitcnt vmcnt(0) lgkmcnt(0)
	v_mul_f64 v[132:133], v[12:13], s[16:17]
.LBB203_22:
	s_or_b64 exec, exec, s[26:27]
	s_or_b64 s[26:27], s[8:9], vcc
	s_or_b64 s[26:27], s[12:13], s[26:27]
	v_mov_b64_e32 v[126:127], 0
	s_xor_b64 s[34:35], s[26:27], -1
	v_mov_b64_e32 v[136:137], v[126:127]
	s_and_saveexec_b64 s[26:27], s[34:35]
	s_cbranch_execz .LBB203_24
; %bb.23:
	v_lshl_add_u64 v[8:9], v[128:129], 3, v[8:9]
	flat_load_dwordx2 v[8:9], v[8:9] offset:512
	s_waitcnt vmcnt(0) lgkmcnt(0)
	v_mul_f64 v[136:137], v[8:9], s[16:17]
.LBB203_24:
	s_or_b64 exec, exec, s[26:27]
	v_lshlrev_b32_e32 v8, 3, v146
	v_lshl_or_b32 v148, v10, 5, v8
	ds_write2st64_b64 v148, v[2:3], v[4:5] offset1:4
	v_lshlrev_b32_e32 v2, 5, v11
	v_lshl_add_u32 v141, v147, 3, v2
	v_lshlrev_b32_e32 v140, 5, v145
	v_or_b32_e32 v149, 0x2000, v141
	ds_write2st64_b64 v141, v[0:1], v[6:7] offset0:16 offset1:20
	v_lshlrev_b32_e32 v150, 5, v144
	v_add_u32_e32 v151, 0x2000, v140
	s_mov_b32 s26, 0
	v_mov_b64_e32 v[124:125], v[126:127]
	v_mov_b64_e32 v[122:123], v[126:127]
	;; [unrolled: 1-line block ×63, first 2 shown]
	s_waitcnt lgkmcnt(0)
	s_barrier
.LBB203_25:                             ; =>This Inner Loop Header: Depth=1
	v_add_u32_e32 v142, s26, v150
	v_add_u32_e32 v143, s26, v151
	ds_read2_b64 v[152:155], v142 offset1:16
	ds_read2_b64 v[156:159], v142 offset0:32 offset1:48
	ds_read2_b64 v[160:163], v142 offset0:64 offset1:80
	;; [unrolled: 1-line block ×7, first 2 shown]
	ds_read2st64_b64 v[184:187], v143 offset1:4
	v_add_u32_e32 v142, 0x800, v142
	ds_read2_b64 v[188:191], v142 offset1:16
	ds_read2_b64 v[192:195], v142 offset0:32 offset1:48
	ds_read2_b64 v[196:199], v142 offset0:64 offset1:80
	;; [unrolled: 1-line block ×7, first 2 shown]
	s_waitcnt lgkmcnt(14)
	v_max_f64 v[142:143], v[152:153], v[152:153]
	v_max_f64 v[152:153], v[154:155], v[154:155]
	;; [unrolled: 1-line block ×6, first 2 shown]
	s_waitcnt lgkmcnt(13)
	v_max_f64 v[162:163], v[164:165], v[164:165]
	v_max_f64 v[164:165], v[166:167], v[166:167]
	s_waitcnt lgkmcnt(12)
	v_max_f64 v[166:167], v[168:169], v[168:169]
	v_max_f64 v[168:169], v[170:171], v[170:171]
	;; [unrolled: 3-line block ×14, first 2 shown]
	v_min_f64 v[218:219], v[142:143], v[182:183]
	v_min_f64 v[220:221], v[152:153], v[182:183]
	;; [unrolled: 1-line block ×32, first 2 shown]
	s_add_i32 s26, s26, 8
	v_add_f64 v[62:63], v[142:143], v[62:63]
	v_add_f64 v[60:61], v[152:153], v[60:61]
	;; [unrolled: 1-line block ×16, first 2 shown]
	v_min_f64 v[142:143], v[186:187], v[182:183]
	v_min_f64 v[152:153], v[188:189], v[182:183]
	;; [unrolled: 1-line block ×32, first 2 shown]
	s_cmp_eq_u32 s26, 32
	v_add_f64 v[126:127], v[218:219], v[126:127]
	v_add_f64 v[124:125], v[220:221], v[124:125]
	;; [unrolled: 1-line block ×48, first 2 shown]
	s_cbranch_scc0 .LBB203_25
; %bb.26:
	s_cmp_gt_i32 s74, 8
	ds_write2st64_b64 v148, v[130:131], v[134:135] offset0:8 offset1:12
	ds_write2st64_b64 v141, v[132:133], v[136:137] offset0:24 offset1:28
	s_waitcnt lgkmcnt(0)
	s_barrier
	s_cbranch_scc1 .LBB203_28
; %bb.27:
	v_add_u32_e32 v152, 0x1000, v150
	v_add_u32_e32 v153, 0x3000, v140
	s_cbranch_execz .LBB203_29
	s_branch .LBB203_51
.LBB203_28:
                                        ; implicit-def: $vgpr152
                                        ; implicit-def: $vgpr153
.LBB203_29:
	v_add_u32_e32 v154, 0x1000, v148
	v_or_b32_e32 v155, 0x3000, v141
	s_add_i32 s30, s74, -8
	v_mad_i64_i32 v[130:131], s[26:27], v138, s31, 0
	v_mad_i64_i32 v[132:133], s[26:27], v139, s31, 0
	v_add_u32_e32 v152, 0x1000, v150
	v_add_u32_e32 v153, 0x3000, v140
	s_mov_b32 s31, 8
	s_mov_b32 s33, 0
.LBB203_30:                             ; =>This Loop Header: Depth=1
                                        ;     Child Loop BB203_39 Depth 2
                                        ;     Child Loop BB203_49 Depth 2
	v_or_b32_e32 v156, s31, v146
	v_cmp_le_i32_e32 vcc, s74, v156
	v_min_i32_e32 v134, s28, v156
	v_ashrrev_i32_e32 v135, 31, v134
	s_or_b64 s[26:27], s[10:11], vcc
	v_lshl_add_u64 v[138:139], v[134:135], 3, s[22:23]
	s_or_b64 s[26:27], s[12:13], s[26:27]
	v_mov_b64_e32 v[134:135], 0
	s_xor_b64 s[34:35], s[26:27], -1
	v_mov_b64_e32 v[136:137], v[134:135]
	s_and_saveexec_b64 s[26:27], s[34:35]
	s_cbranch_execz .LBB203_32
; %bb.31:                               ;   in Loop: Header=BB203_30 Depth=1
	v_lshl_add_u64 v[136:137], v[130:131], 3, v[138:139]
	flat_load_dwordx2 v[136:137], v[136:137]
	s_waitcnt vmcnt(0) lgkmcnt(0)
	v_mul_f64 v[136:137], v[136:137], s[16:17]
.LBB203_32:                             ;   in Loop: Header=BB203_30 Depth=1
	s_or_b64 exec, exec, s[26:27]
	s_or_b64 s[26:27], s[4:5], vcc
	s_or_b64 s[26:27], s[12:13], s[26:27]
	s_xor_b64 s[34:35], s[26:27], -1
	s_and_saveexec_b64 s[26:27], s[34:35]
	s_cbranch_execz .LBB203_34
; %bb.33:                               ;   in Loop: Header=BB203_30 Depth=1
	v_lshl_add_u64 v[134:135], v[132:133], 3, v[138:139]
	flat_load_dwordx2 v[134:135], v[134:135]
	s_waitcnt vmcnt(0) lgkmcnt(0)
	v_mul_f64 v[134:135], v[134:135], s[16:17]
.LBB203_34:                             ;   in Loop: Header=BB203_30 Depth=1
	s_or_b64 exec, exec, s[26:27]
	v_add_u32_e32 v138, s31, v147
	v_cmp_le_i32_e32 vcc, s74, v138
	v_min_i32_e32 v138, s28, v138
	v_mad_i64_i32 v[138:139], s[26:27], v138, s29, 0
	s_or_b64 s[26:27], s[6:7], vcc
	v_lshl_add_u64 v[140:141], v[138:139], 3, s[24:25]
	s_or_b64 s[26:27], s[12:13], s[26:27]
	v_mov_b64_e32 v[138:139], 0
	s_xor_b64 s[34:35], s[26:27], -1
	v_lshl_add_u64 v[142:143], v[128:129], 3, v[140:141]
	v_mov_b64_e32 v[140:141], v[138:139]
	s_and_saveexec_b64 s[26:27], s[34:35]
	s_cbranch_execz .LBB203_36
; %bb.35:                               ;   in Loop: Header=BB203_30 Depth=1
	flat_load_dwordx2 v[140:141], v[142:143]
	s_waitcnt vmcnt(0) lgkmcnt(0)
	v_mul_f64 v[140:141], v[140:141], s[16:17]
.LBB203_36:                             ;   in Loop: Header=BB203_30 Depth=1
	s_or_b64 exec, exec, s[26:27]
	s_or_b64 s[26:27], s[8:9], vcc
	s_or_b64 s[26:27], s[12:13], s[26:27]
	s_xor_b64 s[34:35], s[26:27], -1
	s_and_saveexec_b64 s[26:27], s[34:35]
	s_cbranch_execz .LBB203_38
; %bb.37:                               ;   in Loop: Header=BB203_30 Depth=1
	flat_load_dwordx2 v[138:139], v[142:143] offset:512
	s_waitcnt vmcnt(0) lgkmcnt(0)
	v_mul_f64 v[138:139], v[138:139], s[16:17]
.LBB203_38:                             ;   in Loop: Header=BB203_30 Depth=1
	s_or_b64 exec, exec, s[26:27]
	s_mov_b32 s26, 0
.LBB203_39:                             ;   Parent Loop BB203_30 Depth=1
                                        ; =>  This Inner Loop Header: Depth=2
	v_add_u32_e32 v142, s26, v152
	ds_read2_b64 v[158:161], v142 offset1:16
	ds_read2_b64 v[162:165], v142 offset0:32 offset1:48
	ds_read2_b64 v[166:169], v142 offset0:64 offset1:80
	ds_read2_b64 v[170:173], v142 offset0:96 offset1:112
	ds_read2_b64 v[174:177], v142 offset0:128 offset1:144
	ds_read2_b64 v[178:181], v142 offset0:160 offset1:176
	ds_read2_b64 v[182:185], v142 offset0:192 offset1:208
	ds_read2_b64 v[186:189], v142 offset0:224 offset1:240
	v_add_u32_e32 v142, 0x800, v142
	ds_read2_b64 v[190:193], v142 offset1:16
	ds_read2_b64 v[194:197], v142 offset0:32 offset1:48
	ds_read2_b64 v[198:201], v142 offset0:64 offset1:80
	;; [unrolled: 1-line block ×7, first 2 shown]
	v_add_u32_e32 v142, s26, v153
	ds_read2st64_b64 v[222:225], v142 offset1:4
	s_waitcnt lgkmcnt(14)
	v_max_f64 v[158:159], v[158:159], v[158:159]
	v_max_f64 v[160:161], v[160:161], v[160:161]
	;; [unrolled: 1-line block ×4, first 2 shown]
	s_waitcnt lgkmcnt(0)
	v_max_f64 v[142:143], v[222:223], v[222:223]
	v_min_f64 v[222:223], v[158:159], v[142:143]
	v_add_f64 v[126:127], v[222:223], v[126:127]
	v_min_f64 v[222:223], v[160:161], v[142:143]
	v_add_f64 v[124:125], v[222:223], v[124:125]
	;; [unrolled: 2-line block ×3, first 2 shown]
	v_min_f64 v[222:223], v[164:165], v[142:143]
	v_max_f64 v[166:167], v[166:167], v[166:167]
	v_add_f64 v[120:121], v[222:223], v[120:121]
	v_min_f64 v[222:223], v[166:167], v[142:143]
	v_max_f64 v[168:169], v[168:169], v[168:169]
	v_add_f64 v[118:119], v[222:223], v[118:119]
	;; [unrolled: 3-line block ×26, first 2 shown]
	v_min_f64 v[222:223], v[216:217], v[142:143]
	v_max_f64 v[218:219], v[218:219], v[218:219]
	v_max_f64 v[220:221], v[220:221], v[220:221]
	v_add_f64 v[68:69], v[222:223], v[68:69]
	v_min_f64 v[222:223], v[218:219], v[142:143]
	v_min_f64 v[142:143], v[220:221], v[142:143]
	v_add_f64 v[64:65], v[142:143], v[64:65]
	v_max_f64 v[142:143], v[224:225], v[224:225]
	v_min_f64 v[158:159], v[158:159], v[142:143]
	v_add_f64 v[62:63], v[158:159], v[62:63]
	v_min_f64 v[158:159], v[160:161], v[142:143]
	v_add_f64 v[60:61], v[158:159], v[60:61]
	;; [unrolled: 2-line block ×30, first 2 shown]
	v_min_f64 v[158:159], v[218:219], v[142:143]
	v_min_f64 v[142:143], v[220:221], v[142:143]
	s_add_i32 s26, s26, 8
	v_add_f64 v[66:67], v[222:223], v[66:67]
	v_add_f64 v[2:3], v[158:159], v[2:3]
	;; [unrolled: 1-line block ×3, first 2 shown]
	s_cmp_eq_u32 s26, 32
	s_cbranch_scc0 .LBB203_39
; %bb.40:                               ;   in Loop: Header=BB203_30 Depth=1
	ds_write2st64_b64 v148, v[136:137], v[134:135] offset1:4
	ds_write2st64_b64 v149, v[140:141], v[138:139] offset1:4
	v_or_b32_e32 v134, 4, v156
	v_cmp_le_i32_e32 vcc, s74, v134
	v_min_i32_e32 v134, s28, v134
	v_ashrrev_i32_e32 v135, 31, v134
	s_or_b64 s[26:27], s[10:11], vcc
	v_lshl_add_u64 v[138:139], v[134:135], 3, s[22:23]
	s_or_b64 s[26:27], s[12:13], s[26:27]
	v_mov_b64_e32 v[134:135], 0
	s_xor_b64 s[34:35], s[26:27], -1
	v_mov_b64_e32 v[136:137], v[134:135]
	s_waitcnt lgkmcnt(0)
	s_barrier
	s_and_saveexec_b64 s[26:27], s[34:35]
	s_cbranch_execz .LBB203_42
; %bb.41:                               ;   in Loop: Header=BB203_30 Depth=1
	v_lshl_add_u64 v[136:137], v[130:131], 3, v[138:139]
	flat_load_dwordx2 v[136:137], v[136:137]
	s_waitcnt vmcnt(0) lgkmcnt(0)
	v_mul_f64 v[136:137], v[136:137], s[16:17]
.LBB203_42:                             ;   in Loop: Header=BB203_30 Depth=1
	s_or_b64 exec, exec, s[26:27]
	s_or_b64 s[26:27], s[4:5], vcc
	s_or_b64 s[26:27], s[12:13], s[26:27]
	s_xor_b64 s[34:35], s[26:27], -1
	s_and_saveexec_b64 s[26:27], s[34:35]
	s_cbranch_execz .LBB203_44
; %bb.43:                               ;   in Loop: Header=BB203_30 Depth=1
	v_lshl_add_u64 v[134:135], v[132:133], 3, v[138:139]
	flat_load_dwordx2 v[134:135], v[134:135]
	s_waitcnt vmcnt(0) lgkmcnt(0)
	v_mul_f64 v[134:135], v[134:135], s[16:17]
.LBB203_44:                             ;   in Loop: Header=BB203_30 Depth=1
	s_or_b64 exec, exec, s[26:27]
	v_add3_u32 v138, v147, s31, 4
	v_cmp_le_i32_e32 vcc, s74, v138
	v_min_i32_e32 v138, s28, v138
	v_mad_i64_i32 v[138:139], s[26:27], v138, s29, 0
	s_or_b64 s[26:27], s[6:7], vcc
	v_lshl_add_u64 v[140:141], v[138:139], 3, s[24:25]
	s_or_b64 s[26:27], s[12:13], s[26:27]
	v_mov_b64_e32 v[138:139], 0
	s_xor_b64 s[34:35], s[26:27], -1
	v_lshl_add_u64 v[142:143], v[128:129], 3, v[140:141]
	v_mov_b64_e32 v[140:141], v[138:139]
	s_and_saveexec_b64 s[26:27], s[34:35]
	s_cbranch_execz .LBB203_46
; %bb.45:                               ;   in Loop: Header=BB203_30 Depth=1
	flat_load_dwordx2 v[140:141], v[142:143]
	s_waitcnt vmcnt(0) lgkmcnt(0)
	v_mul_f64 v[140:141], v[140:141], s[16:17]
.LBB203_46:                             ;   in Loop: Header=BB203_30 Depth=1
	s_or_b64 exec, exec, s[26:27]
	s_or_b64 s[26:27], s[8:9], vcc
	s_or_b64 s[26:27], s[12:13], s[26:27]
	s_xor_b64 s[34:35], s[26:27], -1
	s_and_saveexec_b64 s[26:27], s[34:35]
	s_cbranch_execz .LBB203_48
; %bb.47:                               ;   in Loop: Header=BB203_30 Depth=1
	flat_load_dwordx2 v[138:139], v[142:143] offset:512
	s_waitcnt vmcnt(0) lgkmcnt(0)
	v_mul_f64 v[138:139], v[138:139], s[16:17]
.LBB203_48:                             ;   in Loop: Header=BB203_30 Depth=1
	s_or_b64 exec, exec, s[26:27]
	s_mov_b32 s26, 0
.LBB203_49:                             ;   Parent Loop BB203_30 Depth=1
                                        ; =>  This Inner Loop Header: Depth=2
	v_add_u32_e32 v142, s26, v150
	v_add_u32_e32 v143, s26, v151
	ds_read2_b64 v[156:159], v142 offset1:16
	ds_read2_b64 v[160:163], v142 offset0:32 offset1:48
	ds_read2_b64 v[164:167], v142 offset0:64 offset1:80
	;; [unrolled: 1-line block ×7, first 2 shown]
	v_add_u32_e32 v142, 0x800, v142
	ds_read2st64_b64 v[188:191], v143 offset1:4
	ds_read2_b64 v[192:195], v142 offset1:16
	ds_read2_b64 v[196:199], v142 offset0:32 offset1:48
	ds_read2_b64 v[200:203], v142 offset0:64 offset1:80
	;; [unrolled: 1-line block ×7, first 2 shown]
	s_waitcnt lgkmcnt(14)
	v_max_f64 v[156:157], v[156:157], v[156:157]
	v_max_f64 v[158:159], v[158:159], v[158:159]
	;; [unrolled: 1-line block ×3, first 2 shown]
	s_waitcnt lgkmcnt(8)
	v_max_f64 v[142:143], v[188:189], v[188:189]
	v_max_f64 v[162:163], v[162:163], v[162:163]
	;; [unrolled: 1-line block ×15, first 2 shown]
	v_min_f64 v[190:191], v[156:157], v[142:143]
	v_min_f64 v[224:225], v[158:159], v[142:143]
	;; [unrolled: 1-line block ×16, first 2 shown]
	s_waitcnt lgkmcnt(7)
	v_max_f64 v[192:193], v[192:193], v[192:193]
	v_max_f64 v[194:195], v[194:195], v[194:195]
	s_waitcnt lgkmcnt(6)
	v_max_f64 v[196:197], v[196:197], v[196:197]
	v_max_f64 v[198:199], v[198:199], v[198:199]
	s_waitcnt lgkmcnt(5)
	v_max_f64 v[200:201], v[200:201], v[200:201]
	v_max_f64 v[202:203], v[202:203], v[202:203]
	s_waitcnt lgkmcnt(4)
	v_max_f64 v[204:205], v[204:205], v[204:205]
	v_max_f64 v[206:207], v[206:207], v[206:207]
	s_waitcnt lgkmcnt(3)
	v_max_f64 v[208:209], v[208:209], v[208:209]
	v_max_f64 v[210:211], v[210:211], v[210:211]
	s_waitcnt lgkmcnt(2)
	v_max_f64 v[212:213], v[212:213], v[212:213]
	v_max_f64 v[214:215], v[214:215], v[214:215]
	s_waitcnt lgkmcnt(1)
	v_max_f64 v[216:217], v[216:217], v[216:217]
	v_max_f64 v[218:219], v[218:219], v[218:219]
	s_waitcnt lgkmcnt(0)
	v_max_f64 v[220:221], v[220:221], v[220:221]
	v_max_f64 v[222:223], v[222:223], v[222:223]
	v_min_f64 v[156:157], v[156:157], v[188:189]
	v_min_f64 v[158:159], v[158:159], v[188:189]
	;; [unrolled: 1-line block ×16, first 2 shown]
	s_add_i32 s26, s26, 8
	v_add_f64 v[126:127], v[190:191], v[126:127]
	v_add_f64 v[124:125], v[224:225], v[124:125]
	v_add_f64 v[122:123], v[226:227], v[122:123]
	v_add_f64 v[120:121], v[228:229], v[120:121]
	v_add_f64 v[118:119], v[230:231], v[118:119]
	v_add_f64 v[116:117], v[232:233], v[116:117]
	v_add_f64 v[114:115], v[234:235], v[114:115]
	v_add_f64 v[112:113], v[236:237], v[112:113]
	v_add_f64 v[110:111], v[238:239], v[110:111]
	v_add_f64 v[108:109], v[240:241], v[108:109]
	v_add_f64 v[106:107], v[242:243], v[106:107]
	v_add_f64 v[104:105], v[244:245], v[104:105]
	v_add_f64 v[102:103], v[246:247], v[102:103]
	v_add_f64 v[100:101], v[248:249], v[100:101]
	v_add_f64 v[98:99], v[250:251], v[98:99]
	v_min_f64 v[190:191], v[192:193], v[142:143]
	v_min_f64 v[224:225], v[194:195], v[142:143]
	;; [unrolled: 1-line block ×16, first 2 shown]
	v_add_f64 v[62:63], v[156:157], v[62:63]
	v_add_f64 v[60:61], v[158:159], v[60:61]
	;; [unrolled: 1-line block ×16, first 2 shown]
	v_min_f64 v[156:157], v[192:193], v[188:189]
	v_min_f64 v[158:159], v[194:195], v[188:189]
	;; [unrolled: 1-line block ×16, first 2 shown]
	s_cmp_eq_u32 s26, 32
	v_add_f64 v[96:97], v[252:253], v[96:97]
	v_add_f64 v[94:95], v[190:191], v[94:95]
	;; [unrolled: 1-line block ×33, first 2 shown]
	s_cbranch_scc0 .LBB203_49
; %bb.50:                               ;   in Loop: Header=BB203_30 Depth=1
	s_add_i32 s31, s31, 8
	s_add_i32 s33, s33, 8
	s_cmp_ge_i32 s33, s30
	ds_write2st64_b64 v154, v[136:137], v[134:135] offset1:4
	ds_write2st64_b64 v155, v[140:141], v[138:139] offset1:4
	s_waitcnt lgkmcnt(0)
	s_barrier
	s_cbranch_scc0 .LBB203_30
.LBB203_51:
	s_mov_b32 s4, 0
.LBB203_52:                             ; =>This Inner Loop Header: Depth=1
	v_add_u32_e32 v150, s4, v152
	v_add_u32_e32 v151, s4, v153
	ds_read2_b64 v[128:131], v150 offset1:16
	ds_read2_b64 v[132:135], v150 offset0:32 offset1:48
	ds_read2_b64 v[136:139], v150 offset0:64 offset1:80
	;; [unrolled: 1-line block ×7, first 2 shown]
	v_add_u32_e32 v150, 0x800, v150
	ds_read2st64_b64 v[166:169], v151 offset1:4
	ds_read2_b64 v[170:173], v150 offset1:16
	ds_read2_b64 v[174:177], v150 offset0:32 offset1:48
	ds_read2_b64 v[178:181], v150 offset0:64 offset1:80
	;; [unrolled: 1-line block ×7, first 2 shown]
	s_waitcnt lgkmcnt(14)
	v_max_f64 v[128:129], v[128:129], v[128:129]
	v_max_f64 v[130:131], v[130:131], v[130:131]
	;; [unrolled: 1-line block ×3, first 2 shown]
	s_waitcnt lgkmcnt(8)
	v_max_f64 v[150:151], v[166:167], v[166:167]
	v_max_f64 v[134:135], v[134:135], v[134:135]
	;; [unrolled: 1-line block ×15, first 2 shown]
	v_min_f64 v[168:169], v[128:129], v[150:151]
	v_min_f64 v[202:203], v[130:131], v[150:151]
	;; [unrolled: 1-line block ×16, first 2 shown]
	s_waitcnt lgkmcnt(7)
	v_max_f64 v[170:171], v[170:171], v[170:171]
	v_max_f64 v[172:173], v[172:173], v[172:173]
	s_waitcnt lgkmcnt(6)
	v_max_f64 v[174:175], v[174:175], v[174:175]
	v_max_f64 v[176:177], v[176:177], v[176:177]
	;; [unrolled: 3-line block ×8, first 2 shown]
	v_min_f64 v[128:129], v[128:129], v[166:167]
	v_min_f64 v[130:131], v[130:131], v[166:167]
	;; [unrolled: 1-line block ×16, first 2 shown]
	s_add_i32 s4, s4, 8
	v_add_f64 v[126:127], v[168:169], v[126:127]
	v_add_f64 v[124:125], v[202:203], v[124:125]
	;; [unrolled: 1-line block ×15, first 2 shown]
	v_min_f64 v[168:169], v[170:171], v[150:151]
	v_min_f64 v[202:203], v[172:173], v[150:151]
	v_min_f64 v[204:205], v[174:175], v[150:151]
	v_min_f64 v[206:207], v[176:177], v[150:151]
	v_min_f64 v[208:209], v[178:179], v[150:151]
	v_min_f64 v[210:211], v[180:181], v[150:151]
	v_min_f64 v[212:213], v[182:183], v[150:151]
	v_min_f64 v[214:215], v[184:185], v[150:151]
	v_min_f64 v[216:217], v[186:187], v[150:151]
	v_min_f64 v[218:219], v[188:189], v[150:151]
	v_min_f64 v[220:221], v[190:191], v[150:151]
	v_min_f64 v[222:223], v[192:193], v[150:151]
	v_min_f64 v[224:225], v[194:195], v[150:151]
	v_min_f64 v[226:227], v[196:197], v[150:151]
	v_min_f64 v[228:229], v[198:199], v[150:151]
	v_min_f64 v[150:151], v[200:201], v[150:151]
	v_add_f64 v[62:63], v[128:129], v[62:63]
	v_add_f64 v[60:61], v[130:131], v[60:61]
	;; [unrolled: 1-line block ×16, first 2 shown]
	v_min_f64 v[128:129], v[170:171], v[166:167]
	v_min_f64 v[130:131], v[172:173], v[166:167]
	;; [unrolled: 1-line block ×16, first 2 shown]
	s_cmp_eq_u32 s4, 32
	v_add_f64 v[96:97], v[230:231], v[96:97]
	v_add_f64 v[94:95], v[168:169], v[94:95]
	;; [unrolled: 1-line block ×33, first 2 shown]
	s_cbranch_scc0 .LBB203_52
; %bb.53:
	s_load_dwordx2 s[4:5], s[0:1], 0x78
	s_load_dword s78, s[0:1], 0x58
	s_load_dword s33, s[0:1], 0x70
	v_add_u32_e32 v136, s18, v145
	v_add_u32_e32 v128, s2, v144
	s_waitcnt lgkmcnt(0)
	s_mul_i32 s0, s3, s5
	s_mul_hi_u32 s1, s3, s4
	s_mul_i32 s5, s19, s4
	s_add_i32 s0, s1, s0
	s_add_i32 s1, s0, s5
	s_mul_i32 s0, s3, s4
	s_lshl_b64 s[0:1], s[0:1], 3
	s_add_u32 s74, s14, s0
	s_addc_u32 s75, s15, s1
	v_mad_i64_i32 v[130:131], s[0:1], v136, s78, 0
	v_cmp_gt_i32_e64 s[24:25], s73, v136
	v_lshl_add_u64 v[132:133], v[130:131], 3, s[76:77]
	v_mad_i64_i32 v[130:131], s[0:1], v136, s33, 0
	v_cmp_gt_i32_e64 s[2:3], s72, v128
	v_cndmask_b32_e64 v134, 0, 1, s[20:21]
	v_lshl_add_u64 v[130:131], v[130:131], 3, s[74:75]
	s_and_b64 s[6:7], s[24:25], s[2:3]
	v_ashrrev_i32_e32 v129, 31, v128
	v_cmp_ne_u32_e64 s[0:1], 1, v134
	s_and_saveexec_b64 s[4:5], s[6:7]
	s_cbranch_execz .LBB203_58
; %bb.54:
	s_and_b64 vcc, exec, s[0:1]
	s_cbranch_vccnz .LBB203_56
; %bb.55:
	v_lshl_add_u64 v[134:135], v[128:129], 3, v[132:133]
	flat_load_dwordx2 v[134:135], v[134:135]
	s_waitcnt vmcnt(0) lgkmcnt(0)
	v_mul_f64 v[134:135], v[134:135], s[70:71]
	s_branch .LBB203_57
.LBB203_56:
	v_mov_b64_e32 v[134:135], 0
.LBB203_57:
	v_add_f64 v[126:127], v[126:127], v[134:135]
	v_lshl_add_u64 v[134:135], v[128:129], 3, v[130:131]
	global_store_dwordx2 v[134:135], v[126:127], off
.LBB203_58:
	s_or_b64 exec, exec, s[4:5]
	v_add_u32_e32 v126, 4, v128
	v_cmp_gt_i32_e64 s[4:5], s72, v126
	s_and_b64 s[8:9], s[24:25], s[4:5]
	v_ashrrev_i32_e32 v127, 31, v126
	s_and_saveexec_b64 s[6:7], s[8:9]
	s_cbranch_execz .LBB203_63
; %bb.59:
	s_and_b64 vcc, exec, s[0:1]
	s_cbranch_vccnz .LBB203_61
; %bb.60:
	v_lshl_add_u64 v[134:135], v[126:127], 3, v[132:133]
	flat_load_dwordx2 v[134:135], v[134:135]
	s_waitcnt vmcnt(0) lgkmcnt(0)
	v_mul_f64 v[134:135], v[134:135], s[70:71]
	s_branch .LBB203_62
.LBB203_61:
	v_mov_b64_e32 v[134:135], 0
.LBB203_62:
	v_add_f64 v[124:125], v[124:125], v[134:135]
	v_lshl_add_u64 v[134:135], v[126:127], 3, v[130:131]
	global_store_dwordx2 v[134:135], v[124:125], off
.LBB203_63:
	s_or_b64 exec, exec, s[6:7]
	v_add_u32_e32 v124, 8, v128
	v_cmp_gt_i32_e64 s[6:7], s72, v124
	s_and_b64 s[10:11], s[24:25], s[6:7]
	v_ashrrev_i32_e32 v125, 31, v124
	;; [unrolled: 23-line block ×31, first 2 shown]
	s_and_saveexec_b64 s[24:25], s[80:81]
	s_cbranch_execz .LBB203_213
; %bb.209:
	s_and_b64 vcc, exec, s[0:1]
	s_cbranch_vccnz .LBB203_211
; %bb.210:
	v_lshl_add_u64 v[132:133], v[66:67], 3, v[132:133]
	flat_load_dwordx2 v[132:133], v[132:133]
	s_waitcnt vmcnt(0) lgkmcnt(0)
	v_mul_f64 v[132:133], v[132:133], s[70:71]
	s_branch .LBB203_212
.LBB203_211:
	v_mov_b64_e32 v[132:133], 0
.LBB203_212:
	v_add_f64 v[64:65], v[64:65], v[132:133]
	v_lshl_add_u64 v[130:131], v[66:67], 3, v[130:131]
	global_store_dwordx2 v[130:131], v[64:65], off
.LBB203_213:
	s_or_b64 exec, exec, s[24:25]
	v_add_u32_e32 v132, 64, v136
	v_cmp_gt_i32_e64 s[24:25], s73, v132
	v_mad_i64_i32 v[64:65], s[72:73], v132, s78, 0
	v_lshl_add_u64 v[130:131], v[64:65], 3, s[76:77]
	v_mad_i64_i32 v[64:65], s[72:73], v132, s33, 0
	v_lshl_add_u64 v[64:65], v[64:65], 3, s[74:75]
	s_and_b64 s[2:3], s[24:25], s[2:3]
	s_and_saveexec_b64 s[72:73], s[2:3]
	s_xor_b64 s[2:3], exec, s[72:73]
	s_cbranch_execnz .LBB203_246
; %bb.214:
	s_or_b64 exec, exec, s[2:3]
	s_and_b64 s[4:5], s[24:25], s[4:5]
	s_and_saveexec_b64 s[2:3], s[4:5]
	s_cbranch_execnz .LBB203_250
.LBB203_215:
	s_or_b64 exec, exec, s[2:3]
	s_and_b64 s[4:5], s[24:25], s[6:7]
	s_and_saveexec_b64 s[2:3], s[4:5]
	s_cbranch_execnz .LBB203_254
.LBB203_216:
	s_or_b64 exec, exec, s[2:3]
	s_and_b64 s[4:5], s[24:25], s[8:9]
	s_and_saveexec_b64 s[2:3], s[4:5]
	s_cbranch_execnz .LBB203_258
.LBB203_217:
	s_or_b64 exec, exec, s[2:3]
	s_and_b64 s[4:5], s[24:25], s[10:11]
	s_and_saveexec_b64 s[2:3], s[4:5]
	s_cbranch_execnz .LBB203_262
.LBB203_218:
	s_or_b64 exec, exec, s[2:3]
	s_and_b64 s[4:5], s[24:25], s[12:13]
	s_and_saveexec_b64 s[2:3], s[4:5]
	s_cbranch_execnz .LBB203_266
.LBB203_219:
	s_or_b64 exec, exec, s[2:3]
	s_and_b64 s[4:5], s[24:25], s[14:15]
	s_and_saveexec_b64 s[2:3], s[4:5]
	s_cbranch_execnz .LBB203_270
.LBB203_220:
	s_or_b64 exec, exec, s[2:3]
	s_and_b64 s[4:5], s[24:25], s[16:17]
	s_and_saveexec_b64 s[2:3], s[4:5]
	s_cbranch_execnz .LBB203_274
.LBB203_221:
	s_or_b64 exec, exec, s[2:3]
	s_and_b64 s[4:5], s[24:25], s[18:19]
	s_and_saveexec_b64 s[2:3], s[4:5]
	s_cbranch_execnz .LBB203_278
.LBB203_222:
	s_or_b64 exec, exec, s[2:3]
	s_and_b64 s[4:5], s[24:25], s[20:21]
	s_and_saveexec_b64 s[2:3], s[4:5]
	s_cbranch_execnz .LBB203_282
.LBB203_223:
	s_or_b64 exec, exec, s[2:3]
	s_and_b64 s[4:5], s[24:25], s[22:23]
	s_and_saveexec_b64 s[2:3], s[4:5]
	s_cbranch_execnz .LBB203_286
.LBB203_224:
	s_or_b64 exec, exec, s[2:3]
	s_and_b64 s[4:5], s[24:25], s[26:27]
	s_and_saveexec_b64 s[2:3], s[4:5]
	s_cbranch_execnz .LBB203_290
.LBB203_225:
	s_or_b64 exec, exec, s[2:3]
	s_and_b64 s[4:5], s[24:25], s[28:29]
	s_and_saveexec_b64 s[2:3], s[4:5]
	s_cbranch_execnz .LBB203_294
.LBB203_226:
	s_or_b64 exec, exec, s[2:3]
	s_and_b64 s[4:5], s[24:25], s[30:31]
	s_and_saveexec_b64 s[2:3], s[4:5]
	s_cbranch_execnz .LBB203_298
.LBB203_227:
	s_or_b64 exec, exec, s[2:3]
	s_and_b64 s[4:5], s[24:25], s[34:35]
	s_and_saveexec_b64 s[2:3], s[4:5]
	s_cbranch_execnz .LBB203_302
.LBB203_228:
	s_or_b64 exec, exec, s[2:3]
	s_and_b64 s[4:5], s[24:25], s[36:37]
	s_and_saveexec_b64 s[2:3], s[4:5]
	s_cbranch_execnz .LBB203_306
.LBB203_229:
	s_or_b64 exec, exec, s[2:3]
	s_and_b64 s[4:5], s[24:25], s[38:39]
	s_and_saveexec_b64 s[2:3], s[4:5]
	s_cbranch_execnz .LBB203_310
.LBB203_230:
	s_or_b64 exec, exec, s[2:3]
	s_and_b64 s[4:5], s[24:25], s[40:41]
	s_and_saveexec_b64 s[2:3], s[4:5]
	s_cbranch_execnz .LBB203_314
.LBB203_231:
	s_or_b64 exec, exec, s[2:3]
	s_and_b64 s[4:5], s[24:25], s[42:43]
	s_and_saveexec_b64 s[2:3], s[4:5]
	s_cbranch_execnz .LBB203_318
.LBB203_232:
	s_or_b64 exec, exec, s[2:3]
	s_and_b64 s[4:5], s[24:25], s[44:45]
	s_and_saveexec_b64 s[2:3], s[4:5]
	s_cbranch_execnz .LBB203_322
.LBB203_233:
	s_or_b64 exec, exec, s[2:3]
	s_and_b64 s[4:5], s[24:25], s[46:47]
	s_and_saveexec_b64 s[2:3], s[4:5]
	s_cbranch_execnz .LBB203_326
.LBB203_234:
	s_or_b64 exec, exec, s[2:3]
	s_and_b64 s[4:5], s[24:25], s[48:49]
	s_and_saveexec_b64 s[2:3], s[4:5]
	s_cbranch_execnz .LBB203_330
.LBB203_235:
	s_or_b64 exec, exec, s[2:3]
	s_and_b64 s[4:5], s[24:25], s[50:51]
	s_and_saveexec_b64 s[2:3], s[4:5]
	s_cbranch_execnz .LBB203_334
.LBB203_236:
	s_or_b64 exec, exec, s[2:3]
	s_and_b64 s[4:5], s[24:25], s[52:53]
	s_and_saveexec_b64 s[2:3], s[4:5]
	s_cbranch_execnz .LBB203_338
.LBB203_237:
	s_or_b64 exec, exec, s[2:3]
	s_and_b64 s[4:5], s[24:25], s[54:55]
	s_and_saveexec_b64 s[2:3], s[4:5]
	s_cbranch_execnz .LBB203_342
.LBB203_238:
	s_or_b64 exec, exec, s[2:3]
	s_and_b64 s[4:5], s[24:25], s[56:57]
	s_and_saveexec_b64 s[2:3], s[4:5]
	s_cbranch_execnz .LBB203_346
.LBB203_239:
	s_or_b64 exec, exec, s[2:3]
	s_and_b64 s[4:5], s[24:25], s[58:59]
	s_and_saveexec_b64 s[2:3], s[4:5]
	s_cbranch_execnz .LBB203_350
.LBB203_240:
	s_or_b64 exec, exec, s[2:3]
	s_and_b64 s[4:5], s[24:25], s[60:61]
	s_and_saveexec_b64 s[2:3], s[4:5]
	s_cbranch_execnz .LBB203_354
.LBB203_241:
	s_or_b64 exec, exec, s[2:3]
	s_and_b64 s[4:5], s[24:25], s[62:63]
	s_and_saveexec_b64 s[2:3], s[4:5]
	s_cbranch_execnz .LBB203_358
.LBB203_242:
	s_or_b64 exec, exec, s[2:3]
	s_and_b64 s[4:5], s[24:25], s[64:65]
	s_and_saveexec_b64 s[2:3], s[4:5]
	s_cbranch_execnz .LBB203_362
.LBB203_243:
	s_or_b64 exec, exec, s[2:3]
	s_and_b64 s[4:5], s[24:25], s[66:67]
	s_and_saveexec_b64 s[2:3], s[4:5]
	s_cbranch_execnz .LBB203_366
.LBB203_244:
	s_or_b64 exec, exec, s[2:3]
	s_and_b64 s[2:3], s[24:25], s[68:69]
	s_and_saveexec_b64 s[4:5], s[2:3]
	s_cbranch_execnz .LBB203_370
.LBB203_245:
	s_endpgm
.LBB203_246:
	s_and_b64 vcc, exec, s[0:1]
	s_cbranch_vccnz .LBB203_248
; %bb.247:
	v_lshl_add_u64 v[132:133], v[128:129], 3, v[130:131]
	flat_load_dwordx2 v[132:133], v[132:133]
	s_waitcnt vmcnt(0) lgkmcnt(0)
	v_mul_f64 v[132:133], v[132:133], s[70:71]
	s_branch .LBB203_249
.LBB203_248:
	v_mov_b64_e32 v[132:133], 0
.LBB203_249:
	v_add_f64 v[62:63], v[62:63], v[132:133]
	v_lshl_add_u64 v[128:129], v[128:129], 3, v[64:65]
	global_store_dwordx2 v[128:129], v[62:63], off
	s_or_b64 exec, exec, s[2:3]
	s_and_b64 s[4:5], s[24:25], s[4:5]
	s_and_saveexec_b64 s[2:3], s[4:5]
	s_cbranch_execz .LBB203_215
.LBB203_250:
	s_and_b64 vcc, exec, s[0:1]
	s_cbranch_vccnz .LBB203_252
; %bb.251:
	v_lshl_add_u64 v[62:63], v[126:127], 3, v[130:131]
	flat_load_dwordx2 v[62:63], v[62:63]
	s_waitcnt vmcnt(0) lgkmcnt(0)
	v_mul_f64 v[62:63], v[62:63], s[70:71]
	s_branch .LBB203_253
.LBB203_252:
	v_mov_b64_e32 v[62:63], 0
.LBB203_253:
	v_add_f64 v[60:61], v[60:61], v[62:63]
	v_lshl_add_u64 v[62:63], v[126:127], 3, v[64:65]
	global_store_dwordx2 v[62:63], v[60:61], off
	s_or_b64 exec, exec, s[2:3]
	s_and_b64 s[4:5], s[24:25], s[6:7]
	s_and_saveexec_b64 s[2:3], s[4:5]
	s_cbranch_execz .LBB203_216
.LBB203_254:
	s_and_b64 vcc, exec, s[0:1]
	s_cbranch_vccnz .LBB203_256
; %bb.255:
	v_lshl_add_u64 v[60:61], v[124:125], 3, v[130:131]
	flat_load_dwordx2 v[60:61], v[60:61]
	s_waitcnt vmcnt(0) lgkmcnt(0)
	v_mul_f64 v[60:61], v[60:61], s[70:71]
	s_branch .LBB203_257
.LBB203_256:
	v_mov_b64_e32 v[60:61], 0
.LBB203_257:
	v_add_f64 v[58:59], v[58:59], v[60:61]
	v_lshl_add_u64 v[60:61], v[124:125], 3, v[64:65]
	global_store_dwordx2 v[60:61], v[58:59], off
	s_or_b64 exec, exec, s[2:3]
	s_and_b64 s[4:5], s[24:25], s[8:9]
	s_and_saveexec_b64 s[2:3], s[4:5]
	s_cbranch_execz .LBB203_217
.LBB203_258:
	s_and_b64 vcc, exec, s[0:1]
	s_cbranch_vccnz .LBB203_260
; %bb.259:
	v_lshl_add_u64 v[58:59], v[122:123], 3, v[130:131]
	flat_load_dwordx2 v[58:59], v[58:59]
	s_waitcnt vmcnt(0) lgkmcnt(0)
	v_mul_f64 v[58:59], v[58:59], s[70:71]
	s_branch .LBB203_261
.LBB203_260:
	v_mov_b64_e32 v[58:59], 0
.LBB203_261:
	v_add_f64 v[56:57], v[56:57], v[58:59]
	v_lshl_add_u64 v[58:59], v[122:123], 3, v[64:65]
	global_store_dwordx2 v[58:59], v[56:57], off
	s_or_b64 exec, exec, s[2:3]
	s_and_b64 s[4:5], s[24:25], s[10:11]
	s_and_saveexec_b64 s[2:3], s[4:5]
	s_cbranch_execz .LBB203_218
.LBB203_262:
	s_and_b64 vcc, exec, s[0:1]
	s_cbranch_vccnz .LBB203_264
; %bb.263:
	v_lshl_add_u64 v[56:57], v[120:121], 3, v[130:131]
	flat_load_dwordx2 v[56:57], v[56:57]
	s_waitcnt vmcnt(0) lgkmcnt(0)
	v_mul_f64 v[56:57], v[56:57], s[70:71]
	s_branch .LBB203_265
.LBB203_264:
	v_mov_b64_e32 v[56:57], 0
.LBB203_265:
	v_add_f64 v[54:55], v[54:55], v[56:57]
	v_lshl_add_u64 v[56:57], v[120:121], 3, v[64:65]
	global_store_dwordx2 v[56:57], v[54:55], off
	s_or_b64 exec, exec, s[2:3]
	s_and_b64 s[4:5], s[24:25], s[12:13]
	s_and_saveexec_b64 s[2:3], s[4:5]
	s_cbranch_execz .LBB203_219
.LBB203_266:
	s_and_b64 vcc, exec, s[0:1]
	s_cbranch_vccnz .LBB203_268
; %bb.267:
	v_lshl_add_u64 v[54:55], v[118:119], 3, v[130:131]
	flat_load_dwordx2 v[54:55], v[54:55]
	s_waitcnt vmcnt(0) lgkmcnt(0)
	v_mul_f64 v[54:55], v[54:55], s[70:71]
	s_branch .LBB203_269
.LBB203_268:
	v_mov_b64_e32 v[54:55], 0
.LBB203_269:
	v_add_f64 v[52:53], v[52:53], v[54:55]
	v_lshl_add_u64 v[54:55], v[118:119], 3, v[64:65]
	global_store_dwordx2 v[54:55], v[52:53], off
	s_or_b64 exec, exec, s[2:3]
	s_and_b64 s[4:5], s[24:25], s[14:15]
	s_and_saveexec_b64 s[2:3], s[4:5]
	s_cbranch_execz .LBB203_220
.LBB203_270:
	s_and_b64 vcc, exec, s[0:1]
	s_cbranch_vccnz .LBB203_272
; %bb.271:
	v_lshl_add_u64 v[52:53], v[116:117], 3, v[130:131]
	flat_load_dwordx2 v[52:53], v[52:53]
	s_waitcnt vmcnt(0) lgkmcnt(0)
	v_mul_f64 v[52:53], v[52:53], s[70:71]
	s_branch .LBB203_273
.LBB203_272:
	v_mov_b64_e32 v[52:53], 0
.LBB203_273:
	v_add_f64 v[50:51], v[50:51], v[52:53]
	v_lshl_add_u64 v[52:53], v[116:117], 3, v[64:65]
	global_store_dwordx2 v[52:53], v[50:51], off
	s_or_b64 exec, exec, s[2:3]
	s_and_b64 s[4:5], s[24:25], s[16:17]
	s_and_saveexec_b64 s[2:3], s[4:5]
	s_cbranch_execz .LBB203_221
.LBB203_274:
	s_and_b64 vcc, exec, s[0:1]
	s_cbranch_vccnz .LBB203_276
; %bb.275:
	v_lshl_add_u64 v[50:51], v[114:115], 3, v[130:131]
	flat_load_dwordx2 v[50:51], v[50:51]
	s_waitcnt vmcnt(0) lgkmcnt(0)
	v_mul_f64 v[50:51], v[50:51], s[70:71]
	s_branch .LBB203_277
.LBB203_276:
	v_mov_b64_e32 v[50:51], 0
.LBB203_277:
	v_add_f64 v[48:49], v[48:49], v[50:51]
	v_lshl_add_u64 v[50:51], v[114:115], 3, v[64:65]
	global_store_dwordx2 v[50:51], v[48:49], off
	s_or_b64 exec, exec, s[2:3]
	s_and_b64 s[4:5], s[24:25], s[18:19]
	s_and_saveexec_b64 s[2:3], s[4:5]
	s_cbranch_execz .LBB203_222
.LBB203_278:
	s_and_b64 vcc, exec, s[0:1]
	s_cbranch_vccnz .LBB203_280
; %bb.279:
	v_lshl_add_u64 v[48:49], v[112:113], 3, v[130:131]
	flat_load_dwordx2 v[48:49], v[48:49]
	s_waitcnt vmcnt(0) lgkmcnt(0)
	v_mul_f64 v[48:49], v[48:49], s[70:71]
	s_branch .LBB203_281
.LBB203_280:
	v_mov_b64_e32 v[48:49], 0
.LBB203_281:
	v_add_f64 v[46:47], v[46:47], v[48:49]
	v_lshl_add_u64 v[48:49], v[112:113], 3, v[64:65]
	global_store_dwordx2 v[48:49], v[46:47], off
	s_or_b64 exec, exec, s[2:3]
	s_and_b64 s[4:5], s[24:25], s[20:21]
	s_and_saveexec_b64 s[2:3], s[4:5]
	s_cbranch_execz .LBB203_223
.LBB203_282:
	s_and_b64 vcc, exec, s[0:1]
	s_cbranch_vccnz .LBB203_284
; %bb.283:
	v_lshl_add_u64 v[46:47], v[110:111], 3, v[130:131]
	flat_load_dwordx2 v[46:47], v[46:47]
	s_waitcnt vmcnt(0) lgkmcnt(0)
	v_mul_f64 v[46:47], v[46:47], s[70:71]
	s_branch .LBB203_285
.LBB203_284:
	v_mov_b64_e32 v[46:47], 0
.LBB203_285:
	v_add_f64 v[44:45], v[44:45], v[46:47]
	v_lshl_add_u64 v[46:47], v[110:111], 3, v[64:65]
	global_store_dwordx2 v[46:47], v[44:45], off
	s_or_b64 exec, exec, s[2:3]
	s_and_b64 s[4:5], s[24:25], s[22:23]
	s_and_saveexec_b64 s[2:3], s[4:5]
	s_cbranch_execz .LBB203_224
.LBB203_286:
	s_and_b64 vcc, exec, s[0:1]
	s_cbranch_vccnz .LBB203_288
; %bb.287:
	v_lshl_add_u64 v[44:45], v[108:109], 3, v[130:131]
	flat_load_dwordx2 v[44:45], v[44:45]
	s_waitcnt vmcnt(0) lgkmcnt(0)
	v_mul_f64 v[44:45], v[44:45], s[70:71]
	s_branch .LBB203_289
.LBB203_288:
	v_mov_b64_e32 v[44:45], 0
.LBB203_289:
	v_add_f64 v[42:43], v[42:43], v[44:45]
	v_lshl_add_u64 v[44:45], v[108:109], 3, v[64:65]
	global_store_dwordx2 v[44:45], v[42:43], off
	s_or_b64 exec, exec, s[2:3]
	s_and_b64 s[4:5], s[24:25], s[26:27]
	s_and_saveexec_b64 s[2:3], s[4:5]
	s_cbranch_execz .LBB203_225
.LBB203_290:
	s_and_b64 vcc, exec, s[0:1]
	s_cbranch_vccnz .LBB203_292
; %bb.291:
	v_lshl_add_u64 v[42:43], v[106:107], 3, v[130:131]
	flat_load_dwordx2 v[42:43], v[42:43]
	s_waitcnt vmcnt(0) lgkmcnt(0)
	v_mul_f64 v[42:43], v[42:43], s[70:71]
	s_branch .LBB203_293
.LBB203_292:
	v_mov_b64_e32 v[42:43], 0
.LBB203_293:
	v_add_f64 v[40:41], v[40:41], v[42:43]
	v_lshl_add_u64 v[42:43], v[106:107], 3, v[64:65]
	global_store_dwordx2 v[42:43], v[40:41], off
	s_or_b64 exec, exec, s[2:3]
	s_and_b64 s[4:5], s[24:25], s[28:29]
	s_and_saveexec_b64 s[2:3], s[4:5]
	s_cbranch_execz .LBB203_226
.LBB203_294:
	s_and_b64 vcc, exec, s[0:1]
	s_cbranch_vccnz .LBB203_296
; %bb.295:
	v_lshl_add_u64 v[40:41], v[104:105], 3, v[130:131]
	flat_load_dwordx2 v[40:41], v[40:41]
	s_waitcnt vmcnt(0) lgkmcnt(0)
	v_mul_f64 v[40:41], v[40:41], s[70:71]
	s_branch .LBB203_297
.LBB203_296:
	v_mov_b64_e32 v[40:41], 0
.LBB203_297:
	v_add_f64 v[38:39], v[38:39], v[40:41]
	v_lshl_add_u64 v[40:41], v[104:105], 3, v[64:65]
	global_store_dwordx2 v[40:41], v[38:39], off
	s_or_b64 exec, exec, s[2:3]
	s_and_b64 s[4:5], s[24:25], s[30:31]
	s_and_saveexec_b64 s[2:3], s[4:5]
	s_cbranch_execz .LBB203_227
.LBB203_298:
	s_and_b64 vcc, exec, s[0:1]
	s_cbranch_vccnz .LBB203_300
; %bb.299:
	v_lshl_add_u64 v[38:39], v[102:103], 3, v[130:131]
	flat_load_dwordx2 v[38:39], v[38:39]
	s_waitcnt vmcnt(0) lgkmcnt(0)
	v_mul_f64 v[38:39], v[38:39], s[70:71]
	s_branch .LBB203_301
.LBB203_300:
	v_mov_b64_e32 v[38:39], 0
.LBB203_301:
	v_add_f64 v[36:37], v[36:37], v[38:39]
	v_lshl_add_u64 v[38:39], v[102:103], 3, v[64:65]
	global_store_dwordx2 v[38:39], v[36:37], off
	s_or_b64 exec, exec, s[2:3]
	s_and_b64 s[4:5], s[24:25], s[34:35]
	s_and_saveexec_b64 s[2:3], s[4:5]
	s_cbranch_execz .LBB203_228
.LBB203_302:
	s_and_b64 vcc, exec, s[0:1]
	s_cbranch_vccnz .LBB203_304
; %bb.303:
	v_lshl_add_u64 v[36:37], v[100:101], 3, v[130:131]
	flat_load_dwordx2 v[36:37], v[36:37]
	s_waitcnt vmcnt(0) lgkmcnt(0)
	v_mul_f64 v[36:37], v[36:37], s[70:71]
	s_branch .LBB203_305
.LBB203_304:
	v_mov_b64_e32 v[36:37], 0
.LBB203_305:
	v_add_f64 v[34:35], v[34:35], v[36:37]
	v_lshl_add_u64 v[36:37], v[100:101], 3, v[64:65]
	global_store_dwordx2 v[36:37], v[34:35], off
	s_or_b64 exec, exec, s[2:3]
	s_and_b64 s[4:5], s[24:25], s[36:37]
	s_and_saveexec_b64 s[2:3], s[4:5]
	s_cbranch_execz .LBB203_229
.LBB203_306:
	s_and_b64 vcc, exec, s[0:1]
	s_cbranch_vccnz .LBB203_308
; %bb.307:
	v_lshl_add_u64 v[34:35], v[98:99], 3, v[130:131]
	flat_load_dwordx2 v[34:35], v[34:35]
	s_waitcnt vmcnt(0) lgkmcnt(0)
	v_mul_f64 v[34:35], v[34:35], s[70:71]
	s_branch .LBB203_309
.LBB203_308:
	v_mov_b64_e32 v[34:35], 0
.LBB203_309:
	v_add_f64 v[32:33], v[32:33], v[34:35]
	v_lshl_add_u64 v[34:35], v[98:99], 3, v[64:65]
	global_store_dwordx2 v[34:35], v[32:33], off
	s_or_b64 exec, exec, s[2:3]
	s_and_b64 s[4:5], s[24:25], s[38:39]
	s_and_saveexec_b64 s[2:3], s[4:5]
	s_cbranch_execz .LBB203_230
.LBB203_310:
	s_and_b64 vcc, exec, s[0:1]
	s_cbranch_vccnz .LBB203_312
; %bb.311:
	v_lshl_add_u64 v[32:33], v[96:97], 3, v[130:131]
	flat_load_dwordx2 v[32:33], v[32:33]
	s_waitcnt vmcnt(0) lgkmcnt(0)
	v_mul_f64 v[32:33], v[32:33], s[70:71]
	s_branch .LBB203_313
.LBB203_312:
	v_mov_b64_e32 v[32:33], 0
.LBB203_313:
	v_add_f64 v[30:31], v[30:31], v[32:33]
	v_lshl_add_u64 v[32:33], v[96:97], 3, v[64:65]
	global_store_dwordx2 v[32:33], v[30:31], off
	s_or_b64 exec, exec, s[2:3]
	s_and_b64 s[4:5], s[24:25], s[40:41]
	s_and_saveexec_b64 s[2:3], s[4:5]
	s_cbranch_execz .LBB203_231
.LBB203_314:
	s_and_b64 vcc, exec, s[0:1]
	s_cbranch_vccnz .LBB203_316
; %bb.315:
	v_lshl_add_u64 v[30:31], v[94:95], 3, v[130:131]
	flat_load_dwordx2 v[30:31], v[30:31]
	s_waitcnt vmcnt(0) lgkmcnt(0)
	v_mul_f64 v[30:31], v[30:31], s[70:71]
	s_branch .LBB203_317
.LBB203_316:
	v_mov_b64_e32 v[30:31], 0
.LBB203_317:
	v_add_f64 v[28:29], v[28:29], v[30:31]
	v_lshl_add_u64 v[30:31], v[94:95], 3, v[64:65]
	global_store_dwordx2 v[30:31], v[28:29], off
	s_or_b64 exec, exec, s[2:3]
	s_and_b64 s[4:5], s[24:25], s[42:43]
	s_and_saveexec_b64 s[2:3], s[4:5]
	s_cbranch_execz .LBB203_232
.LBB203_318:
	s_and_b64 vcc, exec, s[0:1]
	s_cbranch_vccnz .LBB203_320
; %bb.319:
	v_lshl_add_u64 v[28:29], v[92:93], 3, v[130:131]
	flat_load_dwordx2 v[28:29], v[28:29]
	s_waitcnt vmcnt(0) lgkmcnt(0)
	v_mul_f64 v[28:29], v[28:29], s[70:71]
	s_branch .LBB203_321
.LBB203_320:
	v_mov_b64_e32 v[28:29], 0
.LBB203_321:
	v_add_f64 v[26:27], v[26:27], v[28:29]
	v_lshl_add_u64 v[28:29], v[92:93], 3, v[64:65]
	global_store_dwordx2 v[28:29], v[26:27], off
	s_or_b64 exec, exec, s[2:3]
	s_and_b64 s[4:5], s[24:25], s[44:45]
	s_and_saveexec_b64 s[2:3], s[4:5]
	s_cbranch_execz .LBB203_233
.LBB203_322:
	s_and_b64 vcc, exec, s[0:1]
	s_cbranch_vccnz .LBB203_324
; %bb.323:
	v_lshl_add_u64 v[26:27], v[90:91], 3, v[130:131]
	flat_load_dwordx2 v[26:27], v[26:27]
	s_waitcnt vmcnt(0) lgkmcnt(0)
	v_mul_f64 v[26:27], v[26:27], s[70:71]
	s_branch .LBB203_325
.LBB203_324:
	v_mov_b64_e32 v[26:27], 0
.LBB203_325:
	v_add_f64 v[24:25], v[24:25], v[26:27]
	v_lshl_add_u64 v[26:27], v[90:91], 3, v[64:65]
	global_store_dwordx2 v[26:27], v[24:25], off
	s_or_b64 exec, exec, s[2:3]
	s_and_b64 s[4:5], s[24:25], s[46:47]
	s_and_saveexec_b64 s[2:3], s[4:5]
	s_cbranch_execz .LBB203_234
.LBB203_326:
	s_and_b64 vcc, exec, s[0:1]
	s_cbranch_vccnz .LBB203_328
; %bb.327:
	v_lshl_add_u64 v[24:25], v[88:89], 3, v[130:131]
	flat_load_dwordx2 v[24:25], v[24:25]
	s_waitcnt vmcnt(0) lgkmcnt(0)
	v_mul_f64 v[24:25], v[24:25], s[70:71]
	s_branch .LBB203_329
.LBB203_328:
	v_mov_b64_e32 v[24:25], 0
.LBB203_329:
	v_add_f64 v[22:23], v[22:23], v[24:25]
	v_lshl_add_u64 v[24:25], v[88:89], 3, v[64:65]
	global_store_dwordx2 v[24:25], v[22:23], off
	s_or_b64 exec, exec, s[2:3]
	s_and_b64 s[4:5], s[24:25], s[48:49]
	s_and_saveexec_b64 s[2:3], s[4:5]
	s_cbranch_execz .LBB203_235
.LBB203_330:
	s_and_b64 vcc, exec, s[0:1]
	s_cbranch_vccnz .LBB203_332
; %bb.331:
	v_lshl_add_u64 v[22:23], v[86:87], 3, v[130:131]
	flat_load_dwordx2 v[22:23], v[22:23]
	s_waitcnt vmcnt(0) lgkmcnt(0)
	v_mul_f64 v[22:23], v[22:23], s[70:71]
	s_branch .LBB203_333
.LBB203_332:
	v_mov_b64_e32 v[22:23], 0
.LBB203_333:
	v_add_f64 v[20:21], v[20:21], v[22:23]
	v_lshl_add_u64 v[22:23], v[86:87], 3, v[64:65]
	global_store_dwordx2 v[22:23], v[20:21], off
	s_or_b64 exec, exec, s[2:3]
	s_and_b64 s[4:5], s[24:25], s[50:51]
	s_and_saveexec_b64 s[2:3], s[4:5]
	s_cbranch_execz .LBB203_236
.LBB203_334:
	s_and_b64 vcc, exec, s[0:1]
	s_cbranch_vccnz .LBB203_336
; %bb.335:
	v_lshl_add_u64 v[20:21], v[84:85], 3, v[130:131]
	flat_load_dwordx2 v[20:21], v[20:21]
	s_waitcnt vmcnt(0) lgkmcnt(0)
	v_mul_f64 v[20:21], v[20:21], s[70:71]
	s_branch .LBB203_337
.LBB203_336:
	v_mov_b64_e32 v[20:21], 0
.LBB203_337:
	v_add_f64 v[18:19], v[18:19], v[20:21]
	v_lshl_add_u64 v[20:21], v[84:85], 3, v[64:65]
	global_store_dwordx2 v[20:21], v[18:19], off
	s_or_b64 exec, exec, s[2:3]
	s_and_b64 s[4:5], s[24:25], s[52:53]
	s_and_saveexec_b64 s[2:3], s[4:5]
	s_cbranch_execz .LBB203_237
.LBB203_338:
	s_and_b64 vcc, exec, s[0:1]
	s_cbranch_vccnz .LBB203_340
; %bb.339:
	v_lshl_add_u64 v[18:19], v[82:83], 3, v[130:131]
	flat_load_dwordx2 v[18:19], v[18:19]
	s_waitcnt vmcnt(0) lgkmcnt(0)
	v_mul_f64 v[18:19], v[18:19], s[70:71]
	s_branch .LBB203_341
.LBB203_340:
	v_mov_b64_e32 v[18:19], 0
.LBB203_341:
	v_add_f64 v[16:17], v[16:17], v[18:19]
	v_lshl_add_u64 v[18:19], v[82:83], 3, v[64:65]
	global_store_dwordx2 v[18:19], v[16:17], off
	s_or_b64 exec, exec, s[2:3]
	s_and_b64 s[4:5], s[24:25], s[54:55]
	s_and_saveexec_b64 s[2:3], s[4:5]
	s_cbranch_execz .LBB203_238
.LBB203_342:
	s_and_b64 vcc, exec, s[0:1]
	s_cbranch_vccnz .LBB203_344
; %bb.343:
	v_lshl_add_u64 v[16:17], v[80:81], 3, v[130:131]
	flat_load_dwordx2 v[16:17], v[16:17]
	s_waitcnt vmcnt(0) lgkmcnt(0)
	v_mul_f64 v[16:17], v[16:17], s[70:71]
	s_branch .LBB203_345
.LBB203_344:
	v_mov_b64_e32 v[16:17], 0
.LBB203_345:
	v_add_f64 v[14:15], v[14:15], v[16:17]
	v_lshl_add_u64 v[16:17], v[80:81], 3, v[64:65]
	global_store_dwordx2 v[16:17], v[14:15], off
	s_or_b64 exec, exec, s[2:3]
	s_and_b64 s[4:5], s[24:25], s[56:57]
	s_and_saveexec_b64 s[2:3], s[4:5]
	s_cbranch_execz .LBB203_239
.LBB203_346:
	s_and_b64 vcc, exec, s[0:1]
	s_cbranch_vccnz .LBB203_348
; %bb.347:
	v_lshl_add_u64 v[14:15], v[78:79], 3, v[130:131]
	flat_load_dwordx2 v[14:15], v[14:15]
	s_waitcnt vmcnt(0) lgkmcnt(0)
	v_mul_f64 v[14:15], v[14:15], s[70:71]
	s_branch .LBB203_349
.LBB203_348:
	v_mov_b64_e32 v[14:15], 0
.LBB203_349:
	v_add_f64 v[12:13], v[12:13], v[14:15]
	v_lshl_add_u64 v[14:15], v[78:79], 3, v[64:65]
	global_store_dwordx2 v[14:15], v[12:13], off
	s_or_b64 exec, exec, s[2:3]
	s_and_b64 s[4:5], s[24:25], s[58:59]
	s_and_saveexec_b64 s[2:3], s[4:5]
	s_cbranch_execz .LBB203_240
.LBB203_350:
	s_and_b64 vcc, exec, s[0:1]
	s_cbranch_vccnz .LBB203_352
; %bb.351:
	v_lshl_add_u64 v[12:13], v[76:77], 3, v[130:131]
	flat_load_dwordx2 v[12:13], v[12:13]
	s_waitcnt vmcnt(0) lgkmcnt(0)
	v_mul_f64 v[12:13], v[12:13], s[70:71]
	s_branch .LBB203_353
.LBB203_352:
	v_mov_b64_e32 v[12:13], 0
.LBB203_353:
	v_add_f64 v[10:11], v[10:11], v[12:13]
	v_lshl_add_u64 v[12:13], v[76:77], 3, v[64:65]
	global_store_dwordx2 v[12:13], v[10:11], off
	s_or_b64 exec, exec, s[2:3]
	s_and_b64 s[4:5], s[24:25], s[60:61]
	s_and_saveexec_b64 s[2:3], s[4:5]
	s_cbranch_execz .LBB203_241
.LBB203_354:
	s_and_b64 vcc, exec, s[0:1]
	s_cbranch_vccnz .LBB203_356
; %bb.355:
	v_lshl_add_u64 v[10:11], v[74:75], 3, v[130:131]
	flat_load_dwordx2 v[10:11], v[10:11]
	s_waitcnt vmcnt(0) lgkmcnt(0)
	v_mul_f64 v[10:11], v[10:11], s[70:71]
	s_branch .LBB203_357
.LBB203_356:
	v_mov_b64_e32 v[10:11], 0
.LBB203_357:
	v_add_f64 v[8:9], v[8:9], v[10:11]
	v_lshl_add_u64 v[10:11], v[74:75], 3, v[64:65]
	global_store_dwordx2 v[10:11], v[8:9], off
	s_or_b64 exec, exec, s[2:3]
	s_and_b64 s[4:5], s[24:25], s[62:63]
	s_and_saveexec_b64 s[2:3], s[4:5]
	s_cbranch_execz .LBB203_242
.LBB203_358:
	s_and_b64 vcc, exec, s[0:1]
	s_cbranch_vccnz .LBB203_360
; %bb.359:
	v_lshl_add_u64 v[8:9], v[72:73], 3, v[130:131]
	flat_load_dwordx2 v[8:9], v[8:9]
	s_waitcnt vmcnt(0) lgkmcnt(0)
	v_mul_f64 v[8:9], v[8:9], s[70:71]
	s_branch .LBB203_361
.LBB203_360:
	v_mov_b64_e32 v[8:9], 0
.LBB203_361:
	v_add_f64 v[6:7], v[6:7], v[8:9]
	v_lshl_add_u64 v[8:9], v[72:73], 3, v[64:65]
	global_store_dwordx2 v[8:9], v[6:7], off
	s_or_b64 exec, exec, s[2:3]
	s_and_b64 s[4:5], s[24:25], s[64:65]
	s_and_saveexec_b64 s[2:3], s[4:5]
	s_cbranch_execz .LBB203_243
.LBB203_362:
	s_and_b64 vcc, exec, s[0:1]
	s_cbranch_vccnz .LBB203_364
; %bb.363:
	v_lshl_add_u64 v[6:7], v[70:71], 3, v[130:131]
	flat_load_dwordx2 v[6:7], v[6:7]
	s_waitcnt vmcnt(0) lgkmcnt(0)
	v_mul_f64 v[6:7], v[6:7], s[70:71]
	s_branch .LBB203_365
.LBB203_364:
	v_mov_b64_e32 v[6:7], 0
.LBB203_365:
	v_add_f64 v[4:5], v[4:5], v[6:7]
	v_lshl_add_u64 v[6:7], v[70:71], 3, v[64:65]
	global_store_dwordx2 v[6:7], v[4:5], off
	s_or_b64 exec, exec, s[2:3]
	s_and_b64 s[4:5], s[24:25], s[66:67]
	s_and_saveexec_b64 s[2:3], s[4:5]
	s_cbranch_execz .LBB203_244
.LBB203_366:
	s_and_b64 vcc, exec, s[0:1]
	s_cbranch_vccnz .LBB203_368
; %bb.367:
	v_lshl_add_u64 v[4:5], v[68:69], 3, v[130:131]
	flat_load_dwordx2 v[4:5], v[4:5]
	s_waitcnt vmcnt(0) lgkmcnt(0)
	v_mul_f64 v[4:5], v[4:5], s[70:71]
	s_branch .LBB203_369
.LBB203_368:
	v_mov_b64_e32 v[4:5], 0
.LBB203_369:
	v_add_f64 v[2:3], v[2:3], v[4:5]
	v_lshl_add_u64 v[4:5], v[68:69], 3, v[64:65]
	global_store_dwordx2 v[4:5], v[2:3], off
	s_or_b64 exec, exec, s[2:3]
	s_and_b64 s[2:3], s[24:25], s[68:69]
	s_and_saveexec_b64 s[4:5], s[2:3]
	s_cbranch_execz .LBB203_245
.LBB203_370:
	s_and_b64 vcc, exec, s[0:1]
	s_cbranch_vccnz .LBB203_372
; %bb.371:
	v_lshl_add_u64 v[2:3], v[66:67], 3, v[130:131]
	flat_load_dwordx2 v[2:3], v[2:3]
	s_waitcnt vmcnt(0) lgkmcnt(0)
	v_mul_f64 v[2:3], v[2:3], s[70:71]
	v_add_f64 v[0:1], v[0:1], v[2:3]
	v_lshl_add_u64 v[2:3], v[66:67], 3, v[64:65]
	global_store_dwordx2 v[2:3], v[0:1], off
	s_endpgm
.LBB203_372:
	v_mov_b64_e32 v[2:3], 0
	v_add_f64 v[0:1], v[0:1], v[2:3]
	v_lshl_add_u64 v[2:3], v[66:67], 3, v[64:65]
	global_store_dwordx2 v[2:3], v[0:1], off
	s_endpgm
	.section	.rodata,"a",@progbits
	.p2align	6, 0x0
	.amdhsa_kernel _ZN12_GLOBAL__N_120geam_min_plus_kernelIdddLi4ELi64ELi128ELi128ELi4ELi4ELi64ELi64ELi4ELc84ELc84ELb0ELb1ELb0EdKddEEviiiT16_PT17_ilS4_ilS2_S4_ilPT18_ili26rocblas_geam_ex_operation_
		.amdhsa_group_segment_fixed_size 16384
		.amdhsa_private_segment_fixed_size 0
		.amdhsa_kernarg_size 136
		.amdhsa_user_sgpr_count 2
		.amdhsa_user_sgpr_dispatch_ptr 0
		.amdhsa_user_sgpr_queue_ptr 0
		.amdhsa_user_sgpr_kernarg_segment_ptr 1
		.amdhsa_user_sgpr_dispatch_id 0
		.amdhsa_user_sgpr_kernarg_preload_length 0
		.amdhsa_user_sgpr_kernarg_preload_offset 0
		.amdhsa_user_sgpr_private_segment_size 0
		.amdhsa_uses_dynamic_stack 0
		.amdhsa_enable_private_segment 0
		.amdhsa_system_sgpr_workgroup_id_x 1
		.amdhsa_system_sgpr_workgroup_id_y 0
		.amdhsa_system_sgpr_workgroup_id_z 1
		.amdhsa_system_sgpr_workgroup_info 0
		.amdhsa_system_vgpr_workitem_id 1
		.amdhsa_next_free_vgpr 254
		.amdhsa_next_free_sgpr 82
		.amdhsa_accum_offset 256
		.amdhsa_reserve_vcc 1
		.amdhsa_float_round_mode_32 0
		.amdhsa_float_round_mode_16_64 0
		.amdhsa_float_denorm_mode_32 3
		.amdhsa_float_denorm_mode_16_64 3
		.amdhsa_dx10_clamp 1
		.amdhsa_ieee_mode 1
		.amdhsa_fp16_overflow 0
		.amdhsa_tg_split 0
		.amdhsa_exception_fp_ieee_invalid_op 0
		.amdhsa_exception_fp_denorm_src 0
		.amdhsa_exception_fp_ieee_div_zero 0
		.amdhsa_exception_fp_ieee_overflow 0
		.amdhsa_exception_fp_ieee_underflow 0
		.amdhsa_exception_fp_ieee_inexact 0
		.amdhsa_exception_int_div_zero 0
	.end_amdhsa_kernel
	.section	.text._ZN12_GLOBAL__N_120geam_min_plus_kernelIdddLi4ELi64ELi128ELi128ELi4ELi4ELi64ELi64ELi4ELc84ELc84ELb0ELb1ELb0EdKddEEviiiT16_PT17_ilS4_ilS2_S4_ilPT18_ili26rocblas_geam_ex_operation_,"axG",@progbits,_ZN12_GLOBAL__N_120geam_min_plus_kernelIdddLi4ELi64ELi128ELi128ELi4ELi4ELi64ELi64ELi4ELc84ELc84ELb0ELb1ELb0EdKddEEviiiT16_PT17_ilS4_ilS2_S4_ilPT18_ili26rocblas_geam_ex_operation_,comdat
.Lfunc_end203:
	.size	_ZN12_GLOBAL__N_120geam_min_plus_kernelIdddLi4ELi64ELi128ELi128ELi4ELi4ELi64ELi64ELi4ELc84ELc84ELb0ELb1ELb0EdKddEEviiiT16_PT17_ilS4_ilS2_S4_ilPT18_ili26rocblas_geam_ex_operation_, .Lfunc_end203-_ZN12_GLOBAL__N_120geam_min_plus_kernelIdddLi4ELi64ELi128ELi128ELi4ELi4ELi64ELi64ELi4ELc84ELc84ELb0ELb1ELb0EdKddEEviiiT16_PT17_ilS4_ilS2_S4_ilPT18_ili26rocblas_geam_ex_operation_
                                        ; -- End function
	.section	.AMDGPU.csdata,"",@progbits
; Kernel info:
; codeLenInByte = 14756
; NumSgprs: 88
; NumVgprs: 254
; NumAgprs: 0
; TotalNumVgprs: 254
; ScratchSize: 0
; MemoryBound: 0
; FloatMode: 240
; IeeeMode: 1
; LDSByteSize: 16384 bytes/workgroup (compile time only)
; SGPRBlocks: 10
; VGPRBlocks: 31
; NumSGPRsForWavesPerEU: 88
; NumVGPRsForWavesPerEU: 254
; AccumOffset: 256
; Occupancy: 2
; WaveLimiterHint : 0
; COMPUTE_PGM_RSRC2:SCRATCH_EN: 0
; COMPUTE_PGM_RSRC2:USER_SGPR: 2
; COMPUTE_PGM_RSRC2:TRAP_HANDLER: 0
; COMPUTE_PGM_RSRC2:TGID_X_EN: 1
; COMPUTE_PGM_RSRC2:TGID_Y_EN: 0
; COMPUTE_PGM_RSRC2:TGID_Z_EN: 1
; COMPUTE_PGM_RSRC2:TIDIG_COMP_CNT: 1
; COMPUTE_PGM_RSRC3_GFX90A:ACCUM_OFFSET: 63
; COMPUTE_PGM_RSRC3_GFX90A:TG_SPLIT: 0
	.section	.text._ZN12_GLOBAL__N_120geam_ex_scale_kernelILi32ELi32EDF16_DF16_PKPKDF16_PKPDF16_EEviiT2_T3_lilT4_lil,"axG",@progbits,_ZN12_GLOBAL__N_120geam_ex_scale_kernelILi32ELi32EDF16_DF16_PKPKDF16_PKPDF16_EEviiT2_T3_lilT4_lil,comdat
	.globl	_ZN12_GLOBAL__N_120geam_ex_scale_kernelILi32ELi32EDF16_DF16_PKPKDF16_PKPDF16_EEviiT2_T3_lilT4_lil ; -- Begin function _ZN12_GLOBAL__N_120geam_ex_scale_kernelILi32ELi32EDF16_DF16_PKPKDF16_PKPDF16_EEviiT2_T3_lilT4_lil
	.p2align	8
	.type	_ZN12_GLOBAL__N_120geam_ex_scale_kernelILi32ELi32EDF16_DF16_PKPKDF16_PKPDF16_EEviiT2_T3_lilT4_lil,@function
_ZN12_GLOBAL__N_120geam_ex_scale_kernelILi32ELi32EDF16_DF16_PKPKDF16_PKPDF16_EEviiT2_T3_lilT4_lil: ; @_ZN12_GLOBAL__N_120geam_ex_scale_kernelILi32ELi32EDF16_DF16_PKPKDF16_PKPDF16_EEviiT2_T3_lilT4_lil
; %bb.0:
	s_load_dwordx4 s[4:7], s[0:1], 0x0
	s_mov_b32 s16, s3
	s_mov_b32 s17, 0
	s_waitcnt lgkmcnt(0)
	v_cmp_eq_f16_e64 s[14:15], s6, 0
	s_and_b64 vcc, exec, s[14:15]
	s_cbranch_vccnz .LBB204_2
; %bb.1:
	s_load_dwordx4 s[8:11], s[0:1], 0x10
	s_lshl_b64 s[12:13], s[16:17], 3
	s_waitcnt lgkmcnt(0)
	s_add_u32 s8, s8, s12
	s_addc_u32 s9, s9, s13
	s_load_dwordx2 s[8:9], s[8:9], 0x0
	s_lshl_b64 s[10:11], s[10:11], 1
	s_waitcnt lgkmcnt(0)
	s_add_u32 s12, s8, s10
	s_addc_u32 s13, s9, s11
	s_branch .LBB204_3
.LBB204_2:
	s_mov_b64 s[12:13], 0
.LBB204_3:
	s_add_i32 s3, s4, -1
	s_ashr_i32 s7, s3, 31
	s_lshr_b32 s7, s7, 27
	s_add_i32 s3, s3, s7
	s_ashr_i32 s3, s3, 5
	s_add_i32 s7, s3, 1
	v_cvt_f32_u32_e32 v1, s7
	s_not_b32 s3, s3
	v_and_b32_e32 v3, 0x3ff, v0
	v_bfe_u32 v0, v0, 10, 10
	v_rcp_iflag_f32_e32 v1, v1
	s_nop 0
	v_mul_f32_e32 v1, 0x4f7ffffe, v1
	v_cvt_u32_f32_e32 v1, v1
	s_nop 0
	v_readfirstlane_b32 s8, v1
	s_mul_i32 s3, s3, s8
	s_mul_hi_u32 s3, s8, s3
	s_add_i32 s8, s8, s3
	s_mul_hi_u32 s3, s2, s8
	s_mul_i32 s8, s3, s7
	s_sub_i32 s8, s2, s8
	s_add_i32 s9, s3, 1
	s_sub_i32 s10, s8, s7
	s_cmp_ge_u32 s8, s7
	s_cselect_b32 s3, s9, s3
	s_cselect_b32 s8, s10, s8
	s_add_i32 s9, s3, 1
	s_cmp_ge_u32 s8, s7
	s_cselect_b32 s3, s9, s3
	s_mul_i32 s7, s3, s7
	s_sub_i32 s2, s2, s7
	v_lshl_add_u32 v2, s3, 5, v0
	v_lshl_add_u32 v0, s2, 5, v3
	v_cmp_gt_u32_e32 vcc, s4, v0
	v_cmp_gt_u32_e64 s[2:3], s5, v2
	s_and_b64 s[2:3], vcc, s[2:3]
	s_and_saveexec_b64 s[4:5], s[2:3]
	s_cbranch_execz .LBB204_9
; %bb.4:
	s_load_dwordx4 s[8:11], s[0:1], 0x30
	s_lshl_b64 s[2:3], s[16:17], 3
	v_mov_b32_e32 v1, 0
	s_waitcnt lgkmcnt(0)
	s_add_u32 s2, s8, s2
	s_addc_u32 s3, s9, s3
	s_load_dwordx2 s[2:3], s[2:3], 0x0
	s_andn2_b64 vcc, exec, s[14:15]
	s_cbranch_vccnz .LBB204_6
; %bb.5:
	s_mov_b32 s7, 0
	v_mov_b32_e32 v3, s7
	s_cbranch_execz .LBB204_7
	s_branch .LBB204_8
.LBB204_6:
                                        ; implicit-def: $sgpr7
	v_mov_b32_e32 v3, s7
.LBB204_7:
	s_load_dword s4, s[0:1], 0x20
	v_mov_b32_e32 v1, 0
	s_waitcnt lgkmcnt(0)
	s_ashr_i32 s7, s4, 31
	v_mad_u64_u32 v[4:5], s[4:5], v2, s4, v[0:1]
	v_mov_b32_e32 v6, v5
	v_mad_u64_u32 v[6:7], s[4:5], v2, s7, v[6:7]
	v_mov_b32_e32 v5, v6
	v_lshl_add_u64 v[4:5], v[4:5], 1, s[12:13]
	flat_load_ushort v3, v[4:5]
	s_waitcnt vmcnt(0) lgkmcnt(0)
	v_mul_f16_e32 v3, s6, v3
.LBB204_8:
	s_load_dword s4, s[0:1], 0x40
	s_lshl_b64 s[0:1], s[10:11], 1
	s_waitcnt lgkmcnt(0)
	s_add_u32 s0, s2, s0
	s_addc_u32 s1, s3, s1
	v_mad_u64_u32 v[4:5], s[2:3], v2, s4, 0
	s_ashr_i32 s5, s4, 31
	v_mov_b32_e32 v6, v5
	v_mad_u64_u32 v[6:7], s[2:3], v2, s5, v[6:7]
	v_mov_b32_e32 v5, v6
	v_lshl_add_u64 v[4:5], v[4:5], 1, s[0:1]
	v_lshl_add_u64 v[0:1], v[0:1], 1, v[4:5]
	global_store_short v[0:1], v3, off
.LBB204_9:
	s_endpgm
	.section	.rodata,"a",@progbits
	.p2align	6, 0x0
	.amdhsa_kernel _ZN12_GLOBAL__N_120geam_ex_scale_kernelILi32ELi32EDF16_DF16_PKPKDF16_PKPDF16_EEviiT2_T3_lilT4_lil
		.amdhsa_group_segment_fixed_size 0
		.amdhsa_private_segment_fixed_size 0
		.amdhsa_kernarg_size 80
		.amdhsa_user_sgpr_count 2
		.amdhsa_user_sgpr_dispatch_ptr 0
		.amdhsa_user_sgpr_queue_ptr 0
		.amdhsa_user_sgpr_kernarg_segment_ptr 1
		.amdhsa_user_sgpr_dispatch_id 0
		.amdhsa_user_sgpr_kernarg_preload_length 0
		.amdhsa_user_sgpr_kernarg_preload_offset 0
		.amdhsa_user_sgpr_private_segment_size 0
		.amdhsa_uses_dynamic_stack 0
		.amdhsa_enable_private_segment 0
		.amdhsa_system_sgpr_workgroup_id_x 1
		.amdhsa_system_sgpr_workgroup_id_y 0
		.amdhsa_system_sgpr_workgroup_id_z 1
		.amdhsa_system_sgpr_workgroup_info 0
		.amdhsa_system_vgpr_workitem_id 1
		.amdhsa_next_free_vgpr 8
		.amdhsa_next_free_sgpr 18
		.amdhsa_accum_offset 8
		.amdhsa_reserve_vcc 1
		.amdhsa_float_round_mode_32 0
		.amdhsa_float_round_mode_16_64 0
		.amdhsa_float_denorm_mode_32 3
		.amdhsa_float_denorm_mode_16_64 3
		.amdhsa_dx10_clamp 1
		.amdhsa_ieee_mode 1
		.amdhsa_fp16_overflow 0
		.amdhsa_tg_split 0
		.amdhsa_exception_fp_ieee_invalid_op 0
		.amdhsa_exception_fp_denorm_src 0
		.amdhsa_exception_fp_ieee_div_zero 0
		.amdhsa_exception_fp_ieee_overflow 0
		.amdhsa_exception_fp_ieee_underflow 0
		.amdhsa_exception_fp_ieee_inexact 0
		.amdhsa_exception_int_div_zero 0
	.end_amdhsa_kernel
	.section	.text._ZN12_GLOBAL__N_120geam_ex_scale_kernelILi32ELi32EDF16_DF16_PKPKDF16_PKPDF16_EEviiT2_T3_lilT4_lil,"axG",@progbits,_ZN12_GLOBAL__N_120geam_ex_scale_kernelILi32ELi32EDF16_DF16_PKPKDF16_PKPDF16_EEviiT2_T3_lilT4_lil,comdat
.Lfunc_end204:
	.size	_ZN12_GLOBAL__N_120geam_ex_scale_kernelILi32ELi32EDF16_DF16_PKPKDF16_PKPDF16_EEviiT2_T3_lilT4_lil, .Lfunc_end204-_ZN12_GLOBAL__N_120geam_ex_scale_kernelILi32ELi32EDF16_DF16_PKPKDF16_PKPDF16_EEviiT2_T3_lilT4_lil
                                        ; -- End function
	.section	.AMDGPU.csdata,"",@progbits
; Kernel info:
; codeLenInByte = 484
; NumSgprs: 24
; NumVgprs: 8
; NumAgprs: 0
; TotalNumVgprs: 8
; ScratchSize: 0
; MemoryBound: 0
; FloatMode: 240
; IeeeMode: 1
; LDSByteSize: 0 bytes/workgroup (compile time only)
; SGPRBlocks: 2
; VGPRBlocks: 0
; NumSGPRsForWavesPerEU: 24
; NumVGPRsForWavesPerEU: 8
; AccumOffset: 8
; Occupancy: 8
; WaveLimiterHint : 1
; COMPUTE_PGM_RSRC2:SCRATCH_EN: 0
; COMPUTE_PGM_RSRC2:USER_SGPR: 2
; COMPUTE_PGM_RSRC2:TRAP_HANDLER: 0
; COMPUTE_PGM_RSRC2:TGID_X_EN: 1
; COMPUTE_PGM_RSRC2:TGID_Y_EN: 0
; COMPUTE_PGM_RSRC2:TGID_Z_EN: 1
; COMPUTE_PGM_RSRC2:TIDIG_COMP_CNT: 1
; COMPUTE_PGM_RSRC3_GFX90A:ACCUM_OFFSET: 1
; COMPUTE_PGM_RSRC3_GFX90A:TG_SPLIT: 0
	.section	.text._ZN12_GLOBAL__N_120geam_ex_scale_kernelILi32ELi32EDF16_PKDF16_PKS2_PKPDF16_EEviiT2_T3_lilT4_lil,"axG",@progbits,_ZN12_GLOBAL__N_120geam_ex_scale_kernelILi32ELi32EDF16_PKDF16_PKS2_PKPDF16_EEviiT2_T3_lilT4_lil,comdat
	.globl	_ZN12_GLOBAL__N_120geam_ex_scale_kernelILi32ELi32EDF16_PKDF16_PKS2_PKPDF16_EEviiT2_T3_lilT4_lil ; -- Begin function _ZN12_GLOBAL__N_120geam_ex_scale_kernelILi32ELi32EDF16_PKDF16_PKS2_PKPDF16_EEviiT2_T3_lilT4_lil
	.p2align	8
	.type	_ZN12_GLOBAL__N_120geam_ex_scale_kernelILi32ELi32EDF16_PKDF16_PKS2_PKPDF16_EEviiT2_T3_lilT4_lil,@function
_ZN12_GLOBAL__N_120geam_ex_scale_kernelILi32ELi32EDF16_PKDF16_PKS2_PKPDF16_EEviiT2_T3_lilT4_lil: ; @_ZN12_GLOBAL__N_120geam_ex_scale_kernelILi32ELi32EDF16_PKDF16_PKS2_PKPDF16_EEviiT2_T3_lilT4_lil
; %bb.0:
	s_load_dwordx4 s[4:7], s[0:1], 0x8
	v_mov_b32_e32 v1, 0
	s_mov_b32 s12, s3
	s_mov_b32 s13, 0
	s_waitcnt lgkmcnt(0)
	global_load_ushort v2, v1, s[4:5]
	s_waitcnt vmcnt(0)
	v_cmp_eq_f16_e64 s[4:5], 0, v2
	s_and_b64 vcc, exec, s[4:5]
	s_cbranch_vccnz .LBB205_2
; %bb.1:
	s_lshl_b64 s[10:11], s[12:13], 3
	s_add_u32 s6, s6, s10
	s_load_dwordx2 s[8:9], s[0:1], 0x18
	s_addc_u32 s7, s7, s11
	s_load_dwordx2 s[6:7], s[6:7], 0x0
	s_waitcnt lgkmcnt(0)
	s_lshl_b64 s[8:9], s[8:9], 1
	s_add_u32 s6, s6, s8
	s_addc_u32 s7, s7, s9
	s_branch .LBB205_3
.LBB205_2:
	s_mov_b64 s[6:7], 0
.LBB205_3:
	s_load_dwordx2 s[8:9], s[0:1], 0x0
	v_and_b32_e32 v4, 0x3ff, v0
	v_bfe_u32 v0, v0, 10, 10
	s_waitcnt lgkmcnt(0)
	s_add_i32 s3, s8, -1
	s_ashr_i32 s10, s3, 31
	s_lshr_b32 s10, s10, 27
	s_add_i32 s3, s3, s10
	s_ashr_i32 s3, s3, 5
	s_add_i32 s10, s3, 1
	v_cvt_f32_u32_e32 v1, s10
	s_not_b32 s3, s3
	v_rcp_iflag_f32_e32 v1, v1
	s_nop 0
	v_mul_f32_e32 v1, 0x4f7ffffe, v1
	v_cvt_u32_f32_e32 v1, v1
	s_nop 0
	v_readfirstlane_b32 s11, v1
	s_mul_i32 s3, s3, s11
	s_mul_hi_u32 s3, s11, s3
	s_add_i32 s11, s11, s3
	s_mul_hi_u32 s3, s2, s11
	s_mul_i32 s11, s3, s10
	s_sub_i32 s11, s2, s11
	s_add_i32 s14, s3, 1
	s_sub_i32 s15, s11, s10
	s_cmp_ge_u32 s11, s10
	s_cselect_b32 s3, s14, s3
	s_cselect_b32 s11, s15, s11
	s_add_i32 s14, s3, 1
	s_cmp_ge_u32 s11, s10
	s_cselect_b32 s3, s14, s3
	s_mul_i32 s10, s3, s10
	s_sub_i32 s2, s2, s10
	v_lshl_add_u32 v3, s3, 5, v0
	v_lshl_add_u32 v0, s2, 5, v4
	v_cmp_gt_u32_e32 vcc, s8, v0
	v_cmp_gt_u32_e64 s[2:3], s9, v3
	s_and_b64 s[2:3], vcc, s[2:3]
	s_and_saveexec_b64 s[8:9], s[2:3]
	s_cbranch_execz .LBB205_9
; %bb.4:
	s_load_dwordx4 s[8:11], s[0:1], 0x30
	s_lshl_b64 s[2:3], s[12:13], 3
	v_mov_b32_e32 v1, 0
	s_waitcnt lgkmcnt(0)
	s_add_u32 s2, s8, s2
	s_addc_u32 s3, s9, s3
	s_load_dwordx2 s[2:3], s[2:3], 0x0
	s_andn2_b64 vcc, exec, s[4:5]
	s_cbranch_vccnz .LBB205_6
; %bb.5:
	s_mov_b32 s8, 0
	v_mov_b32_e32 v4, s8
	s_cbranch_execz .LBB205_7
	s_branch .LBB205_8
.LBB205_6:
                                        ; implicit-def: $sgpr8
	v_mov_b32_e32 v4, s8
.LBB205_7:
	s_load_dword s4, s[0:1], 0x20
	v_mov_b32_e32 v1, 0
	s_waitcnt lgkmcnt(0)
	s_ashr_i32 s8, s4, 31
	v_mad_u64_u32 v[4:5], s[4:5], v3, s4, v[0:1]
	v_mov_b32_e32 v6, v5
	v_mad_u64_u32 v[6:7], s[4:5], v3, s8, v[6:7]
	v_mov_b32_e32 v5, v6
	v_lshl_add_u64 v[4:5], v[4:5], 1, s[6:7]
	flat_load_ushort v4, v[4:5]
	s_waitcnt vmcnt(0) lgkmcnt(0)
	v_mul_f16_e32 v4, v2, v4
.LBB205_8:
	s_load_dword s4, s[0:1], 0x40
	s_lshl_b64 s[0:1], s[10:11], 1
	s_waitcnt lgkmcnt(0)
	s_add_u32 s0, s2, s0
	s_addc_u32 s1, s3, s1
	v_mad_u64_u32 v[6:7], s[2:3], v3, s4, 0
	s_ashr_i32 s5, s4, 31
	v_mov_b32_e32 v2, v7
	v_mad_u64_u32 v[2:3], s[2:3], v3, s5, v[2:3]
	v_mov_b32_e32 v7, v2
	v_lshl_add_u64 v[2:3], v[6:7], 1, s[0:1]
	v_lshl_add_u64 v[0:1], v[0:1], 1, v[2:3]
	global_store_short v[0:1], v4, off
.LBB205_9:
	s_endpgm
	.section	.rodata,"a",@progbits
	.p2align	6, 0x0
	.amdhsa_kernel _ZN12_GLOBAL__N_120geam_ex_scale_kernelILi32ELi32EDF16_PKDF16_PKS2_PKPDF16_EEviiT2_T3_lilT4_lil
		.amdhsa_group_segment_fixed_size 0
		.amdhsa_private_segment_fixed_size 0
		.amdhsa_kernarg_size 80
		.amdhsa_user_sgpr_count 2
		.amdhsa_user_sgpr_dispatch_ptr 0
		.amdhsa_user_sgpr_queue_ptr 0
		.amdhsa_user_sgpr_kernarg_segment_ptr 1
		.amdhsa_user_sgpr_dispatch_id 0
		.amdhsa_user_sgpr_kernarg_preload_length 0
		.amdhsa_user_sgpr_kernarg_preload_offset 0
		.amdhsa_user_sgpr_private_segment_size 0
		.amdhsa_uses_dynamic_stack 0
		.amdhsa_enable_private_segment 0
		.amdhsa_system_sgpr_workgroup_id_x 1
		.amdhsa_system_sgpr_workgroup_id_y 0
		.amdhsa_system_sgpr_workgroup_id_z 1
		.amdhsa_system_sgpr_workgroup_info 0
		.amdhsa_system_vgpr_workitem_id 1
		.amdhsa_next_free_vgpr 8
		.amdhsa_next_free_sgpr 16
		.amdhsa_accum_offset 8
		.amdhsa_reserve_vcc 1
		.amdhsa_float_round_mode_32 0
		.amdhsa_float_round_mode_16_64 0
		.amdhsa_float_denorm_mode_32 3
		.amdhsa_float_denorm_mode_16_64 3
		.amdhsa_dx10_clamp 1
		.amdhsa_ieee_mode 1
		.amdhsa_fp16_overflow 0
		.amdhsa_tg_split 0
		.amdhsa_exception_fp_ieee_invalid_op 0
		.amdhsa_exception_fp_denorm_src 0
		.amdhsa_exception_fp_ieee_div_zero 0
		.amdhsa_exception_fp_ieee_overflow 0
		.amdhsa_exception_fp_ieee_underflow 0
		.amdhsa_exception_fp_ieee_inexact 0
		.amdhsa_exception_int_div_zero 0
	.end_amdhsa_kernel
	.section	.text._ZN12_GLOBAL__N_120geam_ex_scale_kernelILi32ELi32EDF16_PKDF16_PKS2_PKPDF16_EEviiT2_T3_lilT4_lil,"axG",@progbits,_ZN12_GLOBAL__N_120geam_ex_scale_kernelILi32ELi32EDF16_PKDF16_PKS2_PKPDF16_EEviiT2_T3_lilT4_lil,comdat
.Lfunc_end205:
	.size	_ZN12_GLOBAL__N_120geam_ex_scale_kernelILi32ELi32EDF16_PKDF16_PKS2_PKPDF16_EEviiT2_T3_lilT4_lil, .Lfunc_end205-_ZN12_GLOBAL__N_120geam_ex_scale_kernelILi32ELi32EDF16_PKDF16_PKS2_PKPDF16_EEviiT2_T3_lilT4_lil
                                        ; -- End function
	.section	.AMDGPU.csdata,"",@progbits
; Kernel info:
; codeLenInByte = 508
; NumSgprs: 22
; NumVgprs: 8
; NumAgprs: 0
; TotalNumVgprs: 8
; ScratchSize: 0
; MemoryBound: 0
; FloatMode: 240
; IeeeMode: 1
; LDSByteSize: 0 bytes/workgroup (compile time only)
; SGPRBlocks: 2
; VGPRBlocks: 0
; NumSGPRsForWavesPerEU: 22
; NumVGPRsForWavesPerEU: 8
; AccumOffset: 8
; Occupancy: 8
; WaveLimiterHint : 1
; COMPUTE_PGM_RSRC2:SCRATCH_EN: 0
; COMPUTE_PGM_RSRC2:USER_SGPR: 2
; COMPUTE_PGM_RSRC2:TRAP_HANDLER: 0
; COMPUTE_PGM_RSRC2:TGID_X_EN: 1
; COMPUTE_PGM_RSRC2:TGID_Y_EN: 0
; COMPUTE_PGM_RSRC2:TGID_Z_EN: 1
; COMPUTE_PGM_RSRC2:TIDIG_COMP_CNT: 1
; COMPUTE_PGM_RSRC3_GFX90A:ACCUM_OFFSET: 1
; COMPUTE_PGM_RSRC3_GFX90A:TG_SPLIT: 0
	.section	.text._ZN12_GLOBAL__N_120geam_ex_round_kernelILi32ELi32EDF16_DF16_PKPKDF16_PKPDF16_EEviiT2_T3_lilT4_lil,"axG",@progbits,_ZN12_GLOBAL__N_120geam_ex_round_kernelILi32ELi32EDF16_DF16_PKPKDF16_PKPDF16_EEviiT2_T3_lilT4_lil,comdat
	.globl	_ZN12_GLOBAL__N_120geam_ex_round_kernelILi32ELi32EDF16_DF16_PKPKDF16_PKPDF16_EEviiT2_T3_lilT4_lil ; -- Begin function _ZN12_GLOBAL__N_120geam_ex_round_kernelILi32ELi32EDF16_DF16_PKPKDF16_PKPDF16_EEviiT2_T3_lilT4_lil
	.p2align	8
	.type	_ZN12_GLOBAL__N_120geam_ex_round_kernelILi32ELi32EDF16_DF16_PKPKDF16_PKPDF16_EEviiT2_T3_lilT4_lil,@function
_ZN12_GLOBAL__N_120geam_ex_round_kernelILi32ELi32EDF16_DF16_PKPKDF16_PKPDF16_EEviiT2_T3_lilT4_lil: ; @_ZN12_GLOBAL__N_120geam_ex_round_kernelILi32ELi32EDF16_DF16_PKPKDF16_PKPDF16_EEviiT2_T3_lilT4_lil
; %bb.0:
	s_load_dwordx4 s[4:7], s[0:1], 0x0
	s_mov_b32 s16, s3
	s_mov_b32 s17, 0
	s_waitcnt lgkmcnt(0)
	v_cmp_eq_f16_e64 s[14:15], s6, 0
	s_and_b64 vcc, exec, s[14:15]
	s_cbranch_vccnz .LBB206_2
; %bb.1:
	s_load_dwordx4 s[8:11], s[0:1], 0x10
	s_lshl_b64 s[12:13], s[16:17], 3
	s_waitcnt lgkmcnt(0)
	s_add_u32 s8, s8, s12
	s_addc_u32 s9, s9, s13
	s_load_dwordx2 s[8:9], s[8:9], 0x0
	s_lshl_b64 s[10:11], s[10:11], 1
	s_waitcnt lgkmcnt(0)
	s_add_u32 s12, s8, s10
	s_addc_u32 s13, s9, s11
	s_branch .LBB206_3
.LBB206_2:
	s_mov_b64 s[12:13], 0
.LBB206_3:
	s_add_i32 s3, s4, -1
	s_ashr_i32 s7, s3, 31
	s_lshr_b32 s7, s7, 27
	s_add_i32 s3, s3, s7
	s_ashr_i32 s3, s3, 5
	s_add_i32 s7, s3, 1
	v_cvt_f32_u32_e32 v1, s7
	s_not_b32 s3, s3
	v_and_b32_e32 v3, 0x3ff, v0
	v_bfe_u32 v0, v0, 10, 10
	v_rcp_iflag_f32_e32 v1, v1
	s_nop 0
	v_mul_f32_e32 v1, 0x4f7ffffe, v1
	v_cvt_u32_f32_e32 v1, v1
	s_nop 0
	v_readfirstlane_b32 s8, v1
	s_mul_i32 s3, s3, s8
	s_mul_hi_u32 s3, s8, s3
	s_add_i32 s8, s8, s3
	s_mul_hi_u32 s3, s2, s8
	s_mul_i32 s8, s3, s7
	s_sub_i32 s8, s2, s8
	s_add_i32 s9, s3, 1
	s_sub_i32 s10, s8, s7
	s_cmp_ge_u32 s8, s7
	s_cselect_b32 s3, s9, s3
	s_cselect_b32 s8, s10, s8
	s_add_i32 s9, s3, 1
	s_cmp_ge_u32 s8, s7
	s_cselect_b32 s3, s9, s3
	s_mul_i32 s7, s3, s7
	s_sub_i32 s2, s2, s7
	v_lshl_add_u32 v2, s3, 5, v0
	v_lshl_add_u32 v0, s2, 5, v3
	v_cmp_gt_u32_e32 vcc, s4, v0
	v_cmp_gt_u32_e64 s[2:3], s5, v2
	s_and_b64 s[2:3], vcc, s[2:3]
	s_and_saveexec_b64 s[4:5], s[2:3]
	s_cbranch_execz .LBB206_9
; %bb.4:
	s_load_dwordx4 s[8:11], s[0:1], 0x30
	s_lshl_b64 s[2:3], s[16:17], 3
	s_waitcnt lgkmcnt(0)
	s_add_u32 s2, s8, s2
	s_addc_u32 s3, s9, s3
	s_load_dwordx2 s[2:3], s[2:3], 0x0
	s_andn2_b64 vcc, exec, s[14:15]
	s_cbranch_vccnz .LBB206_6
; %bb.5:
	v_mov_b32_e32 v5, 0
	s_mov_b32 s7, 0
	v_mov_b32_e32 v1, v5
	v_mov_b32_e32 v3, s7
	s_cbranch_execz .LBB206_7
	s_branch .LBB206_8
.LBB206_6:
                                        ; implicit-def: $sgpr7
                                        ; implicit-def: $vgpr4_vgpr5
	v_mov_b32_e32 v3, s7
.LBB206_7:
	s_load_dword s4, s[0:1], 0x20
	v_mov_b32_e32 v5, 0
	v_mov_b32_e32 v1, v5
	s_waitcnt lgkmcnt(0)
	s_ashr_i32 s7, s4, 31
	v_mad_u64_u32 v[6:7], s[4:5], v2, s4, v[0:1]
	v_mov_b32_e32 v4, v7
	v_mad_u64_u32 v[8:9], s[4:5], v2, s7, v[4:5]
	v_mov_b32_e32 v7, v8
	v_lshl_add_u64 v[6:7], v[6:7], 1, s[12:13]
	flat_load_ushort v3, v[6:7]
	s_waitcnt vmcnt(0) lgkmcnt(0)
	v_mul_f16_e32 v3, s6, v3
.LBB206_8:
	s_load_dword s4, s[0:1], 0x40
	s_lshl_b64 s[0:1], s[10:11], 1
	s_waitcnt lgkmcnt(0)
	s_add_u32 s0, s2, s0
	s_addc_u32 s1, s3, s1
	v_cmp_nlt_f16_e32 vcc, 0, v3
	s_ashr_i32 s2, s4, 31
	v_mul_lo_u32 v6, v5, s4
	v_mul_lo_u32 v7, v2, s2
	v_mad_u64_u32 v[4:5], s[2:3], v2, s4, 0
	v_add3_u32 v5, v5, v7, v6
	v_lshl_add_u64 v[4:5], v[4:5], 1, s[0:1]
	v_lshl_add_u64 v[0:1], v[0:1], 1, v[4:5]
	v_cndmask_b32_e32 v2, 0, v3, vcc
	global_store_short v[0:1], v2, off
.LBB206_9:
	s_endpgm
	.section	.rodata,"a",@progbits
	.p2align	6, 0x0
	.amdhsa_kernel _ZN12_GLOBAL__N_120geam_ex_round_kernelILi32ELi32EDF16_DF16_PKPKDF16_PKPDF16_EEviiT2_T3_lilT4_lil
		.amdhsa_group_segment_fixed_size 0
		.amdhsa_private_segment_fixed_size 0
		.amdhsa_kernarg_size 80
		.amdhsa_user_sgpr_count 2
		.amdhsa_user_sgpr_dispatch_ptr 0
		.amdhsa_user_sgpr_queue_ptr 0
		.amdhsa_user_sgpr_kernarg_segment_ptr 1
		.amdhsa_user_sgpr_dispatch_id 0
		.amdhsa_user_sgpr_kernarg_preload_length 0
		.amdhsa_user_sgpr_kernarg_preload_offset 0
		.amdhsa_user_sgpr_private_segment_size 0
		.amdhsa_uses_dynamic_stack 0
		.amdhsa_enable_private_segment 0
		.amdhsa_system_sgpr_workgroup_id_x 1
		.amdhsa_system_sgpr_workgroup_id_y 0
		.amdhsa_system_sgpr_workgroup_id_z 1
		.amdhsa_system_sgpr_workgroup_info 0
		.amdhsa_system_vgpr_workitem_id 1
		.amdhsa_next_free_vgpr 10
		.amdhsa_next_free_sgpr 18
		.amdhsa_accum_offset 12
		.amdhsa_reserve_vcc 1
		.amdhsa_float_round_mode_32 0
		.amdhsa_float_round_mode_16_64 0
		.amdhsa_float_denorm_mode_32 3
		.amdhsa_float_denorm_mode_16_64 3
		.amdhsa_dx10_clamp 1
		.amdhsa_ieee_mode 1
		.amdhsa_fp16_overflow 0
		.amdhsa_tg_split 0
		.amdhsa_exception_fp_ieee_invalid_op 0
		.amdhsa_exception_fp_denorm_src 0
		.amdhsa_exception_fp_ieee_div_zero 0
		.amdhsa_exception_fp_ieee_overflow 0
		.amdhsa_exception_fp_ieee_underflow 0
		.amdhsa_exception_fp_ieee_inexact 0
		.amdhsa_exception_int_div_zero 0
	.end_amdhsa_kernel
	.section	.text._ZN12_GLOBAL__N_120geam_ex_round_kernelILi32ELi32EDF16_DF16_PKPKDF16_PKPDF16_EEviiT2_T3_lilT4_lil,"axG",@progbits,_ZN12_GLOBAL__N_120geam_ex_round_kernelILi32ELi32EDF16_DF16_PKPKDF16_PKPDF16_EEviiT2_T3_lilT4_lil,comdat
.Lfunc_end206:
	.size	_ZN12_GLOBAL__N_120geam_ex_round_kernelILi32ELi32EDF16_DF16_PKPKDF16_PKPDF16_EEviiT2_T3_lilT4_lil, .Lfunc_end206-_ZN12_GLOBAL__N_120geam_ex_round_kernelILi32ELi32EDF16_DF16_PKPKDF16_PKPDF16_EEviiT2_T3_lilT4_lil
                                        ; -- End function
	.section	.AMDGPU.csdata,"",@progbits
; Kernel info:
; codeLenInByte = 508
; NumSgprs: 24
; NumVgprs: 10
; NumAgprs: 0
; TotalNumVgprs: 10
; ScratchSize: 0
; MemoryBound: 0
; FloatMode: 240
; IeeeMode: 1
; LDSByteSize: 0 bytes/workgroup (compile time only)
; SGPRBlocks: 2
; VGPRBlocks: 1
; NumSGPRsForWavesPerEU: 24
; NumVGPRsForWavesPerEU: 10
; AccumOffset: 12
; Occupancy: 8
; WaveLimiterHint : 1
; COMPUTE_PGM_RSRC2:SCRATCH_EN: 0
; COMPUTE_PGM_RSRC2:USER_SGPR: 2
; COMPUTE_PGM_RSRC2:TRAP_HANDLER: 0
; COMPUTE_PGM_RSRC2:TGID_X_EN: 1
; COMPUTE_PGM_RSRC2:TGID_Y_EN: 0
; COMPUTE_PGM_RSRC2:TGID_Z_EN: 1
; COMPUTE_PGM_RSRC2:TIDIG_COMP_CNT: 1
; COMPUTE_PGM_RSRC3_GFX90A:ACCUM_OFFSET: 2
; COMPUTE_PGM_RSRC3_GFX90A:TG_SPLIT: 0
	.section	.text._ZN12_GLOBAL__N_120geam_min_plus_kernelIDF16_Dv2_DF16_S1_Li32ELi8ELi256ELi64ELi4ELi64ELi4ELi4ELi64ELc78ELc78ELb0ELb0ELb1EPKDF16_KS3_KPDF16_EEviiiT16_PT17_ilS9_ilS7_S9_ilPT18_ili26rocblas_geam_ex_operation_,"axG",@progbits,_ZN12_GLOBAL__N_120geam_min_plus_kernelIDF16_Dv2_DF16_S1_Li32ELi8ELi256ELi64ELi4ELi64ELi4ELi4ELi64ELc78ELc78ELb0ELb0ELb1EPKDF16_KS3_KPDF16_EEviiiT16_PT17_ilS9_ilS7_S9_ilPT18_ili26rocblas_geam_ex_operation_,comdat
	.globl	_ZN12_GLOBAL__N_120geam_min_plus_kernelIDF16_Dv2_DF16_S1_Li32ELi8ELi256ELi64ELi4ELi64ELi4ELi4ELi64ELc78ELc78ELb0ELb0ELb1EPKDF16_KS3_KPDF16_EEviiiT16_PT17_ilS9_ilS7_S9_ilPT18_ili26rocblas_geam_ex_operation_ ; -- Begin function _ZN12_GLOBAL__N_120geam_min_plus_kernelIDF16_Dv2_DF16_S1_Li32ELi8ELi256ELi64ELi4ELi64ELi4ELi4ELi64ELc78ELc78ELb0ELb0ELb1EPKDF16_KS3_KPDF16_EEviiiT16_PT17_ilS9_ilS7_S9_ilPT18_ili26rocblas_geam_ex_operation_
	.p2align	8
	.type	_ZN12_GLOBAL__N_120geam_min_plus_kernelIDF16_Dv2_DF16_S1_Li32ELi8ELi256ELi64ELi4ELi64ELi4ELi4ELi64ELc78ELc78ELb0ELb0ELb1EPKDF16_KS3_KPDF16_EEviiiT16_PT17_ilS9_ilS7_S9_ilPT18_ili26rocblas_geam_ex_operation_,@function
_ZN12_GLOBAL__N_120geam_min_plus_kernelIDF16_Dv2_DF16_S1_Li32ELi8ELi256ELi64ELi4ELi64ELi4ELi4ELi64ELc78ELc78ELb0ELb0ELb1EPKDF16_KS3_KPDF16_EEviiiT16_PT17_ilS9_ilS7_S9_ilPT18_ili26rocblas_geam_ex_operation_: ; @_ZN12_GLOBAL__N_120geam_min_plus_kernelIDF16_Dv2_DF16_S1_Li32ELi8ELi256ELi64ELi4ELi64ELi4ELi4ELi64ELc78ELc78ELb0ELb0ELb1EPKDF16_KS3_KPDF16_EEviiiT16_PT17_ilS9_ilS7_S9_ilPT18_ili26rocblas_geam_ex_operation_
; %bb.0:
	s_load_dwordx4 s[16:19], s[0:1], 0x10
	s_load_dwordx4 s[8:11], s[0:1], 0x28
	s_mov_b32 s22, s3
	s_mov_b32 s23, 0
	s_lshl_b64 s[4:5], s[22:23], 1
	s_waitcnt lgkmcnt(0)
	s_add_u32 s6, s16, s4
	s_addc_u32 s7, s17, s5
	v_mov_b32_e32 v1, 0
	global_load_ushort v44, v1, s[6:7]
	s_load_dwordx4 s[12:15], s[0:1], 0x40
	s_load_dwordx2 s[24:25], s[0:1], 0x50
	s_mov_b64 s[20:21], 0
	s_mov_b64 s[16:17], 0
	s_waitcnt lgkmcnt(0)
	s_add_u32 s4, s14, s4
	s_addc_u32 s5, s15, s5
	s_waitcnt vmcnt(0)
	v_cmp_eq_f16_e32 vcc, 0, v44
	v_cmp_neq_f16_e64 s[6:7], 0, v44
	s_cbranch_vccnz .LBB207_2
; %bb.1:
	s_lshl_b64 s[14:15], s[22:23], 3
	s_add_u32 s14, s18, s14
	s_addc_u32 s15, s19, s15
	s_load_dwordx2 s[14:15], s[14:15], 0x0
	s_lshl_b64 s[8:9], s[8:9], 1
	s_waitcnt lgkmcnt(0)
	s_add_u32 s16, s14, s8
	s_addc_u32 s17, s15, s9
.LBB207_2:
	global_load_ushort v52, v1, s[4:5]
	v_cndmask_b32_e64 v1, 0, 1, s[6:7]
	v_cmp_ne_u32_e64 s[4:5], 1, v1
	s_andn2_b64 vcc, exec, s[6:7]
	s_cbranch_vccnz .LBB207_4
; %bb.3:
	s_lshl_b64 s[8:9], s[22:23], 3
	s_add_u32 s8, s10, s8
	s_addc_u32 s9, s11, s9
	s_load_dwordx2 s[8:9], s[8:9], 0x0
	s_lshl_b64 s[10:11], s[12:13], 1
	s_waitcnt lgkmcnt(0)
	s_add_u32 s20, s8, s10
	s_addc_u32 s21, s9, s11
.LBB207_4:
	s_load_dwordx4 s[12:15], s[0:1], 0x60
	s_waitcnt vmcnt(0)
	v_cmp_eq_f16_e32 vcc, 0, v52
	s_and_b64 s[8:9], exec, vcc
	s_mov_b64 vcc, s[8:9]
	s_cbranch_vccnz .LBB207_6
; %bb.5:
	s_lshl_b64 s[10:11], s[22:23], 3
	s_add_u32 s10, s24, s10
	s_addc_u32 s11, s25, s11
	s_load_dwordx2 s[10:11], s[10:11], 0x0
	s_waitcnt lgkmcnt(0)
	s_lshl_b64 s[12:13], s[12:13], 1
	s_add_u32 s10, s10, s12
	s_addc_u32 s11, s11, s13
	s_branch .LBB207_7
.LBB207_6:
	s_mov_b64 s[10:11], 0
.LBB207_7:
	s_load_dword s18, s[0:1], 0x20
	s_load_dword s3, s[0:1], 0x0
	s_waitcnt lgkmcnt(0)
	s_lshl_b64 s[12:13], s[22:23], 3
	v_and_b32_e32 v42, 0x3ff, v0
	v_bfe_u32 v43, v0, 10, 10
	s_ashr_i32 s19, s18, 31
	s_add_u32 s14, s14, s12
	s_addc_u32 s15, s15, s13
	s_add_i32 s3, s3, -1
	s_ashr_i32 s12, s3, 31
	s_lshr_b32 s12, s12, 24
	s_add_i32 s3, s3, s12
	s_ashr_i32 s3, s3, 8
	s_add_i32 s22, s3, 1
	v_cvt_f32_u32_e32 v1, s22
	v_lshl_add_u32 v8, v43, 5, v42
	v_lshrrev_b32_e32 v38, 6, v8
	v_mad_i64_i32 v[2:3], s[12:13], s18, v38, 0
	v_rcp_iflag_f32_e32 v0, v1
	s_not_b32 s3, s3
	v_and_b32_e32 v36, 63, v8
	v_lshl_add_u64 v[2:3], v[2:3], 1, s[16:17]
	v_mul_f32_e32 v0, 0x4f7ffffe, v0
	v_cvt_u32_f32_e32 v0, v0
	s_nop 0
	v_readfirstlane_b32 s12, v0
	s_mul_i32 s3, s3, s12
	s_mul_hi_u32 s3, s12, s3
	s_add_i32 s12, s12, s3
	s_mul_hi_u32 s3, s2, s12
	s_mul_i32 s12, s3, s22
	s_sub_i32 s12, s2, s12
	s_add_i32 s13, s3, 1
	s_sub_i32 s23, s12, s22
	s_cmp_ge_u32 s12, s22
	s_cselect_b32 s3, s13, s3
	s_cselect_b32 s12, s23, s12
	s_add_i32 s13, s3, 1
	s_cmp_ge_u32 s12, s22
	s_cselect_b32 s12, s13, s3
	s_mul_i32 s3, s12, s22
	s_sub_i32 s13, s2, s3
	s_lshl_b32 s22, s13, 8
	v_or_b32_e32 v0, s22, v36
	s_and_b64 vcc, exec, s[4:5]
	v_ashrrev_i32_e32 v1, 31, v0
	s_cbranch_vccnz .LBB207_10
; %bb.8:
	v_lshl_add_u64 v[4:5], v[0:1], 1, v[2:3]
	flat_load_ushort v6, v[4:5]
	flat_load_ushort v7, v[4:5] offset:128
	s_waitcnt vmcnt(0) lgkmcnt(0)
	v_mul_f16_e32 v4, v44, v6
	v_mul_f16_e32 v5, v44, v7
	s_and_b64 vcc, exec, s[4:5]
	s_cbranch_vccnz .LBB207_11
.LBB207_9:
	v_lshl_add_u64 v[2:3], v[0:1], 1, v[2:3]
	flat_load_ushort v6, v[2:3] offset:256
	flat_load_ushort v7, v[2:3] offset:384
	s_waitcnt vmcnt(0) lgkmcnt(0)
	v_mul_f16_e32 v6, v44, v6
	v_mul_f16_e32 v7, v44, v7
	s_branch .LBB207_12
.LBB207_10:
	v_mov_b32_e32 v4, 0
	v_mov_b32_e32 v5, 0
	s_and_b64 vcc, exec, s[4:5]
	s_cbranch_vccz .LBB207_9
.LBB207_11:
	v_mov_b32_e32 v6, 0
	v_mov_b32_e32 v7, 0
.LBB207_12:
	s_load_dword s24, s[0:1], 0x38
	v_and_b32_e32 v2, 3, v42
	v_lshrrev_b32_e32 v8, 2, v8
	s_lshl_b32 s23, s12, 6
	s_and_b64 vcc, exec, s[4:5]
	v_add_u32_e32 v34, s23, v8
	v_lshlrev_b32_e32 v32, 1, v2
	s_cbranch_vccnz .LBB207_14
; %bb.13:
	s_waitcnt lgkmcnt(0)
	v_mad_i64_i32 v[2:3], s[12:13], v34, s24, 0
	v_lshl_add_u64 v[2:3], v[2:3], 1, s[20:21]
	v_mov_b32_e32 v33, 0
	v_lshl_add_u64 v[2:3], v[2:3], 0, v[32:33]
	flat_load_ushort v2, v[2:3]
	s_waitcnt vmcnt(0) lgkmcnt(0)
	v_mul_f16_e32 v9, v44, v2
	s_branch .LBB207_15
.LBB207_14:
	v_mov_b32_e32 v9, 0
.LBB207_15:
	v_add_u32_e32 v2, 4, v38
	v_mad_i64_i32 v[2:3], s[12:13], s18, v2, 0
	s_and_b64 vcc, exec, s[4:5]
	v_lshl_add_u64 v[2:3], v[2:3], 1, s[16:17]
	s_cbranch_vccnz .LBB207_19
; %bb.16:
	v_lshl_add_u64 v[10:11], v[0:1], 1, v[2:3]
	flat_load_ushort v12, v[10:11]
	flat_load_ushort v13, v[10:11] offset:128
	s_waitcnt vmcnt(0) lgkmcnt(0)
	v_mul_f16_e32 v35, v44, v12
	v_mul_f16_e32 v37, v44, v13
	s_and_b64 vcc, exec, s[4:5]
	s_cbranch_vccnz .LBB207_20
.LBB207_17:
	v_lshl_add_u64 v[0:1], v[0:1], 1, v[2:3]
	flat_load_ushort v2, v[0:1] offset:256
	flat_load_ushort v3, v[0:1] offset:384
	s_waitcnt vmcnt(0) lgkmcnt(0)
	v_mul_f16_e32 v39, v44, v2
	v_mul_f16_e32 v40, v44, v3
	s_and_b64 vcc, exec, s[4:5]
	s_cbranch_vccnz .LBB207_21
.LBB207_18:
	s_waitcnt lgkmcnt(0)
	v_mad_i64_i32 v[0:1], s[12:13], v34, s24, 0
	v_lshl_add_u64 v[0:1], v[0:1], 1, s[20:21]
	v_mov_b32_e32 v33, 0
	v_lshl_add_u64 v[0:1], v[0:1], 0, v[32:33]
	flat_load_ushort v0, v[0:1] offset:8
	s_waitcnt vmcnt(0) lgkmcnt(0)
	v_mul_f16_e32 v33, v44, v0
	s_branch .LBB207_22
.LBB207_19:
	v_mov_b32_e32 v35, 0
	v_mov_b32_e32 v37, 0
	s_and_b64 vcc, exec, s[4:5]
	s_cbranch_vccz .LBB207_17
.LBB207_20:
	v_mov_b32_e32 v39, 0
	v_mov_b32_e32 v40, 0
	s_and_b64 vcc, exec, s[4:5]
	s_cbranch_vccz .LBB207_18
.LBB207_21:
	v_mov_b32_e32 v33, 0
.LBB207_22:
	v_lshlrev_b32_e32 v0, 1, v38
	v_lshl_add_u32 v46, v36, 3, v0
	v_lshl_or_b32 v41, v8, 3, v32
	v_lshlrev_b32_e32 v45, 3, v42
	s_load_dwordx2 s[12:13], s[14:15], 0x0
	s_load_dword s25, s[0:1], 0x8
	ds_write_b16 v46, v4
	ds_write_b16 v46, v5 offset:512
	ds_write_b16 v46, v6 offset:1024
	;; [unrolled: 1-line block ×4, first 2 shown]
	s_waitcnt lgkmcnt(0)
	s_barrier
	ds_read2_b64 v[16:19], v45 offset1:32
	ds_read2_b64 v[12:15], v45 offset0:64 offset1:96
	ds_read2_b64 v[4:7], v45 offset0:128 offset1:160
	v_lshlrev_b32_e32 v50, 3, v43
	v_add_u32_e32 v47, 0x1000, v50
	ds_read2_b64 v[28:31], v47 offset1:8
	ds_read2_b64 v[0:3], v45 offset0:192 offset1:224
	ds_read2_b64 v[24:27], v47 offset0:16 offset1:24
	ds_read2_b64 v[20:23], v47 offset0:32 offset1:40
	ds_read2_b64 v[8:11], v47 offset0:48 offset1:56
	s_movk_i32 s14, 0x7c00
	s_waitcnt lgkmcnt(4)
	v_pk_add_f16 v51, v12, v28
	v_pk_add_f16 v48, v16, v28
	v_pk_min_f16 v53, v51, s14 op_sel_hi:[1,0]
	v_pk_add_f16 v51, v14, v28
	v_pk_add_f16 v49, v18, v28
	v_pk_min_f16 v54, v51, s14 op_sel_hi:[1,0]
	v_pk_add_f16 v51, v4, v28
	v_pk_min_f16 v48, v48, s14 op_sel_hi:[1,0]
	v_pk_min_f16 v55, v51, s14 op_sel_hi:[1,0]
	v_pk_add_f16 v51, v6, v28
	v_pk_min_f16 v49, v49, s14 op_sel_hi:[1,0]
	v_pk_min_f16 v56, v51, s14 op_sel_hi:[1,0]
	s_waitcnt lgkmcnt(3)
	v_pk_add_f16 v51, v0, v28
	v_pk_add_f16 v28, v2, v28
	v_pk_min_f16 v57, v51, s14 op_sel_hi:[1,0]
	v_pk_add_f16 v51, v16, v30
	v_pk_min_f16 v28, v28, s14 op_sel_hi:[1,0]
	v_pk_min_f16 v58, v51, s14 op_sel_hi:[1,0]
	v_pk_add_f16 v51, v18, v30
	s_cmp_lt_i32 s25, 9
	v_pk_min_f16 v59, v51, s14 op_sel_hi:[1,0]
	v_pk_add_f16 v51, v12, v30
	ds_write_b16 v46, v35 offset:2048
	ds_write_b16 v46, v37 offset:2560
	;; [unrolled: 1-line block ×5, first 2 shown]
	v_pk_min_f16 v60, v51, s14 op_sel_hi:[1,0]
	v_pk_add_f16 v51, v14, v30
	s_waitcnt lgkmcnt(0)
	v_pk_min_f16 v61, v51, s14 op_sel_hi:[1,0]
	v_pk_add_f16 v51, v4, v30
	s_barrier
	v_pk_min_f16 v62, v51, s14 op_sel_hi:[1,0]
	v_pk_add_f16 v51, v6, v30
	s_nop 0
	v_pk_min_f16 v63, v51, s14 op_sel_hi:[1,0]
	v_pk_add_f16 v51, v0, v30
	v_pk_add_f16 v30, v2, v30
	v_pk_min_f16 v64, v51, s14 op_sel_hi:[1,0]
	v_pk_add_f16 v51, v16, v24
	v_pk_min_f16 v30, v30, s14 op_sel_hi:[1,0]
	v_pk_min_f16 v65, v51, s14 op_sel_hi:[1,0]
	v_pk_add_f16 v51, v18, v24
	s_nop 0
	v_pk_min_f16 v66, v51, s14 op_sel_hi:[1,0]
	v_pk_add_f16 v51, v12, v24
	s_nop 0
	v_pk_min_f16 v67, v51, s14 op_sel_hi:[1,0]
	v_pk_add_f16 v51, v14, v24
	s_nop 0
	v_pk_min_f16 v68, v51, s14 op_sel_hi:[1,0]
	v_pk_add_f16 v51, v4, v24
	s_nop 0
	v_pk_min_f16 v69, v51, s14 op_sel_hi:[1,0]
	v_pk_add_f16 v51, v6, v24
	s_nop 0
	v_pk_min_f16 v70, v51, s14 op_sel_hi:[1,0]
	v_pk_add_f16 v51, v0, v24
	v_pk_add_f16 v24, v2, v24
	v_pk_min_f16 v71, v51, s14 op_sel_hi:[1,0]
	v_pk_add_f16 v51, v16, v26
	v_pk_min_f16 v24, v24, s14 op_sel_hi:[1,0]
	v_pk_min_f16 v72, v51, s14 op_sel_hi:[1,0]
	v_pk_add_f16 v51, v18, v26
	s_nop 0
	v_pk_min_f16 v73, v51, s14 op_sel_hi:[1,0]
	v_pk_add_f16 v51, v12, v26
	s_nop 0
	v_pk_min_f16 v74, v51, s14 op_sel_hi:[1,0]
	v_pk_add_f16 v51, v14, v26
	s_nop 0
	v_pk_min_f16 v75, v51, s14 op_sel_hi:[1,0]
	v_pk_add_f16 v51, v4, v26
	s_nop 0
	;; [unrolled: 21-line block ×4, first 2 shown]
	v_pk_min_f16 v124, v51, s14 op_sel_hi:[1,0]
	v_pk_add_f16 v51, v6, v22
	s_nop 0
	v_pk_min_f16 v125, v51, s14 op_sel_hi:[1,0]
	v_pk_add_f16 v51, v0, v22
	v_pk_add_f16 v22, v2, v22
	v_pk_min_f16 v126, v51, s14 op_sel_hi:[1,0]
	v_pk_add_f16 v51, v16, v8
	v_pk_min_f16 v22, v22, s14 op_sel_hi:[1,0]
	v_pk_min_f16 v127, v51, s14 op_sel_hi:[1,0]
	v_pk_add_f16 v51, v18, v8
	s_nop 0
	v_pk_min_f16 v128, v51, s14 op_sel_hi:[1,0]
	v_pk_add_f16 v51, v12, v8
	s_nop 0
	;; [unrolled: 3-line block ×3, first 2 shown]
	v_pk_min_f16 v130, v51, s14 op_sel_hi:[1,0]
	v_pk_add_f16 v51, v4, v8
	v_pk_add_f16 v4, v4, v10
	v_pk_min_f16 v131, v51, s14 op_sel_hi:[1,0]
	v_pk_add_f16 v51, v6, v8
	s_nop 0
	v_pk_min_f16 v132, v51, s14 op_sel_hi:[1,0]
	v_pk_add_f16 v51, v0, v8
	v_pk_add_f16 v8, v2, v8
	;; [unrolled: 1-line block ×3, first 2 shown]
	v_pk_min_f16 v134, v8, s14 op_sel_hi:[1,0]
	v_pk_add_f16 v8, v16, v10
	v_pk_min_f16 v133, v51, s14 op_sel_hi:[1,0]
	v_pk_min_f16 v16, v8, s14 op_sel_hi:[1,0]
	v_pk_add_f16 v8, v18, v10
	s_nop 0
	v_pk_min_f16 v18, v8, s14 op_sel_hi:[1,0]
	v_pk_add_f16 v8, v12, v10
	s_nop 0
	;; [unrolled: 3-line block ×3, first 2 shown]
	v_pk_min_f16 v14, v8, s14 op_sel_hi:[1,0]
	v_pk_min_f16 v8, v4, s14 op_sel_hi:[1,0]
	v_pk_add_f16 v4, v6, v10
	s_nop 0
	v_pk_min_f16 v6, v4, s14 op_sel_hi:[1,0]
	v_pk_min_f16 v4, v0, s14 op_sel_hi:[1,0]
	v_pk_add_f16 v0, v2, v10
	v_pk_add_f16 v2, v17, v29
	v_pk_min_f16 v0, v0, s14 op_sel_hi:[1,0]
	v_pk_min_f16 v51, v48, v2
	v_pk_add_f16 v2, v19, v29
	s_nop 0
	v_pk_min_f16 v115, v49, v2
	v_pk_add_f16 v2, v13, v29
	s_nop 0
	;; [unrolled: 3-line block ×53, first 2 shown]
	v_pk_min_f16 v62, v132, v2
	v_pk_add_f16 v2, v1, v9
	v_pk_add_f16 v1, v1, v11
	v_pk_min_f16 v61, v133, v2
	v_pk_add_f16 v2, v3, v9
	v_pk_min_f16 v54, v4, v1
	v_pk_min_f16 v59, v134, v2
	v_pk_add_f16 v2, v17, v11
	v_pk_add_f16 v1, v3, v11
	v_pk_min_f16 v60, v16, v2
	v_pk_add_f16 v2, v19, v11
	v_pk_min_f16 v68, v0, v1
	v_pk_min_f16 v58, v18, v2
	v_pk_add_f16 v2, v13, v11
	s_nop 0
	v_pk_min_f16 v57, v12, v2
	v_pk_add_f16 v2, v15, v11
	s_nop 0
	v_pk_min_f16 v56, v14, v2
	v_pk_add_f16 v2, v5, v11
	s_nop 0
	v_pk_min_f16 v55, v8, v2
	v_pk_add_f16 v2, v7, v11
	s_nop 0
	v_pk_min_f16 v53, v6, v2
	s_cbranch_scc1 .LBB207_40
; %bb.23:
	v_mov_b32_e32 v0, 0x800
	v_lshl_add_u32 v117, v42, 3, v0
	v_mov_b32_e32 v0, 0x1200
	s_add_i32 s14, s25, -8
	v_lshl_add_u32 v118, v43, 3, v0
	v_mad_i64_i32 v[0:1], s[24:25], s24, v34, 0
	v_mov_b32_e32 v33, 0
	v_lshl_add_u64 v[0:1], v[0:1], 1, v[32:33]
	v_lshl_add_u64 v[0:1], v[0:1], 0, s[20:21]
	;; [unrolled: 1-line block ×3, first 2 shown]
	v_add_u32_e32 v0, 12, v38
	v_mad_i64_i32 v[0:1], s[20:21], v0, s18, 0
	v_lshlrev_b64 v[34:35], 1, v[0:1]
	v_lshl_or_b32 v0, s2, 8, v36
	s_lshl_b32 s2, s3, 8
	v_subrev_u32_e32 v0, s2, v0
	v_ashrrev_i32_e32 v1, 31, v0
	v_lshl_add_u64 v[36:37], v[0:1], 1, s[16:17]
	v_add_u32_e32 v0, 8, v38
	v_mad_i64_i32 v[0:1], s[16:17], v0, s18, 0
	v_add_u32_e32 v48, 0x1000, v41
	v_add_u32_e32 v49, 0x800, v46
	v_add_u32_e32 v116, 0x1200, v41
	s_lshl_b64 s[2:3], s[18:19], 4
	v_lshlrev_b64 v[38:39], 1, v[0:1]
	s_mov_b32 s15, 0
	s_and_b64 s[6:7], exec, s[6:7]
	s_branch .LBB207_26
.LBB207_24:                             ;   in Loop: Header=BB207_26 Depth=1
	flat_load_ushort v0, v[32:33] offset:8
	s_waitcnt vmcnt(0) lgkmcnt(0)
	v_mul_f16_e32 v28, v44, v0
.LBB207_25:                             ;   in Loop: Header=BB207_26 Depth=1
	ds_read2_b64 v[8:11], v45 offset1:32
	ds_read2_b64 v[4:7], v45 offset0:64 offset1:96
	ds_read2_b64 v[0:3], v45 offset0:128 offset1:160
	ds_read2_b64 v[122:125], v47 offset1:8
	ds_read2_b64 v[12:15], v45 offset0:192 offset1:224
	ds_read2_b64 v[24:27], v47 offset0:16 offset1:24
	;; [unrolled: 1-line block ×4, first 2 shown]
	s_waitcnt lgkmcnt(4)
	v_pk_add_f16 v113, v8, v122
	v_pk_max_f16 v112, v112, v112
	v_pk_max_f16 v111, v111, v111
	v_pk_min_f16 v112, v112, v113
	v_pk_add_f16 v113, v10, v122
	v_pk_max_f16 v110, v110, v110
	v_pk_min_f16 v111, v111, v113
	v_pk_add_f16 v113, v4, v122
	v_pk_max_f16 v109, v109, v109
	v_pk_min_f16 v110, v110, v113
	v_pk_add_f16 v113, v6, v122
	v_pk_max_f16 v108, v108, v108
	v_pk_min_f16 v109, v109, v113
	v_pk_add_f16 v113, v0, v122
	v_pk_max_f16 v107, v107, v107
	v_pk_min_f16 v108, v108, v113
	v_pk_add_f16 v113, v2, v122
	v_pk_max_f16 v106, v106, v106
	v_pk_min_f16 v107, v107, v113
	s_waitcnt lgkmcnt(3)
	v_pk_add_f16 v113, v12, v122
	v_pk_max_f16 v105, v105, v105
	v_pk_min_f16 v106, v106, v113
	v_pk_add_f16 v113, v14, v122
	v_pk_max_f16 v104, v104, v104
	v_pk_min_f16 v105, v105, v113
	;; [unrolled: 3-line block ×10, first 2 shown]
	s_waitcnt lgkmcnt(2)
	v_pk_add_f16 v113, v8, v24
	v_pk_max_f16 v95, v95, v95
	v_pk_min_f16 v96, v96, v113
	v_pk_add_f16 v113, v10, v24
	v_pk_max_f16 v94, v94, v94
	v_pk_min_f16 v95, v95, v113
	;; [unrolled: 3-line block ×6, first 2 shown]
	v_pk_add_f16 v113, v12, v24
	v_pk_add_f16 v24, v14, v24
	v_pk_max_f16 v88, v88, v88
	v_pk_min_f16 v24, v89, v24
	v_pk_add_f16 v89, v8, v26
	v_pk_max_f16 v87, v87, v87
	v_pk_min_f16 v88, v88, v89
	;; [unrolled: 3-line block ×7, first 2 shown]
	v_pk_add_f16 v89, v12, v26
	v_pk_add_f16 v26, v14, v26
	v_pk_max_f16 v80, v80, v80
	v_pk_min_f16 v26, v81, v26
	s_waitcnt lgkmcnt(1)
	v_pk_add_f16 v81, v8, v20
	v_pk_max_f16 v79, v79, v79
	v_pk_min_f16 v80, v80, v81
	v_pk_add_f16 v81, v10, v20
	v_pk_max_f16 v78, v78, v78
	v_pk_min_f16 v79, v79, v81
	;; [unrolled: 3-line block ×6, first 2 shown]
	v_pk_add_f16 v81, v12, v20
	v_pk_add_f16 v20, v14, v20
	v_pk_max_f16 v72, v72, v72
	v_pk_min_f16 v20, v73, v20
	v_pk_add_f16 v73, v8, v22
	v_pk_max_f16 v71, v71, v71
	v_pk_min_f16 v72, v72, v73
	;; [unrolled: 3-line block ×7, first 2 shown]
	v_pk_add_f16 v73, v12, v22
	v_pk_add_f16 v22, v14, v22
	v_pk_max_f16 v64, v64, v64
	v_pk_min_f16 v22, v65, v22
	s_waitcnt lgkmcnt(0)
	v_pk_add_f16 v65, v8, v16
	v_pk_max_f16 v63, v63, v63
	v_pk_min_f16 v64, v64, v65
	v_pk_add_f16 v65, v10, v16
	v_pk_max_f16 v62, v62, v62
	v_pk_min_f16 v63, v63, v65
	;; [unrolled: 3-line block ×5, first 2 shown]
	v_pk_add_f16 v65, v2, v16
	v_pk_add_f16 v8, v8, v18
	v_pk_min_f16 v59, v59, v65
	v_pk_add_f16 v65, v12, v16
	v_pk_add_f16 v16, v14, v16
	v_pk_add_f16 v10, v10, v18
	v_pk_add_f16 v4, v4, v18
	v_pk_add_f16 v6, v6, v18
	v_pk_add_f16 v0, v0, v18
	v_pk_add_f16 v2, v2, v18
	v_pk_add_f16 v12, v12, v18
	v_pk_add_f16 v14, v14, v18
	v_pk_max_f16 v18, v31, v31
	v_pk_max_f16 v51, v51, v51
	v_pk_min_f16 v14, v18, v14
	v_pk_add_f16 v18, v9, v123
	v_pk_min_f16 v0, v51, v0
	v_pk_min_f16 v51, v112, v18
	v_pk_add_f16 v18, v11, v123
	v_pk_max_f16 v90, v90, v90
	v_pk_min_f16 v115, v111, v18
	v_pk_add_f16 v18, v5, v123
	v_pk_min_f16 v90, v90, v113
	v_pk_min_f16 v114, v110, v18
	v_pk_add_f16 v18, v7, v123
	;; [unrolled: 6-line block ×6, first 2 shown]
	v_pk_max_f16 v55, v55, v55
	v_pk_min_f16 v105, v101, v18
	v_pk_add_f16 v18, v1, v125
	v_pk_max_f16 v30, v30, v30
	v_pk_min_f16 v104, v100, v18
	v_pk_add_f16 v18, v3, v125
	;; [unrolled: 3-line block ×3, first 2 shown]
	v_pk_min_f16 v10, v55, v10
	v_pk_min_f16 v102, v98, v18
	v_pk_add_f16 v18, v15, v125
	v_pk_max_f16 v54, v54, v54
	v_pk_min_f16 v101, v97, v18
	v_pk_add_f16 v18, v9, v25
	v_pk_max_f16 v53, v53, v53
	v_pk_min_f16 v100, v96, v18
	v_pk_add_f16 v18, v11, v25
	v_pk_min_f16 v2, v30, v2
	v_pk_min_f16 v99, v95, v18
	v_pk_add_f16 v18, v5, v25
	v_pk_max_f16 v29, v29, v29
	v_pk_min_f16 v98, v94, v18
	v_pk_add_f16 v18, v7, v25
	v_pk_max_f16 v57, v57, v57
	v_pk_min_f16 v97, v93, v18
	v_pk_add_f16 v18, v1, v25
	v_pk_min_f16 v8, v56, v8
	v_pk_min_f16 v96, v92, v18
	v_pk_add_f16 v18, v3, v25
	v_pk_min_f16 v4, v54, v4
	;; [unrolled: 3-line block ×5, first 2 shown]
	v_pk_min_f16 v92, v88, v18
	v_pk_add_f16 v18, v11, v27
	s_add_i32 s15, s15, 8
	v_pk_min_f16 v91, v87, v18
	v_pk_add_f16 v18, v5, v27
	v_lshl_add_u64 v[32:33], v[32:33], 0, 16
	v_pk_min_f16 v90, v86, v18
	v_pk_add_f16 v18, v7, v27
	s_cmp_ge_i32 s15, s14
	v_pk_min_f16 v89, v85, v18
	v_pk_add_f16 v18, v1, v27
	v_lshl_add_u64 v[36:37], v[36:37], 0, s[2:3]
	v_pk_min_f16 v88, v84, v18
	v_pk_add_f16 v18, v3, v27
	ds_write_b16 v49, v119
	ds_write_b16 v49, v120 offset:512
	ds_write_b16 v49, v40 offset:1024
	;; [unrolled: 1-line block ×3, first 2 shown]
	ds_write_b16 v116, v28
	v_pk_min_f16 v87, v83, v18
	v_pk_add_f16 v18, v13, v27
	s_waitcnt lgkmcnt(0)
	v_pk_min_f16 v86, v82, v18
	v_pk_add_f16 v18, v15, v27
	s_barrier
	v_pk_min_f16 v84, v26, v18
	v_pk_add_f16 v18, v9, v21
	s_nop 0
	v_pk_min_f16 v85, v80, v18
	v_pk_add_f16 v18, v11, v21
	s_nop 0
	;; [unrolled: 3-line block ×16, first 2 shown]
	v_pk_min_f16 v69, v22, v18
	v_pk_add_f16 v18, v9, v17
	v_pk_add_f16 v9, v9, v19
	v_pk_min_f16 v67, v64, v18
	v_pk_add_f16 v18, v11, v17
	s_nop 0
	v_pk_min_f16 v66, v63, v18
	v_pk_add_f16 v18, v5, v17
	v_pk_add_f16 v5, v5, v19
	v_pk_min_f16 v65, v62, v18
	v_pk_add_f16 v18, v7, v17
	v_pk_min_f16 v57, v4, v5
	v_pk_min_f16 v64, v61, v18
	v_pk_add_f16 v18, v1, v17
	v_pk_add_f16 v1, v1, v19
	v_pk_min_f16 v63, v60, v18
	v_pk_min_f16 v55, v0, v1
	v_pk_add_f16 v0, v3, v19
	v_pk_add_f16 v18, v3, v17
	v_pk_min_f16 v53, v2, v0
	v_pk_add_f16 v0, v13, v19
	v_pk_min_f16 v62, v59, v18
	v_pk_add_f16 v18, v13, v17
	v_pk_add_f16 v17, v15, v17
	v_pk_min_f16 v60, v8, v9
	v_pk_add_f16 v8, v11, v19
	;; [unrolled: 3-line block ×3, first 2 shown]
	v_pk_min_f16 v61, v58, v18
	v_pk_min_f16 v59, v16, v17
	;; [unrolled: 1-line block ×5, first 2 shown]
	s_cbranch_scc1 .LBB207_40
.LBB207_26:                             ; =>This Inner Loop Header: Depth=1
	s_and_b64 vcc, exec, s[4:5]
	v_lshl_add_u64 v[0:1], v[36:37], 0, v[38:39]
	s_cbranch_vccnz .LBB207_30
; %bb.27:                               ;   in Loop: Header=BB207_26 Depth=1
	flat_load_ushort v2, v[0:1]
	flat_load_ushort v3, v[0:1] offset:128
	s_waitcnt vmcnt(0) lgkmcnt(0)
	v_mul_f16_e32 v40, v44, v2
	v_mul_f16_e32 v41, v44, v3
	s_and_b64 vcc, exec, s[4:5]
	s_cbranch_vccnz .LBB207_31
.LBB207_28:                             ;   in Loop: Header=BB207_26 Depth=1
	flat_load_ushort v2, v[0:1] offset:256
	flat_load_ushort v3, v[0:1] offset:384
	s_waitcnt vmcnt(0) lgkmcnt(0)
	v_mul_f16_e32 v119, v44, v2
	v_mul_f16_e32 v120, v44, v3
	s_and_b64 vcc, exec, s[4:5]
	s_cbranch_vccnz .LBB207_32
.LBB207_29:                             ;   in Loop: Header=BB207_26 Depth=1
	flat_load_ushort v0, v[32:33]
	s_waitcnt vmcnt(0) lgkmcnt(0)
	v_mul_f16_e32 v121, v44, v0
	s_branch .LBB207_33
.LBB207_30:                             ;   in Loop: Header=BB207_26 Depth=1
	v_mov_b32_e32 v40, 0
	v_mov_b32_e32 v41, 0
	s_and_b64 vcc, exec, s[4:5]
	s_cbranch_vccz .LBB207_28
.LBB207_31:                             ;   in Loop: Header=BB207_26 Depth=1
	v_mov_b32_e32 v119, 0
	v_mov_b32_e32 v120, 0
	s_and_b64 vcc, exec, s[4:5]
	s_cbranch_vccz .LBB207_29
.LBB207_32:                             ;   in Loop: Header=BB207_26 Depth=1
	v_mov_b32_e32 v121, 0
.LBB207_33:                             ;   in Loop: Header=BB207_26 Depth=1
	ds_read2_b64 v[12:15], v117 offset1:32
	ds_read2_b64 v[8:11], v117 offset0:64 offset1:96
	ds_read2_b64 v[4:7], v117 offset0:128 offset1:160
	;; [unrolled: 1-line block ×3, first 2 shown]
	ds_read2_b64 v[28:31], v118 offset1:8
	ds_read2_b64 v[24:27], v118 offset0:16 offset1:24
	ds_read2_b64 v[20:23], v118 offset0:32 offset1:40
	;; [unrolled: 1-line block ×3, first 2 shown]
	ds_write_b16 v46, v40
	ds_write_b16 v46, v41 offset:512
	ds_write_b16 v46, v119 offset:1024
	;; [unrolled: 1-line block ×3, first 2 shown]
	ds_write_b16 v48, v121
	v_lshl_add_u64 v[40:41], v[36:37], 0, v[34:35]
	s_mov_b64 vcc, s[6:7]
	s_waitcnt lgkmcnt(0)
	s_barrier
	s_cbranch_vccz .LBB207_36
; %bb.34:                               ;   in Loop: Header=BB207_26 Depth=1
	flat_load_ushort v119, v[40:41]
	flat_load_ushort v120, v[40:41] offset:128
	s_waitcnt vmcnt(0) lgkmcnt(0)
	v_mul_f16_e32 v119, v44, v119
	v_mul_f16_e32 v120, v44, v120
	s_and_b64 vcc, exec, s[4:5]
	s_cbranch_vccnz .LBB207_37
.LBB207_35:                             ;   in Loop: Header=BB207_26 Depth=1
	flat_load_ushort v121, v[40:41] offset:256
	flat_load_ushort v122, v[40:41] offset:384
	s_waitcnt vmcnt(0) lgkmcnt(0)
	v_mul_f16_e32 v40, v44, v121
	v_mul_f16_e32 v41, v44, v122
	s_branch .LBB207_38
.LBB207_36:                             ;   in Loop: Header=BB207_26 Depth=1
	v_mov_b32_e32 v119, 0
	v_mov_b32_e32 v120, 0
	s_and_b64 vcc, exec, s[4:5]
	s_cbranch_vccz .LBB207_35
.LBB207_37:                             ;   in Loop: Header=BB207_26 Depth=1
	v_mov_b32_e32 v40, 0
	v_mov_b32_e32 v41, 0
.LBB207_38:                             ;   in Loop: Header=BB207_26 Depth=1
	v_pk_add_f16 v121, v12, v28
	v_pk_max_f16 v51, v51, v51
	v_pk_max_f16 v115, v115, v115
	v_pk_min_f16 v51, v51, v121
	v_pk_add_f16 v121, v14, v28
	v_pk_max_f16 v114, v114, v114
	v_pk_min_f16 v115, v115, v121
	v_pk_add_f16 v121, v8, v28
	v_pk_max_f16 v113, v113, v113
	v_pk_min_f16 v114, v114, v121
	v_pk_add_f16 v121, v10, v28
	v_pk_max_f16 v112, v112, v112
	v_pk_min_f16 v113, v113, v121
	v_pk_add_f16 v121, v4, v28
	v_pk_max_f16 v111, v111, v111
	v_pk_min_f16 v121, v112, v121
	v_pk_add_f16 v112, v6, v28
	v_pk_max_f16 v109, v109, v109
	v_pk_min_f16 v122, v111, v112
	v_pk_add_f16 v111, v0, v28
	v_pk_add_f16 v28, v2, v28
	v_pk_max_f16 v108, v108, v108
	v_pk_min_f16 v28, v109, v28
	v_pk_add_f16 v109, v12, v30
	v_pk_max_f16 v107, v107, v107
	v_pk_min_f16 v124, v108, v109
	v_pk_add_f16 v108, v14, v30
	v_pk_max_f16 v106, v106, v106
	v_pk_min_f16 v125, v107, v108
	v_pk_add_f16 v107, v8, v30
	v_pk_max_f16 v105, v105, v105
	v_pk_min_f16 v126, v106, v107
	v_pk_add_f16 v106, v10, v30
	v_pk_max_f16 v104, v104, v104
	v_pk_min_f16 v127, v105, v106
	v_pk_add_f16 v105, v4, v30
	v_pk_max_f16 v103, v103, v103
	v_pk_min_f16 v128, v104, v105
	v_pk_add_f16 v104, v6, v30
	v_pk_max_f16 v101, v101, v101
	v_pk_min_f16 v129, v103, v104
	v_pk_add_f16 v103, v0, v30
	v_pk_add_f16 v30, v2, v30
	v_pk_max_f16 v100, v100, v100
	v_pk_min_f16 v30, v101, v30
	v_pk_add_f16 v101, v12, v24
	;; [unrolled: 22-line block ×6, first 2 shown]
	v_pk_max_f16 v66, v66, v66
	v_pk_min_f16 v159, v67, v69
	v_pk_add_f16 v67, v14, v16
	v_pk_max_f16 v65, v65, v65
	v_pk_min_f16 v160, v66, v67
	v_pk_add_f16 v66, v8, v16
	;; [unrolled: 3-line block ×5, first 2 shown]
	v_pk_add_f16 v12, v12, v18
	v_pk_min_f16 v164, v62, v63
	v_pk_add_f16 v62, v0, v16
	v_pk_add_f16 v16, v2, v16
	;; [unrolled: 1-line block ×9, first 2 shown]
	v_pk_max_f16 v18, v68, v68
	v_pk_max_f16 v110, v110, v110
	v_pk_min_f16 v2, v18, v2
	v_pk_add_f16 v18, v13, v29
	v_pk_min_f16 v123, v110, v111
	v_pk_min_f16 v112, v51, v18
	v_pk_add_f16 v18, v15, v29
	v_pk_max_f16 v102, v102, v102
	v_pk_min_f16 v111, v115, v18
	v_pk_add_f16 v18, v9, v29
	v_pk_min_f16 v130, v102, v103
	v_pk_min_f16 v110, v114, v18
	v_pk_add_f16 v18, v11, v29
	;; [unrolled: 6-line block ×7, first 2 shown]
	v_pk_max_f16 v59, v59, v59
	v_pk_min_f16 v99, v129, v18
	v_pk_add_f16 v18, v1, v31
	v_pk_max_f16 v53, v53, v53
	v_pk_min_f16 v98, v130, v18
	v_pk_add_f16 v18, v3, v31
	v_pk_min_f16 v16, v59, v16
	v_pk_min_f16 v97, v30, v18
	v_pk_add_f16 v18, v13, v25
	v_pk_max_f16 v59, v60, v60
	v_pk_min_f16 v96, v131, v18
	v_pk_add_f16 v18, v15, v25
	v_pk_max_f16 v57, v57, v57
	;; [unrolled: 3-line block ×3, first 2 shown]
	v_pk_min_f16 v94, v133, v18
	v_pk_add_f16 v18, v11, v25
	v_pk_min_f16 v6, v53, v6
	v_pk_min_f16 v93, v134, v18
	v_pk_add_f16 v18, v5, v25
	v_pk_max_f16 v53, v54, v54
	v_pk_min_f16 v92, v135, v18
	v_pk_add_f16 v18, v7, v25
	v_pk_min_f16 v12, v59, v12
	v_pk_min_f16 v91, v136, v18
	v_pk_add_f16 v18, v1, v25
	v_pk_max_f16 v58, v58, v58
	;; [unrolled: 6-line block ×3, first 2 shown]
	v_pk_min_f16 v88, v138, v18
	v_pk_add_f16 v18, v15, v27
	v_pk_min_f16 v4, v55, v4
	v_pk_min_f16 v87, v139, v18
	v_pk_add_f16 v18, v9, v27
	v_pk_min_f16 v0, v53, v0
	;; [unrolled: 3-line block ×4, first 2 shown]
	v_pk_min_f16 v84, v142, v18
	v_pk_add_f16 v18, v7, v27
	s_and_b64 vcc, exec, s[4:5]
	v_pk_min_f16 v83, v143, v18
	v_pk_add_f16 v18, v1, v27
	s_nop 0
	v_pk_min_f16 v82, v144, v18
	v_pk_add_f16 v18, v3, v27
	s_nop 0
	;; [unrolled: 3-line block ×18, first 2 shown]
	v_pk_min_f16 v65, v22, v18
	v_pk_add_f16 v18, v13, v17
	v_pk_add_f16 v13, v13, v19
	v_pk_min_f16 v64, v159, v18
	v_pk_add_f16 v18, v15, v17
	v_pk_min_f16 v56, v12, v13
	v_pk_min_f16 v63, v160, v18
	v_pk_add_f16 v18, v9, v17
	v_pk_add_f16 v9, v9, v19
	v_pk_min_f16 v62, v161, v18
	v_pk_add_f16 v18, v11, v17
	v_pk_add_f16 v12, v15, v19
	;; [unrolled: 3-line block ×3, first 2 shown]
	v_pk_min_f16 v60, v163, v18
	v_pk_add_f16 v18, v7, v17
	v_pk_min_f16 v54, v8, v9
	v_pk_min_f16 v59, v164, v18
	v_pk_add_f16 v18, v1, v17
	v_pk_add_f16 v1, v1, v19
	;; [unrolled: 1-line block ×4, first 2 shown]
	v_pk_min_f16 v51, v4, v5
	v_pk_add_f16 v4, v7, v19
	v_pk_min_f16 v29, v0, v1
	v_pk_add_f16 v0, v3, v19
	v_pk_min_f16 v58, v165, v18
	v_pk_min_f16 v57, v16, v17
	v_pk_min_f16 v55, v14, v12
	v_pk_min_f16 v53, v10, v8
	v_pk_min_f16 v30, v6, v4
	v_pk_min_f16 v31, v2, v0
	s_cbranch_vccz .LBB207_24
; %bb.39:                               ;   in Loop: Header=BB207_26 Depth=1
	v_mov_b32_e32 v28, 0
	s_branch .LBB207_25
.LBB207_40:
	s_load_dword s6, s[0:1], 0x58
	ds_read_b64 v[30:31], v45 offset:2048
	ds_read_b64 v[46:47], v50 offset:4608
	v_add_u32_e32 v116, s23, v43
	v_cmp_neq_f16_e64 s[4:5], 0, v52
	v_add_u32_e32 v28, s22, v42
	s_waitcnt lgkmcnt(0)
	v_mad_i64_i32 v[0:1], s[2:3], v116, s6, 0
	v_ashrrev_i32_e32 v29, 31, v28
	v_lshl_add_u64 v[48:49], v[0:1], 1, s[10:11]
	s_and_b64 vcc, exec, s[4:5]
	v_mov_b32_e32 v36, 0
	v_mov_b32_e32 v34, 0
	s_cbranch_vccz .LBB207_42
; %bb.41:
	v_lshl_add_u64 v[0:1], v[28:29], 1, v[48:49]
	flat_load_ushort v0, v[0:1]
	s_waitcnt vmcnt(0) lgkmcnt(0)
	v_mul_f16_e32 v34, v52, v0
.LBB207_42:
	v_add_u32_e32 v0, 0x800, v45
	ds_read2_b64 v[8:11], v0 offset0:32 offset1:64
	ds_read2_b64 v[4:7], v0 offset0:96 offset1:128
	;; [unrolled: 1-line block ×3, first 2 shown]
	ds_read_b64 v[24:25], v45 offset:3840
	s_load_dword s7, s[0:1], 0x70
	s_load_dwordx2 s[2:3], s[0:1], 0x78
	v_add_u32_e32 v12, 0x1000, v50
	ds_read2_b64 v[20:23], v12 offset0:72 offset1:80
	ds_read2_b64 v[16:19], v12 offset0:88 offset1:96
	;; [unrolled: 1-line block ×3, first 2 shown]
	ds_read_b64 v[26:27], v50 offset:5056
	v_pk_add_f16 v32, v30, v46
	v_pk_max_f16 v33, v51, v51
	s_waitcnt lgkmcnt(0)
	s_lshl_b64 s[0:1], s[2:3], 1
	s_add_u32 s2, s12, s0
	v_pk_min_f16 v32, v33, v32
	v_pk_add_f16 v33, v31, v47
	s_addc_u32 s3, s13, s1
	v_pk_min_f16 v35, v32, v33
	v_mad_i64_i32 v[38:39], s[0:1], v116, s7, 0
	v_add_u32_e32 v32, 32, v28
	v_lshl_add_u64 v[50:51], v[38:39], 1, s[2:3]
	v_lshrrev_b32_e32 v37, 16, v35
	v_cndmask_b32_e64 v38, 0, 1, s[4:5]
	v_ashrrev_i32_e32 v33, 31, v32
	v_min3_f16 v37, v34, v35, v37
	v_lshl_add_u64 v[34:35], v[28:29], 1, v[50:51]
	v_cmp_ne_u32_e64 s[0:1], 1, v38
	s_andn2_b64 vcc, exec, s[4:5]
	global_store_short v[34:35], v37, off
	s_cbranch_vccnz .LBB207_44
; %bb.43:
	v_lshl_add_u64 v[34:35], v[32:33], 1, v[48:49]
	flat_load_ushort v34, v[34:35]
	s_waitcnt vmcnt(0) lgkmcnt(0)
	v_mul_f16_e32 v36, v52, v34
.LBB207_44:
	v_pk_add_f16 v34, v8, v46
	v_pk_max_f16 v35, v115, v115
	s_and_b64 vcc, exec, s[0:1]
	v_pk_min_f16 v34, v35, v34
	v_pk_add_f16 v35, v9, v47
	v_mov_b32_e32 v39, 0
	v_pk_min_f16 v37, v34, v35
	v_add_u32_e32 v34, 64, v28
	v_lshrrev_b32_e32 v38, 16, v37
	v_min3_f16 v38, v36, v37, v38
	v_lshl_add_u64 v[36:37], v[32:33], 1, v[50:51]
	v_ashrrev_i32_e32 v35, 31, v34
	global_store_short v[36:37], v38, off
	v_mov_b32_e32 v38, 0
	s_cbranch_vccnz .LBB207_46
; %bb.45:
	v_lshl_add_u64 v[36:37], v[34:35], 1, v[48:49]
	flat_load_ushort v36, v[36:37]
	s_waitcnt vmcnt(0) lgkmcnt(0)
	v_mul_f16_e32 v39, v52, v36
.LBB207_46:
	v_pk_add_f16 v36, v10, v46
	v_pk_max_f16 v37, v114, v114
	s_and_b64 vcc, exec, s[0:1]
	v_pk_min_f16 v36, v37, v36
	v_pk_add_f16 v37, v11, v47
	s_nop 0
	v_pk_min_f16 v40, v36, v37
	v_add_u32_e32 v36, 0x60, v28
	v_lshrrev_b32_e32 v41, 16, v40
	v_ashrrev_i32_e32 v37, 31, v36
	v_min3_f16 v39, v39, v40, v41
	v_lshl_add_u64 v[40:41], v[34:35], 1, v[50:51]
	global_store_short v[40:41], v39, off
	s_cbranch_vccnz .LBB207_48
; %bb.47:
	v_lshl_add_u64 v[38:39], v[36:37], 1, v[48:49]
	flat_load_ushort v38, v[38:39]
	s_waitcnt vmcnt(0) lgkmcnt(0)
	v_mul_f16_e32 v38, v52, v38
.LBB207_48:
	v_pk_add_f16 v39, v4, v46
	v_pk_max_f16 v40, v113, v113
	v_add_u32_e32 v44, 0x80, v28
	v_pk_min_f16 v39, v40, v39
	v_pk_add_f16 v40, v5, v47
	v_ashrrev_i32_e32 v45, 31, v44
	v_pk_min_f16 v39, v39, v40
	s_and_b64 vcc, exec, s[0:1]
	v_lshrrev_b32_e32 v40, 16, v39
	v_min3_f16 v40, v38, v39, v40
	v_lshl_add_u64 v[38:39], v[36:37], 1, v[50:51]
	global_store_short v[38:39], v40, off
	v_mov_b32_e32 v38, 0
	v_mov_b32_e32 v39, 0
	s_cbranch_vccnz .LBB207_50
; %bb.49:
	v_lshl_add_u64 v[40:41], v[44:45], 1, v[48:49]
	flat_load_ushort v39, v[40:41]
	s_waitcnt vmcnt(0) lgkmcnt(0)
	v_mul_f16_e32 v39, v52, v39
.LBB207_50:
	v_pk_add_f16 v40, v6, v46
	v_pk_max_f16 v41, v112, v112
	v_add_u32_e32 v42, 0xa0, v28
	v_pk_min_f16 v40, v41, v40
	v_pk_add_f16 v41, v7, v47
	v_ashrrev_i32_e32 v43, 31, v42
	v_pk_min_f16 v40, v40, v41
	s_and_b64 vcc, exec, s[0:1]
	v_lshrrev_b32_e32 v41, 16, v40
	v_min3_f16 v39, v39, v40, v41
	v_lshl_add_u64 v[40:41], v[44:45], 1, v[50:51]
	global_store_short v[40:41], v39, off
	s_cbranch_vccnz .LBB207_52
; %bb.51:
	v_lshl_add_u64 v[38:39], v[42:43], 1, v[48:49]
	flat_load_ushort v38, v[38:39]
	s_waitcnt vmcnt(0) lgkmcnt(0)
	v_mul_f16_e32 v38, v52, v38
.LBB207_52:
	v_pk_add_f16 v39, v0, v46
	v_pk_max_f16 v40, v111, v111
	s_and_b64 vcc, exec, s[0:1]
	v_pk_min_f16 v39, v40, v39
	v_pk_add_f16 v40, v1, v47
	v_mov_b32_e32 v112, 0
	v_pk_min_f16 v39, v39, v40
	v_add_u32_e32 v40, 0xc0, v28
	v_lshrrev_b32_e32 v111, 16, v39
	v_min3_f16 v111, v38, v39, v111
	v_lshl_add_u64 v[38:39], v[42:43], 1, v[50:51]
	v_ashrrev_i32_e32 v41, 31, v40
	global_store_short v[38:39], v111, off
	v_mov_b32_e32 v111, 0
	s_cbranch_vccnz .LBB207_54
; %bb.53:
	v_lshl_add_u64 v[38:39], v[40:41], 1, v[48:49]
	flat_load_ushort v38, v[38:39]
	s_waitcnt vmcnt(0) lgkmcnt(0)
	v_mul_f16_e32 v112, v52, v38
.LBB207_54:
	v_pk_add_f16 v38, v2, v46
	v_pk_max_f16 v39, v110, v110
	s_and_b64 vcc, exec, s[0:1]
	v_pk_min_f16 v38, v39, v38
	v_pk_add_f16 v39, v3, v47
	s_nop 0
	v_pk_min_f16 v110, v38, v39
	v_add_u32_e32 v38, 0xe0, v28
	v_lshrrev_b32_e32 v113, 16, v110
	v_ashrrev_i32_e32 v39, 31, v38
	v_min3_f16 v110, v112, v110, v113
	v_lshl_add_u64 v[112:113], v[40:41], 1, v[50:51]
	global_store_short v[112:113], v110, off
	s_cbranch_vccnz .LBB207_56
; %bb.55:
	v_lshl_add_u64 v[48:49], v[38:39], 1, v[48:49]
	flat_load_ushort v48, v[48:49]
	s_waitcnt vmcnt(0) lgkmcnt(0)
	v_mul_f16_e32 v111, v52, v48
.LBB207_56:
	v_pk_add_f16 v46, v24, v46
	v_pk_max_f16 v48, v109, v109
	v_pk_add_f16 v47, v25, v47
	v_pk_min_f16 v46, v48, v46
	s_and_b64 vcc, exec, s[0:1]
	v_pk_min_f16 v46, v46, v47
	s_nop 0
	v_lshrrev_b32_e32 v47, 16, v46
	v_min3_f16 v48, v111, v46, v47
	v_lshl_add_u64 v[46:47], v[38:39], 1, v[50:51]
	global_store_short v[46:47], v48, off
	v_add_u32_e32 v48, 8, v116
	v_mad_i64_i32 v[46:47], s[4:5], v48, s6, 0
	v_lshl_add_u64 v[46:47], v[46:47], 1, s[10:11]
	v_mov_b32_e32 v50, 0
	v_mov_b32_e32 v51, 0
	s_cbranch_vccnz .LBB207_58
; %bb.57:
	v_lshl_add_u64 v[110:111], v[28:29], 1, v[46:47]
	flat_load_ushort v49, v[110:111]
	s_waitcnt vmcnt(0) lgkmcnt(0)
	v_mul_f16_e32 v51, v52, v49
.LBB207_58:
	v_pk_add_f16 v49, v30, v20
	v_pk_max_f16 v108, v108, v108
	s_and_b64 vcc, exec, s[0:1]
	v_pk_min_f16 v49, v108, v49
	v_pk_add_f16 v108, v31, v21
	s_nop 0
	v_pk_min_f16 v108, v49, v108
	v_mad_i64_i32 v[48:49], s[4:5], v48, s7, 0
	v_lshl_add_u64 v[48:49], v[48:49], 1, s[2:3]
	v_lshrrev_b32_e32 v109, 16, v108
	v_min3_f16 v51, v51, v108, v109
	v_lshl_add_u64 v[108:109], v[28:29], 1, v[48:49]
	global_store_short v[108:109], v51, off
	s_cbranch_vccnz .LBB207_60
; %bb.59:
	v_lshl_add_u64 v[50:51], v[32:33], 1, v[46:47]
	flat_load_ushort v50, v[50:51]
	s_waitcnt vmcnt(0) lgkmcnt(0)
	v_mul_f16_e32 v50, v52, v50
.LBB207_60:
	v_pk_add_f16 v51, v8, v20
	v_pk_max_f16 v107, v107, v107
	s_and_b64 vcc, exec, s[0:1]
	v_pk_min_f16 v51, v107, v51
	v_pk_add_f16 v107, v9, v21
	s_nop 0
	v_pk_min_f16 v51, v51, v107
	s_nop 0
	v_lshrrev_b32_e32 v107, 16, v51
	v_min3_f16 v107, v50, v51, v107
	v_lshl_add_u64 v[50:51], v[32:33], 1, v[48:49]
	global_store_short v[50:51], v107, off
	v_mov_b32_e32 v50, 0
	v_mov_b32_e32 v51, 0
	s_cbranch_vccnz .LBB207_62
; %bb.61:
	v_lshl_add_u64 v[108:109], v[34:35], 1, v[46:47]
	flat_load_ushort v51, v[108:109]
	s_waitcnt vmcnt(0) lgkmcnt(0)
	v_mul_f16_e32 v51, v52, v51
.LBB207_62:
	v_pk_add_f16 v107, v10, v20
	v_pk_max_f16 v106, v106, v106
	s_and_b64 vcc, exec, s[0:1]
	v_pk_min_f16 v106, v106, v107
	v_pk_add_f16 v107, v11, v21
	s_nop 0
	v_pk_min_f16 v106, v106, v107
	s_nop 0
	v_lshrrev_b32_e32 v107, 16, v106
	v_min3_f16 v51, v51, v106, v107
	v_lshl_add_u64 v[106:107], v[34:35], 1, v[48:49]
	global_store_short v[106:107], v51, off
	s_cbranch_vccnz .LBB207_64
; %bb.63:
	v_lshl_add_u64 v[50:51], v[36:37], 1, v[46:47]
	flat_load_ushort v50, v[50:51]
	s_waitcnt vmcnt(0) lgkmcnt(0)
	v_mul_f16_e32 v50, v52, v50
.LBB207_64:
	v_pk_add_f16 v51, v4, v20
	v_pk_max_f16 v105, v105, v105
	s_and_b64 vcc, exec, s[0:1]
	v_pk_min_f16 v51, v105, v51
	v_pk_add_f16 v105, v5, v21
	s_nop 0
	v_pk_min_f16 v51, v51, v105
	s_nop 0
	v_lshrrev_b32_e32 v105, 16, v51
	v_min3_f16 v105, v50, v51, v105
	v_lshl_add_u64 v[50:51], v[36:37], 1, v[48:49]
	global_store_short v[50:51], v105, off
	v_mov_b32_e32 v50, 0
	v_mov_b32_e32 v51, 0
	s_cbranch_vccnz .LBB207_66
; %bb.65:
	v_lshl_add_u64 v[106:107], v[44:45], 1, v[46:47]
	flat_load_ushort v51, v[106:107]
	s_waitcnt vmcnt(0) lgkmcnt(0)
	v_mul_f16_e32 v51, v52, v51
.LBB207_66:
	v_pk_add_f16 v105, v6, v20
	v_pk_max_f16 v104, v104, v104
	s_and_b64 vcc, exec, s[0:1]
	v_pk_min_f16 v104, v104, v105
	v_pk_add_f16 v105, v7, v21
	s_nop 0
	v_pk_min_f16 v104, v104, v105
	s_nop 0
	;; [unrolled: 40-line block ×3, first 2 shown]
	v_lshrrev_b32_e32 v103, 16, v102
	v_min3_f16 v51, v51, v102, v103
	v_lshl_add_u64 v[102:103], v[40:41], 1, v[48:49]
	global_store_short v[102:103], v51, off
	s_cbranch_vccnz .LBB207_72
; %bb.71:
	v_lshl_add_u64 v[46:47], v[38:39], 1, v[46:47]
	flat_load_ushort v46, v[46:47]
	s_waitcnt vmcnt(0) lgkmcnt(0)
	v_mul_f16_e32 v50, v52, v46
.LBB207_72:
	v_pk_add_f16 v20, v24, v20
	v_pk_max_f16 v46, v101, v101
	v_pk_add_f16 v21, v25, v21
	v_pk_min_f16 v20, v46, v20
	s_and_b64 vcc, exec, s[0:1]
	v_pk_min_f16 v20, v20, v21
	s_nop 0
	v_lshrrev_b32_e32 v21, 16, v20
	v_min3_f16 v46, v50, v20, v21
	v_lshl_add_u64 v[20:21], v[38:39], 1, v[48:49]
	global_store_short v[20:21], v46, off
	v_add_u32_e32 v46, 16, v116
	v_mad_i64_i32 v[20:21], s[4:5], v46, s6, 0
	v_lshl_add_u64 v[20:21], v[20:21], 1, s[10:11]
	v_mov_b32_e32 v48, 0
	v_mov_b32_e32 v49, 0
	s_cbranch_vccnz .LBB207_74
; %bb.73:
	v_lshl_add_u64 v[50:51], v[28:29], 1, v[20:21]
	flat_load_ushort v47, v[50:51]
	s_waitcnt vmcnt(0) lgkmcnt(0)
	v_mul_f16_e32 v49, v52, v47
.LBB207_74:
	v_pk_add_f16 v47, v30, v22
	v_pk_max_f16 v50, v100, v100
	s_and_b64 vcc, exec, s[0:1]
	v_pk_min_f16 v47, v50, v47
	v_pk_add_f16 v50, v31, v23
	s_nop 0
	v_pk_min_f16 v50, v47, v50
	v_mad_i64_i32 v[46:47], s[4:5], v46, s7, 0
	v_lshl_add_u64 v[46:47], v[46:47], 1, s[2:3]
	v_lshrrev_b32_e32 v51, 16, v50
	v_min3_f16 v49, v49, v50, v51
	v_lshl_add_u64 v[50:51], v[28:29], 1, v[46:47]
	global_store_short v[50:51], v49, off
	s_cbranch_vccnz .LBB207_76
; %bb.75:
	v_lshl_add_u64 v[48:49], v[32:33], 1, v[20:21]
	flat_load_ushort v48, v[48:49]
	s_waitcnt vmcnt(0) lgkmcnt(0)
	v_mul_f16_e32 v48, v52, v48
.LBB207_76:
	v_pk_add_f16 v49, v8, v22
	v_pk_max_f16 v50, v99, v99
	s_and_b64 vcc, exec, s[0:1]
	v_pk_min_f16 v49, v50, v49
	v_pk_add_f16 v50, v9, v23
	s_nop 0
	v_pk_min_f16 v49, v49, v50
	s_nop 0
	v_lshrrev_b32_e32 v50, 16, v49
	v_min3_f16 v50, v48, v49, v50
	v_lshl_add_u64 v[48:49], v[32:33], 1, v[46:47]
	global_store_short v[48:49], v50, off
	v_mov_b32_e32 v48, 0
	v_mov_b32_e32 v49, 0
	s_cbranch_vccnz .LBB207_78
; %bb.77:
	v_lshl_add_u64 v[50:51], v[34:35], 1, v[20:21]
	flat_load_ushort v49, v[50:51]
	s_waitcnt vmcnt(0) lgkmcnt(0)
	v_mul_f16_e32 v49, v52, v49
.LBB207_78:
	v_pk_add_f16 v50, v10, v22
	v_pk_max_f16 v51, v98, v98
	s_and_b64 vcc, exec, s[0:1]
	v_pk_min_f16 v50, v51, v50
	v_pk_add_f16 v51, v11, v23
	s_nop 0
	v_pk_min_f16 v50, v50, v51
	s_nop 0
	v_lshrrev_b32_e32 v51, 16, v50
	v_min3_f16 v49, v49, v50, v51
	v_lshl_add_u64 v[50:51], v[34:35], 1, v[46:47]
	global_store_short v[50:51], v49, off
	s_cbranch_vccnz .LBB207_80
; %bb.79:
	v_lshl_add_u64 v[48:49], v[36:37], 1, v[20:21]
	flat_load_ushort v48, v[48:49]
	s_waitcnt vmcnt(0) lgkmcnt(0)
	v_mul_f16_e32 v48, v52, v48
.LBB207_80:
	v_pk_add_f16 v49, v4, v22
	v_pk_max_f16 v50, v97, v97
	s_and_b64 vcc, exec, s[0:1]
	v_pk_min_f16 v49, v50, v49
	v_pk_add_f16 v50, v5, v23
	s_nop 0
	v_pk_min_f16 v49, v49, v50
	s_nop 0
	v_lshrrev_b32_e32 v50, 16, v49
	v_min3_f16 v50, v48, v49, v50
	v_lshl_add_u64 v[48:49], v[36:37], 1, v[46:47]
	global_store_short v[48:49], v50, off
	v_mov_b32_e32 v48, 0
	v_mov_b32_e32 v49, 0
	s_cbranch_vccnz .LBB207_82
; %bb.81:
	v_lshl_add_u64 v[50:51], v[44:45], 1, v[20:21]
	flat_load_ushort v49, v[50:51]
	s_waitcnt vmcnt(0) lgkmcnt(0)
	v_mul_f16_e32 v49, v52, v49
.LBB207_82:
	v_pk_add_f16 v50, v6, v22
	v_pk_max_f16 v51, v96, v96
	s_and_b64 vcc, exec, s[0:1]
	v_pk_min_f16 v50, v51, v50
	v_pk_add_f16 v51, v7, v23
	s_nop 0
	v_pk_min_f16 v50, v50, v51
	s_nop 0
	;; [unrolled: 40-line block ×3, first 2 shown]
	v_lshrrev_b32_e32 v51, 16, v50
	v_min3_f16 v49, v49, v50, v51
	v_lshl_add_u64 v[50:51], v[40:41], 1, v[46:47]
	global_store_short v[50:51], v49, off
	s_cbranch_vccnz .LBB207_88
; %bb.87:
	v_lshl_add_u64 v[20:21], v[38:39], 1, v[20:21]
	flat_load_ushort v20, v[20:21]
	s_waitcnt vmcnt(0) lgkmcnt(0)
	v_mul_f16_e32 v48, v52, v20
.LBB207_88:
	v_pk_add_f16 v20, v24, v22
	v_pk_max_f16 v21, v93, v93
	s_and_b64 vcc, exec, s[0:1]
	v_pk_min_f16 v20, v21, v20
	v_pk_add_f16 v21, v25, v23
	s_nop 0
	v_pk_min_f16 v20, v20, v21
	s_nop 0
	v_lshrrev_b32_e32 v21, 16, v20
	v_min3_f16 v22, v48, v20, v21
	v_lshl_add_u64 v[20:21], v[38:39], 1, v[46:47]
	global_store_short v[20:21], v22, off
	v_add_u32_e32 v22, 24, v116
	v_mad_i64_i32 v[20:21], s[4:5], v22, s6, 0
	v_lshl_add_u64 v[20:21], v[20:21], 1, s[10:11]
	v_mov_b32_e32 v46, 0
	v_mov_b32_e32 v47, 0
	s_cbranch_vccnz .LBB207_90
; %bb.89:
	v_lshl_add_u64 v[48:49], v[28:29], 1, v[20:21]
	flat_load_ushort v23, v[48:49]
	s_waitcnt vmcnt(0) lgkmcnt(0)
	v_mul_f16_e32 v47, v52, v23
.LBB207_90:
	v_pk_add_f16 v23, v30, v16
	v_pk_max_f16 v48, v92, v92
	s_and_b64 vcc, exec, s[0:1]
	v_pk_min_f16 v23, v48, v23
	v_pk_add_f16 v48, v31, v17
	s_nop 0
	v_pk_min_f16 v48, v23, v48
	v_mad_i64_i32 v[22:23], s[4:5], v22, s7, 0
	v_lshl_add_u64 v[22:23], v[22:23], 1, s[2:3]
	v_lshrrev_b32_e32 v49, 16, v48
	v_min3_f16 v47, v47, v48, v49
	v_lshl_add_u64 v[48:49], v[28:29], 1, v[22:23]
	global_store_short v[48:49], v47, off
	s_cbranch_vccnz .LBB207_92
; %bb.91:
	v_lshl_add_u64 v[46:47], v[32:33], 1, v[20:21]
	flat_load_ushort v46, v[46:47]
	s_waitcnt vmcnt(0) lgkmcnt(0)
	v_mul_f16_e32 v46, v52, v46
.LBB207_92:
	v_pk_add_f16 v47, v8, v16
	v_pk_max_f16 v48, v91, v91
	s_and_b64 vcc, exec, s[0:1]
	v_pk_min_f16 v47, v48, v47
	v_pk_add_f16 v48, v9, v17
	s_nop 0
	v_pk_min_f16 v47, v47, v48
	s_nop 0
	v_lshrrev_b32_e32 v48, 16, v47
	v_min3_f16 v48, v46, v47, v48
	v_lshl_add_u64 v[46:47], v[32:33], 1, v[22:23]
	global_store_short v[46:47], v48, off
	v_mov_b32_e32 v46, 0
	v_mov_b32_e32 v47, 0
	s_cbranch_vccnz .LBB207_94
; %bb.93:
	v_lshl_add_u64 v[48:49], v[34:35], 1, v[20:21]
	flat_load_ushort v47, v[48:49]
	s_waitcnt vmcnt(0) lgkmcnt(0)
	v_mul_f16_e32 v47, v52, v47
.LBB207_94:
	v_pk_add_f16 v48, v10, v16
	v_pk_max_f16 v49, v90, v90
	s_and_b64 vcc, exec, s[0:1]
	v_pk_min_f16 v48, v49, v48
	v_pk_add_f16 v49, v11, v17
	s_nop 0
	v_pk_min_f16 v48, v48, v49
	s_nop 0
	v_lshrrev_b32_e32 v49, 16, v48
	v_min3_f16 v47, v47, v48, v49
	v_lshl_add_u64 v[48:49], v[34:35], 1, v[22:23]
	global_store_short v[48:49], v47, off
	s_cbranch_vccnz .LBB207_96
; %bb.95:
	v_lshl_add_u64 v[46:47], v[36:37], 1, v[20:21]
	flat_load_ushort v46, v[46:47]
	s_waitcnt vmcnt(0) lgkmcnt(0)
	v_mul_f16_e32 v46, v52, v46
.LBB207_96:
	v_pk_add_f16 v47, v4, v16
	v_pk_max_f16 v48, v89, v89
	s_and_b64 vcc, exec, s[0:1]
	v_pk_min_f16 v47, v48, v47
	v_pk_add_f16 v48, v5, v17
	s_nop 0
	v_pk_min_f16 v47, v47, v48
	s_nop 0
	v_lshrrev_b32_e32 v48, 16, v47
	v_min3_f16 v48, v46, v47, v48
	v_lshl_add_u64 v[46:47], v[36:37], 1, v[22:23]
	global_store_short v[46:47], v48, off
	v_mov_b32_e32 v46, 0
	v_mov_b32_e32 v47, 0
	s_cbranch_vccnz .LBB207_98
; %bb.97:
	v_lshl_add_u64 v[48:49], v[44:45], 1, v[20:21]
	flat_load_ushort v47, v[48:49]
	s_waitcnt vmcnt(0) lgkmcnt(0)
	v_mul_f16_e32 v47, v52, v47
.LBB207_98:
	v_pk_add_f16 v48, v6, v16
	v_pk_max_f16 v49, v88, v88
	s_and_b64 vcc, exec, s[0:1]
	v_pk_min_f16 v48, v49, v48
	v_pk_add_f16 v49, v7, v17
	s_nop 0
	v_pk_min_f16 v48, v48, v49
	s_nop 0
	v_lshrrev_b32_e32 v49, 16, v48
	v_min3_f16 v47, v47, v48, v49
	v_lshl_add_u64 v[48:49], v[44:45], 1, v[22:23]
	global_store_short v[48:49], v47, off
	s_cbranch_vccnz .LBB207_100
; %bb.99:
	v_lshl_add_u64 v[46:47], v[42:43], 1, v[20:21]
	flat_load_ushort v46, v[46:47]
	s_waitcnt vmcnt(0) lgkmcnt(0)
	v_mul_f16_e32 v46, v52, v46
.LBB207_100:
	v_pk_add_f16 v47, v0, v16
	v_pk_max_f16 v48, v87, v87
	s_and_b64 vcc, exec, s[0:1]
	v_pk_min_f16 v47, v48, v47
	v_pk_add_f16 v48, v1, v17
	s_nop 0
	v_pk_min_f16 v47, v47, v48
	s_nop 0
	v_lshrrev_b32_e32 v48, 16, v47
	v_min3_f16 v48, v46, v47, v48
	v_lshl_add_u64 v[46:47], v[42:43], 1, v[22:23]
	global_store_short v[46:47], v48, off
	v_mov_b32_e32 v46, 0
	v_mov_b32_e32 v47, 0
	s_cbranch_vccnz .LBB207_102
; %bb.101:
	v_lshl_add_u64 v[48:49], v[40:41], 1, v[20:21]
	flat_load_ushort v47, v[48:49]
	s_waitcnt vmcnt(0) lgkmcnt(0)
	v_mul_f16_e32 v47, v52, v47
.LBB207_102:
	v_pk_add_f16 v48, v2, v16
	v_pk_max_f16 v49, v86, v86
	s_and_b64 vcc, exec, s[0:1]
	v_pk_min_f16 v48, v49, v48
	v_pk_add_f16 v49, v3, v17
	s_nop 0
	v_pk_min_f16 v48, v48, v49
	s_nop 0
	v_lshrrev_b32_e32 v49, 16, v48
	v_min3_f16 v47, v47, v48, v49
	v_lshl_add_u64 v[48:49], v[40:41], 1, v[22:23]
	global_store_short v[48:49], v47, off
	s_cbranch_vccnz .LBB207_104
; %bb.103:
	v_lshl_add_u64 v[20:21], v[38:39], 1, v[20:21]
	flat_load_ushort v20, v[20:21]
	s_waitcnt vmcnt(0) lgkmcnt(0)
	v_mul_f16_e32 v46, v52, v20
.LBB207_104:
	v_pk_add_f16 v16, v24, v16
	v_pk_max_f16 v20, v84, v84
	v_pk_add_f16 v17, v25, v17
	v_pk_min_f16 v16, v20, v16
	s_and_b64 vcc, exec, s[0:1]
	v_pk_min_f16 v16, v16, v17
	s_nop 0
	v_lshrrev_b32_e32 v17, 16, v16
	v_min3_f16 v20, v46, v16, v17
	v_lshl_add_u64 v[16:17], v[38:39], 1, v[22:23]
	global_store_short v[16:17], v20, off
	v_add_u32_e32 v20, 32, v116
	v_mad_i64_i32 v[16:17], s[4:5], v20, s6, 0
	v_lshl_add_u64 v[16:17], v[16:17], 1, s[10:11]
	v_mov_b32_e32 v22, 0
	v_mov_b32_e32 v23, 0
	s_cbranch_vccnz .LBB207_106
; %bb.105:
	v_lshl_add_u64 v[46:47], v[28:29], 1, v[16:17]
	flat_load_ushort v21, v[46:47]
	s_waitcnt vmcnt(0) lgkmcnt(0)
	v_mul_f16_e32 v23, v52, v21
.LBB207_106:
	v_pk_add_f16 v21, v30, v18
	v_pk_max_f16 v46, v85, v85
	s_and_b64 vcc, exec, s[0:1]
	v_pk_min_f16 v21, v46, v21
	v_pk_add_f16 v46, v31, v19
	s_nop 0
	v_pk_min_f16 v46, v21, v46
	v_mad_i64_i32 v[20:21], s[4:5], v20, s7, 0
	v_lshl_add_u64 v[20:21], v[20:21], 1, s[2:3]
	v_lshrrev_b32_e32 v47, 16, v46
	v_min3_f16 v23, v23, v46, v47
	v_lshl_add_u64 v[46:47], v[28:29], 1, v[20:21]
	global_store_short v[46:47], v23, off
	s_cbranch_vccnz .LBB207_108
; %bb.107:
	v_lshl_add_u64 v[22:23], v[32:33], 1, v[16:17]
	flat_load_ushort v22, v[22:23]
	s_waitcnt vmcnt(0) lgkmcnt(0)
	v_mul_f16_e32 v22, v52, v22
.LBB207_108:
	v_pk_add_f16 v23, v8, v18
	v_pk_max_f16 v46, v83, v83
	s_and_b64 vcc, exec, s[0:1]
	v_pk_min_f16 v23, v46, v23
	v_pk_add_f16 v46, v9, v19
	s_nop 0
	v_pk_min_f16 v23, v23, v46
	s_nop 0
	v_lshrrev_b32_e32 v46, 16, v23
	v_min3_f16 v46, v22, v23, v46
	v_lshl_add_u64 v[22:23], v[32:33], 1, v[20:21]
	global_store_short v[22:23], v46, off
	v_mov_b32_e32 v22, 0
	v_mov_b32_e32 v23, 0
	s_cbranch_vccnz .LBB207_110
; %bb.109:
	v_lshl_add_u64 v[46:47], v[34:35], 1, v[16:17]
	flat_load_ushort v23, v[46:47]
	s_waitcnt vmcnt(0) lgkmcnt(0)
	v_mul_f16_e32 v23, v52, v23
.LBB207_110:
	v_pk_add_f16 v46, v10, v18
	v_pk_max_f16 v47, v82, v82
	s_and_b64 vcc, exec, s[0:1]
	v_pk_min_f16 v46, v47, v46
	v_pk_add_f16 v47, v11, v19
	s_nop 0
	v_pk_min_f16 v46, v46, v47
	s_nop 0
	v_lshrrev_b32_e32 v47, 16, v46
	v_min3_f16 v23, v23, v46, v47
	v_lshl_add_u64 v[46:47], v[34:35], 1, v[20:21]
	global_store_short v[46:47], v23, off
	s_cbranch_vccnz .LBB207_112
; %bb.111:
	v_lshl_add_u64 v[22:23], v[36:37], 1, v[16:17]
	flat_load_ushort v22, v[22:23]
	s_waitcnt vmcnt(0) lgkmcnt(0)
	v_mul_f16_e32 v22, v52, v22
.LBB207_112:
	v_pk_add_f16 v23, v4, v18
	v_pk_max_f16 v46, v81, v81
	s_and_b64 vcc, exec, s[0:1]
	v_pk_min_f16 v23, v46, v23
	v_pk_add_f16 v46, v5, v19
	s_nop 0
	v_pk_min_f16 v23, v23, v46
	s_nop 0
	v_lshrrev_b32_e32 v46, 16, v23
	v_min3_f16 v46, v22, v23, v46
	v_lshl_add_u64 v[22:23], v[36:37], 1, v[20:21]
	global_store_short v[22:23], v46, off
	v_mov_b32_e32 v22, 0
	v_mov_b32_e32 v23, 0
	s_cbranch_vccnz .LBB207_114
; %bb.113:
	v_lshl_add_u64 v[46:47], v[44:45], 1, v[16:17]
	flat_load_ushort v23, v[46:47]
	s_waitcnt vmcnt(0) lgkmcnt(0)
	v_mul_f16_e32 v23, v52, v23
.LBB207_114:
	v_pk_add_f16 v46, v6, v18
	v_pk_max_f16 v47, v80, v80
	s_and_b64 vcc, exec, s[0:1]
	v_pk_min_f16 v46, v47, v46
	v_pk_add_f16 v47, v7, v19
	s_nop 0
	v_pk_min_f16 v46, v46, v47
	s_nop 0
	v_lshrrev_b32_e32 v47, 16, v46
	v_min3_f16 v23, v23, v46, v47
	v_lshl_add_u64 v[46:47], v[44:45], 1, v[20:21]
	global_store_short v[46:47], v23, off
	s_cbranch_vccnz .LBB207_116
; %bb.115:
	v_lshl_add_u64 v[22:23], v[42:43], 1, v[16:17]
	flat_load_ushort v22, v[22:23]
	s_waitcnt vmcnt(0) lgkmcnt(0)
	v_mul_f16_e32 v22, v52, v22
.LBB207_116:
	v_pk_add_f16 v23, v0, v18
	v_pk_max_f16 v46, v79, v79
	s_and_b64 vcc, exec, s[0:1]
	v_pk_min_f16 v23, v46, v23
	v_pk_add_f16 v46, v1, v19
	s_nop 0
	v_pk_min_f16 v23, v23, v46
	s_nop 0
	v_lshrrev_b32_e32 v46, 16, v23
	v_min3_f16 v46, v22, v23, v46
	v_lshl_add_u64 v[22:23], v[42:43], 1, v[20:21]
	global_store_short v[22:23], v46, off
	v_mov_b32_e32 v22, 0
	v_mov_b32_e32 v23, 0
	s_cbranch_vccnz .LBB207_118
; %bb.117:
	v_lshl_add_u64 v[46:47], v[40:41], 1, v[16:17]
	flat_load_ushort v23, v[46:47]
	s_waitcnt vmcnt(0) lgkmcnt(0)
	v_mul_f16_e32 v23, v52, v23
.LBB207_118:
	v_pk_add_f16 v46, v2, v18
	v_pk_max_f16 v47, v78, v78
	s_and_b64 vcc, exec, s[0:1]
	v_pk_min_f16 v46, v47, v46
	v_pk_add_f16 v47, v3, v19
	s_nop 0
	v_pk_min_f16 v46, v46, v47
	s_nop 0
	v_lshrrev_b32_e32 v47, 16, v46
	v_min3_f16 v23, v23, v46, v47
	v_lshl_add_u64 v[46:47], v[40:41], 1, v[20:21]
	global_store_short v[46:47], v23, off
	s_cbranch_vccnz .LBB207_120
; %bb.119:
	v_lshl_add_u64 v[16:17], v[38:39], 1, v[16:17]
	flat_load_ushort v16, v[16:17]
	s_waitcnt vmcnt(0) lgkmcnt(0)
	v_mul_f16_e32 v22, v52, v16
.LBB207_120:
	v_pk_add_f16 v16, v24, v18
	v_pk_max_f16 v17, v77, v77
	s_and_b64 vcc, exec, s[0:1]
	v_pk_min_f16 v16, v17, v16
	v_pk_add_f16 v17, v25, v19
	s_nop 0
	v_pk_min_f16 v16, v16, v17
	s_nop 0
	v_lshrrev_b32_e32 v17, 16, v16
	v_min3_f16 v18, v22, v16, v17
	v_lshl_add_u64 v[16:17], v[38:39], 1, v[20:21]
	global_store_short v[16:17], v18, off
	v_add_u32_e32 v18, 40, v116
	v_mad_i64_i32 v[16:17], s[4:5], v18, s6, 0
	v_lshl_add_u64 v[16:17], v[16:17], 1, s[10:11]
	v_mov_b32_e32 v20, 0
	v_mov_b32_e32 v21, 0
	s_cbranch_vccnz .LBB207_122
; %bb.121:
	v_lshl_add_u64 v[22:23], v[28:29], 1, v[16:17]
	flat_load_ushort v19, v[22:23]
	s_waitcnt vmcnt(0) lgkmcnt(0)
	v_mul_f16_e32 v21, v52, v19
.LBB207_122:
	v_pk_add_f16 v19, v30, v12
	v_pk_max_f16 v22, v76, v76
	s_and_b64 vcc, exec, s[0:1]
	v_pk_min_f16 v19, v22, v19
	v_pk_add_f16 v22, v31, v13
	s_nop 0
	v_pk_min_f16 v22, v19, v22
	v_mad_i64_i32 v[18:19], s[4:5], v18, s7, 0
	v_lshl_add_u64 v[18:19], v[18:19], 1, s[2:3]
	v_lshrrev_b32_e32 v23, 16, v22
	v_min3_f16 v21, v21, v22, v23
	v_lshl_add_u64 v[22:23], v[28:29], 1, v[18:19]
	global_store_short v[22:23], v21, off
	s_cbranch_vccnz .LBB207_124
; %bb.123:
	v_lshl_add_u64 v[20:21], v[32:33], 1, v[16:17]
	flat_load_ushort v20, v[20:21]
	s_waitcnt vmcnt(0) lgkmcnt(0)
	v_mul_f16_e32 v20, v52, v20
.LBB207_124:
	v_pk_add_f16 v21, v8, v12
	v_pk_max_f16 v22, v75, v75
	s_and_b64 vcc, exec, s[0:1]
	v_pk_min_f16 v21, v22, v21
	v_pk_add_f16 v22, v9, v13
	s_nop 0
	v_pk_min_f16 v21, v21, v22
	s_nop 0
	v_lshrrev_b32_e32 v22, 16, v21
	v_min3_f16 v22, v20, v21, v22
	v_lshl_add_u64 v[20:21], v[32:33], 1, v[18:19]
	global_store_short v[20:21], v22, off
	v_mov_b32_e32 v20, 0
	v_mov_b32_e32 v21, 0
	s_cbranch_vccnz .LBB207_126
; %bb.125:
	v_lshl_add_u64 v[22:23], v[34:35], 1, v[16:17]
	flat_load_ushort v21, v[22:23]
	s_waitcnt vmcnt(0) lgkmcnt(0)
	v_mul_f16_e32 v21, v52, v21
.LBB207_126:
	v_pk_add_f16 v22, v10, v12
	v_pk_max_f16 v23, v74, v74
	s_and_b64 vcc, exec, s[0:1]
	v_pk_min_f16 v22, v23, v22
	v_pk_add_f16 v23, v11, v13
	s_nop 0
	v_pk_min_f16 v22, v22, v23
	s_nop 0
	v_lshrrev_b32_e32 v23, 16, v22
	v_min3_f16 v21, v21, v22, v23
	v_lshl_add_u64 v[22:23], v[34:35], 1, v[18:19]
	global_store_short v[22:23], v21, off
	s_cbranch_vccnz .LBB207_128
; %bb.127:
	v_lshl_add_u64 v[20:21], v[36:37], 1, v[16:17]
	flat_load_ushort v20, v[20:21]
	s_waitcnt vmcnt(0) lgkmcnt(0)
	v_mul_f16_e32 v20, v52, v20
.LBB207_128:
	v_pk_add_f16 v21, v4, v12
	v_pk_max_f16 v22, v73, v73
	s_and_b64 vcc, exec, s[0:1]
	v_pk_min_f16 v21, v22, v21
	v_pk_add_f16 v22, v5, v13
	s_nop 0
	v_pk_min_f16 v21, v21, v22
	s_nop 0
	v_lshrrev_b32_e32 v22, 16, v21
	v_min3_f16 v22, v20, v21, v22
	v_lshl_add_u64 v[20:21], v[36:37], 1, v[18:19]
	global_store_short v[20:21], v22, off
	v_mov_b32_e32 v20, 0
	v_mov_b32_e32 v21, 0
	s_cbranch_vccnz .LBB207_130
; %bb.129:
	v_lshl_add_u64 v[22:23], v[44:45], 1, v[16:17]
	flat_load_ushort v21, v[22:23]
	s_waitcnt vmcnt(0) lgkmcnt(0)
	v_mul_f16_e32 v21, v52, v21
.LBB207_130:
	v_pk_add_f16 v22, v6, v12
	v_pk_max_f16 v23, v72, v72
	s_and_b64 vcc, exec, s[0:1]
	v_pk_min_f16 v22, v23, v22
	v_pk_add_f16 v23, v7, v13
	s_nop 0
	v_pk_min_f16 v22, v22, v23
	s_nop 0
	v_lshrrev_b32_e32 v23, 16, v22
	v_min3_f16 v21, v21, v22, v23
	v_lshl_add_u64 v[22:23], v[44:45], 1, v[18:19]
	global_store_short v[22:23], v21, off
	s_cbranch_vccnz .LBB207_132
; %bb.131:
	v_lshl_add_u64 v[20:21], v[42:43], 1, v[16:17]
	flat_load_ushort v20, v[20:21]
	s_waitcnt vmcnt(0) lgkmcnt(0)
	v_mul_f16_e32 v20, v52, v20
.LBB207_132:
	v_pk_add_f16 v21, v0, v12
	v_pk_max_f16 v22, v71, v71
	s_and_b64 vcc, exec, s[0:1]
	v_pk_min_f16 v21, v22, v21
	v_pk_add_f16 v22, v1, v13
	s_nop 0
	v_pk_min_f16 v21, v21, v22
	s_nop 0
	v_lshrrev_b32_e32 v22, 16, v21
	v_min3_f16 v22, v20, v21, v22
	v_lshl_add_u64 v[20:21], v[42:43], 1, v[18:19]
	global_store_short v[20:21], v22, off
	v_mov_b32_e32 v20, 0
	v_mov_b32_e32 v21, 0
	s_cbranch_vccnz .LBB207_134
; %bb.133:
	v_lshl_add_u64 v[22:23], v[40:41], 1, v[16:17]
	flat_load_ushort v21, v[22:23]
	s_waitcnt vmcnt(0) lgkmcnt(0)
	v_mul_f16_e32 v21, v52, v21
.LBB207_134:
	v_pk_add_f16 v22, v2, v12
	v_pk_max_f16 v23, v70, v70
	s_and_b64 vcc, exec, s[0:1]
	v_pk_min_f16 v22, v23, v22
	v_pk_add_f16 v23, v3, v13
	s_nop 0
	v_pk_min_f16 v22, v22, v23
	s_nop 0
	v_lshrrev_b32_e32 v23, 16, v22
	v_min3_f16 v21, v21, v22, v23
	v_lshl_add_u64 v[22:23], v[40:41], 1, v[18:19]
	global_store_short v[22:23], v21, off
	s_cbranch_vccnz .LBB207_136
; %bb.135:
	v_lshl_add_u64 v[16:17], v[38:39], 1, v[16:17]
	flat_load_ushort v16, v[16:17]
	s_waitcnt vmcnt(0) lgkmcnt(0)
	v_mul_f16_e32 v20, v52, v16
.LBB207_136:
	v_pk_add_f16 v12, v24, v12
	v_pk_max_f16 v16, v69, v69
	v_pk_add_f16 v13, v25, v13
	v_pk_min_f16 v12, v16, v12
	s_and_b64 vcc, exec, s[0:1]
	v_pk_min_f16 v12, v12, v13
	s_nop 0
	v_lshrrev_b32_e32 v13, 16, v12
	v_min3_f16 v16, v20, v12, v13
	v_lshl_add_u64 v[12:13], v[38:39], 1, v[18:19]
	global_store_short v[12:13], v16, off
	v_add_u32_e32 v16, 48, v116
	v_mad_i64_i32 v[12:13], s[4:5], v16, s6, 0
	v_lshl_add_u64 v[12:13], v[12:13], 1, s[10:11]
	v_mov_b32_e32 v18, 0
	v_mov_b32_e32 v19, 0
	s_cbranch_vccnz .LBB207_138
; %bb.137:
	v_lshl_add_u64 v[20:21], v[28:29], 1, v[12:13]
	flat_load_ushort v17, v[20:21]
	s_waitcnt vmcnt(0) lgkmcnt(0)
	v_mul_f16_e32 v19, v52, v17
.LBB207_138:
	v_pk_add_f16 v17, v30, v14
	v_pk_max_f16 v20, v67, v67
	s_and_b64 vcc, exec, s[0:1]
	v_pk_min_f16 v17, v20, v17
	v_pk_add_f16 v20, v31, v15
	s_nop 0
	v_pk_min_f16 v20, v17, v20
	v_mad_i64_i32 v[16:17], s[4:5], v16, s7, 0
	v_lshl_add_u64 v[16:17], v[16:17], 1, s[2:3]
	v_lshrrev_b32_e32 v21, 16, v20
	v_min3_f16 v19, v19, v20, v21
	v_lshl_add_u64 v[20:21], v[28:29], 1, v[16:17]
	global_store_short v[20:21], v19, off
	s_cbranch_vccnz .LBB207_140
; %bb.139:
	v_lshl_add_u64 v[18:19], v[32:33], 1, v[12:13]
	flat_load_ushort v18, v[18:19]
	s_waitcnt vmcnt(0) lgkmcnt(0)
	v_mul_f16_e32 v18, v52, v18
.LBB207_140:
	v_pk_add_f16 v19, v8, v14
	v_pk_max_f16 v20, v66, v66
	s_and_b64 vcc, exec, s[0:1]
	v_pk_min_f16 v19, v20, v19
	v_pk_add_f16 v20, v9, v15
	s_nop 0
	v_pk_min_f16 v19, v19, v20
	s_nop 0
	v_lshrrev_b32_e32 v20, 16, v19
	v_min3_f16 v20, v18, v19, v20
	v_lshl_add_u64 v[18:19], v[32:33], 1, v[16:17]
	global_store_short v[18:19], v20, off
	v_mov_b32_e32 v18, 0
	v_mov_b32_e32 v19, 0
	s_cbranch_vccnz .LBB207_142
; %bb.141:
	v_lshl_add_u64 v[20:21], v[34:35], 1, v[12:13]
	flat_load_ushort v19, v[20:21]
	s_waitcnt vmcnt(0) lgkmcnt(0)
	v_mul_f16_e32 v19, v52, v19
.LBB207_142:
	v_pk_add_f16 v20, v10, v14
	v_pk_max_f16 v21, v65, v65
	s_and_b64 vcc, exec, s[0:1]
	v_pk_min_f16 v20, v21, v20
	v_pk_add_f16 v21, v11, v15
	s_nop 0
	v_pk_min_f16 v20, v20, v21
	s_nop 0
	v_lshrrev_b32_e32 v21, 16, v20
	v_min3_f16 v19, v19, v20, v21
	v_lshl_add_u64 v[20:21], v[34:35], 1, v[16:17]
	global_store_short v[20:21], v19, off
	s_cbranch_vccnz .LBB207_144
; %bb.143:
	v_lshl_add_u64 v[18:19], v[36:37], 1, v[12:13]
	flat_load_ushort v18, v[18:19]
	s_waitcnt vmcnt(0) lgkmcnt(0)
	v_mul_f16_e32 v18, v52, v18
.LBB207_144:
	v_pk_add_f16 v19, v4, v14
	v_pk_max_f16 v20, v64, v64
	s_and_b64 vcc, exec, s[0:1]
	v_pk_min_f16 v19, v20, v19
	v_pk_add_f16 v20, v5, v15
	s_nop 0
	v_pk_min_f16 v19, v19, v20
	s_nop 0
	v_lshrrev_b32_e32 v20, 16, v19
	v_min3_f16 v20, v18, v19, v20
	v_lshl_add_u64 v[18:19], v[36:37], 1, v[16:17]
	global_store_short v[18:19], v20, off
	v_mov_b32_e32 v18, 0
	v_mov_b32_e32 v19, 0
	s_cbranch_vccnz .LBB207_146
; %bb.145:
	v_lshl_add_u64 v[20:21], v[44:45], 1, v[12:13]
	flat_load_ushort v19, v[20:21]
	s_waitcnt vmcnt(0) lgkmcnt(0)
	v_mul_f16_e32 v19, v52, v19
.LBB207_146:
	v_pk_add_f16 v20, v6, v14
	v_pk_max_f16 v21, v63, v63
	s_and_b64 vcc, exec, s[0:1]
	v_pk_min_f16 v20, v21, v20
	v_pk_add_f16 v21, v7, v15
	s_nop 0
	v_pk_min_f16 v20, v20, v21
	s_nop 0
	;; [unrolled: 40-line block ×3, first 2 shown]
	v_lshrrev_b32_e32 v21, 16, v20
	v_min3_f16 v19, v19, v20, v21
	v_lshl_add_u64 v[20:21], v[40:41], 1, v[16:17]
	global_store_short v[20:21], v19, off
	s_cbranch_vccnz .LBB207_152
; %bb.151:
	v_lshl_add_u64 v[12:13], v[38:39], 1, v[12:13]
	flat_load_ushort v12, v[12:13]
	s_waitcnt vmcnt(0) lgkmcnt(0)
	v_mul_f16_e32 v18, v52, v12
.LBB207_152:
	v_pk_add_f16 v12, v24, v14
	v_pk_max_f16 v13, v59, v59
	s_and_b64 vcc, exec, s[0:1]
	v_pk_min_f16 v12, v13, v12
	v_pk_add_f16 v13, v25, v15
	s_nop 0
	v_pk_min_f16 v12, v12, v13
	s_nop 0
	v_lshrrev_b32_e32 v13, 16, v12
	v_min3_f16 v14, v18, v12, v13
	v_lshl_add_u64 v[12:13], v[38:39], 1, v[16:17]
	global_store_short v[12:13], v14, off
	v_add_u32_e32 v14, 56, v116
	v_mad_i64_i32 v[12:13], s[4:5], v14, s6, 0
	v_lshl_add_u64 v[12:13], v[12:13], 1, s[10:11]
	v_mov_b32_e32 v16, 0
	v_mov_b32_e32 v17, 0
	s_cbranch_vccnz .LBB207_154
; %bb.153:
	v_lshl_add_u64 v[18:19], v[28:29], 1, v[12:13]
	flat_load_ushort v15, v[18:19]
	s_waitcnt vmcnt(0) lgkmcnt(0)
	v_mul_f16_e32 v17, v52, v15
.LBB207_154:
	v_pk_add_f16 v15, v30, v26
	v_pk_max_f16 v18, v60, v60
	s_and_b64 vcc, exec, s[0:1]
	v_pk_min_f16 v15, v18, v15
	v_pk_add_f16 v18, v31, v27
	s_nop 0
	v_pk_min_f16 v18, v15, v18
	v_mad_i64_i32 v[14:15], s[4:5], v14, s7, 0
	v_lshl_add_u64 v[14:15], v[14:15], 1, s[2:3]
	v_lshrrev_b32_e32 v19, 16, v18
	v_min3_f16 v17, v17, v18, v19
	v_lshl_add_u64 v[18:19], v[28:29], 1, v[14:15]
	global_store_short v[18:19], v17, off
	s_cbranch_vccnz .LBB207_156
; %bb.155:
	v_lshl_add_u64 v[16:17], v[32:33], 1, v[12:13]
	flat_load_ushort v16, v[16:17]
	s_waitcnt vmcnt(0) lgkmcnt(0)
	v_mul_f16_e32 v16, v52, v16
.LBB207_156:
	v_pk_add_f16 v8, v8, v26
	v_pk_max_f16 v17, v58, v58
	v_pk_add_f16 v9, v9, v27
	v_pk_min_f16 v8, v17, v8
	s_and_b64 vcc, exec, s[0:1]
	v_pk_min_f16 v8, v8, v9
	s_nop 0
	v_lshrrev_b32_e32 v9, 16, v8
	v_min3_f16 v16, v16, v8, v9
	v_lshl_add_u64 v[8:9], v[32:33], 1, v[14:15]
	global_store_short v[8:9], v16, off
	v_mov_b32_e32 v8, 0
	v_mov_b32_e32 v9, 0
	s_cbranch_vccnz .LBB207_158
; %bb.157:
	v_lshl_add_u64 v[16:17], v[34:35], 1, v[12:13]
	flat_load_ushort v9, v[16:17]
	s_waitcnt vmcnt(0) lgkmcnt(0)
	v_mul_f16_e32 v9, v52, v9
.LBB207_158:
	v_pk_add_f16 v10, v10, v26
	v_pk_max_f16 v16, v57, v57
	v_pk_add_f16 v11, v11, v27
	v_pk_min_f16 v10, v16, v10
	s_and_b64 vcc, exec, s[0:1]
	v_pk_min_f16 v10, v10, v11
	s_nop 0
	v_lshrrev_b32_e32 v11, 16, v10
	v_min3_f16 v9, v9, v10, v11
	v_lshl_add_u64 v[10:11], v[34:35], 1, v[14:15]
	global_store_short v[10:11], v9, off
	s_cbranch_vccnz .LBB207_160
; %bb.159:
	v_lshl_add_u64 v[8:9], v[36:37], 1, v[12:13]
	flat_load_ushort v8, v[8:9]
	s_waitcnt vmcnt(0) lgkmcnt(0)
	v_mul_f16_e32 v8, v52, v8
.LBB207_160:
	v_pk_add_f16 v4, v4, v26
	v_pk_max_f16 v9, v56, v56
	v_pk_add_f16 v5, v5, v27
	v_pk_min_f16 v4, v9, v4
	s_and_b64 vcc, exec, s[0:1]
	v_pk_min_f16 v4, v4, v5
	s_nop 0
	v_lshrrev_b32_e32 v5, 16, v4
	v_min3_f16 v8, v8, v4, v5
	v_lshl_add_u64 v[4:5], v[36:37], 1, v[14:15]
	global_store_short v[4:5], v8, off
	v_mov_b32_e32 v4, 0
	v_mov_b32_e32 v5, 0
	s_cbranch_vccnz .LBB207_162
; %bb.161:
	v_lshl_add_u64 v[8:9], v[44:45], 1, v[12:13]
	flat_load_ushort v5, v[8:9]
	s_waitcnt vmcnt(0) lgkmcnt(0)
	v_mul_f16_e32 v5, v52, v5
.LBB207_162:
	v_pk_add_f16 v6, v6, v26
	v_pk_max_f16 v8, v55, v55
	v_pk_add_f16 v7, v7, v27
	v_pk_min_f16 v6, v8, v6
	s_and_b64 vcc, exec, s[0:1]
	v_pk_min_f16 v6, v6, v7
	s_nop 0
	v_lshrrev_b32_e32 v7, 16, v6
	v_min3_f16 v5, v5, v6, v7
	v_lshl_add_u64 v[6:7], v[44:45], 1, v[14:15]
	global_store_short v[6:7], v5, off
	s_cbranch_vccnz .LBB207_164
; %bb.163:
	v_lshl_add_u64 v[4:5], v[42:43], 1, v[12:13]
	flat_load_ushort v4, v[4:5]
	s_waitcnt vmcnt(0) lgkmcnt(0)
	v_mul_f16_e32 v4, v52, v4
.LBB207_164:
	v_pk_add_f16 v0, v0, v26
	v_pk_max_f16 v5, v53, v53
	v_pk_add_f16 v2, v2, v26
	v_pk_min_f16 v0, v5, v0
	v_pk_max_f16 v5, v54, v54
	v_pk_add_f16 v1, v1, v27
	v_pk_min_f16 v2, v5, v2
	v_pk_min_f16 v0, v0, v1
	v_pk_add_f16 v1, v3, v27
	s_mov_b64 vcc, s[8:9]
	v_pk_min_f16 v2, v2, v1
	v_lshrrev_b32_e32 v1, 16, v0
	v_min3_f16 v3, v4, v0, v1
	v_lshl_add_u64 v[0:1], v[42:43], 1, v[14:15]
	global_store_short v[0:1], v3, off
	v_min_f16_sdwa v0, v2, v2 dst_sel:DWORD dst_unused:UNUSED_PAD src0_sel:DWORD src1_sel:WORD_1
	v_max_f16_e32 v0, v0, v0
	s_cbranch_vccz .LBB207_167
; %bb.165:
	v_min_f16_e32 v1, 0, v0
	v_lshl_add_u64 v[2:3], v[40:41], 1, v[14:15]
	s_mov_b32 s2, 0
	global_store_short v[2:3], v1, off
	s_cbranch_execz .LBB207_168
; %bb.166:
	v_mov_b32_e32 v0, s2
	s_branch .LBB207_169
.LBB207_167:
                                        ; implicit-def: $sgpr2
.LBB207_168:
	v_lshlrev_b64 v[2:3], 1, v[40:41]
	v_lshl_add_u64 v[4:5], v[12:13], 0, v[2:3]
	flat_load_ushort v1, v[4:5]
	v_lshl_add_u64 v[2:3], v[14:15], 0, v[2:3]
	s_waitcnt vmcnt(0) lgkmcnt(0)
	v_mul_f16_e32 v1, v52, v1
	v_min_f16_e32 v0, v1, v0
	global_store_short v[2:3], v0, off
	v_lshl_add_u64 v[0:1], v[38:39], 1, v[12:13]
	flat_load_ushort v0, v[0:1]
	s_waitcnt vmcnt(0) lgkmcnt(0)
	v_mul_f16_e32 v0, v52, v0
.LBB207_169:
	v_pk_add_f16 v1, v24, v26
	v_pk_max_f16 v2, v68, v68
	s_nop 0
	v_pk_min_f16 v1, v2, v1
	v_pk_add_f16 v2, v25, v27
	s_nop 0
	v_pk_min_f16 v1, v1, v2
	s_nop 0
	v_lshrrev_b32_e32 v2, 16, v1
	v_min3_f16 v2, v0, v1, v2
	v_lshl_add_u64 v[0:1], v[38:39], 1, v[14:15]
	global_store_short v[0:1], v2, off
	s_endpgm
	.section	.rodata,"a",@progbits
	.p2align	6, 0x0
	.amdhsa_kernel _ZN12_GLOBAL__N_120geam_min_plus_kernelIDF16_Dv2_DF16_S1_Li32ELi8ELi256ELi64ELi4ELi64ELi4ELi4ELi64ELc78ELc78ELb0ELb0ELb1EPKDF16_KS3_KPDF16_EEviiiT16_PT17_ilS9_ilS7_S9_ilPT18_ili26rocblas_geam_ex_operation_
		.amdhsa_group_segment_fixed_size 5120
		.amdhsa_private_segment_fixed_size 0
		.amdhsa_kernarg_size 136
		.amdhsa_user_sgpr_count 2
		.amdhsa_user_sgpr_dispatch_ptr 0
		.amdhsa_user_sgpr_queue_ptr 0
		.amdhsa_user_sgpr_kernarg_segment_ptr 1
		.amdhsa_user_sgpr_dispatch_id 0
		.amdhsa_user_sgpr_kernarg_preload_length 0
		.amdhsa_user_sgpr_kernarg_preload_offset 0
		.amdhsa_user_sgpr_private_segment_size 0
		.amdhsa_uses_dynamic_stack 0
		.amdhsa_enable_private_segment 0
		.amdhsa_system_sgpr_workgroup_id_x 1
		.amdhsa_system_sgpr_workgroup_id_y 0
		.amdhsa_system_sgpr_workgroup_id_z 1
		.amdhsa_system_sgpr_workgroup_info 0
		.amdhsa_system_vgpr_workitem_id 1
		.amdhsa_next_free_vgpr 166
		.amdhsa_next_free_sgpr 26
		.amdhsa_accum_offset 168
		.amdhsa_reserve_vcc 1
		.amdhsa_float_round_mode_32 0
		.amdhsa_float_round_mode_16_64 0
		.amdhsa_float_denorm_mode_32 3
		.amdhsa_float_denorm_mode_16_64 3
		.amdhsa_dx10_clamp 1
		.amdhsa_ieee_mode 1
		.amdhsa_fp16_overflow 0
		.amdhsa_tg_split 0
		.amdhsa_exception_fp_ieee_invalid_op 0
		.amdhsa_exception_fp_denorm_src 0
		.amdhsa_exception_fp_ieee_div_zero 0
		.amdhsa_exception_fp_ieee_overflow 0
		.amdhsa_exception_fp_ieee_underflow 0
		.amdhsa_exception_fp_ieee_inexact 0
		.amdhsa_exception_int_div_zero 0
	.end_amdhsa_kernel
	.section	.text._ZN12_GLOBAL__N_120geam_min_plus_kernelIDF16_Dv2_DF16_S1_Li32ELi8ELi256ELi64ELi4ELi64ELi4ELi4ELi64ELc78ELc78ELb0ELb0ELb1EPKDF16_KS3_KPDF16_EEviiiT16_PT17_ilS9_ilS7_S9_ilPT18_ili26rocblas_geam_ex_operation_,"axG",@progbits,_ZN12_GLOBAL__N_120geam_min_plus_kernelIDF16_Dv2_DF16_S1_Li32ELi8ELi256ELi64ELi4ELi64ELi4ELi4ELi64ELc78ELc78ELb0ELb0ELb1EPKDF16_KS3_KPDF16_EEviiiT16_PT17_ilS9_ilS7_S9_ilPT18_ili26rocblas_geam_ex_operation_,comdat
.Lfunc_end207:
	.size	_ZN12_GLOBAL__N_120geam_min_plus_kernelIDF16_Dv2_DF16_S1_Li32ELi8ELi256ELi64ELi4ELi64ELi4ELi4ELi64ELc78ELc78ELb0ELb0ELb1EPKDF16_KS3_KPDF16_EEviiiT16_PT17_ilS9_ilS7_S9_ilPT18_ili26rocblas_geam_ex_operation_, .Lfunc_end207-_ZN12_GLOBAL__N_120geam_min_plus_kernelIDF16_Dv2_DF16_S1_Li32ELi8ELi256ELi64ELi4ELi64ELi4ELi4ELi64ELc78ELc78ELb0ELb0ELb1EPKDF16_KS3_KPDF16_EEviiiT16_PT17_ilS9_ilS7_S9_ilPT18_ili26rocblas_geam_ex_operation_
                                        ; -- End function
	.section	.AMDGPU.csdata,"",@progbits
; Kernel info:
; codeLenInByte = 17152
; NumSgprs: 32
; NumVgprs: 166
; NumAgprs: 0
; TotalNumVgprs: 166
; ScratchSize: 0
; MemoryBound: 0
; FloatMode: 240
; IeeeMode: 1
; LDSByteSize: 5120 bytes/workgroup (compile time only)
; SGPRBlocks: 3
; VGPRBlocks: 20
; NumSGPRsForWavesPerEU: 32
; NumVGPRsForWavesPerEU: 166
; AccumOffset: 168
; Occupancy: 3
; WaveLimiterHint : 1
; COMPUTE_PGM_RSRC2:SCRATCH_EN: 0
; COMPUTE_PGM_RSRC2:USER_SGPR: 2
; COMPUTE_PGM_RSRC2:TRAP_HANDLER: 0
; COMPUTE_PGM_RSRC2:TGID_X_EN: 1
; COMPUTE_PGM_RSRC2:TGID_Y_EN: 0
; COMPUTE_PGM_RSRC2:TGID_Z_EN: 1
; COMPUTE_PGM_RSRC2:TIDIG_COMP_CNT: 1
; COMPUTE_PGM_RSRC3_GFX90A:ACCUM_OFFSET: 41
; COMPUTE_PGM_RSRC3_GFX90A:TG_SPLIT: 0
	.section	.text._ZN12_GLOBAL__N_120geam_min_plus_kernelIDF16_Dv2_DF16_S1_Li32ELi8ELi256ELi64ELi4ELi64ELi4ELi4ELi64ELc78ELc78ELb1ELb0ELb1EDF16_KPKDF16_KPDF16_EEviiiT16_PT17_ilS9_ilS7_S9_ilPT18_ili26rocblas_geam_ex_operation_,"axG",@progbits,_ZN12_GLOBAL__N_120geam_min_plus_kernelIDF16_Dv2_DF16_S1_Li32ELi8ELi256ELi64ELi4ELi64ELi4ELi4ELi64ELc78ELc78ELb1ELb0ELb1EDF16_KPKDF16_KPDF16_EEviiiT16_PT17_ilS9_ilS7_S9_ilPT18_ili26rocblas_geam_ex_operation_,comdat
	.globl	_ZN12_GLOBAL__N_120geam_min_plus_kernelIDF16_Dv2_DF16_S1_Li32ELi8ELi256ELi64ELi4ELi64ELi4ELi4ELi64ELc78ELc78ELb1ELb0ELb1EDF16_KPKDF16_KPDF16_EEviiiT16_PT17_ilS9_ilS7_S9_ilPT18_ili26rocblas_geam_ex_operation_ ; -- Begin function _ZN12_GLOBAL__N_120geam_min_plus_kernelIDF16_Dv2_DF16_S1_Li32ELi8ELi256ELi64ELi4ELi64ELi4ELi4ELi64ELc78ELc78ELb1ELb0ELb1EDF16_KPKDF16_KPDF16_EEviiiT16_PT17_ilS9_ilS7_S9_ilPT18_ili26rocblas_geam_ex_operation_
	.p2align	8
	.type	_ZN12_GLOBAL__N_120geam_min_plus_kernelIDF16_Dv2_DF16_S1_Li32ELi8ELi256ELi64ELi4ELi64ELi4ELi4ELi64ELc78ELc78ELb1ELb0ELb1EDF16_KPKDF16_KPDF16_EEviiiT16_PT17_ilS9_ilS7_S9_ilPT18_ili26rocblas_geam_ex_operation_,@function
_ZN12_GLOBAL__N_120geam_min_plus_kernelIDF16_Dv2_DF16_S1_Li32ELi8ELi256ELi64ELi4ELi64ELi4ELi4ELi64ELc78ELc78ELb1ELb0ELb1EDF16_KPKDF16_KPDF16_EEviiiT16_PT17_ilS9_ilS7_S9_ilPT18_ili26rocblas_geam_ex_operation_: ; @_ZN12_GLOBAL__N_120geam_min_plus_kernelIDF16_Dv2_DF16_S1_Li32ELi8ELi256ELi64ELi4ELi64ELi4ELi4ELi64ELc78ELc78ELb1ELb0ELb1EDF16_KPKDF16_KPDF16_EEviiiT16_PT17_ilS9_ilS7_S9_ilPT18_ili26rocblas_geam_ex_operation_
; %bb.0:
	s_load_dwordx2 s[12:13], s[0:1], 0x8
	s_load_dwordx4 s[4:7], s[0:1], 0x20
	s_mov_b32 s20, s3
	s_mov_b32 s21, 0
	s_waitcnt lgkmcnt(0)
	v_cmp_eq_f16_e64 s[8:9], s13, 0
	s_and_b64 vcc, exec, s[8:9]
	s_cbranch_vccnz .LBB208_3
; %bb.1:
	s_load_dwordx2 s[10:11], s[0:1], 0x10
	s_lshl_b64 s[14:15], s[20:21], 3
	s_waitcnt lgkmcnt(0)
	s_add_u32 s10, s10, s14
	s_addc_u32 s11, s11, s15
	s_load_dwordx2 s[10:11], s[10:11], 0x0
	s_lshl_b64 s[4:5], s[4:5], 1
	s_waitcnt lgkmcnt(0)
	s_add_u32 s14, s10, s4
	s_addc_u32 s15, s11, s5
	s_andn2_b64 vcc, exec, s[8:9]
	s_cbranch_vccnz .LBB208_4
.LBB208_2:
	s_mov_b64 s[16:17], 0
	s_cbranch_execz .LBB208_5
	s_branch .LBB208_6
.LBB208_3:
	s_mov_b64 s[14:15], 0
	s_andn2_b64 vcc, exec, s[8:9]
	s_cbranch_vccz .LBB208_2
.LBB208_4:
                                        ; implicit-def: $sgpr16_sgpr17
.LBB208_5:
	s_lshl_b64 s[8:9], s[20:21], 3
	s_add_u32 s6, s6, s8
	s_load_dwordx2 s[4:5], s[0:1], 0x38
	s_addc_u32 s7, s7, s9
	s_load_dwordx2 s[6:7], s[6:7], 0x0
	s_waitcnt lgkmcnt(0)
	s_lshl_b64 s[4:5], s[4:5], 1
	s_add_u32 s16, s6, s4
	s_addc_u32 s17, s7, s5
.LBB208_6:
	s_load_dword s13, s[0:1], 0x40
	s_load_dwordx4 s[8:11], s[0:1], 0x58
	s_waitcnt lgkmcnt(0)
	v_cmp_eq_f16_e64 s[4:5], s13, 0
	s_and_b64 s[4:5], exec, s[4:5]
	s_mov_b64 vcc, s[4:5]
	s_cbranch_vccnz .LBB208_8
; %bb.7:
	s_load_dwordx2 s[6:7], s[0:1], 0x48
	s_lshl_b64 s[18:19], s[20:21], 3
	s_waitcnt lgkmcnt(0)
	s_add_u32 s6, s6, s18
	s_addc_u32 s7, s7, s19
	s_load_dwordx2 s[6:7], s[6:7], 0x0
	s_lshl_b64 s[8:9], s[8:9], 1
	s_waitcnt lgkmcnt(0)
	s_add_u32 s6, s6, s8
	s_addc_u32 s7, s7, s9
	s_branch .LBB208_9
.LBB208_8:
	s_mov_b64 s[6:7], 0
.LBB208_9:
	s_load_dword s3, s[0:1], 0x0
	s_load_dword s18, s[0:1], 0x18
	;; [unrolled: 1-line block ×3, first 2 shown]
	s_lshl_b64 s[8:9], s[20:21], 3
	s_add_u32 s8, s10, s8
	s_addc_u32 s9, s11, s9
	s_waitcnt lgkmcnt(0)
	s_add_i32 s3, s3, -1
	s_ashr_i32 s10, s3, 31
	s_lshr_b32 s10, s10, 24
	s_add_i32 s3, s3, s10
	s_ashr_i32 s3, s3, 8
	s_add_i32 s10, s3, 1
	v_cvt_f32_u32_e32 v1, s10
	s_not_b32 s3, s3
	v_and_b32_e32 v40, 0x3ff, v0
	v_bfe_u32 v41, v0, 10, 10
	v_rcp_iflag_f32_e32 v1, v1
	v_lshl_add_u32 v0, v41, 5, v40
	v_lshrrev_b32_e32 v8, 2, v0
	v_and_b32_e32 v6, 63, v0
	v_mul_f32_e32 v1, 0x4f7ffffe, v1
	v_cvt_u32_f32_e32 v1, v1
	v_lshrrev_b32_e32 v38, 6, v0
	v_and_b32_e32 v7, 3, v40
	v_lshlrev_b32_e32 v36, 1, v7
	v_readfirstlane_b32 s11, v1
	s_mul_i32 s3, s3, s11
	s_mul_hi_u32 s3, s11, s3
	s_add_i32 s11, s11, s3
	s_mul_hi_u32 s3, s2, s11
	s_mul_i32 s11, s3, s10
	s_sub_i32 s11, s2, s11
	s_add_i32 s20, s3, 1
	s_sub_i32 s21, s11, s10
	s_cmp_ge_u32 s11, s10
	s_cselect_b32 s3, s20, s3
	s_cselect_b32 s11, s21, s11
	s_add_i32 s20, s3, 1
	s_cmp_ge_u32 s11, s10
	s_cselect_b32 s3, s20, s3
	s_mul_i32 s10, s3, s10
	s_sub_i32 s2, s2, s10
	s_lshl_b32 s11, s3, 6
	s_lshl_b32 s10, s2, 8
	v_add_u32_e32 v4, s11, v8
	v_or_b32_e32 v32, s10, v6
	v_mad_i64_i32 v[34:35], s[2:3], v4, s19, 0
	v_mad_i64_i32 v[0:1], s[2:3], s18, v38, 0
	v_ashrrev_i32_e32 v33, 31, v32
	v_lshl_add_u64 v[4:5], v[34:35], 1, s[16:17]
	v_mov_b32_e32 v37, 0
	v_lshl_add_u64 v[0:1], v[0:1], 1, s[14:15]
	v_lshlrev_b64 v[2:3], 1, v[32:33]
	v_lshl_add_u64 v[4:5], v[4:5], 0, v[36:37]
	v_lshl_add_u64 v[0:1], v[0:1], 0, v[2:3]
	flat_load_ushort v7, v[4:5]
	flat_load_ushort v9, v[0:1]
	flat_load_ushort v10, v[0:1] offset:128
	flat_load_ushort v11, v[0:1] offset:256
	;; [unrolled: 1-line block ×3, first 2 shown]
	v_add_u32_e32 v0, 4, v38
	v_lshlrev_b32_e32 v1, 1, v38
	s_load_dwordx2 s[2:3], s[8:9], 0x0
	v_lshl_add_u32 v45, v6, 3, v1
	v_mad_i64_i32 v[0:1], s[8:9], s18, v0, 0
	v_lshl_add_u64 v[0:1], v[0:1], 1, s[14:15]
	v_lshlrev_b32_e32 v43, 3, v40
	v_lshlrev_b32_e32 v42, 3, v41
	v_lshl_or_b32 v39, v8, 3, v36
	v_lshl_add_u64 v[0:1], v[0:1], 0, v[2:3]
	v_add_u32_e32 v44, 0x1000, v42
	flat_load_ushort v46, v[4:5] offset:8
	flat_load_ushort v47, v[0:1]
	flat_load_ushort v48, v[0:1] offset:128
	flat_load_ushort v49, v[0:1] offset:256
	;; [unrolled: 1-line block ×3, first 2 shown]
	s_movk_i32 s19, 0x7c00
	s_cmp_lt_i32 s12, 9
	s_waitcnt vmcnt(0) lgkmcnt(0)
	ds_write_b16 v39, v7 offset:4096
	ds_write_b16 v45, v9
	ds_write_b16 v45, v10 offset:512
	ds_write_b16 v45, v11 offset:1024
	;; [unrolled: 1-line block ×3, first 2 shown]
	s_waitcnt lgkmcnt(0)
	s_barrier
	ds_read2_b64 v[16:19], v43 offset1:32
	ds_read2_b64 v[12:15], v43 offset0:64 offset1:96
	ds_read2_b64 v[8:11], v43 offset0:128 offset1:160
	ds_read2_b64 v[28:31], v44 offset1:8
	ds_read2_b64 v[0:3], v43 offset0:192 offset1:224
	ds_read2_b64 v[24:27], v44 offset0:16 offset1:24
	;; [unrolled: 1-line block ×4, first 2 shown]
	s_waitcnt lgkmcnt(4)
	v_pk_add_f16 v54, v14, v28
	v_pk_add_f16 v50, v16, v28
	v_pk_min_f16 v67, v54, s19 op_sel_hi:[1,0]
	s_waitcnt lgkmcnt(2)
	v_pk_add_f16 v54, v12, v24
	v_pk_add_f16 v58, v16, v30
	v_pk_min_f16 v74, v54, s19 op_sel_hi:[1,0]
	v_pk_add_f16 v54, v14, v24
	v_pk_add_f16 v65, v16, v24
	v_pk_min_f16 v75, v54, s19 op_sel_hi:[1,0]
	;; [unrolled: 3-line block ×12, first 2 shown]
	s_waitcnt lgkmcnt(1)
	v_pk_add_f16 v54, v16, v20
	v_pk_add_f16 v28, v2, v28
	v_pk_min_f16 v86, v54, s19 op_sel_hi:[1,0]
	v_pk_add_f16 v54, v18, v20
	v_pk_add_f16 v62, v8, v30
	v_pk_min_f16 v87, v54, s19 op_sel_hi:[1,0]
	;; [unrolled: 3-line block ×4, first 2 shown]
	v_pk_add_f16 v54, v8, v20
	v_pk_min_f16 v50, v50, s19 op_sel_hi:[1,0]
	v_pk_min_f16 v90, v54, s19 op_sel_hi:[1,0]
	v_pk_add_f16 v54, v10, v20
	v_pk_add_f16 v24, v2, v24
	v_pk_min_f16 v91, v54, s19 op_sel_hi:[1,0]
	v_pk_add_f16 v54, v0, v20
	v_pk_add_f16 v26, v2, v26
	;; [unrolled: 3-line block ×3, first 2 shown]
	v_pk_min_f16 v93, v54, s19 op_sel_hi:[1,0]
	v_pk_add_f16 v54, v18, v22
	v_pk_min_f16 v52, v52, s19 op_sel_hi:[1,0]
	v_pk_min_f16 v95, v54, s19 op_sel_hi:[1,0]
	v_pk_add_f16 v54, v12, v22
	v_pk_min_f16 v53, v53, s19 op_sel_hi:[1,0]
	;; [unrolled: 3-line block ×5, first 2 shown]
	v_pk_min_f16 v99, v54, s19 op_sel_hi:[1,0]
	v_pk_add_f16 v54, v0, v22
	v_pk_add_f16 v22, v2, v22
	v_pk_min_f16 v100, v54, s19 op_sel_hi:[1,0]
	s_waitcnt lgkmcnt(0)
	v_pk_add_f16 v54, v16, v4
	v_pk_min_f16 v28, v28, s19 op_sel_hi:[1,0]
	v_pk_min_f16 v101, v54, s19 op_sel_hi:[1,0]
	v_pk_add_f16 v54, v18, v4
	v_pk_min_f16 v69, v58, s19 op_sel_hi:[1,0]
	v_pk_min_f16 v102, v54, s19 op_sel_hi:[1,0]
	;; [unrolled: 3-line block ×6, first 2 shown]
	v_pk_add_f16 v54, v0, v4
	v_pk_add_f16 v4, v2, v4
	;; [unrolled: 1-line block ×3, first 2 shown]
	v_pk_min_f16 v111, v4, s19 op_sel_hi:[1,0]
	v_pk_add_f16 v4, v16, v6
	v_pk_min_f16 v110, v54, s19 op_sel_hi:[1,0]
	v_pk_min_f16 v16, v4, s19 op_sel_hi:[1,0]
	v_pk_add_f16 v4, v18, v6
	v_pk_min_f16 v61, v61, s19 op_sel_hi:[1,0]
	;; [unrolled: 3-line block ×6, first 2 shown]
	v_pk_min_f16 v8, v4, s19 op_sel_hi:[1,0]
	v_pk_min_f16 v4, v0, s19 op_sel_hi:[1,0]
	v_pk_add_f16 v0, v2, v6
	v_pk_add_f16 v2, v17, v29
	v_pk_min_f16 v24, v24, s19 op_sel_hi:[1,0]
	v_pk_min_f16 v50, v50, v2
	v_pk_add_f16 v2, v19, v29
	v_pk_min_f16 v26, v26, s19 op_sel_hi:[1,0]
	v_pk_min_f16 v52, v52, v2
	;; [unrolled: 3-line block ×5, first 2 shown]
	v_pk_add_f16 v2, v11, v29
	ds_write_b16 v45, v47 offset:2048
	ds_write_b16 v45, v48 offset:2560
	;; [unrolled: 1-line block ×5, first 2 shown]
	v_pk_min_f16 v55, v68, v2
	v_pk_add_f16 v2, v1, v29
	s_waitcnt lgkmcnt(0)
	v_pk_min_f16 v58, v57, v2
	v_pk_add_f16 v2, v3, v29
	s_barrier
	v_pk_min_f16 v57, v28, v2
	v_pk_add_f16 v2, v17, v31
	s_nop 0
	v_pk_min_f16 v66, v69, v2
	v_pk_add_f16 v2, v19, v31
	s_nop 0
	;; [unrolled: 3-line block ×46, first 2 shown]
	v_pk_min_f16 v101, v109, v2
	v_pk_add_f16 v2, v1, v5
	v_pk_add_f16 v1, v1, v7
	v_pk_min_f16 v100, v110, v2
	v_pk_add_f16 v2, v3, v5
	v_pk_min_f16 v113, v4, v1
	v_pk_min_f16 v99, v111, v2
	v_pk_add_f16 v2, v17, v7
	v_pk_add_f16 v1, v3, v7
	v_pk_min_f16 v108, v16, v2
	v_pk_add_f16 v2, v19, v7
	v_pk_min_f16 v114, v0, v1
	v_pk_min_f16 v107, v18, v2
	v_pk_add_f16 v2, v13, v7
	s_nop 0
	v_pk_min_f16 v109, v112, v2
	v_pk_add_f16 v2, v15, v7
	s_nop 0
	;; [unrolled: 3-line block ×4, first 2 shown]
	v_pk_min_f16 v112, v8, v2
	s_cbranch_scc1 .LBB208_12
; %bb.10:
	v_mov_b32_e32 v0, 0x800
	v_lshl_add_u32 v49, v40, 3, v0
	v_mov_b32_e32 v0, 0x1200
	v_lshl_add_u32 v51, v41, 3, v0
	v_lshl_add_u64 v[0:1], v[34:35], 1, v[36:37]
	v_lshl_add_u64 v[0:1], v[0:1], 0, s[16:17]
	;; [unrolled: 1-line block ×3, first 2 shown]
	v_add_u32_e32 v0, 12, v38
	v_mad_i64_i32 v[0:1], s[8:9], v0, s18, 0
	v_lshlrev_b64 v[36:37], 1, v[0:1]
	v_add_u32_e32 v0, 8, v38
	s_ashr_i32 s19, s18, 31
	v_lshl_add_u64 v[32:33], v[32:33], 1, s[14:15]
	v_mad_i64_i32 v[0:1], s[14:15], v0, s18, 0
	v_add_u32_e32 v46, 0x1000, v39
	v_add_u32_e32 v47, 0x800, v45
	;; [unrolled: 1-line block ×3, first 2 shown]
	s_add_i32 s12, s12, -8
	s_lshl_b64 s[8:9], s[18:19], 4
	v_lshlrev_b64 v[38:39], 1, v[0:1]
	s_mov_b32 s14, 0
.LBB208_11:                             ; =>This Inner Loop Header: Depth=1
	v_add_co_u32_e32 v0, vcc, -8, v34
	v_lshl_add_u64 v[120:121], v[32:33], 0, v[36:37]
	s_nop 0
	v_addc_co_u32_e32 v1, vcc, -1, v35, vcc
	flat_load_ushort v115, v[0:1]
	v_lshl_add_u64 v[0:1], v[32:33], 0, v[38:39]
	flat_load_ushort v116, v[0:1] offset:384
	flat_load_ushort v117, v[0:1] offset:256
	;; [unrolled: 1-line block ×3, first 2 shown]
	flat_load_ushort v119, v[0:1]
	ds_read2_b64 v[0:3], v49 offset1:32
	ds_read2_b64 v[4:7], v49 offset0:64 offset1:96
	ds_read2_b64 v[8:11], v49 offset0:128 offset1:160
	;; [unrolled: 1-line block ×3, first 2 shown]
	ds_read2_b64 v[12:15], v51 offset1:8
	ds_read2_b64 v[20:23], v51 offset0:16 offset1:24
	ds_read2_b64 v[24:27], v51 offset0:32 offset1:40
	;; [unrolled: 1-line block ×3, first 2 shown]
	v_pk_max_f16 v114, v114, v114
	v_pk_max_f16 v113, v113, v113
	v_pk_max_f16 v112, v112, v112
	v_pk_max_f16 v111, v111, v111
	v_pk_max_f16 v110, v110, v110
	v_pk_max_f16 v109, v109, v109
	v_pk_max_f16 v107, v107, v107
	v_pk_max_f16 v108, v108, v108
	s_add_i32 s14, s14, 8
	v_lshl_add_u64 v[32:33], v[32:33], 0, s[8:9]
	s_cmp_ge_i32 s14, s12
	s_waitcnt vmcnt(0) lgkmcnt(0)
	ds_write_b16 v45, v119
	ds_write_b16 v45, v118 offset:512
	ds_write_b16 v45, v117 offset:1024
	;; [unrolled: 1-line block ×3, first 2 shown]
	ds_write_b16 v46, v115
	s_waitcnt lgkmcnt(0)
	s_barrier
	flat_load_ushort v115, v[34:35]
	flat_load_ushort v116, v[120:121] offset:384
	flat_load_ushort v117, v[120:121] offset:256
	flat_load_ushort v118, v[120:121] offset:128
	flat_load_ushort v119, v[120:121]
	v_pk_add_f16 v120, v18, v30
	v_lshl_add_u64 v[34:35], v[34:35], 0, 16
	v_pk_min_f16 v114, v114, v120
	v_pk_add_f16 v120, v19, v31
	s_nop 0
	v_pk_min_f16 v114, v114, v120
	v_pk_add_f16 v120, v16, v30
	s_nop 0
	;; [unrolled: 3-line block ×11, first 2 shown]
	v_pk_min_f16 v109, v109, v120
	v_pk_add_f16 v120, v2, v30
	v_pk_add_f16 v30, v0, v30
	v_pk_min_f16 v107, v107, v120
	v_pk_add_f16 v120, v3, v31
	v_pk_min_f16 v30, v108, v30
	;; [unrolled: 2-line block ×3, first 2 shown]
	v_pk_min_f16 v108, v30, v31
	v_pk_add_f16 v30, v18, v28
	v_pk_max_f16 v31, v99, v99
	s_nop 0
	v_pk_min_f16 v30, v31, v30
	v_pk_add_f16 v31, v19, v29
	s_nop 0
	v_pk_min_f16 v99, v30, v31
	v_pk_add_f16 v30, v16, v28
	v_pk_max_f16 v31, v100, v100
	s_nop 0
	v_pk_min_f16 v30, v31, v30
	v_pk_add_f16 v31, v17, v29
	s_nop 0
	v_pk_min_f16 v100, v30, v31
	v_pk_add_f16 v30, v10, v28
	v_pk_max_f16 v31, v101, v101
	s_nop 0
	v_pk_min_f16 v30, v31, v30
	v_pk_add_f16 v31, v11, v29
	s_nop 0
	v_pk_min_f16 v101, v30, v31
	v_pk_add_f16 v30, v8, v28
	v_pk_max_f16 v31, v102, v102
	s_nop 0
	v_pk_min_f16 v30, v31, v30
	v_pk_add_f16 v31, v9, v29
	s_nop 0
	v_pk_min_f16 v102, v30, v31
	v_pk_add_f16 v30, v6, v28
	v_pk_max_f16 v31, v103, v103
	s_nop 0
	v_pk_min_f16 v30, v31, v30
	v_pk_add_f16 v31, v7, v29
	s_nop 0
	v_pk_min_f16 v103, v30, v31
	v_pk_add_f16 v30, v4, v28
	v_pk_max_f16 v31, v104, v104
	s_nop 0
	v_pk_min_f16 v30, v31, v30
	v_pk_add_f16 v31, v5, v29
	s_nop 0
	v_pk_min_f16 v104, v30, v31
	v_pk_add_f16 v30, v2, v28
	v_pk_max_f16 v31, v105, v105
	v_pk_add_f16 v28, v0, v28
	v_pk_min_f16 v30, v31, v30
	v_pk_add_f16 v31, v3, v29
	v_pk_add_f16 v29, v1, v29
	v_pk_min_f16 v105, v30, v31
	v_pk_max_f16 v30, v106, v106
	s_nop 0
	v_pk_min_f16 v28, v30, v28
	s_nop 0
	v_pk_min_f16 v106, v28, v29
	v_pk_add_f16 v28, v18, v26
	v_pk_max_f16 v29, v98, v98
	s_nop 0
	v_pk_min_f16 v28, v29, v28
	v_pk_add_f16 v29, v19, v27
	s_nop 0
	v_pk_min_f16 v98, v28, v29
	v_pk_add_f16 v28, v16, v26
	v_pk_max_f16 v29, v97, v97
	s_nop 0
	v_pk_min_f16 v28, v29, v28
	v_pk_add_f16 v29, v17, v27
	s_nop 0
	v_pk_min_f16 v97, v28, v29
	v_pk_add_f16 v28, v10, v26
	v_pk_max_f16 v29, v96, v96
	s_nop 0
	v_pk_min_f16 v28, v29, v28
	v_pk_add_f16 v29, v11, v27
	s_nop 0
	v_pk_min_f16 v96, v28, v29
	v_pk_add_f16 v28, v8, v26
	v_pk_max_f16 v29, v95, v95
	s_nop 0
	v_pk_min_f16 v28, v29, v28
	v_pk_add_f16 v29, v9, v27
	s_nop 0
	v_pk_min_f16 v95, v28, v29
	v_pk_add_f16 v28, v6, v26
	v_pk_max_f16 v29, v93, v93
	s_nop 0
	v_pk_min_f16 v28, v29, v28
	v_pk_add_f16 v29, v7, v27
	s_nop 0
	v_pk_min_f16 v93, v28, v29
	v_pk_add_f16 v28, v4, v26
	v_pk_max_f16 v29, v91, v91
	s_nop 0
	v_pk_min_f16 v28, v29, v28
	v_pk_add_f16 v29, v5, v27
	s_nop 0
	v_pk_min_f16 v91, v28, v29
	v_pk_add_f16 v28, v2, v26
	v_pk_max_f16 v29, v88, v88
	v_pk_add_f16 v26, v0, v26
	v_pk_min_f16 v28, v29, v28
	v_pk_add_f16 v29, v3, v27
	v_pk_add_f16 v27, v1, v27
	v_pk_min_f16 v88, v28, v29
	v_pk_max_f16 v28, v90, v90
	s_nop 0
	v_pk_min_f16 v26, v28, v26
	s_nop 0
	;; [unrolled: 54-line block ×5, first 2 shown]
	v_pk_min_f16 v68, v20, v21
	v_pk_add_f16 v20, v18, v14
	v_pk_max_f16 v21, v61, v61
	s_nop 0
	v_pk_min_f16 v20, v21, v20
	v_pk_add_f16 v21, v19, v15
	s_nop 0
	v_pk_min_f16 v61, v20, v21
	v_pk_add_f16 v20, v16, v14
	v_pk_max_f16 v21, v59, v59
	s_nop 0
	v_pk_min_f16 v20, v21, v20
	v_pk_add_f16 v21, v17, v15
	s_nop 0
	v_pk_min_f16 v59, v20, v21
	v_pk_add_f16 v20, v10, v14
	v_pk_max_f16 v21, v60, v60
	v_pk_add_f16 v10, v10, v12
	v_pk_min_f16 v20, v21, v20
	v_pk_add_f16 v21, v11, v15
	v_pk_add_f16 v11, v11, v13
	v_pk_min_f16 v60, v20, v21
	v_pk_add_f16 v20, v8, v14
	v_pk_max_f16 v21, v62, v62
	v_pk_add_f16 v8, v8, v12
	v_pk_min_f16 v20, v21, v20
	v_pk_add_f16 v21, v9, v15
	v_pk_add_f16 v9, v9, v13
	;; [unrolled: 7-line block ×5, first 2 shown]
	v_pk_min_f16 v65, v20, v21
	v_pk_max_f16 v20, v66, v66
	v_pk_add_f16 v2, v2, v12
	v_pk_min_f16 v14, v20, v14
	v_pk_add_f16 v3, v3, v13
	v_pk_min_f16 v66, v14, v15
	v_pk_add_f16 v14, v18, v12
	v_pk_max_f16 v15, v57, v57
	v_pk_add_f16 v0, v0, v12
	v_pk_min_f16 v14, v15, v14
	v_pk_add_f16 v15, v19, v13
	v_pk_add_f16 v1, v1, v13
	v_pk_min_f16 v57, v14, v15
	v_pk_add_f16 v14, v16, v12
	v_pk_max_f16 v15, v58, v58
	s_nop 0
	v_pk_min_f16 v14, v15, v14
	v_pk_add_f16 v15, v17, v13
	s_nop 0
	v_pk_min_f16 v58, v14, v15
	v_pk_max_f16 v14, v55, v55
	s_nop 0
	v_pk_min_f16 v10, v14, v10
	s_nop 0
	v_pk_min_f16 v55, v10, v11
	v_pk_max_f16 v10, v56, v56
	s_nop 0
	v_pk_min_f16 v8, v10, v8
	;; [unrolled: 5-line block ×6, first 2 shown]
	s_nop 0
	v_pk_min_f16 v50, v0, v1
	ds_read2_b64 v[16:19], v43 offset1:32
	ds_read2_b64 v[12:15], v43 offset0:64 offset1:96
	ds_read2_b64 v[8:11], v43 offset0:128 offset1:160
	;; [unrolled: 1-line block ×3, first 2 shown]
	ds_read2_b64 v[28:31], v44 offset1:8
	ds_read2_b64 v[24:27], v44 offset0:16 offset1:24
	ds_read2_b64 v[20:23], v44 offset0:32 offset1:40
	;; [unrolled: 1-line block ×3, first 2 shown]
	s_waitcnt vmcnt(0) lgkmcnt(0)
	ds_write_b16 v47, v119
	ds_write_b16 v47, v118 offset:512
	ds_write_b16 v47, v117 offset:1024
	;; [unrolled: 1-line block ×3, first 2 shown]
	ds_write_b16 v48, v115
	v_pk_add_f16 v120, v16, v28
	s_waitcnt lgkmcnt(0)
	v_pk_min_f16 v50, v50, v120
	v_pk_add_f16 v120, v18, v28
	s_barrier
	v_pk_min_f16 v52, v52, v120
	v_pk_add_f16 v120, v12, v28
	s_nop 0
	v_pk_min_f16 v54, v54, v120
	v_pk_add_f16 v120, v14, v28
	s_nop 0
	v_pk_min_f16 v53, v53, v120
	v_pk_add_f16 v120, v8, v28
	s_nop 0
	v_pk_min_f16 v56, v56, v120
	v_pk_add_f16 v120, v10, v28
	s_nop 0
	v_pk_min_f16 v55, v55, v120
	v_pk_add_f16 v120, v0, v28
	v_pk_add_f16 v28, v2, v28
	v_pk_min_f16 v58, v58, v120
	v_pk_min_f16 v57, v57, v28
	v_pk_add_f16 v28, v16, v30
	s_nop 0
	v_pk_min_f16 v66, v66, v28
	v_pk_add_f16 v28, v18, v30
	s_nop 0
	v_pk_min_f16 v65, v65, v28
	v_pk_add_f16 v28, v12, v30
	s_nop 0
	v_pk_min_f16 v64, v64, v28
	v_pk_add_f16 v28, v14, v30
	s_nop 0
	v_pk_min_f16 v63, v63, v28
	v_pk_add_f16 v28, v8, v30
	s_nop 0
	v_pk_min_f16 v62, v62, v28
	v_pk_add_f16 v28, v10, v30
	s_nop 0
	v_pk_min_f16 v60, v60, v28
	v_pk_add_f16 v28, v0, v30
	s_nop 0
	v_pk_min_f16 v59, v59, v28
	v_pk_add_f16 v28, v2, v30
	s_nop 0
	v_pk_min_f16 v61, v61, v28
	v_pk_add_f16 v28, v16, v24
	s_nop 0
	v_pk_min_f16 v68, v68, v28
	v_pk_add_f16 v28, v18, v24
	s_nop 0
	v_pk_min_f16 v67, v67, v28
	v_pk_add_f16 v28, v12, v24
	s_nop 0
	v_pk_min_f16 v69, v69, v28
	v_pk_add_f16 v28, v14, v24
	s_nop 0
	v_pk_min_f16 v70, v70, v28
	v_pk_add_f16 v28, v8, v24
	s_nop 0
	v_pk_min_f16 v71, v71, v28
	v_pk_add_f16 v28, v10, v24
	s_nop 0
	v_pk_min_f16 v73, v73, v28
	v_pk_add_f16 v28, v0, v24
	v_pk_add_f16 v24, v2, v24
	v_pk_min_f16 v76, v76, v28
	v_pk_min_f16 v78, v78, v24
	v_pk_add_f16 v24, v16, v26
	s_nop 0
	v_pk_min_f16 v74, v74, v24
	v_pk_add_f16 v24, v18, v26
	s_nop 0
	v_pk_min_f16 v72, v72, v24
	v_pk_add_f16 v24, v12, v26
	s_nop 0
	v_pk_min_f16 v75, v75, v24
	v_pk_add_f16 v24, v14, v26
	s_nop 0
	v_pk_min_f16 v77, v77, v24
	v_pk_add_f16 v24, v8, v26
	s_nop 0
	v_pk_min_f16 v79, v79, v24
	v_pk_add_f16 v24, v10, v26
	s_nop 0
	v_pk_min_f16 v80, v80, v24
	v_pk_add_f16 v24, v0, v26
	s_nop 0
	v_pk_min_f16 v81, v81, v24
	v_pk_add_f16 v24, v2, v26
	s_nop 0
	v_pk_min_f16 v82, v82, v24
	v_pk_add_f16 v24, v16, v20
	s_nop 0
	v_pk_min_f16 v84, v84, v24
	v_pk_add_f16 v24, v18, v20
	s_nop 0
	;; [unrolled: 46-line block ×3, first 2 shown]
	v_pk_min_f16 v22, v105, v20
	v_pk_add_f16 v20, v12, v4
	s_nop 0
	v_pk_min_f16 v24, v104, v20
	v_pk_add_f16 v20, v14, v4
	s_nop 0
	;; [unrolled: 3-line block ×4, first 2 shown]
	v_pk_min_f16 v30, v101, v20
	v_pk_add_f16 v20, v0, v4
	v_pk_add_f16 v4, v2, v4
	v_pk_min_f16 v100, v100, v20
	v_pk_min_f16 v99, v99, v4
	v_pk_add_f16 v4, v16, v6
	v_pk_add_f16 v0, v0, v6
	v_pk_min_f16 v20, v108, v4
	v_pk_add_f16 v4, v18, v6
	s_nop 0
	v_pk_min_f16 v18, v107, v4
	v_pk_add_f16 v4, v12, v6
	s_nop 0
	;; [unrolled: 3-line block ×5, first 2 shown]
	v_pk_min_f16 v8, v112, v4
	v_pk_min_f16 v4, v113, v0
	v_pk_add_f16 v0, v2, v6
	v_pk_add_f16 v2, v17, v29
	v_pk_min_f16 v0, v114, v0
	v_pk_min_f16 v50, v50, v2
	v_pk_add_f16 v2, v19, v29
	s_nop 0
	v_pk_min_f16 v52, v52, v2
	v_pk_add_f16 v2, v13, v29
	s_nop 0
	;; [unrolled: 3-line block ×53, first 2 shown]
	v_pk_min_f16 v101, v30, v2
	v_pk_add_f16 v2, v1, v5
	v_pk_add_f16 v1, v1, v7
	v_pk_min_f16 v100, v100, v2
	v_pk_add_f16 v2, v3, v5
	v_pk_min_f16 v113, v4, v1
	v_pk_min_f16 v99, v99, v2
	v_pk_add_f16 v2, v17, v7
	v_pk_add_f16 v1, v3, v7
	v_pk_min_f16 v108, v20, v2
	v_pk_add_f16 v2, v19, v7
	v_pk_min_f16 v114, v0, v1
	v_pk_min_f16 v107, v18, v2
	v_pk_add_f16 v2, v13, v7
	s_nop 0
	v_pk_min_f16 v109, v16, v2
	v_pk_add_f16 v2, v15, v7
	s_nop 0
	;; [unrolled: 3-line block ×4, first 2 shown]
	v_pk_min_f16 v112, v8, v2
	s_cbranch_scc0 .LBB208_11
.LBB208_12:
	s_load_dword s12, s[0:1], 0x50
	ds_read_b64 v[30:31], v43 offset:2048
	ds_read_b64 v[46:47], v42 offset:4608
	v_add_u32_e32 v115, s11, v41
	v_cmp_neq_f16_e64 s[8:9], s13, 0
	v_add_u32_e32 v28, s10, v40
	s_waitcnt lgkmcnt(0)
	v_mad_i64_i32 v[0:1], s[10:11], v115, s12, 0
	v_ashrrev_i32_e32 v29, 31, v28
	v_lshl_add_u64 v[48:49], v[0:1], 1, s[6:7]
	s_and_b64 vcc, exec, s[8:9]
	v_mov_b32_e32 v36, 0
	v_mov_b32_e32 v34, 0
	s_cbranch_vccz .LBB208_14
; %bb.13:
	v_lshl_add_u64 v[0:1], v[28:29], 1, v[48:49]
	flat_load_ushort v0, v[0:1]
	s_waitcnt vmcnt(0) lgkmcnt(0)
	v_mul_f16_e32 v34, s13, v0
.LBB208_14:
	v_add_u32_e32 v0, 0x800, v43
	ds_read2_b64 v[8:11], v0 offset0:32 offset1:64
	ds_read2_b64 v[4:7], v0 offset0:96 offset1:128
	;; [unrolled: 1-line block ×3, first 2 shown]
	ds_read_b64 v[24:25], v43 offset:3840
	s_load_dword s10, s[0:1], 0x68
	s_load_dwordx2 s[14:15], s[0:1], 0x70
	v_add_u32_e32 v12, 0x1000, v42
	ds_read2_b64 v[20:23], v12 offset0:72 offset1:80
	ds_read2_b64 v[16:19], v12 offset0:88 offset1:96
	;; [unrolled: 1-line block ×3, first 2 shown]
	ds_read_b64 v[26:27], v42 offset:5056
	v_pk_add_f16 v32, v30, v46
	v_pk_max_f16 v33, v50, v50
	s_waitcnt lgkmcnt(0)
	s_lshl_b64 s[0:1], s[14:15], 1
	s_add_u32 s2, s2, s0
	v_pk_min_f16 v32, v33, v32
	v_pk_add_f16 v33, v31, v47
	s_addc_u32 s3, s3, s1
	v_pk_min_f16 v35, v32, v33
	v_mad_i64_i32 v[38:39], s[0:1], v115, s10, 0
	v_add_u32_e32 v32, 32, v28
	v_lshl_add_u64 v[50:51], v[38:39], 1, s[2:3]
	v_lshrrev_b32_e32 v37, 16, v35
	v_cndmask_b32_e64 v38, 0, 1, s[8:9]
	v_ashrrev_i32_e32 v33, 31, v32
	v_min3_f16 v37, v34, v35, v37
	v_lshl_add_u64 v[34:35], v[28:29], 1, v[50:51]
	v_cmp_ne_u32_e64 s[0:1], 1, v38
	s_andn2_b64 vcc, exec, s[8:9]
	global_store_short v[34:35], v37, off
	s_cbranch_vccnz .LBB208_16
; %bb.15:
	v_lshl_add_u64 v[34:35], v[32:33], 1, v[48:49]
	flat_load_ushort v34, v[34:35]
	s_waitcnt vmcnt(0) lgkmcnt(0)
	v_mul_f16_e32 v36, s13, v34
.LBB208_16:
	v_pk_add_f16 v34, v8, v46
	v_pk_max_f16 v35, v52, v52
	s_and_b64 vcc, exec, s[0:1]
	v_pk_min_f16 v34, v35, v34
	v_pk_add_f16 v35, v9, v47
	v_mov_b32_e32 v39, 0
	v_pk_min_f16 v37, v34, v35
	v_add_u32_e32 v34, 64, v28
	v_lshrrev_b32_e32 v38, 16, v37
	v_min3_f16 v38, v36, v37, v38
	v_lshl_add_u64 v[36:37], v[32:33], 1, v[50:51]
	v_ashrrev_i32_e32 v35, 31, v34
	global_store_short v[36:37], v38, off
	v_mov_b32_e32 v38, 0
	s_cbranch_vccnz .LBB208_18
; %bb.17:
	v_lshl_add_u64 v[36:37], v[34:35], 1, v[48:49]
	flat_load_ushort v36, v[36:37]
	s_waitcnt vmcnt(0) lgkmcnt(0)
	v_mul_f16_e32 v39, s13, v36
.LBB208_18:
	v_pk_add_f16 v36, v10, v46
	v_pk_max_f16 v37, v54, v54
	s_and_b64 vcc, exec, s[0:1]
	v_pk_min_f16 v36, v37, v36
	v_pk_add_f16 v37, v11, v47
	s_nop 0
	v_pk_min_f16 v40, v36, v37
	v_add_u32_e32 v36, 0x60, v28
	v_lshrrev_b32_e32 v41, 16, v40
	v_ashrrev_i32_e32 v37, 31, v36
	v_min3_f16 v39, v39, v40, v41
	v_lshl_add_u64 v[40:41], v[34:35], 1, v[50:51]
	global_store_short v[40:41], v39, off
	s_cbranch_vccnz .LBB208_20
; %bb.19:
	v_lshl_add_u64 v[38:39], v[36:37], 1, v[48:49]
	flat_load_ushort v38, v[38:39]
	s_waitcnt vmcnt(0) lgkmcnt(0)
	v_mul_f16_e32 v38, s13, v38
.LBB208_20:
	v_pk_add_f16 v39, v4, v46
	v_pk_max_f16 v40, v53, v53
	v_add_u32_e32 v44, 0x80, v28
	v_pk_min_f16 v39, v40, v39
	v_pk_add_f16 v40, v5, v47
	v_ashrrev_i32_e32 v45, 31, v44
	v_pk_min_f16 v39, v39, v40
	s_and_b64 vcc, exec, s[0:1]
	v_lshrrev_b32_e32 v40, 16, v39
	v_min3_f16 v40, v38, v39, v40
	v_lshl_add_u64 v[38:39], v[36:37], 1, v[50:51]
	global_store_short v[38:39], v40, off
	v_mov_b32_e32 v38, 0
	v_mov_b32_e32 v39, 0
	s_cbranch_vccnz .LBB208_22
; %bb.21:
	v_lshl_add_u64 v[40:41], v[44:45], 1, v[48:49]
	flat_load_ushort v39, v[40:41]
	s_waitcnt vmcnt(0) lgkmcnt(0)
	v_mul_f16_e32 v39, s13, v39
.LBB208_22:
	v_pk_add_f16 v40, v6, v46
	v_pk_max_f16 v41, v56, v56
	v_add_u32_e32 v42, 0xa0, v28
	v_pk_min_f16 v40, v41, v40
	v_pk_add_f16 v41, v7, v47
	v_ashrrev_i32_e32 v43, 31, v42
	v_pk_min_f16 v40, v40, v41
	s_and_b64 vcc, exec, s[0:1]
	v_lshrrev_b32_e32 v41, 16, v40
	v_min3_f16 v39, v39, v40, v41
	v_lshl_add_u64 v[40:41], v[44:45], 1, v[50:51]
	global_store_short v[40:41], v39, off
	s_cbranch_vccnz .LBB208_24
; %bb.23:
	v_lshl_add_u64 v[38:39], v[42:43], 1, v[48:49]
	flat_load_ushort v38, v[38:39]
	s_waitcnt vmcnt(0) lgkmcnt(0)
	v_mul_f16_e32 v38, s13, v38
.LBB208_24:
	v_pk_add_f16 v39, v0, v46
	v_pk_max_f16 v40, v55, v55
	s_and_b64 vcc, exec, s[0:1]
	v_pk_min_f16 v39, v40, v39
	v_pk_add_f16 v40, v1, v47
	v_mov_b32_e32 v53, 0
	v_pk_min_f16 v39, v39, v40
	v_add_u32_e32 v40, 0xc0, v28
	v_lshrrev_b32_e32 v52, 16, v39
	v_min3_f16 v52, v38, v39, v52
	v_lshl_add_u64 v[38:39], v[42:43], 1, v[50:51]
	v_ashrrev_i32_e32 v41, 31, v40
	global_store_short v[38:39], v52, off
	v_mov_b32_e32 v52, 0
	s_cbranch_vccnz .LBB208_26
; %bb.25:
	v_lshl_add_u64 v[38:39], v[40:41], 1, v[48:49]
	flat_load_ushort v38, v[38:39]
	s_waitcnt vmcnt(0) lgkmcnt(0)
	v_mul_f16_e32 v53, s13, v38
.LBB208_26:
	v_pk_add_f16 v38, v2, v46
	v_pk_max_f16 v39, v58, v58
	s_and_b64 vcc, exec, s[0:1]
	v_pk_min_f16 v38, v39, v38
	v_pk_add_f16 v39, v3, v47
	s_nop 0
	v_pk_min_f16 v54, v38, v39
	v_add_u32_e32 v38, 0xe0, v28
	v_lshrrev_b32_e32 v55, 16, v54
	v_ashrrev_i32_e32 v39, 31, v38
	v_min3_f16 v53, v53, v54, v55
	v_lshl_add_u64 v[54:55], v[40:41], 1, v[50:51]
	global_store_short v[54:55], v53, off
	s_cbranch_vccnz .LBB208_28
; %bb.27:
	v_lshl_add_u64 v[48:49], v[38:39], 1, v[48:49]
	flat_load_ushort v48, v[48:49]
	s_waitcnt vmcnt(0) lgkmcnt(0)
	v_mul_f16_e32 v52, s13, v48
.LBB208_28:
	v_pk_add_f16 v46, v24, v46
	v_pk_max_f16 v48, v57, v57
	v_pk_add_f16 v47, v25, v47
	v_pk_min_f16 v46, v48, v46
	s_and_b64 vcc, exec, s[0:1]
	v_pk_min_f16 v46, v46, v47
	s_nop 0
	v_lshrrev_b32_e32 v47, 16, v46
	v_min3_f16 v48, v52, v46, v47
	v_lshl_add_u64 v[46:47], v[38:39], 1, v[50:51]
	global_store_short v[46:47], v48, off
	v_add_u32_e32 v48, 8, v115
	v_mad_i64_i32 v[46:47], s[8:9], v48, s12, 0
	v_lshl_add_u64 v[46:47], v[46:47], 1, s[6:7]
	v_mov_b32_e32 v50, 0
	v_mov_b32_e32 v51, 0
	s_cbranch_vccnz .LBB208_30
; %bb.29:
	v_lshl_add_u64 v[52:53], v[28:29], 1, v[46:47]
	flat_load_ushort v49, v[52:53]
	s_waitcnt vmcnt(0) lgkmcnt(0)
	v_mul_f16_e32 v51, s13, v49
.LBB208_30:
	v_pk_add_f16 v49, v30, v20
	v_pk_max_f16 v52, v66, v66
	s_and_b64 vcc, exec, s[0:1]
	v_pk_min_f16 v49, v52, v49
	v_pk_add_f16 v52, v31, v21
	s_nop 0
	v_pk_min_f16 v52, v49, v52
	v_mad_i64_i32 v[48:49], s[8:9], v48, s10, 0
	v_lshl_add_u64 v[48:49], v[48:49], 1, s[2:3]
	v_lshrrev_b32_e32 v53, 16, v52
	v_min3_f16 v51, v51, v52, v53
	v_lshl_add_u64 v[52:53], v[28:29], 1, v[48:49]
	global_store_short v[52:53], v51, off
	s_cbranch_vccnz .LBB208_32
; %bb.31:
	v_lshl_add_u64 v[50:51], v[32:33], 1, v[46:47]
	flat_load_ushort v50, v[50:51]
	s_waitcnt vmcnt(0) lgkmcnt(0)
	v_mul_f16_e32 v50, s13, v50
.LBB208_32:
	v_pk_add_f16 v51, v8, v20
	v_pk_max_f16 v52, v65, v65
	s_and_b64 vcc, exec, s[0:1]
	v_pk_min_f16 v51, v52, v51
	v_pk_add_f16 v52, v9, v21
	s_nop 0
	v_pk_min_f16 v51, v51, v52
	s_nop 0
	v_lshrrev_b32_e32 v52, 16, v51
	v_min3_f16 v52, v50, v51, v52
	v_lshl_add_u64 v[50:51], v[32:33], 1, v[48:49]
	global_store_short v[50:51], v52, off
	v_mov_b32_e32 v50, 0
	v_mov_b32_e32 v51, 0
	s_cbranch_vccnz .LBB208_34
; %bb.33:
	v_lshl_add_u64 v[52:53], v[34:35], 1, v[46:47]
	flat_load_ushort v51, v[52:53]
	s_waitcnt vmcnt(0) lgkmcnt(0)
	v_mul_f16_e32 v51, s13, v51
.LBB208_34:
	v_pk_add_f16 v52, v10, v20
	v_pk_max_f16 v53, v64, v64
	s_and_b64 vcc, exec, s[0:1]
	v_pk_min_f16 v52, v53, v52
	v_pk_add_f16 v53, v11, v21
	s_nop 0
	v_pk_min_f16 v52, v52, v53
	s_nop 0
	v_lshrrev_b32_e32 v53, 16, v52
	v_min3_f16 v51, v51, v52, v53
	v_lshl_add_u64 v[52:53], v[34:35], 1, v[48:49]
	global_store_short v[52:53], v51, off
	s_cbranch_vccnz .LBB208_36
; %bb.35:
	v_lshl_add_u64 v[50:51], v[36:37], 1, v[46:47]
	flat_load_ushort v50, v[50:51]
	s_waitcnt vmcnt(0) lgkmcnt(0)
	v_mul_f16_e32 v50, s13, v50
.LBB208_36:
	v_pk_add_f16 v51, v4, v20
	v_pk_max_f16 v52, v63, v63
	s_and_b64 vcc, exec, s[0:1]
	v_pk_min_f16 v51, v52, v51
	v_pk_add_f16 v52, v5, v21
	s_nop 0
	v_pk_min_f16 v51, v51, v52
	s_nop 0
	v_lshrrev_b32_e32 v52, 16, v51
	v_min3_f16 v52, v50, v51, v52
	v_lshl_add_u64 v[50:51], v[36:37], 1, v[48:49]
	global_store_short v[50:51], v52, off
	v_mov_b32_e32 v50, 0
	v_mov_b32_e32 v51, 0
	s_cbranch_vccnz .LBB208_38
; %bb.37:
	v_lshl_add_u64 v[52:53], v[44:45], 1, v[46:47]
	flat_load_ushort v51, v[52:53]
	s_waitcnt vmcnt(0) lgkmcnt(0)
	v_mul_f16_e32 v51, s13, v51
.LBB208_38:
	v_pk_add_f16 v52, v6, v20
	v_pk_max_f16 v53, v62, v62
	s_and_b64 vcc, exec, s[0:1]
	v_pk_min_f16 v52, v53, v52
	v_pk_add_f16 v53, v7, v21
	s_nop 0
	v_pk_min_f16 v52, v52, v53
	s_nop 0
	v_lshrrev_b32_e32 v53, 16, v52
	v_min3_f16 v51, v51, v52, v53
	v_lshl_add_u64 v[52:53], v[44:45], 1, v[48:49]
	global_store_short v[52:53], v51, off
	s_cbranch_vccnz .LBB208_40
; %bb.39:
	v_lshl_add_u64 v[50:51], v[42:43], 1, v[46:47]
	flat_load_ushort v50, v[50:51]
	s_waitcnt vmcnt(0) lgkmcnt(0)
	v_mul_f16_e32 v50, s13, v50
.LBB208_40:
	v_pk_add_f16 v51, v0, v20
	v_pk_max_f16 v52, v60, v60
	s_and_b64 vcc, exec, s[0:1]
	v_pk_min_f16 v51, v52, v51
	v_pk_add_f16 v52, v1, v21
	s_nop 0
	v_pk_min_f16 v51, v51, v52
	s_nop 0
	v_lshrrev_b32_e32 v52, 16, v51
	v_min3_f16 v52, v50, v51, v52
	v_lshl_add_u64 v[50:51], v[42:43], 1, v[48:49]
	global_store_short v[50:51], v52, off
	v_mov_b32_e32 v50, 0
	v_mov_b32_e32 v51, 0
	s_cbranch_vccnz .LBB208_42
; %bb.41:
	v_lshl_add_u64 v[52:53], v[40:41], 1, v[46:47]
	flat_load_ushort v51, v[52:53]
	s_waitcnt vmcnt(0) lgkmcnt(0)
	v_mul_f16_e32 v51, s13, v51
.LBB208_42:
	v_pk_add_f16 v52, v2, v20
	v_pk_max_f16 v53, v59, v59
	s_and_b64 vcc, exec, s[0:1]
	v_pk_min_f16 v52, v53, v52
	v_pk_add_f16 v53, v3, v21
	s_nop 0
	v_pk_min_f16 v52, v52, v53
	s_nop 0
	v_lshrrev_b32_e32 v53, 16, v52
	v_min3_f16 v51, v51, v52, v53
	v_lshl_add_u64 v[52:53], v[40:41], 1, v[48:49]
	global_store_short v[52:53], v51, off
	s_cbranch_vccnz .LBB208_44
; %bb.43:
	v_lshl_add_u64 v[46:47], v[38:39], 1, v[46:47]
	flat_load_ushort v46, v[46:47]
	s_waitcnt vmcnt(0) lgkmcnt(0)
	v_mul_f16_e32 v50, s13, v46
.LBB208_44:
	v_pk_add_f16 v20, v24, v20
	v_pk_max_f16 v46, v61, v61
	v_pk_add_f16 v21, v25, v21
	v_pk_min_f16 v20, v46, v20
	s_and_b64 vcc, exec, s[0:1]
	v_pk_min_f16 v20, v20, v21
	s_nop 0
	v_lshrrev_b32_e32 v21, 16, v20
	v_min3_f16 v46, v50, v20, v21
	v_lshl_add_u64 v[20:21], v[38:39], 1, v[48:49]
	global_store_short v[20:21], v46, off
	v_add_u32_e32 v46, 16, v115
	v_mad_i64_i32 v[20:21], s[8:9], v46, s12, 0
	v_lshl_add_u64 v[20:21], v[20:21], 1, s[6:7]
	v_mov_b32_e32 v48, 0
	v_mov_b32_e32 v49, 0
	s_cbranch_vccnz .LBB208_46
; %bb.45:
	v_lshl_add_u64 v[50:51], v[28:29], 1, v[20:21]
	flat_load_ushort v47, v[50:51]
	s_waitcnt vmcnt(0) lgkmcnt(0)
	v_mul_f16_e32 v49, s13, v47
.LBB208_46:
	v_pk_add_f16 v47, v30, v22
	v_pk_max_f16 v50, v68, v68
	s_and_b64 vcc, exec, s[0:1]
	v_pk_min_f16 v47, v50, v47
	v_pk_add_f16 v50, v31, v23
	s_nop 0
	v_pk_min_f16 v50, v47, v50
	v_mad_i64_i32 v[46:47], s[8:9], v46, s10, 0
	v_lshl_add_u64 v[46:47], v[46:47], 1, s[2:3]
	v_lshrrev_b32_e32 v51, 16, v50
	v_min3_f16 v49, v49, v50, v51
	v_lshl_add_u64 v[50:51], v[28:29], 1, v[46:47]
	global_store_short v[50:51], v49, off
	s_cbranch_vccnz .LBB208_48
; %bb.47:
	v_lshl_add_u64 v[48:49], v[32:33], 1, v[20:21]
	flat_load_ushort v48, v[48:49]
	s_waitcnt vmcnt(0) lgkmcnt(0)
	v_mul_f16_e32 v48, s13, v48
.LBB208_48:
	v_pk_add_f16 v49, v8, v22
	v_pk_max_f16 v50, v67, v67
	s_and_b64 vcc, exec, s[0:1]
	v_pk_min_f16 v49, v50, v49
	v_pk_add_f16 v50, v9, v23
	s_nop 0
	v_pk_min_f16 v49, v49, v50
	s_nop 0
	v_lshrrev_b32_e32 v50, 16, v49
	v_min3_f16 v50, v48, v49, v50
	v_lshl_add_u64 v[48:49], v[32:33], 1, v[46:47]
	global_store_short v[48:49], v50, off
	v_mov_b32_e32 v48, 0
	v_mov_b32_e32 v49, 0
	s_cbranch_vccnz .LBB208_50
; %bb.49:
	v_lshl_add_u64 v[50:51], v[34:35], 1, v[20:21]
	flat_load_ushort v49, v[50:51]
	s_waitcnt vmcnt(0) lgkmcnt(0)
	v_mul_f16_e32 v49, s13, v49
.LBB208_50:
	v_pk_add_f16 v50, v10, v22
	v_pk_max_f16 v51, v69, v69
	s_and_b64 vcc, exec, s[0:1]
	v_pk_min_f16 v50, v51, v50
	v_pk_add_f16 v51, v11, v23
	s_nop 0
	v_pk_min_f16 v50, v50, v51
	s_nop 0
	v_lshrrev_b32_e32 v51, 16, v50
	v_min3_f16 v49, v49, v50, v51
	v_lshl_add_u64 v[50:51], v[34:35], 1, v[46:47]
	global_store_short v[50:51], v49, off
	s_cbranch_vccnz .LBB208_52
; %bb.51:
	v_lshl_add_u64 v[48:49], v[36:37], 1, v[20:21]
	flat_load_ushort v48, v[48:49]
	s_waitcnt vmcnt(0) lgkmcnt(0)
	v_mul_f16_e32 v48, s13, v48
.LBB208_52:
	v_pk_add_f16 v49, v4, v22
	v_pk_max_f16 v50, v70, v70
	s_and_b64 vcc, exec, s[0:1]
	v_pk_min_f16 v49, v50, v49
	v_pk_add_f16 v50, v5, v23
	s_nop 0
	v_pk_min_f16 v49, v49, v50
	s_nop 0
	v_lshrrev_b32_e32 v50, 16, v49
	v_min3_f16 v50, v48, v49, v50
	v_lshl_add_u64 v[48:49], v[36:37], 1, v[46:47]
	global_store_short v[48:49], v50, off
	v_mov_b32_e32 v48, 0
	v_mov_b32_e32 v49, 0
	s_cbranch_vccnz .LBB208_54
; %bb.53:
	v_lshl_add_u64 v[50:51], v[44:45], 1, v[20:21]
	flat_load_ushort v49, v[50:51]
	s_waitcnt vmcnt(0) lgkmcnt(0)
	v_mul_f16_e32 v49, s13, v49
.LBB208_54:
	v_pk_add_f16 v50, v6, v22
	v_pk_max_f16 v51, v71, v71
	s_and_b64 vcc, exec, s[0:1]
	v_pk_min_f16 v50, v51, v50
	v_pk_add_f16 v51, v7, v23
	s_nop 0
	v_pk_min_f16 v50, v50, v51
	s_nop 0
	;; [unrolled: 40-line block ×3, first 2 shown]
	v_lshrrev_b32_e32 v51, 16, v50
	v_min3_f16 v49, v49, v50, v51
	v_lshl_add_u64 v[50:51], v[40:41], 1, v[46:47]
	global_store_short v[50:51], v49, off
	s_cbranch_vccnz .LBB208_60
; %bb.59:
	v_lshl_add_u64 v[20:21], v[38:39], 1, v[20:21]
	flat_load_ushort v20, v[20:21]
	s_waitcnt vmcnt(0) lgkmcnt(0)
	v_mul_f16_e32 v48, s13, v20
.LBB208_60:
	v_pk_add_f16 v20, v24, v22
	v_pk_max_f16 v21, v78, v78
	s_and_b64 vcc, exec, s[0:1]
	v_pk_min_f16 v20, v21, v20
	v_pk_add_f16 v21, v25, v23
	s_nop 0
	v_pk_min_f16 v20, v20, v21
	s_nop 0
	v_lshrrev_b32_e32 v21, 16, v20
	v_min3_f16 v22, v48, v20, v21
	v_lshl_add_u64 v[20:21], v[38:39], 1, v[46:47]
	global_store_short v[20:21], v22, off
	v_add_u32_e32 v22, 24, v115
	v_mad_i64_i32 v[20:21], s[8:9], v22, s12, 0
	v_lshl_add_u64 v[20:21], v[20:21], 1, s[6:7]
	v_mov_b32_e32 v46, 0
	v_mov_b32_e32 v47, 0
	s_cbranch_vccnz .LBB208_62
; %bb.61:
	v_lshl_add_u64 v[48:49], v[28:29], 1, v[20:21]
	flat_load_ushort v23, v[48:49]
	s_waitcnt vmcnt(0) lgkmcnt(0)
	v_mul_f16_e32 v47, s13, v23
.LBB208_62:
	v_pk_add_f16 v23, v30, v16
	v_pk_max_f16 v48, v74, v74
	s_and_b64 vcc, exec, s[0:1]
	v_pk_min_f16 v23, v48, v23
	v_pk_add_f16 v48, v31, v17
	s_nop 0
	v_pk_min_f16 v48, v23, v48
	v_mad_i64_i32 v[22:23], s[8:9], v22, s10, 0
	v_lshl_add_u64 v[22:23], v[22:23], 1, s[2:3]
	v_lshrrev_b32_e32 v49, 16, v48
	v_min3_f16 v47, v47, v48, v49
	v_lshl_add_u64 v[48:49], v[28:29], 1, v[22:23]
	global_store_short v[48:49], v47, off
	s_cbranch_vccnz .LBB208_64
; %bb.63:
	v_lshl_add_u64 v[46:47], v[32:33], 1, v[20:21]
	flat_load_ushort v46, v[46:47]
	s_waitcnt vmcnt(0) lgkmcnt(0)
	v_mul_f16_e32 v46, s13, v46
.LBB208_64:
	v_pk_add_f16 v47, v8, v16
	v_pk_max_f16 v48, v72, v72
	s_and_b64 vcc, exec, s[0:1]
	v_pk_min_f16 v47, v48, v47
	v_pk_add_f16 v48, v9, v17
	s_nop 0
	v_pk_min_f16 v47, v47, v48
	s_nop 0
	v_lshrrev_b32_e32 v48, 16, v47
	v_min3_f16 v48, v46, v47, v48
	v_lshl_add_u64 v[46:47], v[32:33], 1, v[22:23]
	global_store_short v[46:47], v48, off
	v_mov_b32_e32 v46, 0
	v_mov_b32_e32 v47, 0
	s_cbranch_vccnz .LBB208_66
; %bb.65:
	v_lshl_add_u64 v[48:49], v[34:35], 1, v[20:21]
	flat_load_ushort v47, v[48:49]
	s_waitcnt vmcnt(0) lgkmcnt(0)
	v_mul_f16_e32 v47, s13, v47
.LBB208_66:
	v_pk_add_f16 v48, v10, v16
	v_pk_max_f16 v49, v75, v75
	s_and_b64 vcc, exec, s[0:1]
	v_pk_min_f16 v48, v49, v48
	v_pk_add_f16 v49, v11, v17
	s_nop 0
	v_pk_min_f16 v48, v48, v49
	s_nop 0
	v_lshrrev_b32_e32 v49, 16, v48
	v_min3_f16 v47, v47, v48, v49
	v_lshl_add_u64 v[48:49], v[34:35], 1, v[22:23]
	global_store_short v[48:49], v47, off
	s_cbranch_vccnz .LBB208_68
; %bb.67:
	v_lshl_add_u64 v[46:47], v[36:37], 1, v[20:21]
	flat_load_ushort v46, v[46:47]
	s_waitcnt vmcnt(0) lgkmcnt(0)
	v_mul_f16_e32 v46, s13, v46
.LBB208_68:
	v_pk_add_f16 v47, v4, v16
	v_pk_max_f16 v48, v77, v77
	s_and_b64 vcc, exec, s[0:1]
	v_pk_min_f16 v47, v48, v47
	v_pk_add_f16 v48, v5, v17
	s_nop 0
	v_pk_min_f16 v47, v47, v48
	s_nop 0
	v_lshrrev_b32_e32 v48, 16, v47
	v_min3_f16 v48, v46, v47, v48
	v_lshl_add_u64 v[46:47], v[36:37], 1, v[22:23]
	global_store_short v[46:47], v48, off
	v_mov_b32_e32 v46, 0
	v_mov_b32_e32 v47, 0
	s_cbranch_vccnz .LBB208_70
; %bb.69:
	v_lshl_add_u64 v[48:49], v[44:45], 1, v[20:21]
	flat_load_ushort v47, v[48:49]
	s_waitcnt vmcnt(0) lgkmcnt(0)
	v_mul_f16_e32 v47, s13, v47
.LBB208_70:
	v_pk_add_f16 v48, v6, v16
	v_pk_max_f16 v49, v79, v79
	s_and_b64 vcc, exec, s[0:1]
	v_pk_min_f16 v48, v49, v48
	v_pk_add_f16 v49, v7, v17
	s_nop 0
	v_pk_min_f16 v48, v48, v49
	s_nop 0
	;; [unrolled: 40-line block ×3, first 2 shown]
	v_lshrrev_b32_e32 v49, 16, v48
	v_min3_f16 v47, v47, v48, v49
	v_lshl_add_u64 v[48:49], v[40:41], 1, v[22:23]
	global_store_short v[48:49], v47, off
	s_cbranch_vccnz .LBB208_76
; %bb.75:
	v_lshl_add_u64 v[20:21], v[38:39], 1, v[20:21]
	flat_load_ushort v20, v[20:21]
	s_waitcnt vmcnt(0) lgkmcnt(0)
	v_mul_f16_e32 v46, s13, v20
.LBB208_76:
	v_pk_add_f16 v16, v24, v16
	v_pk_max_f16 v20, v82, v82
	v_pk_add_f16 v17, v25, v17
	v_pk_min_f16 v16, v20, v16
	s_and_b64 vcc, exec, s[0:1]
	v_pk_min_f16 v16, v16, v17
	s_nop 0
	v_lshrrev_b32_e32 v17, 16, v16
	v_min3_f16 v20, v46, v16, v17
	v_lshl_add_u64 v[16:17], v[38:39], 1, v[22:23]
	global_store_short v[16:17], v20, off
	v_add_u32_e32 v20, 32, v115
	v_mad_i64_i32 v[16:17], s[8:9], v20, s12, 0
	v_lshl_add_u64 v[16:17], v[16:17], 1, s[6:7]
	v_mov_b32_e32 v22, 0
	v_mov_b32_e32 v23, 0
	s_cbranch_vccnz .LBB208_78
; %bb.77:
	v_lshl_add_u64 v[46:47], v[28:29], 1, v[16:17]
	flat_load_ushort v21, v[46:47]
	s_waitcnt vmcnt(0) lgkmcnt(0)
	v_mul_f16_e32 v23, s13, v21
.LBB208_78:
	v_pk_add_f16 v21, v30, v18
	v_pk_max_f16 v46, v84, v84
	s_and_b64 vcc, exec, s[0:1]
	v_pk_min_f16 v21, v46, v21
	v_pk_add_f16 v46, v31, v19
	s_nop 0
	v_pk_min_f16 v46, v21, v46
	v_mad_i64_i32 v[20:21], s[8:9], v20, s10, 0
	v_lshl_add_u64 v[20:21], v[20:21], 1, s[2:3]
	v_lshrrev_b32_e32 v47, 16, v46
	v_min3_f16 v23, v23, v46, v47
	v_lshl_add_u64 v[46:47], v[28:29], 1, v[20:21]
	global_store_short v[46:47], v23, off
	s_cbranch_vccnz .LBB208_80
; %bb.79:
	v_lshl_add_u64 v[22:23], v[32:33], 1, v[16:17]
	flat_load_ushort v22, v[22:23]
	s_waitcnt vmcnt(0) lgkmcnt(0)
	v_mul_f16_e32 v22, s13, v22
.LBB208_80:
	v_pk_add_f16 v23, v8, v18
	v_pk_max_f16 v46, v83, v83
	s_and_b64 vcc, exec, s[0:1]
	v_pk_min_f16 v23, v46, v23
	v_pk_add_f16 v46, v9, v19
	s_nop 0
	v_pk_min_f16 v23, v23, v46
	s_nop 0
	v_lshrrev_b32_e32 v46, 16, v23
	v_min3_f16 v46, v22, v23, v46
	v_lshl_add_u64 v[22:23], v[32:33], 1, v[20:21]
	global_store_short v[22:23], v46, off
	v_mov_b32_e32 v22, 0
	v_mov_b32_e32 v23, 0
	s_cbranch_vccnz .LBB208_82
; %bb.81:
	v_lshl_add_u64 v[46:47], v[34:35], 1, v[16:17]
	flat_load_ushort v23, v[46:47]
	s_waitcnt vmcnt(0) lgkmcnt(0)
	v_mul_f16_e32 v23, s13, v23
.LBB208_82:
	v_pk_add_f16 v46, v10, v18
	v_pk_max_f16 v47, v85, v85
	s_and_b64 vcc, exec, s[0:1]
	v_pk_min_f16 v46, v47, v46
	v_pk_add_f16 v47, v11, v19
	s_nop 0
	v_pk_min_f16 v46, v46, v47
	s_nop 0
	v_lshrrev_b32_e32 v47, 16, v46
	v_min3_f16 v23, v23, v46, v47
	v_lshl_add_u64 v[46:47], v[34:35], 1, v[20:21]
	global_store_short v[46:47], v23, off
	s_cbranch_vccnz .LBB208_84
; %bb.83:
	v_lshl_add_u64 v[22:23], v[36:37], 1, v[16:17]
	flat_load_ushort v22, v[22:23]
	s_waitcnt vmcnt(0) lgkmcnt(0)
	v_mul_f16_e32 v22, s13, v22
.LBB208_84:
	v_pk_add_f16 v23, v4, v18
	v_pk_max_f16 v46, v86, v86
	s_and_b64 vcc, exec, s[0:1]
	v_pk_min_f16 v23, v46, v23
	v_pk_add_f16 v46, v5, v19
	s_nop 0
	v_pk_min_f16 v23, v23, v46
	s_nop 0
	v_lshrrev_b32_e32 v46, 16, v23
	v_min3_f16 v46, v22, v23, v46
	v_lshl_add_u64 v[22:23], v[36:37], 1, v[20:21]
	global_store_short v[22:23], v46, off
	v_mov_b32_e32 v22, 0
	v_mov_b32_e32 v23, 0
	s_cbranch_vccnz .LBB208_86
; %bb.85:
	v_lshl_add_u64 v[46:47], v[44:45], 1, v[16:17]
	flat_load_ushort v23, v[46:47]
	s_waitcnt vmcnt(0) lgkmcnt(0)
	v_mul_f16_e32 v23, s13, v23
.LBB208_86:
	v_pk_add_f16 v46, v6, v18
	v_pk_max_f16 v47, v87, v87
	s_and_b64 vcc, exec, s[0:1]
	v_pk_min_f16 v46, v47, v46
	v_pk_add_f16 v47, v7, v19
	s_nop 0
	v_pk_min_f16 v46, v46, v47
	s_nop 0
	;; [unrolled: 40-line block ×3, first 2 shown]
	v_lshrrev_b32_e32 v47, 16, v46
	v_min3_f16 v23, v23, v46, v47
	v_lshl_add_u64 v[46:47], v[40:41], 1, v[20:21]
	global_store_short v[46:47], v23, off
	s_cbranch_vccnz .LBB208_92
; %bb.91:
	v_lshl_add_u64 v[16:17], v[38:39], 1, v[16:17]
	flat_load_ushort v16, v[16:17]
	s_waitcnt vmcnt(0) lgkmcnt(0)
	v_mul_f16_e32 v22, s13, v16
.LBB208_92:
	v_pk_add_f16 v16, v24, v18
	v_pk_max_f16 v17, v94, v94
	s_and_b64 vcc, exec, s[0:1]
	v_pk_min_f16 v16, v17, v16
	v_pk_add_f16 v17, v25, v19
	s_nop 0
	v_pk_min_f16 v16, v16, v17
	s_nop 0
	v_lshrrev_b32_e32 v17, 16, v16
	v_min3_f16 v18, v22, v16, v17
	v_lshl_add_u64 v[16:17], v[38:39], 1, v[20:21]
	global_store_short v[16:17], v18, off
	v_add_u32_e32 v18, 40, v115
	v_mad_i64_i32 v[16:17], s[8:9], v18, s12, 0
	v_lshl_add_u64 v[16:17], v[16:17], 1, s[6:7]
	v_mov_b32_e32 v20, 0
	v_mov_b32_e32 v21, 0
	s_cbranch_vccnz .LBB208_94
; %bb.93:
	v_lshl_add_u64 v[22:23], v[28:29], 1, v[16:17]
	flat_load_ushort v19, v[22:23]
	s_waitcnt vmcnt(0) lgkmcnt(0)
	v_mul_f16_e32 v21, s13, v19
.LBB208_94:
	v_pk_add_f16 v19, v30, v12
	v_pk_max_f16 v22, v90, v90
	s_and_b64 vcc, exec, s[0:1]
	v_pk_min_f16 v19, v22, v19
	v_pk_add_f16 v22, v31, v13
	s_nop 0
	v_pk_min_f16 v22, v19, v22
	v_mad_i64_i32 v[18:19], s[8:9], v18, s10, 0
	v_lshl_add_u64 v[18:19], v[18:19], 1, s[2:3]
	v_lshrrev_b32_e32 v23, 16, v22
	v_min3_f16 v21, v21, v22, v23
	v_lshl_add_u64 v[22:23], v[28:29], 1, v[18:19]
	global_store_short v[22:23], v21, off
	s_cbranch_vccnz .LBB208_96
; %bb.95:
	v_lshl_add_u64 v[20:21], v[32:33], 1, v[16:17]
	flat_load_ushort v20, v[20:21]
	s_waitcnt vmcnt(0) lgkmcnt(0)
	v_mul_f16_e32 v20, s13, v20
.LBB208_96:
	v_pk_add_f16 v21, v8, v12
	v_pk_max_f16 v22, v88, v88
	s_and_b64 vcc, exec, s[0:1]
	v_pk_min_f16 v21, v22, v21
	v_pk_add_f16 v22, v9, v13
	s_nop 0
	v_pk_min_f16 v21, v21, v22
	s_nop 0
	v_lshrrev_b32_e32 v22, 16, v21
	v_min3_f16 v22, v20, v21, v22
	v_lshl_add_u64 v[20:21], v[32:33], 1, v[18:19]
	global_store_short v[20:21], v22, off
	v_mov_b32_e32 v20, 0
	v_mov_b32_e32 v21, 0
	s_cbranch_vccnz .LBB208_98
; %bb.97:
	v_lshl_add_u64 v[22:23], v[34:35], 1, v[16:17]
	flat_load_ushort v21, v[22:23]
	s_waitcnt vmcnt(0) lgkmcnt(0)
	v_mul_f16_e32 v21, s13, v21
.LBB208_98:
	v_pk_add_f16 v22, v10, v12
	v_pk_max_f16 v23, v91, v91
	s_and_b64 vcc, exec, s[0:1]
	v_pk_min_f16 v22, v23, v22
	v_pk_add_f16 v23, v11, v13
	s_nop 0
	v_pk_min_f16 v22, v22, v23
	s_nop 0
	v_lshrrev_b32_e32 v23, 16, v22
	v_min3_f16 v21, v21, v22, v23
	v_lshl_add_u64 v[22:23], v[34:35], 1, v[18:19]
	global_store_short v[22:23], v21, off
	s_cbranch_vccnz .LBB208_100
; %bb.99:
	v_lshl_add_u64 v[20:21], v[36:37], 1, v[16:17]
	flat_load_ushort v20, v[20:21]
	s_waitcnt vmcnt(0) lgkmcnt(0)
	v_mul_f16_e32 v20, s13, v20
.LBB208_100:
	v_pk_add_f16 v21, v4, v12
	v_pk_max_f16 v22, v93, v93
	s_and_b64 vcc, exec, s[0:1]
	v_pk_min_f16 v21, v22, v21
	v_pk_add_f16 v22, v5, v13
	s_nop 0
	v_pk_min_f16 v21, v21, v22
	s_nop 0
	v_lshrrev_b32_e32 v22, 16, v21
	v_min3_f16 v22, v20, v21, v22
	v_lshl_add_u64 v[20:21], v[36:37], 1, v[18:19]
	global_store_short v[20:21], v22, off
	v_mov_b32_e32 v20, 0
	v_mov_b32_e32 v21, 0
	s_cbranch_vccnz .LBB208_102
; %bb.101:
	v_lshl_add_u64 v[22:23], v[44:45], 1, v[16:17]
	flat_load_ushort v21, v[22:23]
	s_waitcnt vmcnt(0) lgkmcnt(0)
	v_mul_f16_e32 v21, s13, v21
.LBB208_102:
	v_pk_add_f16 v22, v6, v12
	v_pk_max_f16 v23, v95, v95
	s_and_b64 vcc, exec, s[0:1]
	v_pk_min_f16 v22, v23, v22
	v_pk_add_f16 v23, v7, v13
	s_nop 0
	v_pk_min_f16 v22, v22, v23
	s_nop 0
	;; [unrolled: 40-line block ×3, first 2 shown]
	v_lshrrev_b32_e32 v23, 16, v22
	v_min3_f16 v21, v21, v22, v23
	v_lshl_add_u64 v[22:23], v[40:41], 1, v[18:19]
	global_store_short v[22:23], v21, off
	s_cbranch_vccnz .LBB208_108
; %bb.107:
	v_lshl_add_u64 v[16:17], v[38:39], 1, v[16:17]
	flat_load_ushort v16, v[16:17]
	s_waitcnt vmcnt(0) lgkmcnt(0)
	v_mul_f16_e32 v20, s13, v16
.LBB208_108:
	v_pk_add_f16 v12, v24, v12
	v_pk_max_f16 v16, v98, v98
	v_pk_add_f16 v13, v25, v13
	v_pk_min_f16 v12, v16, v12
	s_and_b64 vcc, exec, s[0:1]
	v_pk_min_f16 v12, v12, v13
	s_nop 0
	v_lshrrev_b32_e32 v13, 16, v12
	v_min3_f16 v16, v20, v12, v13
	v_lshl_add_u64 v[12:13], v[38:39], 1, v[18:19]
	global_store_short v[12:13], v16, off
	v_add_u32_e32 v16, 48, v115
	v_mad_i64_i32 v[12:13], s[8:9], v16, s12, 0
	v_lshl_add_u64 v[12:13], v[12:13], 1, s[6:7]
	v_mov_b32_e32 v18, 0
	v_mov_b32_e32 v19, 0
	s_cbranch_vccnz .LBB208_110
; %bb.109:
	v_lshl_add_u64 v[20:21], v[28:29], 1, v[12:13]
	flat_load_ushort v17, v[20:21]
	s_waitcnt vmcnt(0) lgkmcnt(0)
	v_mul_f16_e32 v19, s13, v17
.LBB208_110:
	v_pk_add_f16 v17, v30, v14
	v_pk_max_f16 v20, v106, v106
	s_and_b64 vcc, exec, s[0:1]
	v_pk_min_f16 v17, v20, v17
	v_pk_add_f16 v20, v31, v15
	s_nop 0
	v_pk_min_f16 v20, v17, v20
	v_mad_i64_i32 v[16:17], s[8:9], v16, s10, 0
	v_lshl_add_u64 v[16:17], v[16:17], 1, s[2:3]
	v_lshrrev_b32_e32 v21, 16, v20
	v_min3_f16 v19, v19, v20, v21
	v_lshl_add_u64 v[20:21], v[28:29], 1, v[16:17]
	global_store_short v[20:21], v19, off
	s_cbranch_vccnz .LBB208_112
; %bb.111:
	v_lshl_add_u64 v[18:19], v[32:33], 1, v[12:13]
	flat_load_ushort v18, v[18:19]
	s_waitcnt vmcnt(0) lgkmcnt(0)
	v_mul_f16_e32 v18, s13, v18
.LBB208_112:
	v_pk_add_f16 v19, v8, v14
	v_pk_max_f16 v20, v105, v105
	s_and_b64 vcc, exec, s[0:1]
	v_pk_min_f16 v19, v20, v19
	v_pk_add_f16 v20, v9, v15
	s_nop 0
	v_pk_min_f16 v19, v19, v20
	s_nop 0
	v_lshrrev_b32_e32 v20, 16, v19
	v_min3_f16 v20, v18, v19, v20
	v_lshl_add_u64 v[18:19], v[32:33], 1, v[16:17]
	global_store_short v[18:19], v20, off
	v_mov_b32_e32 v18, 0
	v_mov_b32_e32 v19, 0
	s_cbranch_vccnz .LBB208_114
; %bb.113:
	v_lshl_add_u64 v[20:21], v[34:35], 1, v[12:13]
	flat_load_ushort v19, v[20:21]
	s_waitcnt vmcnt(0) lgkmcnt(0)
	v_mul_f16_e32 v19, s13, v19
.LBB208_114:
	v_pk_add_f16 v20, v10, v14
	v_pk_max_f16 v21, v104, v104
	s_and_b64 vcc, exec, s[0:1]
	v_pk_min_f16 v20, v21, v20
	v_pk_add_f16 v21, v11, v15
	s_nop 0
	v_pk_min_f16 v20, v20, v21
	s_nop 0
	v_lshrrev_b32_e32 v21, 16, v20
	v_min3_f16 v19, v19, v20, v21
	v_lshl_add_u64 v[20:21], v[34:35], 1, v[16:17]
	global_store_short v[20:21], v19, off
	s_cbranch_vccnz .LBB208_116
; %bb.115:
	v_lshl_add_u64 v[18:19], v[36:37], 1, v[12:13]
	flat_load_ushort v18, v[18:19]
	s_waitcnt vmcnt(0) lgkmcnt(0)
	v_mul_f16_e32 v18, s13, v18
.LBB208_116:
	v_pk_add_f16 v19, v4, v14
	v_pk_max_f16 v20, v103, v103
	s_and_b64 vcc, exec, s[0:1]
	v_pk_min_f16 v19, v20, v19
	v_pk_add_f16 v20, v5, v15
	s_nop 0
	v_pk_min_f16 v19, v19, v20
	s_nop 0
	v_lshrrev_b32_e32 v20, 16, v19
	v_min3_f16 v20, v18, v19, v20
	v_lshl_add_u64 v[18:19], v[36:37], 1, v[16:17]
	global_store_short v[18:19], v20, off
	v_mov_b32_e32 v18, 0
	v_mov_b32_e32 v19, 0
	s_cbranch_vccnz .LBB208_118
; %bb.117:
	v_lshl_add_u64 v[20:21], v[44:45], 1, v[12:13]
	flat_load_ushort v19, v[20:21]
	s_waitcnt vmcnt(0) lgkmcnt(0)
	v_mul_f16_e32 v19, s13, v19
.LBB208_118:
	v_pk_add_f16 v20, v6, v14
	v_pk_max_f16 v21, v102, v102
	s_and_b64 vcc, exec, s[0:1]
	v_pk_min_f16 v20, v21, v20
	v_pk_add_f16 v21, v7, v15
	s_nop 0
	v_pk_min_f16 v20, v20, v21
	s_nop 0
	;; [unrolled: 40-line block ×3, first 2 shown]
	v_lshrrev_b32_e32 v21, 16, v20
	v_min3_f16 v19, v19, v20, v21
	v_lshl_add_u64 v[20:21], v[40:41], 1, v[16:17]
	global_store_short v[20:21], v19, off
	s_cbranch_vccnz .LBB208_124
; %bb.123:
	v_lshl_add_u64 v[12:13], v[38:39], 1, v[12:13]
	flat_load_ushort v12, v[12:13]
	s_waitcnt vmcnt(0) lgkmcnt(0)
	v_mul_f16_e32 v18, s13, v12
.LBB208_124:
	v_pk_add_f16 v12, v24, v14
	v_pk_max_f16 v13, v99, v99
	s_and_b64 vcc, exec, s[0:1]
	v_pk_min_f16 v12, v13, v12
	v_pk_add_f16 v13, v25, v15
	s_nop 0
	v_pk_min_f16 v12, v12, v13
	s_nop 0
	v_lshrrev_b32_e32 v13, 16, v12
	v_min3_f16 v14, v18, v12, v13
	v_lshl_add_u64 v[12:13], v[38:39], 1, v[16:17]
	global_store_short v[12:13], v14, off
	v_add_u32_e32 v14, 56, v115
	v_mad_i64_i32 v[12:13], s[8:9], v14, s12, 0
	v_lshl_add_u64 v[12:13], v[12:13], 1, s[6:7]
	v_mov_b32_e32 v16, 0
	v_mov_b32_e32 v17, 0
	s_cbranch_vccnz .LBB208_126
; %bb.125:
	v_lshl_add_u64 v[18:19], v[28:29], 1, v[12:13]
	flat_load_ushort v15, v[18:19]
	s_waitcnt vmcnt(0) lgkmcnt(0)
	v_mul_f16_e32 v17, s13, v15
.LBB208_126:
	v_pk_add_f16 v15, v30, v26
	v_pk_max_f16 v18, v108, v108
	s_and_b64 vcc, exec, s[0:1]
	v_pk_min_f16 v15, v18, v15
	v_pk_add_f16 v18, v31, v27
	s_nop 0
	v_pk_min_f16 v18, v15, v18
	v_mad_i64_i32 v[14:15], s[6:7], v14, s10, 0
	v_lshl_add_u64 v[14:15], v[14:15], 1, s[2:3]
	v_lshrrev_b32_e32 v19, 16, v18
	v_min3_f16 v17, v17, v18, v19
	v_lshl_add_u64 v[18:19], v[28:29], 1, v[14:15]
	global_store_short v[18:19], v17, off
	s_cbranch_vccnz .LBB208_128
; %bb.127:
	v_lshl_add_u64 v[16:17], v[32:33], 1, v[12:13]
	flat_load_ushort v16, v[16:17]
	s_waitcnt vmcnt(0) lgkmcnt(0)
	v_mul_f16_e32 v16, s13, v16
.LBB208_128:
	v_pk_add_f16 v8, v8, v26
	v_pk_max_f16 v17, v107, v107
	v_pk_add_f16 v9, v9, v27
	v_pk_min_f16 v8, v17, v8
	s_and_b64 vcc, exec, s[0:1]
	v_pk_min_f16 v8, v8, v9
	s_nop 0
	v_lshrrev_b32_e32 v9, 16, v8
	v_min3_f16 v16, v16, v8, v9
	v_lshl_add_u64 v[8:9], v[32:33], 1, v[14:15]
	global_store_short v[8:9], v16, off
	v_mov_b32_e32 v8, 0
	v_mov_b32_e32 v9, 0
	s_cbranch_vccnz .LBB208_130
; %bb.129:
	v_lshl_add_u64 v[16:17], v[34:35], 1, v[12:13]
	flat_load_ushort v9, v[16:17]
	s_waitcnt vmcnt(0) lgkmcnt(0)
	v_mul_f16_e32 v9, s13, v9
.LBB208_130:
	v_pk_add_f16 v10, v10, v26
	v_pk_max_f16 v16, v109, v109
	v_pk_add_f16 v11, v11, v27
	v_pk_min_f16 v10, v16, v10
	s_and_b64 vcc, exec, s[0:1]
	v_pk_min_f16 v10, v10, v11
	s_nop 0
	v_lshrrev_b32_e32 v11, 16, v10
	v_min3_f16 v9, v9, v10, v11
	v_lshl_add_u64 v[10:11], v[34:35], 1, v[14:15]
	global_store_short v[10:11], v9, off
	s_cbranch_vccnz .LBB208_132
; %bb.131:
	v_lshl_add_u64 v[8:9], v[36:37], 1, v[12:13]
	flat_load_ushort v8, v[8:9]
	s_waitcnt vmcnt(0) lgkmcnt(0)
	v_mul_f16_e32 v8, s13, v8
.LBB208_132:
	v_pk_add_f16 v4, v4, v26
	v_pk_max_f16 v9, v110, v110
	v_pk_add_f16 v5, v5, v27
	v_pk_min_f16 v4, v9, v4
	s_and_b64 vcc, exec, s[0:1]
	v_pk_min_f16 v4, v4, v5
	s_nop 0
	v_lshrrev_b32_e32 v5, 16, v4
	v_min3_f16 v8, v8, v4, v5
	v_lshl_add_u64 v[4:5], v[36:37], 1, v[14:15]
	global_store_short v[4:5], v8, off
	v_mov_b32_e32 v4, 0
	v_mov_b32_e32 v5, 0
	s_cbranch_vccnz .LBB208_134
; %bb.133:
	v_lshl_add_u64 v[8:9], v[44:45], 1, v[12:13]
	flat_load_ushort v5, v[8:9]
	s_waitcnt vmcnt(0) lgkmcnt(0)
	v_mul_f16_e32 v5, s13, v5
.LBB208_134:
	v_pk_add_f16 v6, v6, v26
	v_pk_max_f16 v8, v111, v111
	v_pk_add_f16 v7, v7, v27
	v_pk_min_f16 v6, v8, v6
	s_and_b64 vcc, exec, s[0:1]
	v_pk_min_f16 v6, v6, v7
	s_nop 0
	v_lshrrev_b32_e32 v7, 16, v6
	v_min3_f16 v5, v5, v6, v7
	v_lshl_add_u64 v[6:7], v[44:45], 1, v[14:15]
	global_store_short v[6:7], v5, off
	s_cbranch_vccnz .LBB208_136
; %bb.135:
	v_lshl_add_u64 v[4:5], v[42:43], 1, v[12:13]
	flat_load_ushort v4, v[4:5]
	s_waitcnt vmcnt(0) lgkmcnt(0)
	v_mul_f16_e32 v4, s13, v4
.LBB208_136:
	v_pk_add_f16 v0, v0, v26
	v_pk_max_f16 v5, v112, v112
	v_pk_add_f16 v2, v2, v26
	v_pk_min_f16 v0, v5, v0
	v_pk_max_f16 v5, v113, v113
	v_pk_add_f16 v1, v1, v27
	v_pk_min_f16 v2, v5, v2
	v_pk_min_f16 v0, v0, v1
	v_pk_add_f16 v1, v3, v27
	s_mov_b64 vcc, s[4:5]
	v_pk_min_f16 v2, v2, v1
	v_lshrrev_b32_e32 v1, 16, v0
	v_min3_f16 v3, v4, v0, v1
	v_lshl_add_u64 v[0:1], v[42:43], 1, v[14:15]
	global_store_short v[0:1], v3, off
	v_min_f16_sdwa v0, v2, v2 dst_sel:DWORD dst_unused:UNUSED_PAD src0_sel:DWORD src1_sel:WORD_1
	v_max_f16_e32 v0, v0, v0
	s_cbranch_vccz .LBB208_139
; %bb.137:
	v_min_f16_e32 v1, 0, v0
	v_lshl_add_u64 v[2:3], v[40:41], 1, v[14:15]
	s_mov_b32 s2, 0
	global_store_short v[2:3], v1, off
	s_cbranch_execz .LBB208_140
; %bb.138:
	v_mov_b32_e32 v0, s2
	s_branch .LBB208_141
.LBB208_139:
                                        ; implicit-def: $sgpr2
.LBB208_140:
	v_lshlrev_b64 v[2:3], 1, v[40:41]
	v_lshl_add_u64 v[4:5], v[12:13], 0, v[2:3]
	flat_load_ushort v1, v[4:5]
	v_lshl_add_u64 v[2:3], v[14:15], 0, v[2:3]
	s_waitcnt vmcnt(0) lgkmcnt(0)
	v_mul_f16_e32 v1, s13, v1
	v_min_f16_e32 v0, v1, v0
	global_store_short v[2:3], v0, off
	v_lshl_add_u64 v[0:1], v[38:39], 1, v[12:13]
	flat_load_ushort v0, v[0:1]
	s_waitcnt vmcnt(0) lgkmcnt(0)
	v_mul_f16_e32 v0, s13, v0
.LBB208_141:
	v_pk_add_f16 v1, v24, v26
	v_pk_max_f16 v2, v114, v114
	s_nop 0
	v_pk_min_f16 v1, v2, v1
	v_pk_add_f16 v2, v25, v27
	s_nop 0
	v_pk_min_f16 v1, v1, v2
	s_nop 0
	v_lshrrev_b32_e32 v2, 16, v1
	v_min3_f16 v2, v0, v1, v2
	v_lshl_add_u64 v[0:1], v[38:39], 1, v[14:15]
	global_store_short v[0:1], v2, off
	s_endpgm
	.section	.rodata,"a",@progbits
	.p2align	6, 0x0
	.amdhsa_kernel _ZN12_GLOBAL__N_120geam_min_plus_kernelIDF16_Dv2_DF16_S1_Li32ELi8ELi256ELi64ELi4ELi64ELi4ELi4ELi64ELc78ELc78ELb1ELb0ELb1EDF16_KPKDF16_KPDF16_EEviiiT16_PT17_ilS9_ilS7_S9_ilPT18_ili26rocblas_geam_ex_operation_
		.amdhsa_group_segment_fixed_size 5120
		.amdhsa_private_segment_fixed_size 0
		.amdhsa_kernarg_size 128
		.amdhsa_user_sgpr_count 2
		.amdhsa_user_sgpr_dispatch_ptr 0
		.amdhsa_user_sgpr_queue_ptr 0
		.amdhsa_user_sgpr_kernarg_segment_ptr 1
		.amdhsa_user_sgpr_dispatch_id 0
		.amdhsa_user_sgpr_kernarg_preload_length 0
		.amdhsa_user_sgpr_kernarg_preload_offset 0
		.amdhsa_user_sgpr_private_segment_size 0
		.amdhsa_uses_dynamic_stack 0
		.amdhsa_enable_private_segment 0
		.amdhsa_system_sgpr_workgroup_id_x 1
		.amdhsa_system_sgpr_workgroup_id_y 0
		.amdhsa_system_sgpr_workgroup_id_z 1
		.amdhsa_system_sgpr_workgroup_info 0
		.amdhsa_system_vgpr_workitem_id 1
		.amdhsa_next_free_vgpr 122
		.amdhsa_next_free_sgpr 22
		.amdhsa_accum_offset 124
		.amdhsa_reserve_vcc 1
		.amdhsa_float_round_mode_32 0
		.amdhsa_float_round_mode_16_64 0
		.amdhsa_float_denorm_mode_32 3
		.amdhsa_float_denorm_mode_16_64 3
		.amdhsa_dx10_clamp 1
		.amdhsa_ieee_mode 1
		.amdhsa_fp16_overflow 0
		.amdhsa_tg_split 0
		.amdhsa_exception_fp_ieee_invalid_op 0
		.amdhsa_exception_fp_denorm_src 0
		.amdhsa_exception_fp_ieee_div_zero 0
		.amdhsa_exception_fp_ieee_overflow 0
		.amdhsa_exception_fp_ieee_underflow 0
		.amdhsa_exception_fp_ieee_inexact 0
		.amdhsa_exception_int_div_zero 0
	.end_amdhsa_kernel
	.section	.text._ZN12_GLOBAL__N_120geam_min_plus_kernelIDF16_Dv2_DF16_S1_Li32ELi8ELi256ELi64ELi4ELi64ELi4ELi4ELi64ELc78ELc78ELb1ELb0ELb1EDF16_KPKDF16_KPDF16_EEviiiT16_PT17_ilS9_ilS7_S9_ilPT18_ili26rocblas_geam_ex_operation_,"axG",@progbits,_ZN12_GLOBAL__N_120geam_min_plus_kernelIDF16_Dv2_DF16_S1_Li32ELi8ELi256ELi64ELi4ELi64ELi4ELi4ELi64ELc78ELc78ELb1ELb0ELb1EDF16_KPKDF16_KPDF16_EEviiiT16_PT17_ilS9_ilS7_S9_ilPT18_ili26rocblas_geam_ex_operation_,comdat
.Lfunc_end208:
	.size	_ZN12_GLOBAL__N_120geam_min_plus_kernelIDF16_Dv2_DF16_S1_Li32ELi8ELi256ELi64ELi4ELi64ELi4ELi4ELi64ELc78ELc78ELb1ELb0ELb1EDF16_KPKDF16_KPDF16_EEviiiT16_PT17_ilS9_ilS7_S9_ilPT18_ili26rocblas_geam_ex_operation_, .Lfunc_end208-_ZN12_GLOBAL__N_120geam_min_plus_kernelIDF16_Dv2_DF16_S1_Li32ELi8ELi256ELi64ELi4ELi64ELi4ELi4ELi64ELc78ELc78ELb1ELb0ELb1EDF16_KPKDF16_KPDF16_EEviiiT16_PT17_ilS9_ilS7_S9_ilPT18_ili26rocblas_geam_ex_operation_
                                        ; -- End function
	.section	.AMDGPU.csdata,"",@progbits
; Kernel info:
; codeLenInByte = 16704
; NumSgprs: 28
; NumVgprs: 122
; NumAgprs: 0
; TotalNumVgprs: 122
; ScratchSize: 0
; MemoryBound: 0
; FloatMode: 240
; IeeeMode: 1
; LDSByteSize: 5120 bytes/workgroup (compile time only)
; SGPRBlocks: 3
; VGPRBlocks: 15
; NumSGPRsForWavesPerEU: 28
; NumVGPRsForWavesPerEU: 122
; AccumOffset: 124
; Occupancy: 4
; WaveLimiterHint : 1
; COMPUTE_PGM_RSRC2:SCRATCH_EN: 0
; COMPUTE_PGM_RSRC2:USER_SGPR: 2
; COMPUTE_PGM_RSRC2:TRAP_HANDLER: 0
; COMPUTE_PGM_RSRC2:TGID_X_EN: 1
; COMPUTE_PGM_RSRC2:TGID_Y_EN: 0
; COMPUTE_PGM_RSRC2:TGID_Z_EN: 1
; COMPUTE_PGM_RSRC2:TIDIG_COMP_CNT: 1
; COMPUTE_PGM_RSRC3_GFX90A:ACCUM_OFFSET: 30
; COMPUTE_PGM_RSRC3_GFX90A:TG_SPLIT: 0
	.section	.text._ZN12_GLOBAL__N_120geam_min_plus_kernelIDF16_Dv2_DF16_S1_Li32ELi8ELi256ELi64ELi4ELi64ELi4ELi4ELi64ELc78ELc78ELb0ELb0ELb1EDF16_KPKDF16_KPDF16_EEviiiT16_PT17_ilS9_ilS7_S9_ilPT18_ili26rocblas_geam_ex_operation_,"axG",@progbits,_ZN12_GLOBAL__N_120geam_min_plus_kernelIDF16_Dv2_DF16_S1_Li32ELi8ELi256ELi64ELi4ELi64ELi4ELi4ELi64ELc78ELc78ELb0ELb0ELb1EDF16_KPKDF16_KPDF16_EEviiiT16_PT17_ilS9_ilS7_S9_ilPT18_ili26rocblas_geam_ex_operation_,comdat
	.globl	_ZN12_GLOBAL__N_120geam_min_plus_kernelIDF16_Dv2_DF16_S1_Li32ELi8ELi256ELi64ELi4ELi64ELi4ELi4ELi64ELc78ELc78ELb0ELb0ELb1EDF16_KPKDF16_KPDF16_EEviiiT16_PT17_ilS9_ilS7_S9_ilPT18_ili26rocblas_geam_ex_operation_ ; -- Begin function _ZN12_GLOBAL__N_120geam_min_plus_kernelIDF16_Dv2_DF16_S1_Li32ELi8ELi256ELi64ELi4ELi64ELi4ELi4ELi64ELc78ELc78ELb0ELb0ELb1EDF16_KPKDF16_KPDF16_EEviiiT16_PT17_ilS9_ilS7_S9_ilPT18_ili26rocblas_geam_ex_operation_
	.p2align	8
	.type	_ZN12_GLOBAL__N_120geam_min_plus_kernelIDF16_Dv2_DF16_S1_Li32ELi8ELi256ELi64ELi4ELi64ELi4ELi4ELi64ELc78ELc78ELb0ELb0ELb1EDF16_KPKDF16_KPDF16_EEviiiT16_PT17_ilS9_ilS7_S9_ilPT18_ili26rocblas_geam_ex_operation_,@function
_ZN12_GLOBAL__N_120geam_min_plus_kernelIDF16_Dv2_DF16_S1_Li32ELi8ELi256ELi64ELi4ELi64ELi4ELi4ELi64ELc78ELc78ELb0ELb0ELb1EDF16_KPKDF16_KPDF16_EEviiiT16_PT17_ilS9_ilS7_S9_ilPT18_ili26rocblas_geam_ex_operation_: ; @_ZN12_GLOBAL__N_120geam_min_plus_kernelIDF16_Dv2_DF16_S1_Li32ELi8ELi256ELi64ELi4ELi64ELi4ELi4ELi64ELc78ELc78ELb0ELb0ELb1EDF16_KPKDF16_KPDF16_EEviiiT16_PT17_ilS9_ilS7_S9_ilPT18_ili26rocblas_geam_ex_operation_
; %bb.0:
	s_load_dwordx2 s[12:13], s[0:1], 0x8
	s_load_dwordx4 s[4:7], s[0:1], 0x20
	s_mov_b32 s14, s3
	s_mov_b32 s15, 0
	s_waitcnt lgkmcnt(0)
	v_cmp_eq_f16_e64 s[8:9], s13, 0
	s_and_b64 vcc, exec, s[8:9]
	s_cbranch_vccnz .LBB209_3
; %bb.1:
	s_load_dwordx2 s[10:11], s[0:1], 0x10
	s_lshl_b64 s[16:17], s[14:15], 3
	s_waitcnt lgkmcnt(0)
	s_add_u32 s10, s10, s16
	s_addc_u32 s11, s11, s17
	s_load_dwordx2 s[10:11], s[10:11], 0x0
	s_lshl_b64 s[4:5], s[4:5], 1
	s_waitcnt lgkmcnt(0)
	s_add_u32 s16, s10, s4
	s_addc_u32 s17, s11, s5
	s_andn2_b64 vcc, exec, s[8:9]
	s_cbranch_vccnz .LBB209_4
.LBB209_2:
	s_mov_b64 s[18:19], 0
	s_cbranch_execz .LBB209_5
	s_branch .LBB209_6
.LBB209_3:
	s_mov_b64 s[16:17], 0
	s_andn2_b64 vcc, exec, s[8:9]
	s_cbranch_vccz .LBB209_2
.LBB209_4:
                                        ; implicit-def: $sgpr18_sgpr19
.LBB209_5:
	s_lshl_b64 s[8:9], s[14:15], 3
	s_add_u32 s6, s6, s8
	s_load_dwordx2 s[4:5], s[0:1], 0x38
	s_addc_u32 s7, s7, s9
	s_load_dwordx2 s[6:7], s[6:7], 0x0
	s_waitcnt lgkmcnt(0)
	s_lshl_b64 s[4:5], s[4:5], 1
	s_add_u32 s18, s6, s4
	s_addc_u32 s19, s7, s5
.LBB209_6:
	s_load_dword s24, s[0:1], 0x40
	s_load_dwordx4 s[4:7], s[0:1], 0x58
	v_cmp_neq_f16_e64 s[20:21], s13, 0
	s_waitcnt lgkmcnt(0)
	v_cmp_eq_f16_e64 s[8:9], s24, 0
	s_and_b64 s[8:9], exec, s[8:9]
	s_mov_b64 vcc, s[8:9]
	s_cbranch_vccnz .LBB209_8
; %bb.7:
	s_load_dwordx2 s[10:11], s[0:1], 0x48
	s_lshl_b64 s[22:23], s[14:15], 3
	s_waitcnt lgkmcnt(0)
	s_add_u32 s10, s10, s22
	s_addc_u32 s11, s11, s23
	s_load_dwordx2 s[10:11], s[10:11], 0x0
	s_lshl_b64 s[4:5], s[4:5], 1
	s_waitcnt lgkmcnt(0)
	s_add_u32 s10, s10, s4
	s_addc_u32 s11, s11, s5
	s_branch .LBB209_9
.LBB209_8:
	s_mov_b64 s[10:11], 0
.LBB209_9:
	s_load_dword s22, s[0:1], 0x18
	s_load_dword s3, s[0:1], 0x0
	s_lshl_b64 s[4:5], s[14:15], 3
	v_and_b32_e32 v42, 0x3ff, v0
	v_bfe_u32 v43, v0, 10, 10
	s_waitcnt lgkmcnt(0)
	s_ashr_i32 s23, s22, 31
	s_add_u32 s6, s6, s4
	s_addc_u32 s7, s7, s5
	s_add_i32 s3, s3, -1
	s_ashr_i32 s4, s3, 31
	s_lshr_b32 s4, s4, 24
	s_add_i32 s3, s3, s4
	s_ashr_i32 s3, s3, 8
	s_add_i32 s15, s3, 1
	v_cvt_f32_u32_e32 v1, s15
	v_lshl_add_u32 v8, v43, 5, v42
	v_lshrrev_b32_e32 v38, 6, v8
	v_mad_i64_i32 v[2:3], s[4:5], s22, v38, 0
	v_rcp_iflag_f32_e32 v0, v1
	s_not_b32 s3, s3
	v_and_b32_e32 v36, 63, v8
	v_cndmask_b32_e64 v1, 0, 1, s[20:21]
	v_mul_f32_e32 v0, 0x4f7ffffe, v0
	v_cvt_u32_f32_e32 v0, v0
	v_lshl_add_u64 v[2:3], v[2:3], 1, s[16:17]
	v_readfirstlane_b32 s4, v0
	s_mul_i32 s3, s3, s4
	s_mul_hi_u32 s3, s4, s3
	s_add_i32 s4, s4, s3
	s_mul_hi_u32 s3, s2, s4
	s_mul_i32 s4, s3, s15
	s_sub_i32 s4, s2, s4
	s_add_i32 s5, s3, 1
	s_sub_i32 s14, s4, s15
	s_cmp_ge_u32 s4, s15
	s_cselect_b32 s3, s5, s3
	s_cselect_b32 s4, s14, s4
	s_add_i32 s5, s3, 1
	s_cmp_ge_u32 s4, s15
	s_cselect_b32 s14, s5, s3
	s_mul_i32 s3, s14, s15
	s_sub_i32 s4, s2, s3
	s_lshl_b32 s25, s4, 8
	v_or_b32_e32 v0, s25, v36
	v_cmp_ne_u32_e64 s[4:5], 1, v1
	s_andn2_b64 vcc, exec, s[20:21]
	v_ashrrev_i32_e32 v1, 31, v0
	s_cbranch_vccnz .LBB209_12
; %bb.10:
	v_lshl_add_u64 v[4:5], v[0:1], 1, v[2:3]
	flat_load_ushort v6, v[4:5]
	flat_load_ushort v7, v[4:5] offset:128
	s_waitcnt vmcnt(0) lgkmcnt(0)
	v_mul_f16_e32 v4, s13, v6
	v_mul_f16_e32 v5, s13, v7
	s_and_b64 vcc, exec, s[4:5]
	s_cbranch_vccnz .LBB209_13
.LBB209_11:
	v_lshl_add_u64 v[2:3], v[0:1], 1, v[2:3]
	flat_load_ushort v6, v[2:3] offset:256
	flat_load_ushort v7, v[2:3] offset:384
	s_waitcnt vmcnt(0) lgkmcnt(0)
	v_mul_f16_e32 v6, s13, v6
	v_mul_f16_e32 v7, s13, v7
	s_branch .LBB209_14
.LBB209_12:
	v_mov_b32_e32 v4, 0
	v_mov_b32_e32 v5, 0
	s_and_b64 vcc, exec, s[4:5]
	s_cbranch_vccz .LBB209_11
.LBB209_13:
	v_mov_b32_e32 v6, 0
	v_mov_b32_e32 v7, 0
.LBB209_14:
	s_load_dword s27, s[0:1], 0x30
	v_and_b32_e32 v2, 3, v42
	v_lshrrev_b32_e32 v8, 2, v8
	s_lshl_b32 s26, s14, 6
	s_and_b64 vcc, exec, s[4:5]
	v_add_u32_e32 v34, s26, v8
	v_lshlrev_b32_e32 v32, 1, v2
	s_cbranch_vccnz .LBB209_16
; %bb.15:
	s_waitcnt lgkmcnt(0)
	v_mad_i64_i32 v[2:3], s[14:15], v34, s27, 0
	v_lshl_add_u64 v[2:3], v[2:3], 1, s[18:19]
	v_mov_b32_e32 v33, 0
	v_lshl_add_u64 v[2:3], v[2:3], 0, v[32:33]
	flat_load_ushort v2, v[2:3]
	s_waitcnt vmcnt(0) lgkmcnt(0)
	v_mul_f16_e32 v9, s13, v2
	s_branch .LBB209_17
.LBB209_16:
	v_mov_b32_e32 v9, 0
.LBB209_17:
	v_add_u32_e32 v2, 4, v38
	v_mad_i64_i32 v[2:3], s[14:15], s22, v2, 0
	s_and_b64 vcc, exec, s[4:5]
	v_lshl_add_u64 v[2:3], v[2:3], 1, s[16:17]
	s_cbranch_vccnz .LBB209_21
; %bb.18:
	v_lshl_add_u64 v[10:11], v[0:1], 1, v[2:3]
	flat_load_ushort v12, v[10:11]
	flat_load_ushort v13, v[10:11] offset:128
	s_waitcnt vmcnt(0) lgkmcnt(0)
	v_mul_f16_e32 v35, s13, v12
	v_mul_f16_e32 v37, s13, v13
	s_and_b64 vcc, exec, s[4:5]
	s_cbranch_vccnz .LBB209_22
.LBB209_19:
	v_lshl_add_u64 v[0:1], v[0:1], 1, v[2:3]
	flat_load_ushort v2, v[0:1] offset:256
	flat_load_ushort v3, v[0:1] offset:384
	s_waitcnt vmcnt(0) lgkmcnt(0)
	v_mul_f16_e32 v39, s13, v2
	v_mul_f16_e32 v40, s13, v3
	s_and_b64 vcc, exec, s[4:5]
	s_cbranch_vccnz .LBB209_23
.LBB209_20:
	s_waitcnt lgkmcnt(0)
	v_mad_i64_i32 v[0:1], s[14:15], v34, s27, 0
	v_lshl_add_u64 v[0:1], v[0:1], 1, s[18:19]
	v_mov_b32_e32 v33, 0
	v_lshl_add_u64 v[0:1], v[0:1], 0, v[32:33]
	flat_load_ushort v0, v[0:1] offset:8
	s_waitcnt vmcnt(0) lgkmcnt(0)
	v_mul_f16_e32 v41, s13, v0
	s_branch .LBB209_24
.LBB209_21:
	v_mov_b32_e32 v35, 0
	v_mov_b32_e32 v37, 0
	s_and_b64 vcc, exec, s[4:5]
	s_cbranch_vccz .LBB209_19
.LBB209_22:
	v_mov_b32_e32 v39, 0
	v_mov_b32_e32 v40, 0
	s_and_b64 vcc, exec, s[4:5]
	s_cbranch_vccz .LBB209_20
.LBB209_23:
	v_mov_b32_e32 v41, 0
.LBB209_24:
	v_lshlrev_b32_e32 v0, 1, v38
	v_lshl_add_u32 v46, v36, 3, v0
	v_lshl_or_b32 v33, v8, 3, v32
	v_lshlrev_b32_e32 v44, 3, v42
	s_load_dwordx2 s[14:15], s[6:7], 0x0
	ds_write_b16 v46, v4
	ds_write_b16 v46, v5 offset:512
	ds_write_b16 v46, v6 offset:1024
	;; [unrolled: 1-line block ×4, first 2 shown]
	s_waitcnt lgkmcnt(0)
	s_barrier
	ds_read2_b64 v[16:19], v44 offset1:32
	ds_read2_b64 v[12:15], v44 offset0:64 offset1:96
	ds_read2_b64 v[4:7], v44 offset0:128 offset1:160
	v_lshlrev_b32_e32 v45, 3, v43
	v_add_u32_e32 v47, 0x1000, v45
	ds_read2_b64 v[28:31], v47 offset1:8
	ds_read2_b64 v[0:3], v44 offset0:192 offset1:224
	ds_read2_b64 v[24:27], v47 offset0:16 offset1:24
	;; [unrolled: 1-line block ×4, first 2 shown]
	s_movk_i32 s6, 0x7c00
	s_waitcnt lgkmcnt(4)
	v_pk_add_f16 v50, v12, v28
	v_pk_add_f16 v48, v16, v28
	v_pk_min_f16 v51, v50, s6 op_sel_hi:[1,0]
	v_pk_add_f16 v50, v14, v28
	v_pk_add_f16 v49, v18, v28
	v_pk_min_f16 v52, v50, s6 op_sel_hi:[1,0]
	v_pk_add_f16 v50, v4, v28
	v_pk_min_f16 v48, v48, s6 op_sel_hi:[1,0]
	v_pk_min_f16 v53, v50, s6 op_sel_hi:[1,0]
	v_pk_add_f16 v50, v6, v28
	v_pk_min_f16 v49, v49, s6 op_sel_hi:[1,0]
	v_pk_min_f16 v54, v50, s6 op_sel_hi:[1,0]
	s_waitcnt lgkmcnt(3)
	v_pk_add_f16 v50, v0, v28
	v_pk_add_f16 v28, v2, v28
	v_pk_min_f16 v55, v50, s6 op_sel_hi:[1,0]
	v_pk_add_f16 v50, v16, v30
	v_pk_min_f16 v28, v28, s6 op_sel_hi:[1,0]
	v_pk_min_f16 v56, v50, s6 op_sel_hi:[1,0]
	v_pk_add_f16 v50, v18, v30
	s_cmp_lt_i32 s12, 9
	v_pk_min_f16 v57, v50, s6 op_sel_hi:[1,0]
	v_pk_add_f16 v50, v12, v30
	ds_write_b16 v46, v35 offset:2048
	ds_write_b16 v46, v37 offset:2560
	;; [unrolled: 1-line block ×5, first 2 shown]
	v_pk_min_f16 v58, v50, s6 op_sel_hi:[1,0]
	v_pk_add_f16 v50, v14, v30
	s_waitcnt lgkmcnt(0)
	v_pk_min_f16 v59, v50, s6 op_sel_hi:[1,0]
	v_pk_add_f16 v50, v4, v30
	s_barrier
	v_pk_min_f16 v60, v50, s6 op_sel_hi:[1,0]
	v_pk_add_f16 v50, v6, v30
	s_nop 0
	v_pk_min_f16 v61, v50, s6 op_sel_hi:[1,0]
	v_pk_add_f16 v50, v0, v30
	v_pk_add_f16 v30, v2, v30
	v_pk_min_f16 v62, v50, s6 op_sel_hi:[1,0]
	v_pk_add_f16 v50, v16, v24
	v_pk_min_f16 v30, v30, s6 op_sel_hi:[1,0]
	v_pk_min_f16 v63, v50, s6 op_sel_hi:[1,0]
	v_pk_add_f16 v50, v18, v24
	s_nop 0
	v_pk_min_f16 v64, v50, s6 op_sel_hi:[1,0]
	v_pk_add_f16 v50, v12, v24
	s_nop 0
	v_pk_min_f16 v65, v50, s6 op_sel_hi:[1,0]
	v_pk_add_f16 v50, v14, v24
	s_nop 0
	v_pk_min_f16 v66, v50, s6 op_sel_hi:[1,0]
	v_pk_add_f16 v50, v4, v24
	s_nop 0
	v_pk_min_f16 v67, v50, s6 op_sel_hi:[1,0]
	v_pk_add_f16 v50, v6, v24
	s_nop 0
	v_pk_min_f16 v68, v50, s6 op_sel_hi:[1,0]
	v_pk_add_f16 v50, v0, v24
	v_pk_add_f16 v24, v2, v24
	v_pk_min_f16 v69, v50, s6 op_sel_hi:[1,0]
	v_pk_add_f16 v50, v16, v26
	v_pk_min_f16 v24, v24, s6 op_sel_hi:[1,0]
	v_pk_min_f16 v70, v50, s6 op_sel_hi:[1,0]
	v_pk_add_f16 v50, v18, v26
	s_nop 0
	v_pk_min_f16 v71, v50, s6 op_sel_hi:[1,0]
	v_pk_add_f16 v50, v12, v26
	s_nop 0
	v_pk_min_f16 v72, v50, s6 op_sel_hi:[1,0]
	v_pk_add_f16 v50, v14, v26
	s_nop 0
	v_pk_min_f16 v73, v50, s6 op_sel_hi:[1,0]
	v_pk_add_f16 v50, v4, v26
	s_nop 0
	;; [unrolled: 21-line block ×4, first 2 shown]
	v_pk_min_f16 v122, v50, s6 op_sel_hi:[1,0]
	v_pk_add_f16 v50, v6, v22
	s_nop 0
	v_pk_min_f16 v123, v50, s6 op_sel_hi:[1,0]
	v_pk_add_f16 v50, v0, v22
	v_pk_add_f16 v22, v2, v22
	v_pk_min_f16 v124, v50, s6 op_sel_hi:[1,0]
	v_pk_add_f16 v50, v16, v8
	v_pk_min_f16 v22, v22, s6 op_sel_hi:[1,0]
	v_pk_min_f16 v125, v50, s6 op_sel_hi:[1,0]
	v_pk_add_f16 v50, v18, v8
	s_nop 0
	v_pk_min_f16 v126, v50, s6 op_sel_hi:[1,0]
	v_pk_add_f16 v50, v12, v8
	s_nop 0
	;; [unrolled: 3-line block ×3, first 2 shown]
	v_pk_min_f16 v128, v50, s6 op_sel_hi:[1,0]
	v_pk_add_f16 v50, v4, v8
	v_pk_add_f16 v4, v4, v10
	v_pk_min_f16 v129, v50, s6 op_sel_hi:[1,0]
	v_pk_add_f16 v50, v6, v8
	s_nop 0
	v_pk_min_f16 v130, v50, s6 op_sel_hi:[1,0]
	v_pk_add_f16 v50, v0, v8
	v_pk_add_f16 v8, v2, v8
	;; [unrolled: 1-line block ×3, first 2 shown]
	v_pk_min_f16 v132, v8, s6 op_sel_hi:[1,0]
	v_pk_add_f16 v8, v16, v10
	v_pk_min_f16 v131, v50, s6 op_sel_hi:[1,0]
	v_pk_min_f16 v16, v8, s6 op_sel_hi:[1,0]
	v_pk_add_f16 v8, v18, v10
	s_nop 0
	v_pk_min_f16 v18, v8, s6 op_sel_hi:[1,0]
	v_pk_add_f16 v8, v12, v10
	s_nop 0
	;; [unrolled: 3-line block ×3, first 2 shown]
	v_pk_min_f16 v14, v8, s6 op_sel_hi:[1,0]
	v_pk_min_f16 v8, v4, s6 op_sel_hi:[1,0]
	v_pk_add_f16 v4, v6, v10
	s_nop 0
	v_pk_min_f16 v6, v4, s6 op_sel_hi:[1,0]
	v_pk_min_f16 v4, v0, s6 op_sel_hi:[1,0]
	v_pk_add_f16 v0, v2, v10
	v_pk_add_f16 v2, v17, v29
	v_pk_min_f16 v0, v0, s6 op_sel_hi:[1,0]
	v_pk_min_f16 v50, v48, v2
	v_pk_add_f16 v2, v19, v29
	s_nop 0
	v_pk_min_f16 v114, v49, v2
	v_pk_add_f16 v2, v13, v29
	s_nop 0
	;; [unrolled: 3-line block ×53, first 2 shown]
	v_pk_min_f16 v61, v130, v2
	v_pk_add_f16 v2, v1, v9
	v_pk_add_f16 v1, v1, v11
	v_pk_min_f16 v60, v131, v2
	v_pk_add_f16 v2, v3, v9
	v_pk_min_f16 v53, v4, v1
	v_pk_min_f16 v58, v132, v2
	v_pk_add_f16 v2, v17, v11
	v_pk_add_f16 v1, v3, v11
	v_pk_min_f16 v59, v16, v2
	v_pk_add_f16 v2, v19, v11
	v_pk_min_f16 v67, v0, v1
	v_pk_min_f16 v57, v18, v2
	v_pk_add_f16 v2, v13, v11
	s_nop 0
	v_pk_min_f16 v56, v12, v2
	v_pk_add_f16 v2, v15, v11
	s_nop 0
	v_pk_min_f16 v55, v14, v2
	v_pk_add_f16 v2, v5, v11
	s_nop 0
	v_pk_min_f16 v54, v8, v2
	v_pk_add_f16 v2, v7, v11
	s_nop 0
	v_pk_min_f16 v52, v6, v2
	s_cbranch_scc1 .LBB209_42
; %bb.25:
	v_mov_b32_e32 v0, 0x800
	v_lshl_add_u32 v115, v42, 3, v0
	v_mov_b32_e32 v0, 0x1200
	v_add_u32_e32 v48, 0x1000, v33
	v_add_u32_e32 v51, 0x1200, v33
	v_lshl_add_u32 v116, v43, 3, v0
	v_mad_i64_i32 v[0:1], s[6:7], s27, v34, 0
	v_mov_b32_e32 v33, 0
	v_lshl_add_u64 v[0:1], v[0:1], 1, v[32:33]
	v_lshl_add_u64 v[0:1], v[0:1], 0, s[18:19]
	;; [unrolled: 1-line block ×3, first 2 shown]
	v_add_u32_e32 v0, 12, v38
	v_mad_i64_i32 v[0:1], s[6:7], v0, s22, 0
	v_lshlrev_b64 v[34:35], 1, v[0:1]
	v_lshl_or_b32 v0, s2, 8, v36
	s_lshl_b32 s2, s3, 8
	v_subrev_u32_e32 v0, s2, v0
	v_ashrrev_i32_e32 v1, 31, v0
	v_lshl_add_u64 v[36:37], v[0:1], 1, s[16:17]
	v_add_u32_e32 v0, 8, v38
	v_mad_i64_i32 v[0:1], s[6:7], v0, s22, 0
	v_add_u32_e32 v49, 0x800, v46
	s_add_i32 s12, s12, -8
	s_lshl_b64 s[2:3], s[22:23], 4
	v_lshlrev_b64 v[38:39], 1, v[0:1]
	s_mov_b32 s16, 0
	s_and_b64 s[6:7], exec, s[20:21]
	s_branch .LBB209_28
.LBB209_26:                             ;   in Loop: Header=BB209_28 Depth=1
	flat_load_ushort v0, v[32:33] offset:8
	s_waitcnt vmcnt(0) lgkmcnt(0)
	v_mul_f16_e32 v28, s13, v0
.LBB209_27:                             ;   in Loop: Header=BB209_28 Depth=1
	ds_read2_b64 v[8:11], v44 offset1:32
	ds_read2_b64 v[4:7], v44 offset0:64 offset1:96
	ds_read2_b64 v[0:3], v44 offset0:128 offset1:160
	ds_read2_b64 v[120:123], v47 offset1:8
	ds_read2_b64 v[12:15], v44 offset0:192 offset1:224
	ds_read2_b64 v[24:27], v47 offset0:16 offset1:24
	ds_read2_b64 v[20:23], v47 offset0:32 offset1:40
	ds_read2_b64 v[16:19], v47 offset0:48 offset1:56
	s_waitcnt lgkmcnt(4)
	v_pk_add_f16 v112, v8, v120
	v_pk_max_f16 v111, v111, v111
	v_pk_max_f16 v110, v110, v110
	v_pk_min_f16 v111, v111, v112
	v_pk_add_f16 v112, v10, v120
	v_pk_max_f16 v109, v109, v109
	v_pk_min_f16 v110, v110, v112
	v_pk_add_f16 v112, v4, v120
	;; [unrolled: 3-line block ×5, first 2 shown]
	v_pk_max_f16 v105, v105, v105
	v_pk_min_f16 v106, v106, v112
	s_waitcnt lgkmcnt(3)
	v_pk_add_f16 v112, v12, v120
	v_pk_max_f16 v104, v104, v104
	v_pk_min_f16 v105, v105, v112
	v_pk_add_f16 v112, v14, v120
	v_pk_max_f16 v103, v103, v103
	v_pk_min_f16 v104, v104, v112
	;; [unrolled: 3-line block ×10, first 2 shown]
	s_waitcnt lgkmcnt(2)
	v_pk_add_f16 v112, v8, v24
	v_pk_max_f16 v94, v94, v94
	v_pk_min_f16 v95, v95, v112
	v_pk_add_f16 v112, v10, v24
	v_pk_max_f16 v93, v93, v93
	v_pk_min_f16 v94, v94, v112
	;; [unrolled: 3-line block ×6, first 2 shown]
	v_pk_add_f16 v112, v12, v24
	v_pk_add_f16 v24, v14, v24
	v_pk_max_f16 v87, v87, v87
	v_pk_min_f16 v24, v88, v24
	v_pk_add_f16 v88, v8, v26
	v_pk_max_f16 v86, v86, v86
	v_pk_min_f16 v87, v87, v88
	;; [unrolled: 3-line block ×7, first 2 shown]
	v_pk_add_f16 v88, v12, v26
	v_pk_add_f16 v26, v14, v26
	v_pk_max_f16 v79, v79, v79
	v_pk_min_f16 v26, v80, v26
	s_waitcnt lgkmcnt(1)
	v_pk_add_f16 v80, v8, v20
	v_pk_max_f16 v78, v78, v78
	v_pk_min_f16 v79, v79, v80
	v_pk_add_f16 v80, v10, v20
	v_pk_max_f16 v77, v77, v77
	v_pk_min_f16 v78, v78, v80
	;; [unrolled: 3-line block ×6, first 2 shown]
	v_pk_add_f16 v80, v12, v20
	v_pk_add_f16 v20, v14, v20
	v_pk_max_f16 v71, v71, v71
	v_pk_min_f16 v20, v72, v20
	v_pk_add_f16 v72, v8, v22
	v_pk_max_f16 v70, v70, v70
	v_pk_min_f16 v71, v71, v72
	;; [unrolled: 3-line block ×7, first 2 shown]
	v_pk_add_f16 v72, v12, v22
	v_pk_add_f16 v22, v14, v22
	v_pk_max_f16 v63, v63, v63
	v_pk_min_f16 v22, v64, v22
	s_waitcnt lgkmcnt(0)
	v_pk_add_f16 v64, v8, v16
	v_pk_max_f16 v62, v62, v62
	v_pk_min_f16 v63, v63, v64
	v_pk_add_f16 v64, v10, v16
	v_pk_max_f16 v61, v61, v61
	v_pk_min_f16 v62, v62, v64
	;; [unrolled: 3-line block ×5, first 2 shown]
	v_pk_add_f16 v64, v2, v16
	v_pk_add_f16 v8, v8, v18
	v_pk_min_f16 v58, v58, v64
	v_pk_add_f16 v64, v12, v16
	v_pk_add_f16 v16, v14, v16
	;; [unrolled: 1-line block ×9, first 2 shown]
	v_pk_max_f16 v18, v31, v31
	v_pk_max_f16 v50, v50, v50
	v_pk_min_f16 v14, v18, v14
	v_pk_add_f16 v18, v9, v121
	v_pk_min_f16 v0, v50, v0
	v_pk_min_f16 v50, v111, v18
	v_pk_add_f16 v18, v11, v121
	v_pk_max_f16 v89, v89, v89
	v_pk_min_f16 v114, v110, v18
	v_pk_add_f16 v18, v5, v121
	v_pk_min_f16 v89, v89, v112
	v_pk_min_f16 v113, v109, v18
	v_pk_add_f16 v18, v7, v121
	;; [unrolled: 6-line block ×6, first 2 shown]
	v_pk_max_f16 v54, v54, v54
	v_pk_min_f16 v104, v100, v18
	v_pk_add_f16 v18, v1, v123
	v_pk_max_f16 v30, v30, v30
	v_pk_min_f16 v103, v99, v18
	v_pk_add_f16 v18, v3, v123
	;; [unrolled: 3-line block ×3, first 2 shown]
	v_pk_min_f16 v10, v54, v10
	v_pk_min_f16 v101, v97, v18
	v_pk_add_f16 v18, v15, v123
	v_pk_max_f16 v53, v53, v53
	v_pk_min_f16 v100, v96, v18
	v_pk_add_f16 v18, v9, v25
	v_pk_max_f16 v52, v52, v52
	v_pk_min_f16 v99, v95, v18
	v_pk_add_f16 v18, v11, v25
	v_pk_min_f16 v2, v30, v2
	v_pk_min_f16 v98, v94, v18
	v_pk_add_f16 v18, v5, v25
	v_pk_max_f16 v29, v29, v29
	v_pk_min_f16 v97, v93, v18
	v_pk_add_f16 v18, v7, v25
	v_pk_max_f16 v56, v56, v56
	v_pk_min_f16 v96, v92, v18
	v_pk_add_f16 v18, v1, v25
	v_pk_min_f16 v8, v55, v8
	v_pk_min_f16 v95, v91, v18
	v_pk_add_f16 v18, v3, v25
	v_pk_min_f16 v4, v53, v4
	;; [unrolled: 3-line block ×5, first 2 shown]
	v_pk_min_f16 v91, v87, v18
	v_pk_add_f16 v18, v11, v27
	s_add_i32 s16, s16, 8
	v_pk_min_f16 v90, v86, v18
	v_pk_add_f16 v18, v5, v27
	v_lshl_add_u64 v[32:33], v[32:33], 0, 16
	v_pk_min_f16 v89, v85, v18
	v_pk_add_f16 v18, v7, v27
	s_cmp_ge_i32 s16, s12
	v_pk_min_f16 v88, v84, v18
	v_pk_add_f16 v18, v1, v27
	v_lshl_add_u64 v[36:37], v[36:37], 0, s[2:3]
	v_pk_min_f16 v87, v83, v18
	v_pk_add_f16 v18, v3, v27
	ds_write_b16 v49, v117
	ds_write_b16 v49, v118 offset:512
	ds_write_b16 v49, v40 offset:1024
	;; [unrolled: 1-line block ×3, first 2 shown]
	ds_write_b16 v51, v28
	v_pk_min_f16 v86, v82, v18
	v_pk_add_f16 v18, v13, v27
	s_waitcnt lgkmcnt(0)
	v_pk_min_f16 v85, v81, v18
	v_pk_add_f16 v18, v15, v27
	s_barrier
	v_pk_min_f16 v83, v26, v18
	v_pk_add_f16 v18, v9, v21
	s_nop 0
	v_pk_min_f16 v84, v79, v18
	v_pk_add_f16 v18, v11, v21
	s_nop 0
	;; [unrolled: 3-line block ×16, first 2 shown]
	v_pk_min_f16 v68, v22, v18
	v_pk_add_f16 v18, v9, v17
	v_pk_add_f16 v9, v9, v19
	v_pk_min_f16 v66, v63, v18
	v_pk_add_f16 v18, v11, v17
	s_nop 0
	v_pk_min_f16 v65, v62, v18
	v_pk_add_f16 v18, v5, v17
	v_pk_add_f16 v5, v5, v19
	v_pk_min_f16 v64, v61, v18
	v_pk_add_f16 v18, v7, v17
	v_pk_min_f16 v56, v4, v5
	v_pk_min_f16 v63, v60, v18
	v_pk_add_f16 v18, v1, v17
	v_pk_add_f16 v1, v1, v19
	v_pk_min_f16 v62, v59, v18
	v_pk_min_f16 v54, v0, v1
	v_pk_add_f16 v0, v3, v19
	v_pk_add_f16 v18, v3, v17
	v_pk_min_f16 v52, v2, v0
	v_pk_add_f16 v0, v13, v19
	v_pk_min_f16 v61, v58, v18
	v_pk_add_f16 v18, v13, v17
	v_pk_add_f16 v17, v15, v17
	v_pk_min_f16 v59, v8, v9
	v_pk_add_f16 v8, v11, v19
	;; [unrolled: 3-line block ×3, first 2 shown]
	v_pk_min_f16 v60, v57, v18
	v_pk_min_f16 v58, v16, v17
	v_pk_min_f16 v57, v10, v8
	v_pk_min_f16 v55, v6, v4
	v_pk_min_f16 v67, v14, v0
	s_cbranch_scc1 .LBB209_42
.LBB209_28:                             ; =>This Inner Loop Header: Depth=1
	s_and_b64 vcc, exec, s[4:5]
	v_lshl_add_u64 v[0:1], v[36:37], 0, v[38:39]
	s_cbranch_vccnz .LBB209_32
; %bb.29:                               ;   in Loop: Header=BB209_28 Depth=1
	flat_load_ushort v2, v[0:1]
	flat_load_ushort v3, v[0:1] offset:128
	s_waitcnt vmcnt(0) lgkmcnt(0)
	v_mul_f16_e32 v40, s13, v2
	v_mul_f16_e32 v41, s13, v3
	s_and_b64 vcc, exec, s[4:5]
	s_cbranch_vccnz .LBB209_33
.LBB209_30:                             ;   in Loop: Header=BB209_28 Depth=1
	flat_load_ushort v2, v[0:1] offset:256
	flat_load_ushort v3, v[0:1] offset:384
	s_waitcnt vmcnt(0) lgkmcnt(0)
	v_mul_f16_e32 v117, s13, v2
	v_mul_f16_e32 v118, s13, v3
	s_and_b64 vcc, exec, s[4:5]
	s_cbranch_vccnz .LBB209_34
.LBB209_31:                             ;   in Loop: Header=BB209_28 Depth=1
	flat_load_ushort v0, v[32:33]
	s_waitcnt vmcnt(0) lgkmcnt(0)
	v_mul_f16_e32 v119, s13, v0
	s_branch .LBB209_35
.LBB209_32:                             ;   in Loop: Header=BB209_28 Depth=1
	v_mov_b32_e32 v40, 0
	v_mov_b32_e32 v41, 0
	s_and_b64 vcc, exec, s[4:5]
	s_cbranch_vccz .LBB209_30
.LBB209_33:                             ;   in Loop: Header=BB209_28 Depth=1
	v_mov_b32_e32 v117, 0
	v_mov_b32_e32 v118, 0
	s_and_b64 vcc, exec, s[4:5]
	s_cbranch_vccz .LBB209_31
.LBB209_34:                             ;   in Loop: Header=BB209_28 Depth=1
	v_mov_b32_e32 v119, 0
.LBB209_35:                             ;   in Loop: Header=BB209_28 Depth=1
	ds_read2_b64 v[12:15], v115 offset1:32
	ds_read2_b64 v[8:11], v115 offset0:64 offset1:96
	ds_read2_b64 v[4:7], v115 offset0:128 offset1:160
	;; [unrolled: 1-line block ×3, first 2 shown]
	ds_read2_b64 v[28:31], v116 offset1:8
	ds_read2_b64 v[24:27], v116 offset0:16 offset1:24
	ds_read2_b64 v[20:23], v116 offset0:32 offset1:40
	;; [unrolled: 1-line block ×3, first 2 shown]
	ds_write_b16 v46, v40
	ds_write_b16 v46, v41 offset:512
	ds_write_b16 v46, v117 offset:1024
	;; [unrolled: 1-line block ×3, first 2 shown]
	ds_write_b16 v48, v119
	v_lshl_add_u64 v[40:41], v[36:37], 0, v[34:35]
	s_mov_b64 vcc, s[6:7]
	s_waitcnt lgkmcnt(0)
	s_barrier
	s_cbranch_vccz .LBB209_38
; %bb.36:                               ;   in Loop: Header=BB209_28 Depth=1
	flat_load_ushort v117, v[40:41]
	flat_load_ushort v118, v[40:41] offset:128
	s_waitcnt vmcnt(0) lgkmcnt(0)
	v_mul_f16_e32 v117, s13, v117
	v_mul_f16_e32 v118, s13, v118
	s_and_b64 vcc, exec, s[4:5]
	s_cbranch_vccnz .LBB209_39
.LBB209_37:                             ;   in Loop: Header=BB209_28 Depth=1
	flat_load_ushort v119, v[40:41] offset:256
	flat_load_ushort v120, v[40:41] offset:384
	s_waitcnt vmcnt(0) lgkmcnt(0)
	v_mul_f16_e32 v40, s13, v119
	v_mul_f16_e32 v41, s13, v120
	s_branch .LBB209_40
.LBB209_38:                             ;   in Loop: Header=BB209_28 Depth=1
	v_mov_b32_e32 v117, 0
	v_mov_b32_e32 v118, 0
	s_and_b64 vcc, exec, s[4:5]
	s_cbranch_vccz .LBB209_37
.LBB209_39:                             ;   in Loop: Header=BB209_28 Depth=1
	v_mov_b32_e32 v40, 0
	v_mov_b32_e32 v41, 0
.LBB209_40:                             ;   in Loop: Header=BB209_28 Depth=1
	v_pk_add_f16 v119, v12, v28
	v_pk_max_f16 v50, v50, v50
	v_pk_max_f16 v114, v114, v114
	v_pk_min_f16 v50, v50, v119
	v_pk_add_f16 v119, v14, v28
	v_pk_max_f16 v113, v113, v113
	v_pk_min_f16 v114, v114, v119
	v_pk_add_f16 v119, v8, v28
	v_pk_max_f16 v112, v112, v112
	v_pk_min_f16 v113, v113, v119
	v_pk_add_f16 v119, v10, v28
	v_pk_max_f16 v111, v111, v111
	v_pk_min_f16 v112, v112, v119
	v_pk_add_f16 v119, v4, v28
	v_pk_max_f16 v110, v110, v110
	v_pk_min_f16 v119, v111, v119
	v_pk_add_f16 v111, v6, v28
	v_pk_max_f16 v108, v108, v108
	v_pk_min_f16 v120, v110, v111
	v_pk_add_f16 v110, v0, v28
	v_pk_add_f16 v28, v2, v28
	v_pk_max_f16 v107, v107, v107
	v_pk_min_f16 v28, v108, v28
	v_pk_add_f16 v108, v12, v30
	v_pk_max_f16 v106, v106, v106
	v_pk_min_f16 v122, v107, v108
	v_pk_add_f16 v107, v14, v30
	v_pk_max_f16 v105, v105, v105
	v_pk_min_f16 v123, v106, v107
	v_pk_add_f16 v106, v8, v30
	v_pk_max_f16 v104, v104, v104
	v_pk_min_f16 v124, v105, v106
	v_pk_add_f16 v105, v10, v30
	v_pk_max_f16 v103, v103, v103
	v_pk_min_f16 v125, v104, v105
	v_pk_add_f16 v104, v4, v30
	v_pk_max_f16 v102, v102, v102
	v_pk_min_f16 v126, v103, v104
	v_pk_add_f16 v103, v6, v30
	v_pk_max_f16 v100, v100, v100
	v_pk_min_f16 v127, v102, v103
	v_pk_add_f16 v102, v0, v30
	v_pk_add_f16 v30, v2, v30
	v_pk_max_f16 v99, v99, v99
	v_pk_min_f16 v30, v100, v30
	v_pk_add_f16 v100, v12, v24
	;; [unrolled: 22-line block ×6, first 2 shown]
	v_pk_max_f16 v65, v65, v65
	v_pk_min_f16 v157, v66, v68
	v_pk_add_f16 v66, v14, v16
	v_pk_max_f16 v64, v64, v64
	v_pk_min_f16 v158, v65, v66
	v_pk_add_f16 v65, v8, v16
	;; [unrolled: 3-line block ×5, first 2 shown]
	v_pk_add_f16 v12, v12, v18
	v_pk_min_f16 v162, v61, v62
	v_pk_add_f16 v61, v0, v16
	v_pk_add_f16 v16, v2, v16
	;; [unrolled: 1-line block ×9, first 2 shown]
	v_pk_max_f16 v18, v67, v67
	v_pk_max_f16 v109, v109, v109
	v_pk_min_f16 v2, v18, v2
	v_pk_add_f16 v18, v13, v29
	v_pk_min_f16 v121, v109, v110
	v_pk_min_f16 v111, v50, v18
	v_pk_add_f16 v18, v15, v29
	v_pk_max_f16 v101, v101, v101
	v_pk_min_f16 v110, v114, v18
	v_pk_add_f16 v18, v9, v29
	v_pk_min_f16 v128, v101, v102
	v_pk_min_f16 v109, v113, v18
	v_pk_add_f16 v18, v11, v29
	;; [unrolled: 6-line block ×7, first 2 shown]
	v_pk_max_f16 v58, v58, v58
	v_pk_min_f16 v98, v127, v18
	v_pk_add_f16 v18, v1, v31
	v_pk_max_f16 v52, v52, v52
	v_pk_min_f16 v97, v128, v18
	v_pk_add_f16 v18, v3, v31
	v_pk_min_f16 v16, v58, v16
	v_pk_min_f16 v96, v30, v18
	v_pk_add_f16 v18, v13, v25
	v_pk_max_f16 v58, v59, v59
	v_pk_min_f16 v95, v129, v18
	v_pk_add_f16 v18, v15, v25
	v_pk_max_f16 v56, v56, v56
	;; [unrolled: 3-line block ×3, first 2 shown]
	v_pk_min_f16 v93, v131, v18
	v_pk_add_f16 v18, v11, v25
	v_pk_min_f16 v6, v52, v6
	v_pk_min_f16 v92, v132, v18
	v_pk_add_f16 v18, v5, v25
	v_pk_max_f16 v52, v53, v53
	v_pk_min_f16 v91, v133, v18
	v_pk_add_f16 v18, v7, v25
	v_pk_min_f16 v12, v58, v12
	v_pk_min_f16 v90, v134, v18
	v_pk_add_f16 v18, v1, v25
	v_pk_max_f16 v57, v57, v57
	;; [unrolled: 6-line block ×3, first 2 shown]
	v_pk_min_f16 v87, v136, v18
	v_pk_add_f16 v18, v15, v27
	v_pk_min_f16 v4, v54, v4
	v_pk_min_f16 v86, v137, v18
	v_pk_add_f16 v18, v9, v27
	v_pk_min_f16 v0, v52, v0
	;; [unrolled: 3-line block ×4, first 2 shown]
	v_pk_min_f16 v83, v140, v18
	v_pk_add_f16 v18, v7, v27
	s_and_b64 vcc, exec, s[4:5]
	v_pk_min_f16 v82, v141, v18
	v_pk_add_f16 v18, v1, v27
	s_nop 0
	v_pk_min_f16 v81, v142, v18
	v_pk_add_f16 v18, v3, v27
	s_nop 0
	;; [unrolled: 3-line block ×18, first 2 shown]
	v_pk_min_f16 v64, v22, v18
	v_pk_add_f16 v18, v13, v17
	v_pk_add_f16 v13, v13, v19
	v_pk_min_f16 v63, v157, v18
	v_pk_add_f16 v18, v15, v17
	v_pk_min_f16 v55, v12, v13
	v_pk_min_f16 v62, v158, v18
	v_pk_add_f16 v18, v9, v17
	v_pk_add_f16 v9, v9, v19
	v_pk_min_f16 v61, v159, v18
	v_pk_add_f16 v18, v11, v17
	v_pk_add_f16 v12, v15, v19
	;; [unrolled: 3-line block ×3, first 2 shown]
	v_pk_min_f16 v59, v161, v18
	v_pk_add_f16 v18, v7, v17
	v_pk_min_f16 v53, v8, v9
	v_pk_min_f16 v58, v162, v18
	v_pk_add_f16 v18, v1, v17
	v_pk_add_f16 v1, v1, v19
	v_pk_add_f16 v17, v3, v17
	v_pk_add_f16 v8, v11, v19
	v_pk_min_f16 v50, v4, v5
	v_pk_add_f16 v4, v7, v19
	v_pk_min_f16 v29, v0, v1
	v_pk_add_f16 v0, v3, v19
	v_pk_min_f16 v57, v163, v18
	v_pk_min_f16 v56, v16, v17
	;; [unrolled: 1-line block ×6, first 2 shown]
	s_cbranch_vccz .LBB209_26
; %bb.41:                               ;   in Loop: Header=BB209_28 Depth=1
	v_mov_b32_e32 v28, 0
	s_branch .LBB209_27
.LBB209_42:
	s_load_dword s6, s[0:1], 0x50
	ds_read_b64 v[30:31], v44 offset:2048
	ds_read_b64 v[46:47], v45 offset:4608
	v_add_u32_e32 v115, s26, v43
	v_cmp_neq_f16_e64 s[4:5], s24, 0
	v_add_u32_e32 v28, s25, v42
	s_waitcnt lgkmcnt(0)
	v_mad_i64_i32 v[0:1], s[2:3], v115, s6, 0
	v_ashrrev_i32_e32 v29, 31, v28
	v_lshl_add_u64 v[48:49], v[0:1], 1, s[10:11]
	s_and_b64 vcc, exec, s[4:5]
	v_mov_b32_e32 v36, 0
	v_mov_b32_e32 v34, 0
	s_cbranch_vccz .LBB209_44
; %bb.43:
	v_lshl_add_u64 v[0:1], v[28:29], 1, v[48:49]
	flat_load_ushort v0, v[0:1]
	s_waitcnt vmcnt(0) lgkmcnt(0)
	v_mul_f16_e32 v34, s24, v0
.LBB209_44:
	v_add_u32_e32 v0, 0x800, v44
	ds_read2_b64 v[8:11], v0 offset0:32 offset1:64
	ds_read2_b64 v[4:7], v0 offset0:96 offset1:128
	;; [unrolled: 1-line block ×3, first 2 shown]
	ds_read_b64 v[24:25], v44 offset:3840
	s_load_dword s7, s[0:1], 0x68
	s_load_dwordx2 s[2:3], s[0:1], 0x70
	v_add_u32_e32 v12, 0x1000, v45
	ds_read2_b64 v[20:23], v12 offset0:72 offset1:80
	ds_read2_b64 v[16:19], v12 offset0:88 offset1:96
	;; [unrolled: 1-line block ×3, first 2 shown]
	ds_read_b64 v[26:27], v45 offset:5056
	v_pk_add_f16 v32, v30, v46
	v_pk_max_f16 v33, v50, v50
	s_waitcnt lgkmcnt(0)
	s_lshl_b64 s[0:1], s[2:3], 1
	s_add_u32 s2, s14, s0
	v_pk_min_f16 v32, v33, v32
	v_pk_add_f16 v33, v31, v47
	s_addc_u32 s3, s15, s1
	v_pk_min_f16 v35, v32, v33
	v_mad_i64_i32 v[38:39], s[0:1], v115, s7, 0
	v_add_u32_e32 v32, 32, v28
	v_lshl_add_u64 v[50:51], v[38:39], 1, s[2:3]
	v_lshrrev_b32_e32 v37, 16, v35
	v_cndmask_b32_e64 v38, 0, 1, s[4:5]
	v_ashrrev_i32_e32 v33, 31, v32
	v_min3_f16 v37, v34, v35, v37
	v_lshl_add_u64 v[34:35], v[28:29], 1, v[50:51]
	v_cmp_ne_u32_e64 s[0:1], 1, v38
	s_andn2_b64 vcc, exec, s[4:5]
	global_store_short v[34:35], v37, off
	s_cbranch_vccnz .LBB209_46
; %bb.45:
	v_lshl_add_u64 v[34:35], v[32:33], 1, v[48:49]
	flat_load_ushort v34, v[34:35]
	s_waitcnt vmcnt(0) lgkmcnt(0)
	v_mul_f16_e32 v36, s24, v34
.LBB209_46:
	v_pk_add_f16 v34, v8, v46
	v_pk_max_f16 v35, v114, v114
	s_and_b64 vcc, exec, s[0:1]
	v_pk_min_f16 v34, v35, v34
	v_pk_add_f16 v35, v9, v47
	v_mov_b32_e32 v39, 0
	v_pk_min_f16 v37, v34, v35
	v_add_u32_e32 v34, 64, v28
	v_lshrrev_b32_e32 v38, 16, v37
	v_min3_f16 v38, v36, v37, v38
	v_lshl_add_u64 v[36:37], v[32:33], 1, v[50:51]
	v_ashrrev_i32_e32 v35, 31, v34
	global_store_short v[36:37], v38, off
	v_mov_b32_e32 v38, 0
	s_cbranch_vccnz .LBB209_48
; %bb.47:
	v_lshl_add_u64 v[36:37], v[34:35], 1, v[48:49]
	flat_load_ushort v36, v[36:37]
	s_waitcnt vmcnt(0) lgkmcnt(0)
	v_mul_f16_e32 v39, s24, v36
.LBB209_48:
	v_pk_add_f16 v36, v10, v46
	v_pk_max_f16 v37, v113, v113
	s_and_b64 vcc, exec, s[0:1]
	v_pk_min_f16 v36, v37, v36
	v_pk_add_f16 v37, v11, v47
	s_nop 0
	v_pk_min_f16 v40, v36, v37
	v_add_u32_e32 v36, 0x60, v28
	v_lshrrev_b32_e32 v41, 16, v40
	v_ashrrev_i32_e32 v37, 31, v36
	v_min3_f16 v39, v39, v40, v41
	v_lshl_add_u64 v[40:41], v[34:35], 1, v[50:51]
	global_store_short v[40:41], v39, off
	s_cbranch_vccnz .LBB209_50
; %bb.49:
	v_lshl_add_u64 v[38:39], v[36:37], 1, v[48:49]
	flat_load_ushort v38, v[38:39]
	s_waitcnt vmcnt(0) lgkmcnt(0)
	v_mul_f16_e32 v38, s24, v38
.LBB209_50:
	v_pk_add_f16 v39, v4, v46
	v_pk_max_f16 v40, v112, v112
	v_add_u32_e32 v44, 0x80, v28
	v_pk_min_f16 v39, v40, v39
	v_pk_add_f16 v40, v5, v47
	v_ashrrev_i32_e32 v45, 31, v44
	v_pk_min_f16 v39, v39, v40
	s_and_b64 vcc, exec, s[0:1]
	v_lshrrev_b32_e32 v40, 16, v39
	v_min3_f16 v40, v38, v39, v40
	v_lshl_add_u64 v[38:39], v[36:37], 1, v[50:51]
	global_store_short v[38:39], v40, off
	v_mov_b32_e32 v38, 0
	v_mov_b32_e32 v39, 0
	s_cbranch_vccnz .LBB209_52
; %bb.51:
	v_lshl_add_u64 v[40:41], v[44:45], 1, v[48:49]
	flat_load_ushort v39, v[40:41]
	s_waitcnt vmcnt(0) lgkmcnt(0)
	v_mul_f16_e32 v39, s24, v39
.LBB209_52:
	v_pk_add_f16 v40, v6, v46
	v_pk_max_f16 v41, v111, v111
	v_add_u32_e32 v42, 0xa0, v28
	v_pk_min_f16 v40, v41, v40
	v_pk_add_f16 v41, v7, v47
	v_ashrrev_i32_e32 v43, 31, v42
	v_pk_min_f16 v40, v40, v41
	s_and_b64 vcc, exec, s[0:1]
	v_lshrrev_b32_e32 v41, 16, v40
	v_min3_f16 v39, v39, v40, v41
	v_lshl_add_u64 v[40:41], v[44:45], 1, v[50:51]
	global_store_short v[40:41], v39, off
	s_cbranch_vccnz .LBB209_54
; %bb.53:
	v_lshl_add_u64 v[38:39], v[42:43], 1, v[48:49]
	flat_load_ushort v38, v[38:39]
	s_waitcnt vmcnt(0) lgkmcnt(0)
	v_mul_f16_e32 v38, s24, v38
.LBB209_54:
	v_pk_add_f16 v39, v0, v46
	v_pk_max_f16 v40, v110, v110
	s_and_b64 vcc, exec, s[0:1]
	v_pk_min_f16 v39, v40, v39
	v_pk_add_f16 v40, v1, v47
	v_mov_b32_e32 v111, 0
	v_pk_min_f16 v39, v39, v40
	v_add_u32_e32 v40, 0xc0, v28
	v_lshrrev_b32_e32 v110, 16, v39
	v_min3_f16 v110, v38, v39, v110
	v_lshl_add_u64 v[38:39], v[42:43], 1, v[50:51]
	v_ashrrev_i32_e32 v41, 31, v40
	global_store_short v[38:39], v110, off
	v_mov_b32_e32 v110, 0
	s_cbranch_vccnz .LBB209_56
; %bb.55:
	v_lshl_add_u64 v[38:39], v[40:41], 1, v[48:49]
	flat_load_ushort v38, v[38:39]
	s_waitcnt vmcnt(0) lgkmcnt(0)
	v_mul_f16_e32 v111, s24, v38
.LBB209_56:
	v_pk_add_f16 v38, v2, v46
	v_pk_max_f16 v39, v109, v109
	s_and_b64 vcc, exec, s[0:1]
	v_pk_min_f16 v38, v39, v38
	v_pk_add_f16 v39, v3, v47
	s_nop 0
	v_pk_min_f16 v109, v38, v39
	v_add_u32_e32 v38, 0xe0, v28
	v_lshrrev_b32_e32 v112, 16, v109
	v_ashrrev_i32_e32 v39, 31, v38
	v_min3_f16 v109, v111, v109, v112
	v_lshl_add_u64 v[112:113], v[40:41], 1, v[50:51]
	global_store_short v[112:113], v109, off
	s_cbranch_vccnz .LBB209_58
; %bb.57:
	v_lshl_add_u64 v[48:49], v[38:39], 1, v[48:49]
	flat_load_ushort v48, v[48:49]
	s_waitcnt vmcnt(0) lgkmcnt(0)
	v_mul_f16_e32 v110, s24, v48
.LBB209_58:
	v_pk_add_f16 v46, v24, v46
	v_pk_max_f16 v48, v108, v108
	v_pk_add_f16 v47, v25, v47
	v_pk_min_f16 v46, v48, v46
	s_and_b64 vcc, exec, s[0:1]
	v_pk_min_f16 v46, v46, v47
	s_nop 0
	v_lshrrev_b32_e32 v47, 16, v46
	v_min3_f16 v48, v110, v46, v47
	v_lshl_add_u64 v[46:47], v[38:39], 1, v[50:51]
	global_store_short v[46:47], v48, off
	v_add_u32_e32 v48, 8, v115
	v_mad_i64_i32 v[46:47], s[4:5], v48, s6, 0
	v_lshl_add_u64 v[46:47], v[46:47], 1, s[10:11]
	v_mov_b32_e32 v50, 0
	v_mov_b32_e32 v51, 0
	s_cbranch_vccnz .LBB209_60
; %bb.59:
	v_lshl_add_u64 v[108:109], v[28:29], 1, v[46:47]
	flat_load_ushort v49, v[108:109]
	s_waitcnt vmcnt(0) lgkmcnt(0)
	v_mul_f16_e32 v51, s24, v49
.LBB209_60:
	v_pk_add_f16 v49, v30, v20
	v_pk_max_f16 v107, v107, v107
	s_and_b64 vcc, exec, s[0:1]
	v_pk_min_f16 v49, v107, v49
	v_pk_add_f16 v107, v31, v21
	s_nop 0
	v_pk_min_f16 v107, v49, v107
	v_mad_i64_i32 v[48:49], s[4:5], v48, s7, 0
	v_lshl_add_u64 v[48:49], v[48:49], 1, s[2:3]
	v_lshrrev_b32_e32 v108, 16, v107
	v_min3_f16 v51, v51, v107, v108
	v_lshl_add_u64 v[108:109], v[28:29], 1, v[48:49]
	global_store_short v[108:109], v51, off
	s_cbranch_vccnz .LBB209_62
; %bb.61:
	v_lshl_add_u64 v[50:51], v[32:33], 1, v[46:47]
	flat_load_ushort v50, v[50:51]
	s_waitcnt vmcnt(0) lgkmcnt(0)
	v_mul_f16_e32 v50, s24, v50
.LBB209_62:
	v_pk_add_f16 v51, v8, v20
	v_pk_max_f16 v106, v106, v106
	s_and_b64 vcc, exec, s[0:1]
	v_pk_min_f16 v51, v106, v51
	v_pk_add_f16 v106, v9, v21
	s_nop 0
	v_pk_min_f16 v51, v51, v106
	s_nop 0
	v_lshrrev_b32_e32 v106, 16, v51
	v_min3_f16 v106, v50, v51, v106
	v_lshl_add_u64 v[50:51], v[32:33], 1, v[48:49]
	global_store_short v[50:51], v106, off
	v_mov_b32_e32 v50, 0
	v_mov_b32_e32 v51, 0
	s_cbranch_vccnz .LBB209_64
; %bb.63:
	v_lshl_add_u64 v[106:107], v[34:35], 1, v[46:47]
	flat_load_ushort v51, v[106:107]
	s_waitcnt vmcnt(0) lgkmcnt(0)
	v_mul_f16_e32 v51, s24, v51
.LBB209_64:
	v_pk_add_f16 v106, v10, v20
	v_pk_max_f16 v105, v105, v105
	s_and_b64 vcc, exec, s[0:1]
	v_pk_min_f16 v105, v105, v106
	v_pk_add_f16 v106, v11, v21
	s_nop 0
	v_pk_min_f16 v105, v105, v106
	s_nop 0
	v_lshrrev_b32_e32 v106, 16, v105
	v_min3_f16 v51, v51, v105, v106
	v_lshl_add_u64 v[106:107], v[34:35], 1, v[48:49]
	global_store_short v[106:107], v51, off
	s_cbranch_vccnz .LBB209_66
; %bb.65:
	v_lshl_add_u64 v[50:51], v[36:37], 1, v[46:47]
	flat_load_ushort v50, v[50:51]
	s_waitcnt vmcnt(0) lgkmcnt(0)
	v_mul_f16_e32 v50, s24, v50
.LBB209_66:
	v_pk_add_f16 v51, v4, v20
	v_pk_max_f16 v104, v104, v104
	s_and_b64 vcc, exec, s[0:1]
	v_pk_min_f16 v51, v104, v51
	v_pk_add_f16 v104, v5, v21
	s_nop 0
	v_pk_min_f16 v51, v51, v104
	s_nop 0
	v_lshrrev_b32_e32 v104, 16, v51
	v_min3_f16 v104, v50, v51, v104
	v_lshl_add_u64 v[50:51], v[36:37], 1, v[48:49]
	global_store_short v[50:51], v104, off
	v_mov_b32_e32 v50, 0
	v_mov_b32_e32 v51, 0
	s_cbranch_vccnz .LBB209_68
; %bb.67:
	v_lshl_add_u64 v[104:105], v[44:45], 1, v[46:47]
	flat_load_ushort v51, v[104:105]
	s_waitcnt vmcnt(0) lgkmcnt(0)
	v_mul_f16_e32 v51, s24, v51
.LBB209_68:
	v_pk_add_f16 v104, v6, v20
	v_pk_max_f16 v103, v103, v103
	s_and_b64 vcc, exec, s[0:1]
	v_pk_min_f16 v103, v103, v104
	v_pk_add_f16 v104, v7, v21
	s_nop 0
	v_pk_min_f16 v103, v103, v104
	s_nop 0
	;; [unrolled: 40-line block ×3, first 2 shown]
	v_lshrrev_b32_e32 v102, 16, v101
	v_min3_f16 v51, v51, v101, v102
	v_lshl_add_u64 v[102:103], v[40:41], 1, v[48:49]
	global_store_short v[102:103], v51, off
	s_cbranch_vccnz .LBB209_74
; %bb.73:
	v_lshl_add_u64 v[46:47], v[38:39], 1, v[46:47]
	flat_load_ushort v46, v[46:47]
	s_waitcnt vmcnt(0) lgkmcnt(0)
	v_mul_f16_e32 v50, s24, v46
.LBB209_74:
	v_pk_add_f16 v20, v24, v20
	v_pk_max_f16 v46, v100, v100
	v_pk_add_f16 v21, v25, v21
	v_pk_min_f16 v20, v46, v20
	s_and_b64 vcc, exec, s[0:1]
	v_pk_min_f16 v20, v20, v21
	s_nop 0
	v_lshrrev_b32_e32 v21, 16, v20
	v_min3_f16 v46, v50, v20, v21
	v_lshl_add_u64 v[20:21], v[38:39], 1, v[48:49]
	global_store_short v[20:21], v46, off
	v_add_u32_e32 v46, 16, v115
	v_mad_i64_i32 v[20:21], s[4:5], v46, s6, 0
	v_lshl_add_u64 v[20:21], v[20:21], 1, s[10:11]
	v_mov_b32_e32 v48, 0
	v_mov_b32_e32 v49, 0
	s_cbranch_vccnz .LBB209_76
; %bb.75:
	v_lshl_add_u64 v[50:51], v[28:29], 1, v[20:21]
	flat_load_ushort v47, v[50:51]
	s_waitcnt vmcnt(0) lgkmcnt(0)
	v_mul_f16_e32 v49, s24, v47
.LBB209_76:
	v_pk_add_f16 v47, v30, v22
	v_pk_max_f16 v50, v99, v99
	s_and_b64 vcc, exec, s[0:1]
	v_pk_min_f16 v47, v50, v47
	v_pk_add_f16 v50, v31, v23
	s_nop 0
	v_pk_min_f16 v50, v47, v50
	v_mad_i64_i32 v[46:47], s[4:5], v46, s7, 0
	v_lshl_add_u64 v[46:47], v[46:47], 1, s[2:3]
	v_lshrrev_b32_e32 v51, 16, v50
	v_min3_f16 v49, v49, v50, v51
	v_lshl_add_u64 v[50:51], v[28:29], 1, v[46:47]
	global_store_short v[50:51], v49, off
	s_cbranch_vccnz .LBB209_78
; %bb.77:
	v_lshl_add_u64 v[48:49], v[32:33], 1, v[20:21]
	flat_load_ushort v48, v[48:49]
	s_waitcnt vmcnt(0) lgkmcnt(0)
	v_mul_f16_e32 v48, s24, v48
.LBB209_78:
	v_pk_add_f16 v49, v8, v22
	v_pk_max_f16 v50, v98, v98
	s_and_b64 vcc, exec, s[0:1]
	v_pk_min_f16 v49, v50, v49
	v_pk_add_f16 v50, v9, v23
	s_nop 0
	v_pk_min_f16 v49, v49, v50
	s_nop 0
	v_lshrrev_b32_e32 v50, 16, v49
	v_min3_f16 v50, v48, v49, v50
	v_lshl_add_u64 v[48:49], v[32:33], 1, v[46:47]
	global_store_short v[48:49], v50, off
	v_mov_b32_e32 v48, 0
	v_mov_b32_e32 v49, 0
	s_cbranch_vccnz .LBB209_80
; %bb.79:
	v_lshl_add_u64 v[50:51], v[34:35], 1, v[20:21]
	flat_load_ushort v49, v[50:51]
	s_waitcnt vmcnt(0) lgkmcnt(0)
	v_mul_f16_e32 v49, s24, v49
.LBB209_80:
	v_pk_add_f16 v50, v10, v22
	v_pk_max_f16 v51, v97, v97
	s_and_b64 vcc, exec, s[0:1]
	v_pk_min_f16 v50, v51, v50
	v_pk_add_f16 v51, v11, v23
	s_nop 0
	v_pk_min_f16 v50, v50, v51
	s_nop 0
	v_lshrrev_b32_e32 v51, 16, v50
	v_min3_f16 v49, v49, v50, v51
	v_lshl_add_u64 v[50:51], v[34:35], 1, v[46:47]
	global_store_short v[50:51], v49, off
	s_cbranch_vccnz .LBB209_82
; %bb.81:
	v_lshl_add_u64 v[48:49], v[36:37], 1, v[20:21]
	flat_load_ushort v48, v[48:49]
	s_waitcnt vmcnt(0) lgkmcnt(0)
	v_mul_f16_e32 v48, s24, v48
.LBB209_82:
	v_pk_add_f16 v49, v4, v22
	v_pk_max_f16 v50, v96, v96
	s_and_b64 vcc, exec, s[0:1]
	v_pk_min_f16 v49, v50, v49
	v_pk_add_f16 v50, v5, v23
	s_nop 0
	v_pk_min_f16 v49, v49, v50
	s_nop 0
	v_lshrrev_b32_e32 v50, 16, v49
	v_min3_f16 v50, v48, v49, v50
	v_lshl_add_u64 v[48:49], v[36:37], 1, v[46:47]
	global_store_short v[48:49], v50, off
	v_mov_b32_e32 v48, 0
	v_mov_b32_e32 v49, 0
	s_cbranch_vccnz .LBB209_84
; %bb.83:
	v_lshl_add_u64 v[50:51], v[44:45], 1, v[20:21]
	flat_load_ushort v49, v[50:51]
	s_waitcnt vmcnt(0) lgkmcnt(0)
	v_mul_f16_e32 v49, s24, v49
.LBB209_84:
	v_pk_add_f16 v50, v6, v22
	v_pk_max_f16 v51, v95, v95
	s_and_b64 vcc, exec, s[0:1]
	v_pk_min_f16 v50, v51, v50
	v_pk_add_f16 v51, v7, v23
	s_nop 0
	v_pk_min_f16 v50, v50, v51
	s_nop 0
	v_lshrrev_b32_e32 v51, 16, v50
	v_min3_f16 v49, v49, v50, v51
	v_lshl_add_u64 v[50:51], v[44:45], 1, v[46:47]
	global_store_short v[50:51], v49, off
	s_cbranch_vccnz .LBB209_86
; %bb.85:
	v_lshl_add_u64 v[48:49], v[42:43], 1, v[20:21]
	flat_load_ushort v48, v[48:49]
	s_waitcnt vmcnt(0) lgkmcnt(0)
	v_mul_f16_e32 v48, s24, v48
.LBB209_86:
	v_pk_add_f16 v49, v0, v22
	v_pk_max_f16 v50, v94, v94
	s_and_b64 vcc, exec, s[0:1]
	v_pk_min_f16 v49, v50, v49
	v_pk_add_f16 v50, v1, v23
	s_nop 0
	v_pk_min_f16 v49, v49, v50
	s_nop 0
	v_lshrrev_b32_e32 v50, 16, v49
	v_min3_f16 v50, v48, v49, v50
	v_lshl_add_u64 v[48:49], v[42:43], 1, v[46:47]
	global_store_short v[48:49], v50, off
	v_mov_b32_e32 v48, 0
	v_mov_b32_e32 v49, 0
	s_cbranch_vccnz .LBB209_88
; %bb.87:
	v_lshl_add_u64 v[50:51], v[40:41], 1, v[20:21]
	flat_load_ushort v49, v[50:51]
	s_waitcnt vmcnt(0) lgkmcnt(0)
	v_mul_f16_e32 v49, s24, v49
.LBB209_88:
	v_pk_add_f16 v50, v2, v22
	v_pk_max_f16 v51, v93, v93
	s_and_b64 vcc, exec, s[0:1]
	v_pk_min_f16 v50, v51, v50
	v_pk_add_f16 v51, v3, v23
	s_nop 0
	v_pk_min_f16 v50, v50, v51
	s_nop 0
	v_lshrrev_b32_e32 v51, 16, v50
	v_min3_f16 v49, v49, v50, v51
	v_lshl_add_u64 v[50:51], v[40:41], 1, v[46:47]
	global_store_short v[50:51], v49, off
	s_cbranch_vccnz .LBB209_90
; %bb.89:
	v_lshl_add_u64 v[20:21], v[38:39], 1, v[20:21]
	flat_load_ushort v20, v[20:21]
	s_waitcnt vmcnt(0) lgkmcnt(0)
	v_mul_f16_e32 v48, s24, v20
.LBB209_90:
	v_pk_add_f16 v20, v24, v22
	v_pk_max_f16 v21, v92, v92
	s_and_b64 vcc, exec, s[0:1]
	v_pk_min_f16 v20, v21, v20
	v_pk_add_f16 v21, v25, v23
	s_nop 0
	v_pk_min_f16 v20, v20, v21
	s_nop 0
	v_lshrrev_b32_e32 v21, 16, v20
	v_min3_f16 v22, v48, v20, v21
	v_lshl_add_u64 v[20:21], v[38:39], 1, v[46:47]
	global_store_short v[20:21], v22, off
	v_add_u32_e32 v22, 24, v115
	v_mad_i64_i32 v[20:21], s[4:5], v22, s6, 0
	v_lshl_add_u64 v[20:21], v[20:21], 1, s[10:11]
	v_mov_b32_e32 v46, 0
	v_mov_b32_e32 v47, 0
	s_cbranch_vccnz .LBB209_92
; %bb.91:
	v_lshl_add_u64 v[48:49], v[28:29], 1, v[20:21]
	flat_load_ushort v23, v[48:49]
	s_waitcnt vmcnt(0) lgkmcnt(0)
	v_mul_f16_e32 v47, s24, v23
.LBB209_92:
	v_pk_add_f16 v23, v30, v16
	v_pk_max_f16 v48, v91, v91
	s_and_b64 vcc, exec, s[0:1]
	v_pk_min_f16 v23, v48, v23
	v_pk_add_f16 v48, v31, v17
	s_nop 0
	v_pk_min_f16 v48, v23, v48
	v_mad_i64_i32 v[22:23], s[4:5], v22, s7, 0
	v_lshl_add_u64 v[22:23], v[22:23], 1, s[2:3]
	v_lshrrev_b32_e32 v49, 16, v48
	v_min3_f16 v47, v47, v48, v49
	v_lshl_add_u64 v[48:49], v[28:29], 1, v[22:23]
	global_store_short v[48:49], v47, off
	s_cbranch_vccnz .LBB209_94
; %bb.93:
	v_lshl_add_u64 v[46:47], v[32:33], 1, v[20:21]
	flat_load_ushort v46, v[46:47]
	s_waitcnt vmcnt(0) lgkmcnt(0)
	v_mul_f16_e32 v46, s24, v46
.LBB209_94:
	v_pk_add_f16 v47, v8, v16
	v_pk_max_f16 v48, v90, v90
	s_and_b64 vcc, exec, s[0:1]
	v_pk_min_f16 v47, v48, v47
	v_pk_add_f16 v48, v9, v17
	s_nop 0
	v_pk_min_f16 v47, v47, v48
	s_nop 0
	v_lshrrev_b32_e32 v48, 16, v47
	v_min3_f16 v48, v46, v47, v48
	v_lshl_add_u64 v[46:47], v[32:33], 1, v[22:23]
	global_store_short v[46:47], v48, off
	v_mov_b32_e32 v46, 0
	v_mov_b32_e32 v47, 0
	s_cbranch_vccnz .LBB209_96
; %bb.95:
	v_lshl_add_u64 v[48:49], v[34:35], 1, v[20:21]
	flat_load_ushort v47, v[48:49]
	s_waitcnt vmcnt(0) lgkmcnt(0)
	v_mul_f16_e32 v47, s24, v47
.LBB209_96:
	v_pk_add_f16 v48, v10, v16
	v_pk_max_f16 v49, v89, v89
	s_and_b64 vcc, exec, s[0:1]
	v_pk_min_f16 v48, v49, v48
	v_pk_add_f16 v49, v11, v17
	s_nop 0
	v_pk_min_f16 v48, v48, v49
	s_nop 0
	v_lshrrev_b32_e32 v49, 16, v48
	v_min3_f16 v47, v47, v48, v49
	v_lshl_add_u64 v[48:49], v[34:35], 1, v[22:23]
	global_store_short v[48:49], v47, off
	s_cbranch_vccnz .LBB209_98
; %bb.97:
	v_lshl_add_u64 v[46:47], v[36:37], 1, v[20:21]
	flat_load_ushort v46, v[46:47]
	s_waitcnt vmcnt(0) lgkmcnt(0)
	v_mul_f16_e32 v46, s24, v46
.LBB209_98:
	v_pk_add_f16 v47, v4, v16
	v_pk_max_f16 v48, v88, v88
	s_and_b64 vcc, exec, s[0:1]
	v_pk_min_f16 v47, v48, v47
	v_pk_add_f16 v48, v5, v17
	s_nop 0
	v_pk_min_f16 v47, v47, v48
	s_nop 0
	v_lshrrev_b32_e32 v48, 16, v47
	v_min3_f16 v48, v46, v47, v48
	v_lshl_add_u64 v[46:47], v[36:37], 1, v[22:23]
	global_store_short v[46:47], v48, off
	v_mov_b32_e32 v46, 0
	v_mov_b32_e32 v47, 0
	s_cbranch_vccnz .LBB209_100
; %bb.99:
	v_lshl_add_u64 v[48:49], v[44:45], 1, v[20:21]
	flat_load_ushort v47, v[48:49]
	s_waitcnt vmcnt(0) lgkmcnt(0)
	v_mul_f16_e32 v47, s24, v47
.LBB209_100:
	v_pk_add_f16 v48, v6, v16
	v_pk_max_f16 v49, v87, v87
	s_and_b64 vcc, exec, s[0:1]
	v_pk_min_f16 v48, v49, v48
	v_pk_add_f16 v49, v7, v17
	s_nop 0
	v_pk_min_f16 v48, v48, v49
	s_nop 0
	;; [unrolled: 40-line block ×3, first 2 shown]
	v_lshrrev_b32_e32 v49, 16, v48
	v_min3_f16 v47, v47, v48, v49
	v_lshl_add_u64 v[48:49], v[40:41], 1, v[22:23]
	global_store_short v[48:49], v47, off
	s_cbranch_vccnz .LBB209_106
; %bb.105:
	v_lshl_add_u64 v[20:21], v[38:39], 1, v[20:21]
	flat_load_ushort v20, v[20:21]
	s_waitcnt vmcnt(0) lgkmcnt(0)
	v_mul_f16_e32 v46, s24, v20
.LBB209_106:
	v_pk_add_f16 v16, v24, v16
	v_pk_max_f16 v20, v83, v83
	v_pk_add_f16 v17, v25, v17
	v_pk_min_f16 v16, v20, v16
	s_and_b64 vcc, exec, s[0:1]
	v_pk_min_f16 v16, v16, v17
	s_nop 0
	v_lshrrev_b32_e32 v17, 16, v16
	v_min3_f16 v20, v46, v16, v17
	v_lshl_add_u64 v[16:17], v[38:39], 1, v[22:23]
	global_store_short v[16:17], v20, off
	v_add_u32_e32 v20, 32, v115
	v_mad_i64_i32 v[16:17], s[4:5], v20, s6, 0
	v_lshl_add_u64 v[16:17], v[16:17], 1, s[10:11]
	v_mov_b32_e32 v22, 0
	v_mov_b32_e32 v23, 0
	s_cbranch_vccnz .LBB209_108
; %bb.107:
	v_lshl_add_u64 v[46:47], v[28:29], 1, v[16:17]
	flat_load_ushort v21, v[46:47]
	s_waitcnt vmcnt(0) lgkmcnt(0)
	v_mul_f16_e32 v23, s24, v21
.LBB209_108:
	v_pk_add_f16 v21, v30, v18
	v_pk_max_f16 v46, v84, v84
	s_and_b64 vcc, exec, s[0:1]
	v_pk_min_f16 v21, v46, v21
	v_pk_add_f16 v46, v31, v19
	s_nop 0
	v_pk_min_f16 v46, v21, v46
	v_mad_i64_i32 v[20:21], s[4:5], v20, s7, 0
	v_lshl_add_u64 v[20:21], v[20:21], 1, s[2:3]
	v_lshrrev_b32_e32 v47, 16, v46
	v_min3_f16 v23, v23, v46, v47
	v_lshl_add_u64 v[46:47], v[28:29], 1, v[20:21]
	global_store_short v[46:47], v23, off
	s_cbranch_vccnz .LBB209_110
; %bb.109:
	v_lshl_add_u64 v[22:23], v[32:33], 1, v[16:17]
	flat_load_ushort v22, v[22:23]
	s_waitcnt vmcnt(0) lgkmcnt(0)
	v_mul_f16_e32 v22, s24, v22
.LBB209_110:
	v_pk_add_f16 v23, v8, v18
	v_pk_max_f16 v46, v82, v82
	s_and_b64 vcc, exec, s[0:1]
	v_pk_min_f16 v23, v46, v23
	v_pk_add_f16 v46, v9, v19
	s_nop 0
	v_pk_min_f16 v23, v23, v46
	s_nop 0
	v_lshrrev_b32_e32 v46, 16, v23
	v_min3_f16 v46, v22, v23, v46
	v_lshl_add_u64 v[22:23], v[32:33], 1, v[20:21]
	global_store_short v[22:23], v46, off
	v_mov_b32_e32 v22, 0
	v_mov_b32_e32 v23, 0
	s_cbranch_vccnz .LBB209_112
; %bb.111:
	v_lshl_add_u64 v[46:47], v[34:35], 1, v[16:17]
	flat_load_ushort v23, v[46:47]
	s_waitcnt vmcnt(0) lgkmcnt(0)
	v_mul_f16_e32 v23, s24, v23
.LBB209_112:
	v_pk_add_f16 v46, v10, v18
	v_pk_max_f16 v47, v81, v81
	s_and_b64 vcc, exec, s[0:1]
	v_pk_min_f16 v46, v47, v46
	v_pk_add_f16 v47, v11, v19
	s_nop 0
	v_pk_min_f16 v46, v46, v47
	s_nop 0
	v_lshrrev_b32_e32 v47, 16, v46
	v_min3_f16 v23, v23, v46, v47
	v_lshl_add_u64 v[46:47], v[34:35], 1, v[20:21]
	global_store_short v[46:47], v23, off
	s_cbranch_vccnz .LBB209_114
; %bb.113:
	v_lshl_add_u64 v[22:23], v[36:37], 1, v[16:17]
	flat_load_ushort v22, v[22:23]
	s_waitcnt vmcnt(0) lgkmcnt(0)
	v_mul_f16_e32 v22, s24, v22
.LBB209_114:
	v_pk_add_f16 v23, v4, v18
	v_pk_max_f16 v46, v80, v80
	s_and_b64 vcc, exec, s[0:1]
	v_pk_min_f16 v23, v46, v23
	v_pk_add_f16 v46, v5, v19
	s_nop 0
	v_pk_min_f16 v23, v23, v46
	s_nop 0
	v_lshrrev_b32_e32 v46, 16, v23
	v_min3_f16 v46, v22, v23, v46
	v_lshl_add_u64 v[22:23], v[36:37], 1, v[20:21]
	global_store_short v[22:23], v46, off
	v_mov_b32_e32 v22, 0
	v_mov_b32_e32 v23, 0
	s_cbranch_vccnz .LBB209_116
; %bb.115:
	v_lshl_add_u64 v[46:47], v[44:45], 1, v[16:17]
	flat_load_ushort v23, v[46:47]
	s_waitcnt vmcnt(0) lgkmcnt(0)
	v_mul_f16_e32 v23, s24, v23
.LBB209_116:
	v_pk_add_f16 v46, v6, v18
	v_pk_max_f16 v47, v79, v79
	s_and_b64 vcc, exec, s[0:1]
	v_pk_min_f16 v46, v47, v46
	v_pk_add_f16 v47, v7, v19
	s_nop 0
	v_pk_min_f16 v46, v46, v47
	s_nop 0
	;; [unrolled: 40-line block ×3, first 2 shown]
	v_lshrrev_b32_e32 v47, 16, v46
	v_min3_f16 v23, v23, v46, v47
	v_lshl_add_u64 v[46:47], v[40:41], 1, v[20:21]
	global_store_short v[46:47], v23, off
	s_cbranch_vccnz .LBB209_122
; %bb.121:
	v_lshl_add_u64 v[16:17], v[38:39], 1, v[16:17]
	flat_load_ushort v16, v[16:17]
	s_waitcnt vmcnt(0) lgkmcnt(0)
	v_mul_f16_e32 v22, s24, v16
.LBB209_122:
	v_pk_add_f16 v16, v24, v18
	v_pk_max_f16 v17, v76, v76
	s_and_b64 vcc, exec, s[0:1]
	v_pk_min_f16 v16, v17, v16
	v_pk_add_f16 v17, v25, v19
	s_nop 0
	v_pk_min_f16 v16, v16, v17
	s_nop 0
	v_lshrrev_b32_e32 v17, 16, v16
	v_min3_f16 v18, v22, v16, v17
	v_lshl_add_u64 v[16:17], v[38:39], 1, v[20:21]
	global_store_short v[16:17], v18, off
	v_add_u32_e32 v18, 40, v115
	v_mad_i64_i32 v[16:17], s[4:5], v18, s6, 0
	v_lshl_add_u64 v[16:17], v[16:17], 1, s[10:11]
	v_mov_b32_e32 v20, 0
	v_mov_b32_e32 v21, 0
	s_cbranch_vccnz .LBB209_124
; %bb.123:
	v_lshl_add_u64 v[22:23], v[28:29], 1, v[16:17]
	flat_load_ushort v19, v[22:23]
	s_waitcnt vmcnt(0) lgkmcnt(0)
	v_mul_f16_e32 v21, s24, v19
.LBB209_124:
	v_pk_add_f16 v19, v30, v12
	v_pk_max_f16 v22, v75, v75
	s_and_b64 vcc, exec, s[0:1]
	v_pk_min_f16 v19, v22, v19
	v_pk_add_f16 v22, v31, v13
	s_nop 0
	v_pk_min_f16 v22, v19, v22
	v_mad_i64_i32 v[18:19], s[4:5], v18, s7, 0
	v_lshl_add_u64 v[18:19], v[18:19], 1, s[2:3]
	v_lshrrev_b32_e32 v23, 16, v22
	v_min3_f16 v21, v21, v22, v23
	v_lshl_add_u64 v[22:23], v[28:29], 1, v[18:19]
	global_store_short v[22:23], v21, off
	s_cbranch_vccnz .LBB209_126
; %bb.125:
	v_lshl_add_u64 v[20:21], v[32:33], 1, v[16:17]
	flat_load_ushort v20, v[20:21]
	s_waitcnt vmcnt(0) lgkmcnt(0)
	v_mul_f16_e32 v20, s24, v20
.LBB209_126:
	v_pk_add_f16 v21, v8, v12
	v_pk_max_f16 v22, v74, v74
	s_and_b64 vcc, exec, s[0:1]
	v_pk_min_f16 v21, v22, v21
	v_pk_add_f16 v22, v9, v13
	s_nop 0
	v_pk_min_f16 v21, v21, v22
	s_nop 0
	v_lshrrev_b32_e32 v22, 16, v21
	v_min3_f16 v22, v20, v21, v22
	v_lshl_add_u64 v[20:21], v[32:33], 1, v[18:19]
	global_store_short v[20:21], v22, off
	v_mov_b32_e32 v20, 0
	v_mov_b32_e32 v21, 0
	s_cbranch_vccnz .LBB209_128
; %bb.127:
	v_lshl_add_u64 v[22:23], v[34:35], 1, v[16:17]
	flat_load_ushort v21, v[22:23]
	s_waitcnt vmcnt(0) lgkmcnt(0)
	v_mul_f16_e32 v21, s24, v21
.LBB209_128:
	v_pk_add_f16 v22, v10, v12
	v_pk_max_f16 v23, v73, v73
	s_and_b64 vcc, exec, s[0:1]
	v_pk_min_f16 v22, v23, v22
	v_pk_add_f16 v23, v11, v13
	s_nop 0
	v_pk_min_f16 v22, v22, v23
	s_nop 0
	v_lshrrev_b32_e32 v23, 16, v22
	v_min3_f16 v21, v21, v22, v23
	v_lshl_add_u64 v[22:23], v[34:35], 1, v[18:19]
	global_store_short v[22:23], v21, off
	s_cbranch_vccnz .LBB209_130
; %bb.129:
	v_lshl_add_u64 v[20:21], v[36:37], 1, v[16:17]
	flat_load_ushort v20, v[20:21]
	s_waitcnt vmcnt(0) lgkmcnt(0)
	v_mul_f16_e32 v20, s24, v20
.LBB209_130:
	v_pk_add_f16 v21, v4, v12
	v_pk_max_f16 v22, v72, v72
	s_and_b64 vcc, exec, s[0:1]
	v_pk_min_f16 v21, v22, v21
	v_pk_add_f16 v22, v5, v13
	s_nop 0
	v_pk_min_f16 v21, v21, v22
	s_nop 0
	v_lshrrev_b32_e32 v22, 16, v21
	v_min3_f16 v22, v20, v21, v22
	v_lshl_add_u64 v[20:21], v[36:37], 1, v[18:19]
	global_store_short v[20:21], v22, off
	v_mov_b32_e32 v20, 0
	v_mov_b32_e32 v21, 0
	s_cbranch_vccnz .LBB209_132
; %bb.131:
	v_lshl_add_u64 v[22:23], v[44:45], 1, v[16:17]
	flat_load_ushort v21, v[22:23]
	s_waitcnt vmcnt(0) lgkmcnt(0)
	v_mul_f16_e32 v21, s24, v21
.LBB209_132:
	v_pk_add_f16 v22, v6, v12
	v_pk_max_f16 v23, v71, v71
	s_and_b64 vcc, exec, s[0:1]
	v_pk_min_f16 v22, v23, v22
	v_pk_add_f16 v23, v7, v13
	s_nop 0
	v_pk_min_f16 v22, v22, v23
	s_nop 0
	;; [unrolled: 40-line block ×3, first 2 shown]
	v_lshrrev_b32_e32 v23, 16, v22
	v_min3_f16 v21, v21, v22, v23
	v_lshl_add_u64 v[22:23], v[40:41], 1, v[18:19]
	global_store_short v[22:23], v21, off
	s_cbranch_vccnz .LBB209_138
; %bb.137:
	v_lshl_add_u64 v[16:17], v[38:39], 1, v[16:17]
	flat_load_ushort v16, v[16:17]
	s_waitcnt vmcnt(0) lgkmcnt(0)
	v_mul_f16_e32 v20, s24, v16
.LBB209_138:
	v_pk_add_f16 v12, v24, v12
	v_pk_max_f16 v16, v68, v68
	v_pk_add_f16 v13, v25, v13
	v_pk_min_f16 v12, v16, v12
	s_and_b64 vcc, exec, s[0:1]
	v_pk_min_f16 v12, v12, v13
	s_nop 0
	v_lshrrev_b32_e32 v13, 16, v12
	v_min3_f16 v16, v20, v12, v13
	v_lshl_add_u64 v[12:13], v[38:39], 1, v[18:19]
	global_store_short v[12:13], v16, off
	v_add_u32_e32 v16, 48, v115
	v_mad_i64_i32 v[12:13], s[4:5], v16, s6, 0
	v_lshl_add_u64 v[12:13], v[12:13], 1, s[10:11]
	v_mov_b32_e32 v18, 0
	v_mov_b32_e32 v19, 0
	s_cbranch_vccnz .LBB209_140
; %bb.139:
	v_lshl_add_u64 v[20:21], v[28:29], 1, v[12:13]
	flat_load_ushort v17, v[20:21]
	s_waitcnt vmcnt(0) lgkmcnt(0)
	v_mul_f16_e32 v19, s24, v17
.LBB209_140:
	v_pk_add_f16 v17, v30, v14
	v_pk_max_f16 v20, v66, v66
	s_and_b64 vcc, exec, s[0:1]
	v_pk_min_f16 v17, v20, v17
	v_pk_add_f16 v20, v31, v15
	s_nop 0
	v_pk_min_f16 v20, v17, v20
	v_mad_i64_i32 v[16:17], s[4:5], v16, s7, 0
	v_lshl_add_u64 v[16:17], v[16:17], 1, s[2:3]
	v_lshrrev_b32_e32 v21, 16, v20
	v_min3_f16 v19, v19, v20, v21
	v_lshl_add_u64 v[20:21], v[28:29], 1, v[16:17]
	global_store_short v[20:21], v19, off
	s_cbranch_vccnz .LBB209_142
; %bb.141:
	v_lshl_add_u64 v[18:19], v[32:33], 1, v[12:13]
	flat_load_ushort v18, v[18:19]
	s_waitcnt vmcnt(0) lgkmcnt(0)
	v_mul_f16_e32 v18, s24, v18
.LBB209_142:
	v_pk_add_f16 v19, v8, v14
	v_pk_max_f16 v20, v65, v65
	s_and_b64 vcc, exec, s[0:1]
	v_pk_min_f16 v19, v20, v19
	v_pk_add_f16 v20, v9, v15
	s_nop 0
	v_pk_min_f16 v19, v19, v20
	s_nop 0
	v_lshrrev_b32_e32 v20, 16, v19
	v_min3_f16 v20, v18, v19, v20
	v_lshl_add_u64 v[18:19], v[32:33], 1, v[16:17]
	global_store_short v[18:19], v20, off
	v_mov_b32_e32 v18, 0
	v_mov_b32_e32 v19, 0
	s_cbranch_vccnz .LBB209_144
; %bb.143:
	v_lshl_add_u64 v[20:21], v[34:35], 1, v[12:13]
	flat_load_ushort v19, v[20:21]
	s_waitcnt vmcnt(0) lgkmcnt(0)
	v_mul_f16_e32 v19, s24, v19
.LBB209_144:
	v_pk_add_f16 v20, v10, v14
	v_pk_max_f16 v21, v64, v64
	s_and_b64 vcc, exec, s[0:1]
	v_pk_min_f16 v20, v21, v20
	v_pk_add_f16 v21, v11, v15
	s_nop 0
	v_pk_min_f16 v20, v20, v21
	s_nop 0
	v_lshrrev_b32_e32 v21, 16, v20
	v_min3_f16 v19, v19, v20, v21
	v_lshl_add_u64 v[20:21], v[34:35], 1, v[16:17]
	global_store_short v[20:21], v19, off
	s_cbranch_vccnz .LBB209_146
; %bb.145:
	v_lshl_add_u64 v[18:19], v[36:37], 1, v[12:13]
	flat_load_ushort v18, v[18:19]
	s_waitcnt vmcnt(0) lgkmcnt(0)
	v_mul_f16_e32 v18, s24, v18
.LBB209_146:
	v_pk_add_f16 v19, v4, v14
	v_pk_max_f16 v20, v63, v63
	s_and_b64 vcc, exec, s[0:1]
	v_pk_min_f16 v19, v20, v19
	v_pk_add_f16 v20, v5, v15
	s_nop 0
	v_pk_min_f16 v19, v19, v20
	s_nop 0
	v_lshrrev_b32_e32 v20, 16, v19
	v_min3_f16 v20, v18, v19, v20
	v_lshl_add_u64 v[18:19], v[36:37], 1, v[16:17]
	global_store_short v[18:19], v20, off
	v_mov_b32_e32 v18, 0
	v_mov_b32_e32 v19, 0
	s_cbranch_vccnz .LBB209_148
; %bb.147:
	v_lshl_add_u64 v[20:21], v[44:45], 1, v[12:13]
	flat_load_ushort v19, v[20:21]
	s_waitcnt vmcnt(0) lgkmcnt(0)
	v_mul_f16_e32 v19, s24, v19
.LBB209_148:
	v_pk_add_f16 v20, v6, v14
	v_pk_max_f16 v21, v62, v62
	s_and_b64 vcc, exec, s[0:1]
	v_pk_min_f16 v20, v21, v20
	v_pk_add_f16 v21, v7, v15
	s_nop 0
	v_pk_min_f16 v20, v20, v21
	s_nop 0
	;; [unrolled: 40-line block ×3, first 2 shown]
	v_lshrrev_b32_e32 v21, 16, v20
	v_min3_f16 v19, v19, v20, v21
	v_lshl_add_u64 v[20:21], v[40:41], 1, v[16:17]
	global_store_short v[20:21], v19, off
	s_cbranch_vccnz .LBB209_154
; %bb.153:
	v_lshl_add_u64 v[12:13], v[38:39], 1, v[12:13]
	flat_load_ushort v12, v[12:13]
	s_waitcnt vmcnt(0) lgkmcnt(0)
	v_mul_f16_e32 v18, s24, v12
.LBB209_154:
	v_pk_add_f16 v12, v24, v14
	v_pk_max_f16 v13, v58, v58
	s_and_b64 vcc, exec, s[0:1]
	v_pk_min_f16 v12, v13, v12
	v_pk_add_f16 v13, v25, v15
	s_nop 0
	v_pk_min_f16 v12, v12, v13
	s_nop 0
	v_lshrrev_b32_e32 v13, 16, v12
	v_min3_f16 v14, v18, v12, v13
	v_lshl_add_u64 v[12:13], v[38:39], 1, v[16:17]
	global_store_short v[12:13], v14, off
	v_add_u32_e32 v14, 56, v115
	v_mad_i64_i32 v[12:13], s[4:5], v14, s6, 0
	v_lshl_add_u64 v[12:13], v[12:13], 1, s[10:11]
	v_mov_b32_e32 v16, 0
	v_mov_b32_e32 v17, 0
	s_cbranch_vccnz .LBB209_156
; %bb.155:
	v_lshl_add_u64 v[18:19], v[28:29], 1, v[12:13]
	flat_load_ushort v15, v[18:19]
	s_waitcnt vmcnt(0) lgkmcnt(0)
	v_mul_f16_e32 v17, s24, v15
.LBB209_156:
	v_pk_add_f16 v15, v30, v26
	v_pk_max_f16 v18, v59, v59
	s_and_b64 vcc, exec, s[0:1]
	v_pk_min_f16 v15, v18, v15
	v_pk_add_f16 v18, v31, v27
	s_nop 0
	v_pk_min_f16 v18, v15, v18
	v_mad_i64_i32 v[14:15], s[4:5], v14, s7, 0
	v_lshl_add_u64 v[14:15], v[14:15], 1, s[2:3]
	v_lshrrev_b32_e32 v19, 16, v18
	v_min3_f16 v17, v17, v18, v19
	v_lshl_add_u64 v[18:19], v[28:29], 1, v[14:15]
	global_store_short v[18:19], v17, off
	s_cbranch_vccnz .LBB209_158
; %bb.157:
	v_lshl_add_u64 v[16:17], v[32:33], 1, v[12:13]
	flat_load_ushort v16, v[16:17]
	s_waitcnt vmcnt(0) lgkmcnt(0)
	v_mul_f16_e32 v16, s24, v16
.LBB209_158:
	v_pk_add_f16 v8, v8, v26
	v_pk_max_f16 v17, v57, v57
	v_pk_add_f16 v9, v9, v27
	v_pk_min_f16 v8, v17, v8
	s_and_b64 vcc, exec, s[0:1]
	v_pk_min_f16 v8, v8, v9
	s_nop 0
	v_lshrrev_b32_e32 v9, 16, v8
	v_min3_f16 v16, v16, v8, v9
	v_lshl_add_u64 v[8:9], v[32:33], 1, v[14:15]
	global_store_short v[8:9], v16, off
	v_mov_b32_e32 v8, 0
	v_mov_b32_e32 v9, 0
	s_cbranch_vccnz .LBB209_160
; %bb.159:
	v_lshl_add_u64 v[16:17], v[34:35], 1, v[12:13]
	flat_load_ushort v9, v[16:17]
	s_waitcnt vmcnt(0) lgkmcnt(0)
	v_mul_f16_e32 v9, s24, v9
.LBB209_160:
	v_pk_add_f16 v10, v10, v26
	v_pk_max_f16 v16, v56, v56
	v_pk_add_f16 v11, v11, v27
	v_pk_min_f16 v10, v16, v10
	s_and_b64 vcc, exec, s[0:1]
	v_pk_min_f16 v10, v10, v11
	s_nop 0
	v_lshrrev_b32_e32 v11, 16, v10
	v_min3_f16 v9, v9, v10, v11
	v_lshl_add_u64 v[10:11], v[34:35], 1, v[14:15]
	global_store_short v[10:11], v9, off
	s_cbranch_vccnz .LBB209_162
; %bb.161:
	v_lshl_add_u64 v[8:9], v[36:37], 1, v[12:13]
	flat_load_ushort v8, v[8:9]
	s_waitcnt vmcnt(0) lgkmcnt(0)
	v_mul_f16_e32 v8, s24, v8
.LBB209_162:
	v_pk_add_f16 v4, v4, v26
	v_pk_max_f16 v9, v55, v55
	v_pk_add_f16 v5, v5, v27
	v_pk_min_f16 v4, v9, v4
	s_and_b64 vcc, exec, s[0:1]
	v_pk_min_f16 v4, v4, v5
	s_nop 0
	v_lshrrev_b32_e32 v5, 16, v4
	v_min3_f16 v8, v8, v4, v5
	v_lshl_add_u64 v[4:5], v[36:37], 1, v[14:15]
	global_store_short v[4:5], v8, off
	v_mov_b32_e32 v4, 0
	v_mov_b32_e32 v5, 0
	s_cbranch_vccnz .LBB209_164
; %bb.163:
	v_lshl_add_u64 v[8:9], v[44:45], 1, v[12:13]
	flat_load_ushort v5, v[8:9]
	s_waitcnt vmcnt(0) lgkmcnt(0)
	v_mul_f16_e32 v5, s24, v5
.LBB209_164:
	v_pk_add_f16 v6, v6, v26
	v_pk_max_f16 v8, v54, v54
	v_pk_add_f16 v7, v7, v27
	v_pk_min_f16 v6, v8, v6
	s_and_b64 vcc, exec, s[0:1]
	v_pk_min_f16 v6, v6, v7
	s_nop 0
	v_lshrrev_b32_e32 v7, 16, v6
	v_min3_f16 v5, v5, v6, v7
	v_lshl_add_u64 v[6:7], v[44:45], 1, v[14:15]
	global_store_short v[6:7], v5, off
	s_cbranch_vccnz .LBB209_166
; %bb.165:
	v_lshl_add_u64 v[4:5], v[42:43], 1, v[12:13]
	flat_load_ushort v4, v[4:5]
	s_waitcnt vmcnt(0) lgkmcnt(0)
	v_mul_f16_e32 v4, s24, v4
.LBB209_166:
	v_pk_add_f16 v0, v0, v26
	v_pk_max_f16 v5, v52, v52
	v_pk_add_f16 v2, v2, v26
	v_pk_min_f16 v0, v5, v0
	v_pk_max_f16 v5, v53, v53
	v_pk_add_f16 v1, v1, v27
	v_pk_min_f16 v2, v5, v2
	v_pk_min_f16 v0, v0, v1
	v_pk_add_f16 v1, v3, v27
	s_mov_b64 vcc, s[8:9]
	v_pk_min_f16 v2, v2, v1
	v_lshrrev_b32_e32 v1, 16, v0
	v_min3_f16 v3, v4, v0, v1
	v_lshl_add_u64 v[0:1], v[42:43], 1, v[14:15]
	global_store_short v[0:1], v3, off
	v_min_f16_sdwa v0, v2, v2 dst_sel:DWORD dst_unused:UNUSED_PAD src0_sel:DWORD src1_sel:WORD_1
	v_max_f16_e32 v0, v0, v0
	s_cbranch_vccz .LBB209_169
; %bb.167:
	v_min_f16_e32 v1, 0, v0
	v_lshl_add_u64 v[2:3], v[40:41], 1, v[14:15]
	s_mov_b32 s2, 0
	global_store_short v[2:3], v1, off
	s_cbranch_execz .LBB209_170
; %bb.168:
	v_mov_b32_e32 v0, s2
	s_branch .LBB209_171
.LBB209_169:
                                        ; implicit-def: $sgpr2
.LBB209_170:
	v_lshlrev_b64 v[2:3], 1, v[40:41]
	v_lshl_add_u64 v[4:5], v[12:13], 0, v[2:3]
	flat_load_ushort v1, v[4:5]
	v_lshl_add_u64 v[2:3], v[14:15], 0, v[2:3]
	s_waitcnt vmcnt(0) lgkmcnt(0)
	v_mul_f16_e32 v1, s24, v1
	v_min_f16_e32 v0, v1, v0
	global_store_short v[2:3], v0, off
	v_lshl_add_u64 v[0:1], v[38:39], 1, v[12:13]
	flat_load_ushort v0, v[0:1]
	s_waitcnt vmcnt(0) lgkmcnt(0)
	v_mul_f16_e32 v0, s24, v0
.LBB209_171:
	v_pk_add_f16 v1, v24, v26
	v_pk_max_f16 v2, v67, v67
	s_nop 0
	v_pk_min_f16 v1, v2, v1
	v_pk_add_f16 v2, v25, v27
	s_nop 0
	v_pk_min_f16 v1, v1, v2
	s_nop 0
	v_lshrrev_b32_e32 v2, 16, v1
	v_min3_f16 v2, v0, v1, v2
	v_lshl_add_u64 v[0:1], v[38:39], 1, v[14:15]
	global_store_short v[0:1], v2, off
	s_endpgm
	.section	.rodata,"a",@progbits
	.p2align	6, 0x0
	.amdhsa_kernel _ZN12_GLOBAL__N_120geam_min_plus_kernelIDF16_Dv2_DF16_S1_Li32ELi8ELi256ELi64ELi4ELi64ELi4ELi4ELi64ELc78ELc78ELb0ELb0ELb1EDF16_KPKDF16_KPDF16_EEviiiT16_PT17_ilS9_ilS7_S9_ilPT18_ili26rocblas_geam_ex_operation_
		.amdhsa_group_segment_fixed_size 5120
		.amdhsa_private_segment_fixed_size 0
		.amdhsa_kernarg_size 128
		.amdhsa_user_sgpr_count 2
		.amdhsa_user_sgpr_dispatch_ptr 0
		.amdhsa_user_sgpr_queue_ptr 0
		.amdhsa_user_sgpr_kernarg_segment_ptr 1
		.amdhsa_user_sgpr_dispatch_id 0
		.amdhsa_user_sgpr_kernarg_preload_length 0
		.amdhsa_user_sgpr_kernarg_preload_offset 0
		.amdhsa_user_sgpr_private_segment_size 0
		.amdhsa_uses_dynamic_stack 0
		.amdhsa_enable_private_segment 0
		.amdhsa_system_sgpr_workgroup_id_x 1
		.amdhsa_system_sgpr_workgroup_id_y 0
		.amdhsa_system_sgpr_workgroup_id_z 1
		.amdhsa_system_sgpr_workgroup_info 0
		.amdhsa_system_vgpr_workitem_id 1
		.amdhsa_next_free_vgpr 164
		.amdhsa_next_free_sgpr 28
		.amdhsa_accum_offset 164
		.amdhsa_reserve_vcc 1
		.amdhsa_float_round_mode_32 0
		.amdhsa_float_round_mode_16_64 0
		.amdhsa_float_denorm_mode_32 3
		.amdhsa_float_denorm_mode_16_64 3
		.amdhsa_dx10_clamp 1
		.amdhsa_ieee_mode 1
		.amdhsa_fp16_overflow 0
		.amdhsa_tg_split 0
		.amdhsa_exception_fp_ieee_invalid_op 0
		.amdhsa_exception_fp_denorm_src 0
		.amdhsa_exception_fp_ieee_div_zero 0
		.amdhsa_exception_fp_ieee_overflow 0
		.amdhsa_exception_fp_ieee_underflow 0
		.amdhsa_exception_fp_ieee_inexact 0
		.amdhsa_exception_int_div_zero 0
	.end_amdhsa_kernel
	.section	.text._ZN12_GLOBAL__N_120geam_min_plus_kernelIDF16_Dv2_DF16_S1_Li32ELi8ELi256ELi64ELi4ELi64ELi4ELi4ELi64ELc78ELc78ELb0ELb0ELb1EDF16_KPKDF16_KPDF16_EEviiiT16_PT17_ilS9_ilS7_S9_ilPT18_ili26rocblas_geam_ex_operation_,"axG",@progbits,_ZN12_GLOBAL__N_120geam_min_plus_kernelIDF16_Dv2_DF16_S1_Li32ELi8ELi256ELi64ELi4ELi64ELi4ELi4ELi64ELc78ELc78ELb0ELb0ELb1EDF16_KPKDF16_KPDF16_EEviiiT16_PT17_ilS9_ilS7_S9_ilPT18_ili26rocblas_geam_ex_operation_,comdat
.Lfunc_end209:
	.size	_ZN12_GLOBAL__N_120geam_min_plus_kernelIDF16_Dv2_DF16_S1_Li32ELi8ELi256ELi64ELi4ELi64ELi4ELi4ELi64ELc78ELc78ELb0ELb0ELb1EDF16_KPKDF16_KPDF16_EEviiiT16_PT17_ilS9_ilS7_S9_ilPT18_ili26rocblas_geam_ex_operation_, .Lfunc_end209-_ZN12_GLOBAL__N_120geam_min_plus_kernelIDF16_Dv2_DF16_S1_Li32ELi8ELi256ELi64ELi4ELi64ELi4ELi4ELi64ELc78ELc78ELb0ELb0ELb1EDF16_KPKDF16_KPDF16_EEviiiT16_PT17_ilS9_ilS7_S9_ilPT18_ili26rocblas_geam_ex_operation_
                                        ; -- End function
	.section	.AMDGPU.csdata,"",@progbits
; Kernel info:
; codeLenInByte = 17144
; NumSgprs: 34
; NumVgprs: 164
; NumAgprs: 0
; TotalNumVgprs: 164
; ScratchSize: 0
; MemoryBound: 0
; FloatMode: 240
; IeeeMode: 1
; LDSByteSize: 5120 bytes/workgroup (compile time only)
; SGPRBlocks: 4
; VGPRBlocks: 20
; NumSGPRsForWavesPerEU: 34
; NumVGPRsForWavesPerEU: 164
; AccumOffset: 164
; Occupancy: 3
; WaveLimiterHint : 1
; COMPUTE_PGM_RSRC2:SCRATCH_EN: 0
; COMPUTE_PGM_RSRC2:USER_SGPR: 2
; COMPUTE_PGM_RSRC2:TRAP_HANDLER: 0
; COMPUTE_PGM_RSRC2:TGID_X_EN: 1
; COMPUTE_PGM_RSRC2:TGID_Y_EN: 0
; COMPUTE_PGM_RSRC2:TGID_Z_EN: 1
; COMPUTE_PGM_RSRC2:TIDIG_COMP_CNT: 1
; COMPUTE_PGM_RSRC3_GFX90A:ACCUM_OFFSET: 40
; COMPUTE_PGM_RSRC3_GFX90A:TG_SPLIT: 0
	.section	.text._ZN12_GLOBAL__N_120geam_min_plus_kernelIDF16_Dv2_DF16_S1_Li32ELi8ELi256ELi64ELi4ELi64ELi4ELi4ELi64ELc78ELc78ELb0ELb1ELb1EPKDF16_KS3_KPDF16_EEviiiT16_PT17_ilS9_ilS7_S9_ilPT18_ili26rocblas_geam_ex_operation_,"axG",@progbits,_ZN12_GLOBAL__N_120geam_min_plus_kernelIDF16_Dv2_DF16_S1_Li32ELi8ELi256ELi64ELi4ELi64ELi4ELi4ELi64ELc78ELc78ELb0ELb1ELb1EPKDF16_KS3_KPDF16_EEviiiT16_PT17_ilS9_ilS7_S9_ilPT18_ili26rocblas_geam_ex_operation_,comdat
	.globl	_ZN12_GLOBAL__N_120geam_min_plus_kernelIDF16_Dv2_DF16_S1_Li32ELi8ELi256ELi64ELi4ELi64ELi4ELi4ELi64ELc78ELc78ELb0ELb1ELb1EPKDF16_KS3_KPDF16_EEviiiT16_PT17_ilS9_ilS7_S9_ilPT18_ili26rocblas_geam_ex_operation_ ; -- Begin function _ZN12_GLOBAL__N_120geam_min_plus_kernelIDF16_Dv2_DF16_S1_Li32ELi8ELi256ELi64ELi4ELi64ELi4ELi4ELi64ELc78ELc78ELb0ELb1ELb1EPKDF16_KS3_KPDF16_EEviiiT16_PT17_ilS9_ilS7_S9_ilPT18_ili26rocblas_geam_ex_operation_
	.p2align	8
	.type	_ZN12_GLOBAL__N_120geam_min_plus_kernelIDF16_Dv2_DF16_S1_Li32ELi8ELi256ELi64ELi4ELi64ELi4ELi4ELi64ELc78ELc78ELb0ELb1ELb1EPKDF16_KS3_KPDF16_EEviiiT16_PT17_ilS9_ilS7_S9_ilPT18_ili26rocblas_geam_ex_operation_,@function
_ZN12_GLOBAL__N_120geam_min_plus_kernelIDF16_Dv2_DF16_S1_Li32ELi8ELi256ELi64ELi4ELi64ELi4ELi4ELi64ELc78ELc78ELb0ELb1ELb1EPKDF16_KS3_KPDF16_EEviiiT16_PT17_ilS9_ilS7_S9_ilPT18_ili26rocblas_geam_ex_operation_: ; @_ZN12_GLOBAL__N_120geam_min_plus_kernelIDF16_Dv2_DF16_S1_Li32ELi8ELi256ELi64ELi4ELi64ELi4ELi4ELi64ELc78ELc78ELb0ELb1ELb1EPKDF16_KS3_KPDF16_EEviiiT16_PT17_ilS9_ilS7_S9_ilPT18_ili26rocblas_geam_ex_operation_
; %bb.0:
	s_load_dwordx4 s[4:7], s[0:1], 0x10
	s_load_dwordx4 s[8:11], s[0:1], 0x28
	;; [unrolled: 1-line block ×3, first 2 shown]
	s_load_dwordx2 s[20:21], s[0:1], 0x50
	s_mov_b32 s18, s3
	s_mov_b32 s19, 0
	s_lshl_b64 s[16:17], s[18:19], 1
	s_waitcnt lgkmcnt(0)
	s_add_u32 s4, s4, s16
	s_addc_u32 s5, s5, s17
	v_mov_b32_e32 v1, 0
	global_load_ushort v46, v1, s[4:5]
	s_add_u32 s4, s14, s16
	s_addc_u32 s5, s15, s17
	global_load_ushort v52, v1, s[4:5]
	s_mov_b64 s[28:29], 0
	s_mov_b64 s[26:27], 0
	s_waitcnt vmcnt(1)
	v_cmp_eq_f16_e32 vcc, 0, v46
	v_cmp_neq_f16_e64 s[4:5], 0, v46
	s_cbranch_vccnz .LBB210_2
; %bb.1:
	s_lshl_b64 s[14:15], s[18:19], 3
	s_add_u32 s6, s6, s14
	s_addc_u32 s7, s7, s15
	s_load_dwordx2 s[6:7], s[6:7], 0x0
	s_lshl_b64 s[8:9], s[8:9], 1
	s_waitcnt lgkmcnt(0)
	s_add_u32 s26, s6, s8
	s_addc_u32 s27, s7, s9
.LBB210_2:
	s_andn2_b64 vcc, exec, s[4:5]
	s_cbranch_vccnz .LBB210_4
; %bb.3:
	s_lshl_b64 s[4:5], s[18:19], 3
	s_add_u32 s4, s10, s4
	s_addc_u32 s5, s11, s5
	s_load_dwordx2 s[4:5], s[4:5], 0x0
	s_lshl_b64 s[6:7], s[12:13], 1
	s_waitcnt lgkmcnt(0)
	s_add_u32 s28, s4, s6
	s_addc_u32 s29, s5, s7
.LBB210_4:
	s_load_dwordx4 s[4:7], s[0:1], 0x60
	s_waitcnt vmcnt(0)
	v_cmp_eq_f16_e32 vcc, 0, v52
	v_cmp_neq_f16_e64 s[16:17], 0, v52
	s_cbranch_vccnz .LBB210_6
; %bb.5:
	s_lshl_b64 s[8:9], s[18:19], 3
	s_add_u32 s8, s20, s8
	s_addc_u32 s9, s21, s9
	s_load_dwordx2 s[8:9], s[8:9], 0x0
	s_waitcnt lgkmcnt(0)
	s_lshl_b64 s[4:5], s[4:5], 1
	s_add_u32 s24, s8, s4
	s_addc_u32 s25, s9, s5
	s_branch .LBB210_7
.LBB210_6:
	s_mov_b64 s[24:25], 0
.LBB210_7:
	s_load_dwordx4 s[20:23], s[0:1], 0x0
	s_waitcnt lgkmcnt(0)
	s_lshl_b64 s[4:5], s[18:19], 3
	s_add_u32 s4, s6, s4
	s_addc_u32 s5, s7, s5
	v_and_b32_e32 v44, 0x3ff, v0
	s_add_i32 s14, s20, -1
	s_ashr_i32 s3, s14, 31
	s_lshr_b32 s3, s3, 24
	s_add_i32 s3, s14, s3
	s_ashr_i32 s3, s3, 8
	s_add_i32 s6, s3, 1
	v_cvt_f32_u32_e32 v1, s6
	v_bfe_u32 v45, v0, 10, 10
	s_load_dwordx2 s[18:19], s[4:5], 0x0
	s_not_b32 s3, s3
	v_rcp_iflag_f32_e32 v1, v1
	s_load_dword s23, s[0:1], 0x20
	v_lshl_add_u32 v7, v45, 5, v44
	v_and_b32_e32 v2, 63, v7
	v_mul_f32_e32 v0, 0x4f7ffffe, v1
	v_cvt_u32_f32_e32 v0, v0
	v_lshrrev_b32_e32 v47, 6, v7
	v_cmp_le_i32_e64 s[12:13], s22, v47
	v_cmp_eq_f16_e32 vcc, 0, v46
	v_readfirstlane_b32 s4, v0
	s_mul_i32 s3, s3, s4
	s_mul_hi_u32 s3, s4, s3
	s_add_i32 s4, s4, s3
	s_mul_hi_u32 s3, s2, s4
	s_mul_i32 s4, s3, s6
	s_sub_i32 s4, s2, s4
	s_add_i32 s5, s3, 1
	s_sub_i32 s7, s4, s6
	s_cmp_ge_u32 s4, s6
	s_cselect_b32 s3, s5, s3
	s_cselect_b32 s4, s7, s4
	s_add_i32 s5, s3, 1
	s_cmp_ge_u32 s4, s6
	s_cselect_b32 s15, s5, s3
	s_mul_i32 s3, s15, s6
	s_sub_i32 s2, s2, s3
	s_lshl_b32 s30, s2, 8
	s_add_i32 s33, s22, -1
	v_or_b32_e32 v32, s30, v2
	v_min_i32_e32 v0, s33, v47
	s_waitcnt lgkmcnt(0)
	v_mad_i64_i32 v[0:1], s[2:3], s23, v0, 0
	v_cmp_le_i32_e64 s[4:5], s20, v32
	v_mov_b32_e32 v4, 0x7c00
	s_or_b64 s[2:3], s[4:5], s[12:13]
	v_cndmask_b32_e64 v3, 0, v4, s[2:3]
	s_or_b64 s[2:3], vcc, s[2:3]
	v_lshl_add_u64 v[0:1], v[0:1], 1, s[26:27]
	s_xor_b64 s[6:7], s[2:3], -1
	v_ashrrev_i32_e32 v33, 31, v32
	s_and_saveexec_b64 s[2:3], s[6:7]
	s_cbranch_execz .LBB210_9
; %bb.8:
	v_lshl_add_u64 v[8:9], v[32:33], 1, v[0:1]
	flat_load_ushort v3, v[8:9]
	s_waitcnt vmcnt(0) lgkmcnt(0)
	v_mul_f16_e32 v3, v46, v3
.LBB210_9:
	s_or_b64 exec, exec, s[2:3]
	v_or_b32_e32 v5, 64, v32
	v_cmp_le_i32_e64 s[6:7], s20, v5
	s_or_b64 s[2:3], s[6:7], s[12:13]
	v_min_i32_e32 v34, s14, v5
	v_cndmask_b32_e64 v4, 0, v4, s[2:3]
	s_or_b64 s[2:3], vcc, s[2:3]
	s_xor_b64 s[8:9], s[2:3], -1
	v_ashrrev_i32_e32 v35, 31, v34
	s_and_saveexec_b64 s[2:3], s[8:9]
	s_cbranch_execz .LBB210_11
; %bb.10:
	v_lshl_add_u64 v[4:5], v[34:35], 1, v[0:1]
	flat_load_ushort v4, v[4:5]
	s_waitcnt vmcnt(0) lgkmcnt(0)
	v_mul_f16_e32 v4, v46, v4
.LBB210_11:
	s_or_b64 exec, exec, s[2:3]
	v_or_b32_e32 v5, 0x80, v32
	v_cmp_le_i32_e64 s[8:9], s20, v5
	v_mov_b32_e32 v6, 0x7c00
	s_or_b64 s[2:3], s[8:9], s[12:13]
	v_min_i32_e32 v36, s14, v5
	v_cndmask_b32_e64 v5, 0, v6, s[2:3]
	s_or_b64 s[2:3], vcc, s[2:3]
	s_xor_b64 s[10:11], s[2:3], -1
	v_ashrrev_i32_e32 v37, 31, v36
	s_and_saveexec_b64 s[2:3], s[10:11]
	s_cbranch_execz .LBB210_13
; %bb.12:
	v_lshl_add_u64 v[8:9], v[36:37], 1, v[0:1]
	flat_load_ushort v5, v[8:9]
	s_waitcnt vmcnt(0) lgkmcnt(0)
	v_mul_f16_e32 v5, v46, v5
.LBB210_13:
	s_or_b64 exec, exec, s[2:3]
	v_or_b32_e32 v8, 0xc0, v32
	v_cmp_le_i32_e64 s[10:11], s20, v8
	s_or_b64 s[2:3], s[10:11], s[12:13]
	v_min_i32_e32 v38, s14, v8
	v_cndmask_b32_e64 v6, 0, v6, s[2:3]
	s_or_b64 s[2:3], vcc, s[2:3]
	s_xor_b64 s[12:13], s[2:3], -1
	v_ashrrev_i32_e32 v39, 31, v38
	s_and_saveexec_b64 s[2:3], s[12:13]
	s_cbranch_execz .LBB210_15
; %bb.14:
	v_lshl_add_u64 v[0:1], v[38:39], 1, v[0:1]
	flat_load_ushort v0, v[0:1]
	s_waitcnt vmcnt(0) lgkmcnt(0)
	v_mul_f16_e32 v6, v46, v0
.LBB210_15:
	s_or_b64 exec, exec, s[2:3]
	v_lshrrev_b32_e32 v7, 2, v7
	s_lshl_b32 s31, s15, 6
	s_load_dword s35, s[0:1], 0x38
	v_and_b32_e32 v50, 3, v44
	v_add_u32_e32 v41, s31, v7
	v_cmp_le_i32_e64 s[2:3], s22, v50
	v_cmp_le_i32_e64 s[12:13], s21, v41
	v_mov_b32_e32 v9, 0x7c00
	s_or_b64 s[2:3], s[2:3], s[12:13]
	v_cndmask_b32_e64 v8, 0, v9, s[2:3]
	s_or_b64 s[2:3], vcc, s[2:3]
	s_xor_b64 s[14:15], s[2:3], -1
	s_and_saveexec_b64 s[2:3], s[14:15]
	s_cbranch_execz .LBB210_17
; %bb.16:
	v_min_u32_e32 v8, s33, v50
	s_waitcnt lgkmcnt(0)
	v_mad_i64_i32 v[0:1], s[14:15], v41, s35, 0
	v_lshl_add_u64 v[0:1], v[0:1], 1, s[28:29]
	v_lshlrev_b32_e32 v10, 1, v8
	v_mov_b32_e32 v11, 0
	v_lshl_add_u64 v[0:1], v[0:1], 0, v[10:11]
	flat_load_ushort v0, v[0:1]
	s_waitcnt vmcnt(0) lgkmcnt(0)
	v_mul_f16_e32 v8, v46, v0
.LBB210_17:
	s_or_b64 exec, exec, s[2:3]
	v_add_u32_e32 v0, 4, v47
	v_cmp_le_i32_e64 s[14:15], s22, v0
	v_min_i32_e32 v0, s33, v0
	v_mad_i64_i32 v[0:1], s[2:3], s23, v0, 0
	s_or_b64 s[2:3], s[4:5], s[14:15]
	s_nop 0
	v_cndmask_b32_e64 v42, 0, v9, s[2:3]
	s_or_b64 s[2:3], vcc, s[2:3]
	v_lshl_add_u64 v[0:1], v[0:1], 1, s[26:27]
	s_xor_b64 s[36:37], s[2:3], -1
	s_and_saveexec_b64 s[2:3], s[36:37]
	s_cbranch_execz .LBB210_19
; %bb.18:
	v_lshl_add_u64 v[10:11], v[32:33], 1, v[0:1]
	flat_load_ushort v9, v[10:11]
	s_waitcnt vmcnt(0) lgkmcnt(0)
	v_mul_f16_e32 v42, v46, v9
.LBB210_19:
	s_or_b64 exec, exec, s[2:3]
	v_mov_b32_e32 v9, 0x7c00
	s_or_b64 s[2:3], s[6:7], s[14:15]
	v_cndmask_b32_e64 v43, 0, v9, s[2:3]
	s_or_b64 s[2:3], vcc, s[2:3]
	s_xor_b64 s[36:37], s[2:3], -1
	s_and_saveexec_b64 s[2:3], s[36:37]
	s_cbranch_execz .LBB210_21
; %bb.20:
	v_lshl_add_u64 v[10:11], v[34:35], 1, v[0:1]
	flat_load_ushort v10, v[10:11]
	s_waitcnt vmcnt(0) lgkmcnt(0)
	v_mul_f16_e32 v43, v46, v10
.LBB210_21:
	s_or_b64 exec, exec, s[2:3]
	s_or_b64 s[2:3], s[8:9], s[14:15]
	v_cndmask_b32_e64 v118, 0, v9, s[2:3]
	s_or_b64 s[2:3], vcc, s[2:3]
	s_xor_b64 s[36:37], s[2:3], -1
	s_and_saveexec_b64 s[2:3], s[36:37]
	s_cbranch_execz .LBB210_23
; %bb.22:
	v_lshl_add_u64 v[10:11], v[36:37], 1, v[0:1]
	flat_load_ushort v9, v[10:11]
	s_waitcnt vmcnt(0) lgkmcnt(0)
	v_mul_f16_e32 v118, v46, v9
.LBB210_23:
	s_or_b64 exec, exec, s[2:3]
	v_mov_b32_e32 v9, 0x7c00
	s_or_b64 s[2:3], s[10:11], s[14:15]
	v_cndmask_b32_e64 v119, 0, v9, s[2:3]
	s_or_b64 s[2:3], vcc, s[2:3]
	s_xor_b64 s[14:15], s[2:3], -1
	s_and_saveexec_b64 s[2:3], s[14:15]
	s_cbranch_execz .LBB210_25
; %bb.24:
	v_lshl_add_u64 v[0:1], v[38:39], 1, v[0:1]
	flat_load_ushort v0, v[0:1]
	s_waitcnt vmcnt(0) lgkmcnt(0)
	v_mul_f16_e32 v119, v46, v0
.LBB210_25:
	s_or_b64 exec, exec, s[2:3]
	v_or_b32_e32 v0, 4, v50
	v_cmp_le_i32_e64 s[2:3], s22, v0
	s_or_b64 s[2:3], s[2:3], s[12:13]
	s_movk_i32 s14, 0x7c00
	v_cndmask_b32_e64 v120, 0, v9, s[2:3]
	s_or_b64 s[2:3], vcc, s[2:3]
	s_xor_b64 s[36:37], s[2:3], -1
	s_and_saveexec_b64 s[2:3], s[36:37]
	s_cbranch_execz .LBB210_27
; %bb.26:
	v_min_u32_e32 v9, s33, v0
	s_waitcnt lgkmcnt(0)
	v_mad_i64_i32 v[0:1], s[36:37], v41, s35, 0
	v_lshl_add_u64 v[0:1], v[0:1], 1, s[28:29]
	v_lshlrev_b32_e32 v10, 1, v9
	v_mov_b32_e32 v11, 0
	v_lshl_add_u64 v[0:1], v[0:1], 0, v[10:11]
	flat_load_ushort v0, v[0:1]
	s_waitcnt vmcnt(0) lgkmcnt(0)
	v_mul_f16_e32 v120, v46, v0
.LBB210_27:
	s_or_b64 exec, exec, s[2:3]
	v_lshlrev_b32_e32 v0, 1, v47
	v_lshlrev_b32_e32 v40, 1, v50
	;; [unrolled: 1-line block ×3, first 2 shown]
	v_lshl_add_u32 v51, v2, 3, v0
	v_lshl_or_b32 v121, v7, 3, v40
	v_lshlrev_b32_e32 v48, 3, v44
	v_add_u32_e32 v94, 0x1000, v49
	ds_write_b16 v51, v3
	ds_write_b16 v51, v4 offset:512
	ds_write_b16 v51, v5 offset:1024
	;; [unrolled: 1-line block ×4, first 2 shown]
	s_waitcnt lgkmcnt(0)
	s_barrier
	ds_read2_b64 v[16:19], v48 offset1:32
	ds_read2_b64 v[12:15], v48 offset0:64 offset1:96
	ds_read2_b64 v[0:3], v48 offset0:128 offset1:160
	ds_read2_b64 v[28:31], v94 offset1:8
	ds_read2_b64 v[4:7], v48 offset0:192 offset1:224
	ds_read2_b64 v[24:27], v94 offset0:16 offset1:24
	;; [unrolled: 1-line block ×4, first 2 shown]
	s_cmp_lt_i32 s22, 9
	s_waitcnt lgkmcnt(4)
	v_pk_add_f16 v53, v16, v28
	v_pk_add_f16 v54, v18, v28
	s_waitcnt lgkmcnt(1)
	v_pk_add_f16 v83, v12, v20
	v_pk_min_f16 v53, v53, s14 op_sel_hi:[1,0]
	v_pk_min_f16 v122, v83, s14 op_sel_hi:[1,0]
	v_pk_add_f16 v83, v14, v20
	v_pk_add_f16 v55, v12, v28
	v_pk_min_f16 v123, v83, s14 op_sel_hi:[1,0]
	v_pk_add_f16 v83, v0, v20
	v_pk_add_f16 v56, v14, v28
	;; [unrolled: 3-line block ×11, first 2 shown]
	v_pk_min_f16 v133, v83, s14 op_sel_hi:[1,0]
	s_waitcnt lgkmcnt(0)
	v_pk_add_f16 v83, v16, v8
	v_pk_add_f16 v65, v2, v30
	v_pk_min_f16 v134, v83, s14 op_sel_hi:[1,0]
	v_pk_add_f16 v83, v18, v8
	v_pk_add_f16 v66, v4, v30
	v_pk_min_f16 v135, v83, s14 op_sel_hi:[1,0]
	v_pk_add_f16 v83, v12, v8
	v_pk_add_f16 v30, v6, v30
	v_pk_min_f16 v136, v83, s14 op_sel_hi:[1,0]
	v_pk_add_f16 v83, v14, v8
	v_pk_add_f16 v67, v16, v24
	v_pk_min_f16 v137, v83, s14 op_sel_hi:[1,0]
	v_pk_add_f16 v83, v0, v8
	v_pk_add_f16 v68, v18, v24
	v_pk_min_f16 v138, v83, s14 op_sel_hi:[1,0]
	v_pk_add_f16 v83, v2, v8
	v_pk_add_f16 v69, v12, v24
	;; [unrolled: 1-line block ×19, first 2 shown]
	v_pk_min_f16 v139, v83, s14 op_sel_hi:[1,0]
	v_pk_add_f16 v83, v4, v8
	v_pk_add_f16 v8, v6, v8
	;; [unrolled: 1-line block ×11, first 2 shown]
	v_pk_min_f16 v54, v54, s14 op_sel_hi:[1,0]
	v_pk_min_f16 v117, v53, v10
	v_pk_add_f16 v10, v19, v29
	v_pk_min_f16 v55, v55, s14 op_sel_hi:[1,0]
	v_pk_min_f16 v116, v54, v10
	v_pk_add_f16 v10, v13, v29
	;; [unrolled: 3-line block ×45, first 2 shown]
	ds_write_b16 v51, v42 offset:2048
	ds_write_b16 v51, v43 offset:2560
	;; [unrolled: 1-line block ×5, first 2 shown]
	v_pk_min_f16 v71, v132, v10
	v_pk_add_f16 v10, v5, v23
	s_waitcnt lgkmcnt(0)
	v_pk_min_f16 v70, v133, v10
	v_pk_add_f16 v10, v7, v23
	s_barrier
	v_pk_min_f16 v69, v22, v10
	v_pk_add_f16 v10, v17, v9
	s_nop 0
	v_pk_min_f16 v68, v134, v10
	v_pk_add_f16 v10, v19, v9
	s_nop 0
	;; [unrolled: 3-line block ×4, first 2 shown]
	v_pk_min_f16 v65, v137, v10
	v_pk_add_f16 v10, v1, v9
	v_pk_add_f16 v1, v1, v11
	v_pk_min_f16 v64, v138, v10
	v_pk_add_f16 v10, v3, v9
	v_pk_min_f16 v55, v0, v1
	v_pk_min_f16 v63, v139, v10
	v_pk_add_f16 v10, v5, v9
	v_pk_add_f16 v9, v7, v9
	;; [unrolled: 1-line block ×3, first 2 shown]
	v_pk_min_f16 v61, v8, v9
	v_pk_add_f16 v8, v17, v11
	v_pk_min_f16 v54, v2, v0
	v_pk_min_f16 v60, v16, v8
	v_pk_add_f16 v8, v19, v11
	v_pk_add_f16 v0, v5, v11
	v_pk_min_f16 v59, v18, v8
	v_pk_add_f16 v8, v13, v11
	v_pk_min_f16 v53, v4, v0
	v_pk_min_f16 v58, v12, v8
	v_pk_add_f16 v8, v15, v11
	v_pk_add_f16 v0, v7, v11
	v_pk_min_f16 v62, v140, v10
	v_pk_min_f16 v56, v14, v8
	;; [unrolled: 1-line block ×3, first 2 shown]
	s_cbranch_scc1 .LBB210_50
; %bb.28:
	v_mov_b32_e32 v0, 0x800
	v_add_u32_e32 v118, 0x1000, v121
	v_add_u32_e32 v120, 0x1200, v121
	v_lshl_add_u32 v121, v44, 3, v0
	v_mov_b32_e32 v0, 0x1200
	v_lshl_add_u32 v122, v45, 3, v0
	v_mad_i64_i32 v[0:1], s[2:3], s35, v41, 0
	v_mov_b32_e32 v41, 0
	v_lshl_add_u64 v[0:1], v[0:1], 1, v[40:41]
	v_lshl_add_u64 v[0:1], v[0:1], 0, s[28:29]
	v_add_u32_e32 v119, 0x800, v51
	s_add_i32 s34, s22, -8
	v_lshl_add_u64 v[40:41], v[0:1], 0, 24
	s_mov_b32 s28, 0
	v_mov_b32_e32 v123, 0x7c00
	s_branch .LBB210_30
.LBB210_29:                             ;   in Loop: Header=BB210_30 Depth=1
	s_or_b64 exec, exec, s[2:3]
	ds_read2_b64 v[8:11], v48 offset1:32
	ds_read2_b64 v[4:7], v48 offset0:64 offset1:96
	ds_read2_b64 v[0:3], v48 offset0:128 offset1:160
	ds_read2_b64 v[128:131], v94 offset1:8
	ds_read2_b64 v[12:15], v48 offset0:192 offset1:224
	ds_read2_b64 v[24:27], v94 offset0:16 offset1:24
	;; [unrolled: 1-line block ×4, first 2 shown]
	s_waitcnt lgkmcnt(4)
	v_pk_add_f16 v113, v8, v128
	v_pk_max_f16 v112, v112, v112
	v_pk_max_f16 v111, v111, v111
	v_pk_min_f16 v112, v112, v113
	v_pk_add_f16 v113, v10, v128
	v_pk_max_f16 v110, v110, v110
	v_pk_min_f16 v111, v111, v113
	v_pk_add_f16 v113, v4, v128
	;; [unrolled: 3-line block ×5, first 2 shown]
	v_pk_max_f16 v106, v106, v106
	v_pk_min_f16 v107, v107, v113
	s_waitcnt lgkmcnt(3)
	v_pk_add_f16 v113, v12, v128
	v_pk_max_f16 v105, v105, v105
	v_pk_min_f16 v106, v106, v113
	v_pk_add_f16 v113, v14, v128
	v_pk_max_f16 v104, v104, v104
	v_pk_min_f16 v105, v105, v113
	;; [unrolled: 3-line block ×10, first 2 shown]
	s_waitcnt lgkmcnt(2)
	v_pk_add_f16 v113, v8, v24
	v_pk_max_f16 v95, v95, v95
	v_pk_min_f16 v96, v96, v113
	v_pk_add_f16 v113, v10, v24
	v_pk_max_f16 v93, v93, v93
	v_pk_min_f16 v95, v95, v113
	;; [unrolled: 3-line block ×6, first 2 shown]
	v_pk_add_f16 v113, v12, v24
	v_pk_add_f16 v24, v14, v24
	v_pk_max_f16 v87, v87, v87
	v_pk_min_f16 v24, v88, v24
	v_pk_add_f16 v88, v8, v26
	v_pk_max_f16 v86, v86, v86
	v_pk_min_f16 v87, v87, v88
	;; [unrolled: 3-line block ×7, first 2 shown]
	v_pk_add_f16 v88, v12, v26
	v_pk_add_f16 v26, v14, v26
	v_pk_max_f16 v79, v79, v79
	v_pk_min_f16 v26, v80, v26
	s_waitcnt lgkmcnt(1)
	v_pk_add_f16 v80, v8, v20
	v_pk_max_f16 v78, v78, v78
	v_pk_min_f16 v79, v79, v80
	v_pk_add_f16 v80, v10, v20
	v_pk_max_f16 v77, v77, v77
	v_pk_min_f16 v78, v78, v80
	;; [unrolled: 3-line block ×6, first 2 shown]
	v_pk_add_f16 v80, v12, v20
	v_pk_add_f16 v20, v14, v20
	v_pk_max_f16 v71, v71, v71
	v_pk_min_f16 v20, v72, v20
	v_pk_add_f16 v72, v8, v22
	v_pk_max_f16 v70, v70, v70
	v_pk_min_f16 v71, v71, v72
	;; [unrolled: 3-line block ×7, first 2 shown]
	v_pk_add_f16 v72, v12, v22
	v_pk_add_f16 v22, v14, v22
	v_pk_max_f16 v63, v63, v63
	v_pk_min_f16 v22, v64, v22
	s_waitcnt lgkmcnt(0)
	v_pk_add_f16 v64, v8, v16
	v_pk_max_f16 v62, v62, v62
	v_pk_min_f16 v63, v63, v64
	v_pk_add_f16 v64, v10, v16
	v_pk_max_f16 v61, v61, v61
	v_pk_min_f16 v62, v62, v64
	;; [unrolled: 3-line block ×5, first 2 shown]
	v_pk_add_f16 v64, v2, v16
	v_pk_add_f16 v8, v8, v18
	v_pk_min_f16 v58, v58, v64
	v_pk_add_f16 v64, v12, v16
	v_pk_add_f16 v16, v14, v16
	;; [unrolled: 1-line block ×9, first 2 shown]
	v_pk_max_f16 v18, v29, v29
	v_pk_max_f16 v89, v89, v89
	v_pk_min_f16 v14, v18, v14
	v_pk_add_f16 v18, v9, v129
	v_pk_min_f16 v89, v89, v113
	v_pk_min_f16 v117, v112, v18
	v_pk_add_f16 v18, v11, v129
	v_pk_max_f16 v81, v81, v81
	v_pk_min_f16 v116, v111, v18
	v_pk_add_f16 v18, v5, v129
	v_pk_min_f16 v81, v81, v88
	v_pk_min_f16 v115, v110, v18
	v_pk_add_f16 v18, v7, v129
	;; [unrolled: 6-line block ×4, first 2 shown]
	v_pk_max_f16 v42, v42, v42
	v_pk_min_f16 v110, v105, v18
	v_pk_add_f16 v18, v9, v131
	v_pk_max_f16 v55, v55, v55
	v_pk_min_f16 v109, v104, v18
	v_pk_add_f16 v18, v11, v131
	v_pk_min_f16 v0, v42, v0
	v_pk_min_f16 v108, v103, v18
	v_pk_add_f16 v18, v5, v131
	v_pk_max_f16 v31, v31, v31
	v_pk_min_f16 v107, v102, v18
	v_pk_add_f16 v18, v7, v131
	v_pk_max_f16 v57, v57, v57
	v_pk_min_f16 v106, v101, v18
	v_pk_add_f16 v18, v1, v131
	v_pk_min_f16 v8, v55, v8
	v_pk_min_f16 v105, v100, v18
	v_pk_add_f16 v18, v3, v131
	;; [unrolled: 9-line block ×3, first 2 shown]
	v_pk_max_f16 v30, v30, v30
	v_pk_min_f16 v101, v96, v18
	v_pk_add_f16 v18, v11, v25
	v_pk_min_f16 v57, v57, v64
	v_pk_min_f16 v100, v95, v18
	v_pk_add_f16 v18, v5, v25
	v_pk_max_f16 v56, v56, v56
	v_pk_min_f16 v99, v93, v18
	v_pk_add_f16 v18, v7, v25
	v_pk_min_f16 v10, v54, v10
	v_pk_min_f16 v98, v92, v18
	v_pk_add_f16 v18, v1, v25
	v_pk_min_f16 v4, v53, v4
	v_pk_min_f16 v97, v91, v18
	v_pk_add_f16 v18, v3, v25
	v_pk_max_f16 v43, v43, v43
	v_pk_min_f16 v96, v90, v18
	v_pk_add_f16 v18, v13, v25
	v_pk_min_f16 v12, v30, v12
	v_pk_min_f16 v95, v89, v18
	v_pk_add_f16 v18, v15, v25
	v_pk_min_f16 v16, v56, v16
	;; [unrolled: 3-line block ×3, first 2 shown]
	v_pk_min_f16 v92, v87, v18
	v_pk_add_f16 v18, v11, v27
	s_add_i32 s28, s28, 8
	v_pk_min_f16 v91, v86, v18
	v_pk_add_f16 v18, v5, v27
	s_cmp_ge_i32 s28, s34
	v_pk_min_f16 v90, v85, v18
	v_pk_add_f16 v18, v7, v27
	v_lshl_add_u64 v[40:41], v[40:41], 0, 16
	v_pk_min_f16 v89, v84, v18
	v_pk_add_f16 v18, v1, v27
	ds_write_b16 v119, v124
	ds_write_b16 v119, v125 offset:512
	ds_write_b16 v119, v126 offset:1024
	;; [unrolled: 1-line block ×3, first 2 shown]
	ds_write_b16 v120, v28
	v_pk_min_f16 v88, v83, v18
	v_pk_add_f16 v18, v3, v27
	s_waitcnt lgkmcnt(0)
	v_pk_min_f16 v87, v82, v18
	v_pk_add_f16 v18, v13, v27
	s_barrier
	v_pk_min_f16 v86, v81, v18
	v_pk_add_f16 v18, v15, v27
	s_nop 0
	v_pk_min_f16 v85, v26, v18
	v_pk_add_f16 v18, v9, v21
	s_nop 0
	;; [unrolled: 3-line block ×17, first 2 shown]
	v_pk_min_f16 v69, v22, v18
	v_pk_add_f16 v18, v9, v17
	v_pk_add_f16 v9, v9, v19
	v_pk_min_f16 v68, v63, v18
	v_pk_add_f16 v18, v11, v17
	s_nop 0
	v_pk_min_f16 v67, v62, v18
	v_pk_add_f16 v18, v5, v17
	v_pk_add_f16 v5, v5, v19
	v_pk_min_f16 v66, v61, v18
	v_pk_add_f16 v18, v7, v17
	s_nop 0
	v_pk_min_f16 v65, v60, v18
	v_pk_add_f16 v18, v1, v17
	v_pk_add_f16 v1, v1, v19
	v_pk_min_f16 v64, v59, v18
	v_pk_min_f16 v55, v0, v1
	v_pk_add_f16 v0, v3, v19
	v_pk_add_f16 v18, v3, v17
	v_pk_min_f16 v54, v2, v0
	v_pk_add_f16 v0, v13, v19
	v_pk_min_f16 v63, v58, v18
	v_pk_add_f16 v18, v13, v17
	v_pk_add_f16 v17, v15, v17
	v_pk_min_f16 v60, v8, v9
	v_pk_add_f16 v8, v11, v19
	v_pk_min_f16 v58, v4, v5
	;; [unrolled: 2-line block ×4, first 2 shown]
	v_pk_min_f16 v61, v16, v17
	v_pk_min_f16 v59, v10, v8
	;; [unrolled: 1-line block ×4, first 2 shown]
	s_cbranch_scc1 .LBB210_50
.LBB210_30:                             ; =>This Inner Loop Header: Depth=1
	v_add_u32_e32 v42, s28, v47
	v_add_u32_e32 v0, 8, v42
	v_cmp_le_i32_e64 s[14:15], s22, v0
	v_min_i32_e32 v0, s33, v0
	v_mad_i64_i32 v[0:1], s[2:3], v0, s23, 0
	s_or_b64 s[2:3], s[4:5], s[14:15]
	s_nop 0
	v_cndmask_b32_e64 v43, 0, v123, s[2:3]
	s_or_b64 s[2:3], vcc, s[2:3]
	v_lshl_add_u64 v[0:1], v[0:1], 1, s[26:27]
	s_xor_b64 s[36:37], s[2:3], -1
	s_and_saveexec_b64 s[2:3], s[36:37]
	s_cbranch_execz .LBB210_32
; %bb.31:                               ;   in Loop: Header=BB210_30 Depth=1
	v_lshl_add_u64 v[2:3], v[32:33], 1, v[0:1]
	flat_load_ushort v2, v[2:3]
	s_waitcnt vmcnt(0) lgkmcnt(0)
	v_mul_f16_e32 v43, v46, v2
.LBB210_32:                             ;   in Loop: Header=BB210_30 Depth=1
	s_or_b64 exec, exec, s[2:3]
	s_or_b64 s[2:3], s[6:7], s[14:15]
	v_cndmask_b32_e64 v124, 0, v123, s[2:3]
	s_or_b64 s[2:3], vcc, s[2:3]
	s_xor_b64 s[36:37], s[2:3], -1
	s_and_saveexec_b64 s[2:3], s[36:37]
	s_cbranch_execz .LBB210_34
; %bb.33:                               ;   in Loop: Header=BB210_30 Depth=1
	v_lshl_add_u64 v[2:3], v[34:35], 1, v[0:1]
	flat_load_ushort v2, v[2:3]
	s_waitcnt vmcnt(0) lgkmcnt(0)
	v_mul_f16_e32 v124, v46, v2
.LBB210_34:                             ;   in Loop: Header=BB210_30 Depth=1
	s_or_b64 exec, exec, s[2:3]
	s_or_b64 s[2:3], s[8:9], s[14:15]
	v_cndmask_b32_e64 v125, 0, v123, s[2:3]
	s_or_b64 s[2:3], vcc, s[2:3]
	s_xor_b64 s[36:37], s[2:3], -1
	s_and_saveexec_b64 s[2:3], s[36:37]
	s_cbranch_execz .LBB210_36
; %bb.35:                               ;   in Loop: Header=BB210_30 Depth=1
	v_lshl_add_u64 v[2:3], v[36:37], 1, v[0:1]
	flat_load_ushort v2, v[2:3]
	s_waitcnt vmcnt(0) lgkmcnt(0)
	v_mul_f16_e32 v125, v46, v2
.LBB210_36:                             ;   in Loop: Header=BB210_30 Depth=1
	s_or_b64 exec, exec, s[2:3]
	s_or_b64 s[2:3], s[10:11], s[14:15]
	v_cndmask_b32_e64 v126, 0, v123, s[2:3]
	s_or_b64 s[2:3], vcc, s[2:3]
	s_xor_b64 s[14:15], s[2:3], -1
	s_and_saveexec_b64 s[2:3], s[14:15]
	s_cbranch_execz .LBB210_38
; %bb.37:                               ;   in Loop: Header=BB210_30 Depth=1
	v_lshl_add_u64 v[0:1], v[38:39], 1, v[0:1]
	flat_load_ushort v0, v[0:1]
	s_waitcnt vmcnt(0) lgkmcnt(0)
	v_mul_f16_e32 v126, v46, v0
.LBB210_38:                             ;   in Loop: Header=BB210_30 Depth=1
	s_or_b64 exec, exec, s[2:3]
	v_add_u32_e32 v128, s28, v50
	v_add_u32_e32 v0, 8, v128
	v_cmp_le_i32_e64 s[2:3], s22, v0
	s_or_b64 s[2:3], s[2:3], s[12:13]
	s_nop 0
	v_cndmask_b32_e64 v127, 0, v123, s[2:3]
	s_or_b64 s[2:3], vcc, s[2:3]
	s_xor_b64 s[2:3], s[2:3], -1
	s_and_saveexec_b64 s[14:15], s[2:3]
	s_cbranch_execz .LBB210_40
; %bb.39:                               ;   in Loop: Header=BB210_30 Depth=1
	v_add_co_u32_e64 v0, s[2:3], -8, v40
	s_nop 1
	v_addc_co_u32_e64 v1, s[2:3], -1, v41, s[2:3]
	flat_load_ushort v0, v[0:1]
	s_waitcnt vmcnt(0) lgkmcnt(0)
	v_mul_f16_e32 v127, v46, v0
.LBB210_40:                             ;   in Loop: Header=BB210_30 Depth=1
	s_or_b64 exec, exec, s[14:15]
	ds_read2_b64 v[12:15], v121 offset1:32
	ds_read2_b64 v[8:11], v121 offset0:64 offset1:96
	ds_read2_b64 v[4:7], v121 offset0:128 offset1:160
	;; [unrolled: 1-line block ×3, first 2 shown]
	ds_read2_b64 v[28:31], v122 offset1:8
	ds_read2_b64 v[24:27], v122 offset0:16 offset1:24
	ds_read2_b64 v[20:23], v122 offset0:32 offset1:40
	;; [unrolled: 1-line block ×3, first 2 shown]
	v_add_u32_e32 v42, 12, v42
	v_cmp_le_i32_e64 s[14:15], s22, v42
	v_min_i32_e32 v42, s33, v42
	ds_write_b16 v51, v43
	ds_write_b16 v51, v124 offset:512
	ds_write_b16 v51, v125 offset:1024
	;; [unrolled: 1-line block ×3, first 2 shown]
	ds_write_b16 v118, v127
	v_mad_i64_i32 v[42:43], s[2:3], v42, s23, 0
	s_or_b64 s[2:3], s[4:5], s[14:15]
	s_nop 0
	v_cndmask_b32_e64 v124, 0, v123, s[2:3]
	s_or_b64 s[2:3], vcc, s[2:3]
	v_lshl_add_u64 v[42:43], v[42:43], 1, s[26:27]
	s_xor_b64 s[2:3], s[2:3], -1
	s_waitcnt lgkmcnt(0)
	s_barrier
	s_and_saveexec_b64 s[36:37], s[2:3]
	s_xor_b64 s[2:3], exec, s[36:37]
	s_cbranch_execz .LBB210_42
; %bb.41:                               ;   in Loop: Header=BB210_30 Depth=1
	v_lshl_add_u64 v[124:125], v[32:33], 1, v[42:43]
	flat_load_ushort v124, v[124:125]
	s_waitcnt vmcnt(0) lgkmcnt(0)
	v_mul_f16_e32 v124, v46, v124
.LBB210_42:                             ;   in Loop: Header=BB210_30 Depth=1
	s_or_b64 exec, exec, s[2:3]
	s_or_b64 s[2:3], s[6:7], s[14:15]
	v_cndmask_b32_e64 v125, 0, v123, s[2:3]
	s_or_b64 s[2:3], vcc, s[2:3]
	s_xor_b64 s[36:37], s[2:3], -1
	s_and_saveexec_b64 s[2:3], s[36:37]
	s_cbranch_execz .LBB210_44
; %bb.43:                               ;   in Loop: Header=BB210_30 Depth=1
	v_lshl_add_u64 v[126:127], v[34:35], 1, v[42:43]
	flat_load_ushort v125, v[126:127]
	s_waitcnt vmcnt(0) lgkmcnt(0)
	v_mul_f16_e32 v125, v46, v125
.LBB210_44:                             ;   in Loop: Header=BB210_30 Depth=1
	s_or_b64 exec, exec, s[2:3]
	s_or_b64 s[2:3], s[8:9], s[14:15]
	v_cndmask_b32_e64 v126, 0, v123, s[2:3]
	s_or_b64 s[2:3], vcc, s[2:3]
	s_xor_b64 s[36:37], s[2:3], -1
	s_and_saveexec_b64 s[2:3], s[36:37]
	;; [unrolled: 13-line block ×3, first 2 shown]
	s_cbranch_execz .LBB210_48
; %bb.47:                               ;   in Loop: Header=BB210_30 Depth=1
	v_lshl_add_u64 v[42:43], v[38:39], 1, v[42:43]
	flat_load_ushort v42, v[42:43]
	s_waitcnt vmcnt(0) lgkmcnt(0)
	v_mul_f16_e32 v127, v46, v42
.LBB210_48:                             ;   in Loop: Header=BB210_30 Depth=1
	s_or_b64 exec, exec, s[2:3]
	v_pk_add_f16 v42, v12, v28
	v_pk_max_f16 v43, v117, v117
	v_pk_max_f16 v116, v116, v116
	v_pk_min_f16 v42, v43, v42
	v_pk_add_f16 v43, v14, v28
	v_pk_max_f16 v115, v115, v115
	v_pk_min_f16 v43, v116, v43
	v_pk_add_f16 v116, v8, v28
	v_pk_max_f16 v114, v114, v114
	v_pk_min_f16 v115, v115, v116
	v_pk_add_f16 v116, v10, v28
	v_pk_max_f16 v113, v113, v113
	v_pk_min_f16 v114, v114, v116
	v_pk_add_f16 v116, v4, v28
	v_pk_max_f16 v112, v112, v112
	v_pk_min_f16 v113, v113, v116
	v_pk_add_f16 v116, v6, v28
	v_pk_max_f16 v110, v110, v110
	v_pk_min_f16 v116, v112, v116
	v_pk_add_f16 v112, v0, v28
	v_pk_add_f16 v28, v2, v28
	v_pk_max_f16 v109, v109, v109
	v_pk_min_f16 v28, v110, v28
	v_pk_add_f16 v110, v12, v30
	v_pk_max_f16 v108, v108, v108
	v_pk_min_f16 v129, v109, v110
	v_pk_add_f16 v109, v14, v30
	v_pk_max_f16 v107, v107, v107
	v_pk_min_f16 v130, v108, v109
	v_pk_add_f16 v108, v8, v30
	v_pk_max_f16 v106, v106, v106
	v_pk_min_f16 v131, v107, v108
	v_pk_add_f16 v107, v10, v30
	v_pk_max_f16 v105, v105, v105
	v_pk_min_f16 v132, v106, v107
	v_pk_add_f16 v106, v4, v30
	v_pk_max_f16 v104, v104, v104
	v_pk_min_f16 v133, v105, v106
	v_pk_add_f16 v105, v6, v30
	v_pk_max_f16 v102, v102, v102
	v_pk_min_f16 v134, v104, v105
	v_pk_add_f16 v104, v0, v30
	v_pk_add_f16 v30, v2, v30
	v_pk_max_f16 v101, v101, v101
	v_pk_min_f16 v30, v102, v30
	v_pk_add_f16 v102, v12, v24
	;; [unrolled: 22-line block ×6, first 2 shown]
	v_pk_max_f16 v67, v67, v67
	v_pk_min_f16 v164, v68, v69
	v_pk_add_f16 v68, v14, v16
	v_pk_max_f16 v66, v66, v66
	v_pk_min_f16 v165, v67, v68
	v_pk_add_f16 v67, v8, v16
	v_pk_max_f16 v65, v65, v65
	v_pk_min_f16 v166, v66, v67
	v_pk_add_f16 v66, v10, v16
	v_pk_max_f16 v64, v64, v64
	v_pk_min_f16 v167, v65, v66
	v_pk_add_f16 v65, v4, v16
	v_pk_max_f16 v63, v63, v63
	v_pk_min_f16 v168, v64, v65
	v_pk_add_f16 v64, v6, v16
	v_pk_add_f16 v12, v12, v18
	v_pk_min_f16 v169, v63, v64
	v_pk_add_f16 v63, v0, v16
	v_pk_add_f16 v16, v2, v16
	;; [unrolled: 1-line block ×9, first 2 shown]
	v_pk_max_f16 v18, v57, v57
	v_pk_max_f16 v111, v111, v111
	v_pk_min_f16 v2, v18, v2
	v_pk_add_f16 v18, v13, v29
	v_pk_min_f16 v117, v111, v112
	v_pk_min_f16 v112, v42, v18
	v_pk_add_f16 v18, v15, v29
	v_pk_max_f16 v103, v103, v103
	v_pk_min_f16 v111, v43, v18
	v_pk_add_f16 v18, v9, v29
	v_pk_min_f16 v135, v103, v104
	v_pk_min_f16 v110, v115, v18
	v_pk_add_f16 v18, v11, v29
	;; [unrolled: 6-line block ×10, first 2 shown]
	v_pk_max_f16 v58, v58, v58
	v_pk_min_f16 v92, v139, v18
	v_pk_add_f16 v18, v5, v25
	v_pk_max_f16 v53, v53, v53
	v_pk_min_f16 v91, v140, v18
	v_pk_add_f16 v18, v7, v25
	v_pk_min_f16 v8, v58, v8
	v_pk_min_f16 v90, v141, v18
	v_pk_add_f16 v18, v1, v25
	v_pk_min_f16 v0, v53, v0
	v_pk_min_f16 v89, v142, v18
	v_pk_add_f16 v18, v3, v25
	v_pk_max_f16 v55, v55, v55
	v_pk_min_f16 v88, v24, v18
	v_pk_add_f16 v18, v13, v27
	v_pk_max_f16 v56, v56, v56
	v_pk_min_f16 v87, v143, v18
	v_pk_add_f16 v18, v15, v27
	v_pk_min_f16 v4, v55, v4
	v_pk_min_f16 v86, v144, v18
	v_pk_add_f16 v18, v9, v27
	v_pk_max_f16 v54, v54, v54
	v_pk_min_f16 v85, v145, v18
	v_pk_add_f16 v18, v11, v27
	v_pk_min_f16 v10, v56, v10
	v_pk_min_f16 v84, v146, v18
	v_pk_add_f16 v18, v5, v27
	v_pk_min_f16 v6, v54, v6
	v_pk_min_f16 v83, v147, v18
	v_pk_add_f16 v18, v7, v27
	s_nop 0
	v_pk_min_f16 v82, v148, v18
	v_pk_add_f16 v18, v1, v27
	s_nop 0
	;; [unrolled: 3-line block ×19, first 2 shown]
	v_pk_min_f16 v64, v22, v18
	v_pk_add_f16 v18, v13, v17
	v_pk_add_f16 v13, v13, v19
	v_pk_min_f16 v63, v164, v18
	v_pk_add_f16 v18, v15, v17
	v_pk_min_f16 v55, v12, v13
	v_pk_min_f16 v62, v165, v18
	v_pk_add_f16 v18, v9, v17
	v_pk_add_f16 v9, v9, v19
	v_pk_min_f16 v61, v166, v18
	v_pk_add_f16 v18, v11, v17
	v_pk_add_f16 v12, v15, v19
	;; [unrolled: 3-line block ×3, first 2 shown]
	v_pk_min_f16 v59, v168, v18
	v_pk_add_f16 v18, v7, v17
	v_pk_min_f16 v53, v8, v9
	v_pk_min_f16 v58, v169, v18
	v_pk_add_f16 v18, v1, v17
	v_pk_add_f16 v1, v1, v19
	;; [unrolled: 1-line block ×3, first 2 shown]
	v_pk_min_f16 v30, v0, v1
	v_pk_add_f16 v0, v3, v19
	v_pk_add_f16 v8, v11, v19
	v_pk_min_f16 v29, v2, v0
	v_add_u32_e32 v0, 12, v128
	v_cmp_le_i32_e64 s[2:3], s22, v0
	s_or_b64 s[2:3], s[2:3], s[12:13]
	v_pk_min_f16 v42, v4, v5
	v_pk_add_f16 v4, v7, v19
	v_cndmask_b32_e64 v28, 0, v123, s[2:3]
	s_or_b64 s[2:3], vcc, s[2:3]
	v_pk_min_f16 v57, v170, v18
	v_pk_min_f16 v56, v16, v17
	;; [unrolled: 1-line block ×5, first 2 shown]
	s_xor_b64 s[14:15], s[2:3], -1
	s_and_saveexec_b64 s[2:3], s[14:15]
	s_cbranch_execz .LBB210_29
; %bb.49:                               ;   in Loop: Header=BB210_30 Depth=1
	flat_load_ushort v0, v[40:41]
	s_waitcnt vmcnt(0) lgkmcnt(0)
	v_mul_f16_e32 v28, v46, v0
	s_branch .LBB210_29
.LBB210_50:
	s_load_dwordx2 s[2:3], s[0:1], 0x78
	s_load_dword s29, s[0:1], 0x58
	s_load_dword s28, s[0:1], 0x70
	v_add_u32_e32 v0, 0x800, v48
	v_add_u32_e32 v4, 0x1000, v49
	ds_read2_b64 v[16:19], v0 offset1:32
	ds_read2_b64 v[12:15], v0 offset0:64 offset1:96
	ds_read2_b64 v[8:11], v0 offset0:128 offset1:160
	;; [unrolled: 1-line block ×7, first 2 shown]
	s_waitcnt lgkmcnt(0)
	s_lshl_b64 s[0:1], s[2:3], 1
	s_add_u32 s22, s18, s0
	v_add_u32_e32 v94, s31, v45
	s_addc_u32 s23, s19, s1
	v_mad_i64_i32 v[34:35], s[0:1], v94, s29, 0
	v_add_u32_e32 v32, s30, v44
	v_lshl_add_u64 v[50:51], v[34:35], 1, s[24:25]
	v_mad_i64_i32 v[34:35], s[0:1], v94, s28, 0
	v_cmp_gt_i32_e64 s[4:5], s20, v32
	v_cmp_gt_i32_e64 s[18:19], s21, v94
	v_lshl_add_u64 v[48:49], v[34:35], 1, s[22:23]
	v_cndmask_b32_e64 v34, 0, 1, s[16:17]
	v_ashrrev_i32_e32 v33, 31, v32
	s_and_b64 s[2:3], s[4:5], s[18:19]
	v_cmp_ne_u32_e64 s[0:1], 1, v34
	s_and_saveexec_b64 s[6:7], s[2:3]
	s_xor_b64 s[2:3], exec, s[6:7]
	s_cbranch_execz .LBB210_55
; %bb.51:
	s_and_b64 vcc, exec, s[0:1]
	s_cbranch_vccnz .LBB210_53
; %bb.52:
	v_lshl_add_u64 v[34:35], v[32:33], 1, v[50:51]
	flat_load_ushort v34, v[34:35]
	s_waitcnt vmcnt(0) lgkmcnt(0)
	v_mul_f16_e32 v34, v52, v34
	s_branch .LBB210_54
.LBB210_53:
	v_mov_b32_e32 v34, 0
.LBB210_54:
	v_pk_add_f16 v35, v16, v28
	v_pk_max_f16 v36, v117, v117
	s_nop 0
	v_pk_min_f16 v35, v36, v35
	v_pk_add_f16 v36, v17, v29
	s_nop 0
	v_pk_min_f16 v35, v35, v36
	s_nop 0
	v_lshrrev_b32_e32 v36, 16, v35
	v_min3_f16 v36, v34, v35, v36
	v_lshl_add_u64 v[34:35], v[32:33], 1, v[48:49]
	global_store_short v[34:35], v36, off
.LBB210_55:
	s_or_b64 exec, exec, s[2:3]
	v_add_u32_e32 v34, 32, v32
	v_cmp_gt_i32_e64 s[2:3], s20, v34
	v_ashrrev_i32_e32 v35, 31, v34
	s_and_b64 s[8:9], s[2:3], s[18:19]
	s_and_saveexec_b64 s[6:7], s[8:9]
	s_cbranch_execz .LBB210_60
; %bb.56:
	s_and_b64 vcc, exec, s[0:1]
	s_cbranch_vccnz .LBB210_58
; %bb.57:
	v_lshl_add_u64 v[36:37], v[34:35], 1, v[50:51]
	flat_load_ushort v36, v[36:37]
	s_waitcnt vmcnt(0) lgkmcnt(0)
	v_mul_f16_e32 v36, v52, v36
	s_branch .LBB210_59
.LBB210_58:
	v_mov_b32_e32 v36, 0
.LBB210_59:
	v_pk_add_f16 v37, v18, v28
	v_pk_max_f16 v38, v116, v116
	s_nop 0
	v_pk_min_f16 v37, v38, v37
	v_pk_add_f16 v38, v19, v29
	s_nop 0
	v_pk_min_f16 v37, v37, v38
	s_nop 0
	v_lshrrev_b32_e32 v38, 16, v37
	v_min3_f16 v38, v36, v37, v38
	v_lshl_add_u64 v[36:37], v[34:35], 1, v[48:49]
	global_store_short v[36:37], v38, off
.LBB210_60:
	s_or_b64 exec, exec, s[6:7]
	v_add_u32_e32 v36, 64, v32
	v_cmp_gt_i32_e64 s[6:7], s20, v36
	v_ashrrev_i32_e32 v37, 31, v36
	s_and_b64 s[10:11], s[6:7], s[18:19]
	s_and_saveexec_b64 s[8:9], s[10:11]
	;; [unrolled: 32-line block ×7, first 2 shown]
	s_cbranch_execz .LBB210_90
; %bb.86:
	s_and_b64 vcc, exec, s[0:1]
	s_cbranch_vccnz .LBB210_88
; %bb.87:
	v_lshl_add_u64 v[50:51], v[46:47], 1, v[50:51]
	flat_load_ushort v50, v[50:51]
	s_waitcnt vmcnt(0) lgkmcnt(0)
	v_mul_f16_e32 v50, v52, v50
	s_branch .LBB210_89
.LBB210_88:
	v_mov_b32_e32 v50, 0
.LBB210_89:
	v_pk_add_f16 v28, v2, v28
	v_pk_max_f16 v51, v110, v110
	v_pk_add_f16 v29, v3, v29
	v_pk_min_f16 v28, v51, v28
	s_nop 0
	v_pk_min_f16 v28, v28, v29
	s_nop 0
	v_lshrrev_b32_e32 v29, 16, v28
	v_min3_f16 v50, v50, v28, v29
	v_lshl_add_u64 v[28:29], v[46:47], 1, v[48:49]
	global_store_short v[28:29], v50, off
.LBB210_90:
	s_or_b64 exec, exec, s[18:19]
	v_add_u32_e32 v50, 8, v94
	v_mad_i64_i32 v[28:29], s[26:27], v50, s29, 0
	v_cmp_gt_i32_e64 s[18:19], s21, v50
	v_lshl_add_u64 v[48:49], v[28:29], 1, s[24:25]
	v_mad_i64_i32 v[28:29], s[26:27], v50, s28, 0
	v_lshl_add_u64 v[28:29], v[28:29], 1, s[22:23]
	s_and_b64 s[30:31], s[4:5], s[18:19]
	s_and_saveexec_b64 s[26:27], s[30:31]
	s_cbranch_execnz .LBB210_98
; %bb.91:
	s_or_b64 exec, exec, s[26:27]
	s_and_b64 s[30:31], s[2:3], s[18:19]
	s_and_saveexec_b64 s[26:27], s[30:31]
	s_cbranch_execnz .LBB210_102
.LBB210_92:
	s_or_b64 exec, exec, s[26:27]
	s_and_b64 s[30:31], s[6:7], s[18:19]
	s_and_saveexec_b64 s[26:27], s[30:31]
	s_cbranch_execnz .LBB210_106
.LBB210_93:
	s_or_b64 exec, exec, s[26:27]
	s_and_b64 s[30:31], s[8:9], s[18:19]
	s_and_saveexec_b64 s[26:27], s[30:31]
	s_cbranch_execnz .LBB210_110
.LBB210_94:
	s_or_b64 exec, exec, s[26:27]
	s_and_b64 s[30:31], s[10:11], s[18:19]
	s_and_saveexec_b64 s[26:27], s[30:31]
	s_cbranch_execnz .LBB210_114
.LBB210_95:
	s_or_b64 exec, exec, s[26:27]
	s_and_b64 s[30:31], s[12:13], s[18:19]
	s_and_saveexec_b64 s[26:27], s[30:31]
	s_cbranch_execnz .LBB210_118
.LBB210_96:
	s_or_b64 exec, exec, s[26:27]
	s_and_b64 s[30:31], s[14:15], s[18:19]
	s_and_saveexec_b64 s[26:27], s[30:31]
	s_cbranch_execnz .LBB210_122
.LBB210_97:
	s_or_b64 exec, exec, s[26:27]
	s_and_b64 s[26:27], s[16:17], s[18:19]
	s_and_saveexec_b64 s[18:19], s[26:27]
	s_cbranch_execnz .LBB210_126
	s_branch .LBB210_130
.LBB210_98:
	s_and_b64 vcc, exec, s[0:1]
	s_cbranch_vccnz .LBB210_100
; %bb.99:
	v_lshl_add_u64 v[50:51], v[32:33], 1, v[48:49]
	flat_load_ushort v50, v[50:51]
	s_waitcnt vmcnt(0) lgkmcnt(0)
	v_mul_f16_e32 v50, v52, v50
	s_branch .LBB210_101
.LBB210_100:
	v_mov_b32_e32 v50, 0
.LBB210_101:
	v_pk_add_f16 v51, v16, v30
	v_pk_max_f16 v109, v109, v109
	s_nop 0
	v_pk_min_f16 v51, v109, v51
	v_pk_add_f16 v109, v17, v31
	s_nop 0
	v_pk_min_f16 v51, v51, v109
	s_nop 0
	v_lshrrev_b32_e32 v109, 16, v51
	v_min3_f16 v109, v50, v51, v109
	v_lshl_add_u64 v[50:51], v[32:33], 1, v[28:29]
	global_store_short v[50:51], v109, off
	s_or_b64 exec, exec, s[26:27]
	s_and_b64 s[30:31], s[2:3], s[18:19]
	s_and_saveexec_b64 s[26:27], s[30:31]
	s_cbranch_execz .LBB210_92
.LBB210_102:
	s_and_b64 vcc, exec, s[0:1]
	s_cbranch_vccnz .LBB210_104
; %bb.103:
	v_lshl_add_u64 v[50:51], v[34:35], 1, v[48:49]
	flat_load_ushort v50, v[50:51]
	s_waitcnt vmcnt(0) lgkmcnt(0)
	v_mul_f16_e32 v50, v52, v50
	s_branch .LBB210_105
.LBB210_104:
	v_mov_b32_e32 v50, 0
.LBB210_105:
	v_pk_add_f16 v51, v18, v30
	v_pk_max_f16 v108, v108, v108
	s_nop 0
	v_pk_min_f16 v51, v108, v51
	v_pk_add_f16 v108, v19, v31
	s_nop 0
	v_pk_min_f16 v51, v51, v108
	s_nop 0
	v_lshrrev_b32_e32 v108, 16, v51
	v_min3_f16 v108, v50, v51, v108
	v_lshl_add_u64 v[50:51], v[34:35], 1, v[28:29]
	global_store_short v[50:51], v108, off
	s_or_b64 exec, exec, s[26:27]
	s_and_b64 s[30:31], s[6:7], s[18:19]
	s_and_saveexec_b64 s[26:27], s[30:31]
	s_cbranch_execz .LBB210_93
.LBB210_106:
	s_and_b64 vcc, exec, s[0:1]
	s_cbranch_vccnz .LBB210_108
; %bb.107:
	v_lshl_add_u64 v[50:51], v[36:37], 1, v[48:49]
	flat_load_ushort v50, v[50:51]
	s_waitcnt vmcnt(0) lgkmcnt(0)
	v_mul_f16_e32 v50, v52, v50
	s_branch .LBB210_109
.LBB210_108:
	v_mov_b32_e32 v50, 0
.LBB210_109:
	v_pk_add_f16 v51, v12, v30
	v_pk_max_f16 v107, v107, v107
	s_nop 0
	v_pk_min_f16 v51, v107, v51
	v_pk_add_f16 v107, v13, v31
	s_nop 0
	v_pk_min_f16 v51, v51, v107
	s_nop 0
	v_lshrrev_b32_e32 v107, 16, v51
	v_min3_f16 v107, v50, v51, v107
	v_lshl_add_u64 v[50:51], v[36:37], 1, v[28:29]
	global_store_short v[50:51], v107, off
	s_or_b64 exec, exec, s[26:27]
	s_and_b64 s[30:31], s[8:9], s[18:19]
	s_and_saveexec_b64 s[26:27], s[30:31]
	s_cbranch_execz .LBB210_94
.LBB210_110:
	s_and_b64 vcc, exec, s[0:1]
	s_cbranch_vccnz .LBB210_112
; %bb.111:
	v_lshl_add_u64 v[50:51], v[38:39], 1, v[48:49]
	flat_load_ushort v50, v[50:51]
	s_waitcnt vmcnt(0) lgkmcnt(0)
	v_mul_f16_e32 v50, v52, v50
	s_branch .LBB210_113
.LBB210_112:
	v_mov_b32_e32 v50, 0
.LBB210_113:
	v_pk_add_f16 v51, v14, v30
	v_pk_max_f16 v106, v106, v106
	s_nop 0
	v_pk_min_f16 v51, v106, v51
	v_pk_add_f16 v106, v15, v31
	s_nop 0
	v_pk_min_f16 v51, v51, v106
	s_nop 0
	v_lshrrev_b32_e32 v106, 16, v51
	v_min3_f16 v106, v50, v51, v106
	v_lshl_add_u64 v[50:51], v[38:39], 1, v[28:29]
	global_store_short v[50:51], v106, off
	s_or_b64 exec, exec, s[26:27]
	s_and_b64 s[30:31], s[10:11], s[18:19]
	s_and_saveexec_b64 s[26:27], s[30:31]
	s_cbranch_execz .LBB210_95
.LBB210_114:
	s_and_b64 vcc, exec, s[0:1]
	s_cbranch_vccnz .LBB210_116
; %bb.115:
	v_lshl_add_u64 v[50:51], v[40:41], 1, v[48:49]
	flat_load_ushort v50, v[50:51]
	s_waitcnt vmcnt(0) lgkmcnt(0)
	v_mul_f16_e32 v50, v52, v50
	s_branch .LBB210_117
.LBB210_116:
	v_mov_b32_e32 v50, 0
.LBB210_117:
	v_pk_add_f16 v51, v8, v30
	v_pk_max_f16 v105, v105, v105
	s_nop 0
	v_pk_min_f16 v51, v105, v51
	v_pk_add_f16 v105, v9, v31
	s_nop 0
	v_pk_min_f16 v51, v51, v105
	s_nop 0
	v_lshrrev_b32_e32 v105, 16, v51
	v_min3_f16 v105, v50, v51, v105
	v_lshl_add_u64 v[50:51], v[40:41], 1, v[28:29]
	global_store_short v[50:51], v105, off
	s_or_b64 exec, exec, s[26:27]
	s_and_b64 s[30:31], s[12:13], s[18:19]
	s_and_saveexec_b64 s[26:27], s[30:31]
	s_cbranch_execz .LBB210_96
.LBB210_118:
	s_and_b64 vcc, exec, s[0:1]
	s_cbranch_vccnz .LBB210_120
; %bb.119:
	v_lshl_add_u64 v[50:51], v[42:43], 1, v[48:49]
	flat_load_ushort v50, v[50:51]
	s_waitcnt vmcnt(0) lgkmcnt(0)
	v_mul_f16_e32 v50, v52, v50
	s_branch .LBB210_121
.LBB210_120:
	v_mov_b32_e32 v50, 0
.LBB210_121:
	v_pk_add_f16 v51, v10, v30
	v_pk_max_f16 v104, v104, v104
	s_nop 0
	v_pk_min_f16 v51, v104, v51
	v_pk_add_f16 v104, v11, v31
	s_nop 0
	v_pk_min_f16 v51, v51, v104
	s_nop 0
	v_lshrrev_b32_e32 v104, 16, v51
	v_min3_f16 v104, v50, v51, v104
	v_lshl_add_u64 v[50:51], v[42:43], 1, v[28:29]
	global_store_short v[50:51], v104, off
	s_or_b64 exec, exec, s[26:27]
	s_and_b64 s[30:31], s[14:15], s[18:19]
	s_and_saveexec_b64 s[26:27], s[30:31]
	s_cbranch_execz .LBB210_97
.LBB210_122:
	s_and_b64 vcc, exec, s[0:1]
	s_cbranch_vccnz .LBB210_124
; %bb.123:
	v_lshl_add_u64 v[50:51], v[44:45], 1, v[48:49]
	flat_load_ushort v50, v[50:51]
	s_waitcnt vmcnt(0) lgkmcnt(0)
	v_mul_f16_e32 v50, v52, v50
	s_branch .LBB210_125
.LBB210_124:
	v_mov_b32_e32 v50, 0
.LBB210_125:
	v_pk_add_f16 v51, v0, v30
	v_pk_max_f16 v103, v103, v103
	s_nop 0
	v_pk_min_f16 v51, v103, v51
	v_pk_add_f16 v103, v1, v31
	s_nop 0
	v_pk_min_f16 v51, v51, v103
	s_nop 0
	v_lshrrev_b32_e32 v103, 16, v51
	v_min3_f16 v103, v50, v51, v103
	v_lshl_add_u64 v[50:51], v[44:45], 1, v[28:29]
	global_store_short v[50:51], v103, off
	s_or_b64 exec, exec, s[26:27]
	s_and_b64 s[26:27], s[16:17], s[18:19]
	s_and_saveexec_b64 s[18:19], s[26:27]
	s_cbranch_execz .LBB210_130
.LBB210_126:
	s_and_b64 vcc, exec, s[0:1]
	s_cbranch_vccnz .LBB210_128
; %bb.127:
	v_lshl_add_u64 v[48:49], v[46:47], 1, v[48:49]
	flat_load_ushort v48, v[48:49]
	s_waitcnt vmcnt(0) lgkmcnt(0)
	v_mul_f16_e32 v48, v52, v48
	s_branch .LBB210_129
.LBB210_128:
	v_mov_b32_e32 v48, 0
.LBB210_129:
	v_pk_add_f16 v30, v2, v30
	v_pk_max_f16 v49, v102, v102
	v_pk_add_f16 v31, v3, v31
	v_pk_min_f16 v30, v49, v30
	v_lshl_add_u64 v[28:29], v[46:47], 1, v[28:29]
	v_pk_min_f16 v30, v30, v31
	s_nop 0
	v_lshrrev_b32_e32 v31, 16, v30
	v_min3_f16 v30, v48, v30, v31
	global_store_short v[28:29], v30, off
.LBB210_130:
	s_or_b64 exec, exec, s[18:19]
	v_add_u32_e32 v48, 16, v94
	v_mad_i64_i32 v[28:29], s[26:27], v48, s29, 0
	v_cmp_gt_i32_e64 s[18:19], s21, v48
	v_lshl_add_u64 v[30:31], v[28:29], 1, s[24:25]
	v_mad_i64_i32 v[28:29], s[26:27], v48, s28, 0
	v_lshl_add_u64 v[28:29], v[28:29], 1, s[22:23]
	s_and_b64 s[30:31], s[4:5], s[18:19]
	s_and_saveexec_b64 s[26:27], s[30:31]
	s_cbranch_execnz .LBB210_138
; %bb.131:
	s_or_b64 exec, exec, s[26:27]
	s_and_b64 s[30:31], s[2:3], s[18:19]
	s_and_saveexec_b64 s[26:27], s[30:31]
	s_cbranch_execnz .LBB210_142
.LBB210_132:
	s_or_b64 exec, exec, s[26:27]
	s_and_b64 s[30:31], s[6:7], s[18:19]
	s_and_saveexec_b64 s[26:27], s[30:31]
	s_cbranch_execnz .LBB210_146
.LBB210_133:
	s_or_b64 exec, exec, s[26:27]
	s_and_b64 s[30:31], s[8:9], s[18:19]
	s_and_saveexec_b64 s[26:27], s[30:31]
	s_cbranch_execnz .LBB210_150
.LBB210_134:
	s_or_b64 exec, exec, s[26:27]
	s_and_b64 s[30:31], s[10:11], s[18:19]
	s_and_saveexec_b64 s[26:27], s[30:31]
	s_cbranch_execnz .LBB210_154
.LBB210_135:
	s_or_b64 exec, exec, s[26:27]
	s_and_b64 s[30:31], s[12:13], s[18:19]
	s_and_saveexec_b64 s[26:27], s[30:31]
	s_cbranch_execnz .LBB210_158
.LBB210_136:
	s_or_b64 exec, exec, s[26:27]
	s_and_b64 s[30:31], s[14:15], s[18:19]
	s_and_saveexec_b64 s[26:27], s[30:31]
	s_cbranch_execnz .LBB210_162
.LBB210_137:
	s_or_b64 exec, exec, s[26:27]
	s_and_b64 s[26:27], s[16:17], s[18:19]
	s_and_saveexec_b64 s[18:19], s[26:27]
	s_cbranch_execnz .LBB210_166
	s_branch .LBB210_170
.LBB210_138:
	s_and_b64 vcc, exec, s[0:1]
	s_cbranch_vccnz .LBB210_140
; %bb.139:
	v_lshl_add_u64 v[48:49], v[32:33], 1, v[30:31]
	flat_load_ushort v48, v[48:49]
	s_waitcnt vmcnt(0) lgkmcnt(0)
	v_mul_f16_e32 v48, v52, v48
	s_branch .LBB210_141
.LBB210_140:
	v_mov_b32_e32 v48, 0
.LBB210_141:
	v_pk_add_f16 v49, v16, v24
	v_pk_max_f16 v50, v101, v101
	s_nop 0
	v_pk_min_f16 v49, v50, v49
	v_pk_add_f16 v50, v17, v25
	s_nop 0
	v_pk_min_f16 v49, v49, v50
	s_nop 0
	v_lshrrev_b32_e32 v50, 16, v49
	v_min3_f16 v50, v48, v49, v50
	v_lshl_add_u64 v[48:49], v[32:33], 1, v[28:29]
	global_store_short v[48:49], v50, off
	s_or_b64 exec, exec, s[26:27]
	s_and_b64 s[30:31], s[2:3], s[18:19]
	s_and_saveexec_b64 s[26:27], s[30:31]
	s_cbranch_execz .LBB210_132
.LBB210_142:
	s_and_b64 vcc, exec, s[0:1]
	s_cbranch_vccnz .LBB210_144
; %bb.143:
	v_lshl_add_u64 v[48:49], v[34:35], 1, v[30:31]
	flat_load_ushort v48, v[48:49]
	s_waitcnt vmcnt(0) lgkmcnt(0)
	v_mul_f16_e32 v48, v52, v48
	s_branch .LBB210_145
.LBB210_144:
	v_mov_b32_e32 v48, 0
.LBB210_145:
	v_pk_add_f16 v49, v18, v24
	v_pk_max_f16 v50, v100, v100
	s_nop 0
	v_pk_min_f16 v49, v50, v49
	v_pk_add_f16 v50, v19, v25
	s_nop 0
	v_pk_min_f16 v49, v49, v50
	s_nop 0
	v_lshrrev_b32_e32 v50, 16, v49
	v_min3_f16 v50, v48, v49, v50
	v_lshl_add_u64 v[48:49], v[34:35], 1, v[28:29]
	global_store_short v[48:49], v50, off
	s_or_b64 exec, exec, s[26:27]
	s_and_b64 s[30:31], s[6:7], s[18:19]
	s_and_saveexec_b64 s[26:27], s[30:31]
	s_cbranch_execz .LBB210_133
.LBB210_146:
	s_and_b64 vcc, exec, s[0:1]
	s_cbranch_vccnz .LBB210_148
; %bb.147:
	v_lshl_add_u64 v[48:49], v[36:37], 1, v[30:31]
	flat_load_ushort v48, v[48:49]
	s_waitcnt vmcnt(0) lgkmcnt(0)
	v_mul_f16_e32 v48, v52, v48
	s_branch .LBB210_149
.LBB210_148:
	v_mov_b32_e32 v48, 0
.LBB210_149:
	v_pk_add_f16 v49, v12, v24
	v_pk_max_f16 v50, v99, v99
	s_nop 0
	v_pk_min_f16 v49, v50, v49
	v_pk_add_f16 v50, v13, v25
	s_nop 0
	v_pk_min_f16 v49, v49, v50
	s_nop 0
	v_lshrrev_b32_e32 v50, 16, v49
	v_min3_f16 v50, v48, v49, v50
	v_lshl_add_u64 v[48:49], v[36:37], 1, v[28:29]
	global_store_short v[48:49], v50, off
	s_or_b64 exec, exec, s[26:27]
	s_and_b64 s[30:31], s[8:9], s[18:19]
	s_and_saveexec_b64 s[26:27], s[30:31]
	s_cbranch_execz .LBB210_134
.LBB210_150:
	s_and_b64 vcc, exec, s[0:1]
	s_cbranch_vccnz .LBB210_152
; %bb.151:
	v_lshl_add_u64 v[48:49], v[38:39], 1, v[30:31]
	flat_load_ushort v48, v[48:49]
	s_waitcnt vmcnt(0) lgkmcnt(0)
	v_mul_f16_e32 v48, v52, v48
	s_branch .LBB210_153
.LBB210_152:
	v_mov_b32_e32 v48, 0
.LBB210_153:
	v_pk_add_f16 v49, v14, v24
	v_pk_max_f16 v50, v98, v98
	s_nop 0
	v_pk_min_f16 v49, v50, v49
	v_pk_add_f16 v50, v15, v25
	s_nop 0
	v_pk_min_f16 v49, v49, v50
	s_nop 0
	v_lshrrev_b32_e32 v50, 16, v49
	v_min3_f16 v50, v48, v49, v50
	v_lshl_add_u64 v[48:49], v[38:39], 1, v[28:29]
	global_store_short v[48:49], v50, off
	s_or_b64 exec, exec, s[26:27]
	s_and_b64 s[30:31], s[10:11], s[18:19]
	s_and_saveexec_b64 s[26:27], s[30:31]
	s_cbranch_execz .LBB210_135
.LBB210_154:
	s_and_b64 vcc, exec, s[0:1]
	s_cbranch_vccnz .LBB210_156
; %bb.155:
	v_lshl_add_u64 v[48:49], v[40:41], 1, v[30:31]
	flat_load_ushort v48, v[48:49]
	s_waitcnt vmcnt(0) lgkmcnt(0)
	v_mul_f16_e32 v48, v52, v48
	s_branch .LBB210_157
.LBB210_156:
	v_mov_b32_e32 v48, 0
.LBB210_157:
	v_pk_add_f16 v49, v8, v24
	v_pk_max_f16 v50, v97, v97
	s_nop 0
	v_pk_min_f16 v49, v50, v49
	v_pk_add_f16 v50, v9, v25
	s_nop 0
	v_pk_min_f16 v49, v49, v50
	s_nop 0
	v_lshrrev_b32_e32 v50, 16, v49
	v_min3_f16 v50, v48, v49, v50
	v_lshl_add_u64 v[48:49], v[40:41], 1, v[28:29]
	global_store_short v[48:49], v50, off
	s_or_b64 exec, exec, s[26:27]
	s_and_b64 s[30:31], s[12:13], s[18:19]
	s_and_saveexec_b64 s[26:27], s[30:31]
	s_cbranch_execz .LBB210_136
.LBB210_158:
	s_and_b64 vcc, exec, s[0:1]
	s_cbranch_vccnz .LBB210_160
; %bb.159:
	v_lshl_add_u64 v[48:49], v[42:43], 1, v[30:31]
	flat_load_ushort v48, v[48:49]
	s_waitcnt vmcnt(0) lgkmcnt(0)
	v_mul_f16_e32 v48, v52, v48
	s_branch .LBB210_161
.LBB210_160:
	v_mov_b32_e32 v48, 0
.LBB210_161:
	v_pk_add_f16 v49, v10, v24
	v_pk_max_f16 v50, v96, v96
	s_nop 0
	v_pk_min_f16 v49, v50, v49
	v_pk_add_f16 v50, v11, v25
	s_nop 0
	v_pk_min_f16 v49, v49, v50
	s_nop 0
	v_lshrrev_b32_e32 v50, 16, v49
	v_min3_f16 v50, v48, v49, v50
	v_lshl_add_u64 v[48:49], v[42:43], 1, v[28:29]
	global_store_short v[48:49], v50, off
	s_or_b64 exec, exec, s[26:27]
	s_and_b64 s[30:31], s[14:15], s[18:19]
	s_and_saveexec_b64 s[26:27], s[30:31]
	s_cbranch_execz .LBB210_137
.LBB210_162:
	s_and_b64 vcc, exec, s[0:1]
	s_cbranch_vccnz .LBB210_164
; %bb.163:
	v_lshl_add_u64 v[48:49], v[44:45], 1, v[30:31]
	flat_load_ushort v48, v[48:49]
	s_waitcnt vmcnt(0) lgkmcnt(0)
	v_mul_f16_e32 v48, v52, v48
	s_branch .LBB210_165
.LBB210_164:
	v_mov_b32_e32 v48, 0
.LBB210_165:
	v_pk_add_f16 v49, v0, v24
	v_pk_max_f16 v50, v95, v95
	s_nop 0
	v_pk_min_f16 v49, v50, v49
	v_pk_add_f16 v50, v1, v25
	s_nop 0
	v_pk_min_f16 v49, v49, v50
	s_nop 0
	v_lshrrev_b32_e32 v50, 16, v49
	v_min3_f16 v50, v48, v49, v50
	v_lshl_add_u64 v[48:49], v[44:45], 1, v[28:29]
	global_store_short v[48:49], v50, off
	s_or_b64 exec, exec, s[26:27]
	s_and_b64 s[26:27], s[16:17], s[18:19]
	s_and_saveexec_b64 s[18:19], s[26:27]
	s_cbranch_execz .LBB210_170
.LBB210_166:
	s_and_b64 vcc, exec, s[0:1]
	s_cbranch_vccnz .LBB210_168
; %bb.167:
	v_lshl_add_u64 v[30:31], v[46:47], 1, v[30:31]
	flat_load_ushort v30, v[30:31]
	s_waitcnt vmcnt(0) lgkmcnt(0)
	v_mul_f16_e32 v30, v52, v30
	s_branch .LBB210_169
.LBB210_168:
	v_mov_b32_e32 v30, 0
.LBB210_169:
	v_pk_add_f16 v24, v2, v24
	v_pk_max_f16 v31, v93, v93
	v_pk_add_f16 v25, v3, v25
	v_pk_min_f16 v24, v31, v24
	s_nop 0
	v_pk_min_f16 v24, v24, v25
	s_nop 0
	v_lshrrev_b32_e32 v25, 16, v24
	v_min3_f16 v30, v30, v24, v25
	v_lshl_add_u64 v[24:25], v[46:47], 1, v[28:29]
	global_store_short v[24:25], v30, off
.LBB210_170:
	s_or_b64 exec, exec, s[18:19]
	v_add_u32_e32 v30, 24, v94
	v_mad_i64_i32 v[24:25], s[26:27], v30, s29, 0
	v_cmp_gt_i32_e64 s[18:19], s21, v30
	v_lshl_add_u64 v[28:29], v[24:25], 1, s[24:25]
	v_mad_i64_i32 v[24:25], s[26:27], v30, s28, 0
	v_lshl_add_u64 v[24:25], v[24:25], 1, s[22:23]
	s_and_b64 s[30:31], s[4:5], s[18:19]
	s_and_saveexec_b64 s[26:27], s[30:31]
	s_cbranch_execnz .LBB210_178
; %bb.171:
	s_or_b64 exec, exec, s[26:27]
	s_and_b64 s[30:31], s[2:3], s[18:19]
	s_and_saveexec_b64 s[26:27], s[30:31]
	s_cbranch_execnz .LBB210_182
.LBB210_172:
	s_or_b64 exec, exec, s[26:27]
	s_and_b64 s[30:31], s[6:7], s[18:19]
	s_and_saveexec_b64 s[26:27], s[30:31]
	s_cbranch_execnz .LBB210_186
.LBB210_173:
	s_or_b64 exec, exec, s[26:27]
	s_and_b64 s[30:31], s[8:9], s[18:19]
	s_and_saveexec_b64 s[26:27], s[30:31]
	s_cbranch_execnz .LBB210_190
.LBB210_174:
	s_or_b64 exec, exec, s[26:27]
	s_and_b64 s[30:31], s[10:11], s[18:19]
	s_and_saveexec_b64 s[26:27], s[30:31]
	s_cbranch_execnz .LBB210_194
.LBB210_175:
	s_or_b64 exec, exec, s[26:27]
	s_and_b64 s[30:31], s[12:13], s[18:19]
	s_and_saveexec_b64 s[26:27], s[30:31]
	s_cbranch_execnz .LBB210_198
.LBB210_176:
	s_or_b64 exec, exec, s[26:27]
	s_and_b64 s[30:31], s[14:15], s[18:19]
	s_and_saveexec_b64 s[26:27], s[30:31]
	s_cbranch_execnz .LBB210_202
.LBB210_177:
	s_or_b64 exec, exec, s[26:27]
	s_and_b64 s[26:27], s[16:17], s[18:19]
	s_and_saveexec_b64 s[18:19], s[26:27]
	s_cbranch_execnz .LBB210_206
	s_branch .LBB210_210
.LBB210_178:
	s_and_b64 vcc, exec, s[0:1]
	s_cbranch_vccnz .LBB210_180
; %bb.179:
	v_lshl_add_u64 v[30:31], v[32:33], 1, v[28:29]
	flat_load_ushort v30, v[30:31]
	s_waitcnt vmcnt(0) lgkmcnt(0)
	v_mul_f16_e32 v30, v52, v30
	s_branch .LBB210_181
.LBB210_180:
	v_mov_b32_e32 v30, 0
.LBB210_181:
	v_pk_add_f16 v31, v16, v26
	v_pk_max_f16 v48, v92, v92
	s_nop 0
	v_pk_min_f16 v31, v48, v31
	v_pk_add_f16 v48, v17, v27
	s_nop 0
	v_pk_min_f16 v31, v31, v48
	s_nop 0
	v_lshrrev_b32_e32 v48, 16, v31
	v_min3_f16 v48, v30, v31, v48
	v_lshl_add_u64 v[30:31], v[32:33], 1, v[24:25]
	global_store_short v[30:31], v48, off
	s_or_b64 exec, exec, s[26:27]
	s_and_b64 s[30:31], s[2:3], s[18:19]
	s_and_saveexec_b64 s[26:27], s[30:31]
	s_cbranch_execz .LBB210_172
.LBB210_182:
	s_and_b64 vcc, exec, s[0:1]
	s_cbranch_vccnz .LBB210_184
; %bb.183:
	v_lshl_add_u64 v[30:31], v[34:35], 1, v[28:29]
	flat_load_ushort v30, v[30:31]
	s_waitcnt vmcnt(0) lgkmcnt(0)
	v_mul_f16_e32 v30, v52, v30
	s_branch .LBB210_185
.LBB210_184:
	v_mov_b32_e32 v30, 0
.LBB210_185:
	v_pk_add_f16 v31, v18, v26
	v_pk_max_f16 v48, v91, v91
	s_nop 0
	v_pk_min_f16 v31, v48, v31
	v_pk_add_f16 v48, v19, v27
	s_nop 0
	v_pk_min_f16 v31, v31, v48
	s_nop 0
	v_lshrrev_b32_e32 v48, 16, v31
	v_min3_f16 v48, v30, v31, v48
	v_lshl_add_u64 v[30:31], v[34:35], 1, v[24:25]
	global_store_short v[30:31], v48, off
	s_or_b64 exec, exec, s[26:27]
	s_and_b64 s[30:31], s[6:7], s[18:19]
	s_and_saveexec_b64 s[26:27], s[30:31]
	s_cbranch_execz .LBB210_173
.LBB210_186:
	s_and_b64 vcc, exec, s[0:1]
	s_cbranch_vccnz .LBB210_188
; %bb.187:
	v_lshl_add_u64 v[30:31], v[36:37], 1, v[28:29]
	flat_load_ushort v30, v[30:31]
	s_waitcnt vmcnt(0) lgkmcnt(0)
	v_mul_f16_e32 v30, v52, v30
	s_branch .LBB210_189
.LBB210_188:
	v_mov_b32_e32 v30, 0
.LBB210_189:
	v_pk_add_f16 v31, v12, v26
	v_pk_max_f16 v48, v90, v90
	s_nop 0
	v_pk_min_f16 v31, v48, v31
	v_pk_add_f16 v48, v13, v27
	s_nop 0
	v_pk_min_f16 v31, v31, v48
	s_nop 0
	v_lshrrev_b32_e32 v48, 16, v31
	v_min3_f16 v48, v30, v31, v48
	v_lshl_add_u64 v[30:31], v[36:37], 1, v[24:25]
	global_store_short v[30:31], v48, off
	s_or_b64 exec, exec, s[26:27]
	s_and_b64 s[30:31], s[8:9], s[18:19]
	s_and_saveexec_b64 s[26:27], s[30:31]
	s_cbranch_execz .LBB210_174
.LBB210_190:
	s_and_b64 vcc, exec, s[0:1]
	s_cbranch_vccnz .LBB210_192
; %bb.191:
	v_lshl_add_u64 v[30:31], v[38:39], 1, v[28:29]
	flat_load_ushort v30, v[30:31]
	s_waitcnt vmcnt(0) lgkmcnt(0)
	v_mul_f16_e32 v30, v52, v30
	s_branch .LBB210_193
.LBB210_192:
	v_mov_b32_e32 v30, 0
.LBB210_193:
	v_pk_add_f16 v31, v14, v26
	v_pk_max_f16 v48, v89, v89
	s_nop 0
	v_pk_min_f16 v31, v48, v31
	v_pk_add_f16 v48, v15, v27
	s_nop 0
	v_pk_min_f16 v31, v31, v48
	s_nop 0
	v_lshrrev_b32_e32 v48, 16, v31
	v_min3_f16 v48, v30, v31, v48
	v_lshl_add_u64 v[30:31], v[38:39], 1, v[24:25]
	global_store_short v[30:31], v48, off
	s_or_b64 exec, exec, s[26:27]
	s_and_b64 s[30:31], s[10:11], s[18:19]
	s_and_saveexec_b64 s[26:27], s[30:31]
	s_cbranch_execz .LBB210_175
.LBB210_194:
	s_and_b64 vcc, exec, s[0:1]
	s_cbranch_vccnz .LBB210_196
; %bb.195:
	v_lshl_add_u64 v[30:31], v[40:41], 1, v[28:29]
	flat_load_ushort v30, v[30:31]
	s_waitcnt vmcnt(0) lgkmcnt(0)
	v_mul_f16_e32 v30, v52, v30
	s_branch .LBB210_197
.LBB210_196:
	v_mov_b32_e32 v30, 0
.LBB210_197:
	v_pk_add_f16 v31, v8, v26
	v_pk_max_f16 v48, v88, v88
	s_nop 0
	v_pk_min_f16 v31, v48, v31
	v_pk_add_f16 v48, v9, v27
	s_nop 0
	v_pk_min_f16 v31, v31, v48
	s_nop 0
	v_lshrrev_b32_e32 v48, 16, v31
	v_min3_f16 v48, v30, v31, v48
	v_lshl_add_u64 v[30:31], v[40:41], 1, v[24:25]
	global_store_short v[30:31], v48, off
	s_or_b64 exec, exec, s[26:27]
	s_and_b64 s[30:31], s[12:13], s[18:19]
	s_and_saveexec_b64 s[26:27], s[30:31]
	s_cbranch_execz .LBB210_176
.LBB210_198:
	s_and_b64 vcc, exec, s[0:1]
	s_cbranch_vccnz .LBB210_200
; %bb.199:
	v_lshl_add_u64 v[30:31], v[42:43], 1, v[28:29]
	flat_load_ushort v30, v[30:31]
	s_waitcnt vmcnt(0) lgkmcnt(0)
	v_mul_f16_e32 v30, v52, v30
	s_branch .LBB210_201
.LBB210_200:
	v_mov_b32_e32 v30, 0
.LBB210_201:
	v_pk_add_f16 v31, v10, v26
	v_pk_max_f16 v48, v87, v87
	s_nop 0
	v_pk_min_f16 v31, v48, v31
	v_pk_add_f16 v48, v11, v27
	s_nop 0
	v_pk_min_f16 v31, v31, v48
	s_nop 0
	v_lshrrev_b32_e32 v48, 16, v31
	v_min3_f16 v48, v30, v31, v48
	v_lshl_add_u64 v[30:31], v[42:43], 1, v[24:25]
	global_store_short v[30:31], v48, off
	s_or_b64 exec, exec, s[26:27]
	s_and_b64 s[30:31], s[14:15], s[18:19]
	s_and_saveexec_b64 s[26:27], s[30:31]
	s_cbranch_execz .LBB210_177
.LBB210_202:
	s_and_b64 vcc, exec, s[0:1]
	s_cbranch_vccnz .LBB210_204
; %bb.203:
	v_lshl_add_u64 v[30:31], v[44:45], 1, v[28:29]
	flat_load_ushort v30, v[30:31]
	s_waitcnt vmcnt(0) lgkmcnt(0)
	v_mul_f16_e32 v30, v52, v30
	s_branch .LBB210_205
.LBB210_204:
	v_mov_b32_e32 v30, 0
.LBB210_205:
	v_pk_add_f16 v31, v0, v26
	v_pk_max_f16 v48, v86, v86
	s_nop 0
	v_pk_min_f16 v31, v48, v31
	v_pk_add_f16 v48, v1, v27
	s_nop 0
	v_pk_min_f16 v31, v31, v48
	s_nop 0
	v_lshrrev_b32_e32 v48, 16, v31
	v_min3_f16 v48, v30, v31, v48
	v_lshl_add_u64 v[30:31], v[44:45], 1, v[24:25]
	global_store_short v[30:31], v48, off
	s_or_b64 exec, exec, s[26:27]
	s_and_b64 s[26:27], s[16:17], s[18:19]
	s_and_saveexec_b64 s[18:19], s[26:27]
	s_cbranch_execz .LBB210_210
.LBB210_206:
	s_and_b64 vcc, exec, s[0:1]
	s_cbranch_vccnz .LBB210_208
; %bb.207:
	v_lshl_add_u64 v[28:29], v[46:47], 1, v[28:29]
	flat_load_ushort v28, v[28:29]
	s_waitcnt vmcnt(0) lgkmcnt(0)
	v_mul_f16_e32 v28, v52, v28
	s_branch .LBB210_209
.LBB210_208:
	v_mov_b32_e32 v28, 0
.LBB210_209:
	v_pk_add_f16 v26, v2, v26
	v_pk_max_f16 v29, v85, v85
	v_pk_add_f16 v27, v3, v27
	v_pk_min_f16 v26, v29, v26
	v_lshl_add_u64 v[24:25], v[46:47], 1, v[24:25]
	v_pk_min_f16 v26, v26, v27
	s_nop 0
	v_lshrrev_b32_e32 v27, 16, v26
	v_min3_f16 v26, v28, v26, v27
	global_store_short v[24:25], v26, off
.LBB210_210:
	s_or_b64 exec, exec, s[18:19]
	v_add_u32_e32 v28, 32, v94
	v_mad_i64_i32 v[24:25], s[26:27], v28, s29, 0
	v_cmp_gt_i32_e64 s[18:19], s21, v28
	v_lshl_add_u64 v[26:27], v[24:25], 1, s[24:25]
	v_mad_i64_i32 v[24:25], s[26:27], v28, s28, 0
	v_lshl_add_u64 v[24:25], v[24:25], 1, s[22:23]
	s_and_b64 s[30:31], s[4:5], s[18:19]
	s_and_saveexec_b64 s[26:27], s[30:31]
	s_cbranch_execnz .LBB210_218
; %bb.211:
	s_or_b64 exec, exec, s[26:27]
	s_and_b64 s[30:31], s[2:3], s[18:19]
	s_and_saveexec_b64 s[26:27], s[30:31]
	s_cbranch_execnz .LBB210_222
.LBB210_212:
	s_or_b64 exec, exec, s[26:27]
	s_and_b64 s[30:31], s[6:7], s[18:19]
	s_and_saveexec_b64 s[26:27], s[30:31]
	s_cbranch_execnz .LBB210_226
.LBB210_213:
	s_or_b64 exec, exec, s[26:27]
	s_and_b64 s[30:31], s[8:9], s[18:19]
	s_and_saveexec_b64 s[26:27], s[30:31]
	s_cbranch_execnz .LBB210_230
.LBB210_214:
	s_or_b64 exec, exec, s[26:27]
	s_and_b64 s[30:31], s[10:11], s[18:19]
	s_and_saveexec_b64 s[26:27], s[30:31]
	s_cbranch_execnz .LBB210_234
.LBB210_215:
	s_or_b64 exec, exec, s[26:27]
	s_and_b64 s[30:31], s[12:13], s[18:19]
	s_and_saveexec_b64 s[26:27], s[30:31]
	s_cbranch_execnz .LBB210_238
.LBB210_216:
	s_or_b64 exec, exec, s[26:27]
	s_and_b64 s[30:31], s[14:15], s[18:19]
	s_and_saveexec_b64 s[26:27], s[30:31]
	s_cbranch_execnz .LBB210_242
.LBB210_217:
	s_or_b64 exec, exec, s[26:27]
	s_and_b64 s[26:27], s[16:17], s[18:19]
	s_and_saveexec_b64 s[18:19], s[26:27]
	s_cbranch_execnz .LBB210_246
	s_branch .LBB210_250
.LBB210_218:
	s_and_b64 vcc, exec, s[0:1]
	s_cbranch_vccnz .LBB210_220
; %bb.219:
	v_lshl_add_u64 v[28:29], v[32:33], 1, v[26:27]
	flat_load_ushort v28, v[28:29]
	s_waitcnt vmcnt(0) lgkmcnt(0)
	v_mul_f16_e32 v28, v52, v28
	s_branch .LBB210_221
.LBB210_220:
	v_mov_b32_e32 v28, 0
.LBB210_221:
	v_pk_add_f16 v29, v16, v20
	v_pk_max_f16 v30, v84, v84
	s_nop 0
	v_pk_min_f16 v29, v30, v29
	v_pk_add_f16 v30, v17, v21
	s_nop 0
	v_pk_min_f16 v29, v29, v30
	s_nop 0
	v_lshrrev_b32_e32 v30, 16, v29
	v_min3_f16 v30, v28, v29, v30
	v_lshl_add_u64 v[28:29], v[32:33], 1, v[24:25]
	global_store_short v[28:29], v30, off
	s_or_b64 exec, exec, s[26:27]
	s_and_b64 s[30:31], s[2:3], s[18:19]
	s_and_saveexec_b64 s[26:27], s[30:31]
	s_cbranch_execz .LBB210_212
.LBB210_222:
	s_and_b64 vcc, exec, s[0:1]
	s_cbranch_vccnz .LBB210_224
; %bb.223:
	v_lshl_add_u64 v[28:29], v[34:35], 1, v[26:27]
	flat_load_ushort v28, v[28:29]
	s_waitcnt vmcnt(0) lgkmcnt(0)
	v_mul_f16_e32 v28, v52, v28
	s_branch .LBB210_225
.LBB210_224:
	v_mov_b32_e32 v28, 0
.LBB210_225:
	v_pk_add_f16 v29, v18, v20
	v_pk_max_f16 v30, v83, v83
	s_nop 0
	v_pk_min_f16 v29, v30, v29
	v_pk_add_f16 v30, v19, v21
	s_nop 0
	v_pk_min_f16 v29, v29, v30
	s_nop 0
	v_lshrrev_b32_e32 v30, 16, v29
	v_min3_f16 v30, v28, v29, v30
	v_lshl_add_u64 v[28:29], v[34:35], 1, v[24:25]
	global_store_short v[28:29], v30, off
	s_or_b64 exec, exec, s[26:27]
	s_and_b64 s[30:31], s[6:7], s[18:19]
	s_and_saveexec_b64 s[26:27], s[30:31]
	s_cbranch_execz .LBB210_213
.LBB210_226:
	s_and_b64 vcc, exec, s[0:1]
	s_cbranch_vccnz .LBB210_228
; %bb.227:
	v_lshl_add_u64 v[28:29], v[36:37], 1, v[26:27]
	flat_load_ushort v28, v[28:29]
	s_waitcnt vmcnt(0) lgkmcnt(0)
	v_mul_f16_e32 v28, v52, v28
	s_branch .LBB210_229
.LBB210_228:
	v_mov_b32_e32 v28, 0
.LBB210_229:
	v_pk_add_f16 v29, v12, v20
	v_pk_max_f16 v30, v82, v82
	s_nop 0
	v_pk_min_f16 v29, v30, v29
	v_pk_add_f16 v30, v13, v21
	s_nop 0
	v_pk_min_f16 v29, v29, v30
	s_nop 0
	v_lshrrev_b32_e32 v30, 16, v29
	v_min3_f16 v30, v28, v29, v30
	v_lshl_add_u64 v[28:29], v[36:37], 1, v[24:25]
	global_store_short v[28:29], v30, off
	s_or_b64 exec, exec, s[26:27]
	s_and_b64 s[30:31], s[8:9], s[18:19]
	s_and_saveexec_b64 s[26:27], s[30:31]
	s_cbranch_execz .LBB210_214
.LBB210_230:
	s_and_b64 vcc, exec, s[0:1]
	s_cbranch_vccnz .LBB210_232
; %bb.231:
	v_lshl_add_u64 v[28:29], v[38:39], 1, v[26:27]
	flat_load_ushort v28, v[28:29]
	s_waitcnt vmcnt(0) lgkmcnt(0)
	v_mul_f16_e32 v28, v52, v28
	s_branch .LBB210_233
.LBB210_232:
	v_mov_b32_e32 v28, 0
.LBB210_233:
	v_pk_add_f16 v29, v14, v20
	v_pk_max_f16 v30, v81, v81
	s_nop 0
	v_pk_min_f16 v29, v30, v29
	v_pk_add_f16 v30, v15, v21
	s_nop 0
	v_pk_min_f16 v29, v29, v30
	s_nop 0
	v_lshrrev_b32_e32 v30, 16, v29
	v_min3_f16 v30, v28, v29, v30
	v_lshl_add_u64 v[28:29], v[38:39], 1, v[24:25]
	global_store_short v[28:29], v30, off
	s_or_b64 exec, exec, s[26:27]
	s_and_b64 s[30:31], s[10:11], s[18:19]
	s_and_saveexec_b64 s[26:27], s[30:31]
	s_cbranch_execz .LBB210_215
.LBB210_234:
	s_and_b64 vcc, exec, s[0:1]
	s_cbranch_vccnz .LBB210_236
; %bb.235:
	v_lshl_add_u64 v[28:29], v[40:41], 1, v[26:27]
	flat_load_ushort v28, v[28:29]
	s_waitcnt vmcnt(0) lgkmcnt(0)
	v_mul_f16_e32 v28, v52, v28
	s_branch .LBB210_237
.LBB210_236:
	v_mov_b32_e32 v28, 0
.LBB210_237:
	v_pk_add_f16 v29, v8, v20
	v_pk_max_f16 v30, v80, v80
	s_nop 0
	v_pk_min_f16 v29, v30, v29
	v_pk_add_f16 v30, v9, v21
	s_nop 0
	v_pk_min_f16 v29, v29, v30
	s_nop 0
	v_lshrrev_b32_e32 v30, 16, v29
	v_min3_f16 v30, v28, v29, v30
	v_lshl_add_u64 v[28:29], v[40:41], 1, v[24:25]
	global_store_short v[28:29], v30, off
	s_or_b64 exec, exec, s[26:27]
	s_and_b64 s[30:31], s[12:13], s[18:19]
	s_and_saveexec_b64 s[26:27], s[30:31]
	s_cbranch_execz .LBB210_216
.LBB210_238:
	s_and_b64 vcc, exec, s[0:1]
	s_cbranch_vccnz .LBB210_240
; %bb.239:
	v_lshl_add_u64 v[28:29], v[42:43], 1, v[26:27]
	flat_load_ushort v28, v[28:29]
	s_waitcnt vmcnt(0) lgkmcnt(0)
	v_mul_f16_e32 v28, v52, v28
	s_branch .LBB210_241
.LBB210_240:
	v_mov_b32_e32 v28, 0
.LBB210_241:
	v_pk_add_f16 v29, v10, v20
	v_pk_max_f16 v30, v79, v79
	s_nop 0
	v_pk_min_f16 v29, v30, v29
	v_pk_add_f16 v30, v11, v21
	s_nop 0
	v_pk_min_f16 v29, v29, v30
	s_nop 0
	v_lshrrev_b32_e32 v30, 16, v29
	v_min3_f16 v30, v28, v29, v30
	v_lshl_add_u64 v[28:29], v[42:43], 1, v[24:25]
	global_store_short v[28:29], v30, off
	s_or_b64 exec, exec, s[26:27]
	s_and_b64 s[30:31], s[14:15], s[18:19]
	s_and_saveexec_b64 s[26:27], s[30:31]
	s_cbranch_execz .LBB210_217
.LBB210_242:
	s_and_b64 vcc, exec, s[0:1]
	s_cbranch_vccnz .LBB210_244
; %bb.243:
	v_lshl_add_u64 v[28:29], v[44:45], 1, v[26:27]
	flat_load_ushort v28, v[28:29]
	s_waitcnt vmcnt(0) lgkmcnt(0)
	v_mul_f16_e32 v28, v52, v28
	s_branch .LBB210_245
.LBB210_244:
	v_mov_b32_e32 v28, 0
.LBB210_245:
	v_pk_add_f16 v29, v0, v20
	v_pk_max_f16 v30, v78, v78
	s_nop 0
	v_pk_min_f16 v29, v30, v29
	v_pk_add_f16 v30, v1, v21
	s_nop 0
	v_pk_min_f16 v29, v29, v30
	s_nop 0
	v_lshrrev_b32_e32 v30, 16, v29
	v_min3_f16 v30, v28, v29, v30
	v_lshl_add_u64 v[28:29], v[44:45], 1, v[24:25]
	global_store_short v[28:29], v30, off
	s_or_b64 exec, exec, s[26:27]
	s_and_b64 s[26:27], s[16:17], s[18:19]
	s_and_saveexec_b64 s[18:19], s[26:27]
	s_cbranch_execz .LBB210_250
.LBB210_246:
	s_and_b64 vcc, exec, s[0:1]
	s_cbranch_vccnz .LBB210_248
; %bb.247:
	v_lshl_add_u64 v[26:27], v[46:47], 1, v[26:27]
	flat_load_ushort v26, v[26:27]
	s_waitcnt vmcnt(0) lgkmcnt(0)
	v_mul_f16_e32 v26, v52, v26
	s_branch .LBB210_249
.LBB210_248:
	v_mov_b32_e32 v26, 0
.LBB210_249:
	v_pk_add_f16 v20, v2, v20
	v_pk_max_f16 v27, v77, v77
	v_pk_add_f16 v21, v3, v21
	v_pk_min_f16 v20, v27, v20
	s_nop 0
	v_pk_min_f16 v20, v20, v21
	s_nop 0
	v_lshrrev_b32_e32 v21, 16, v20
	v_min3_f16 v26, v26, v20, v21
	v_lshl_add_u64 v[20:21], v[46:47], 1, v[24:25]
	global_store_short v[20:21], v26, off
.LBB210_250:
	s_or_b64 exec, exec, s[18:19]
	v_add_u32_e32 v26, 40, v94
	v_mad_i64_i32 v[20:21], s[26:27], v26, s29, 0
	v_cmp_gt_i32_e64 s[18:19], s21, v26
	v_lshl_add_u64 v[24:25], v[20:21], 1, s[24:25]
	v_mad_i64_i32 v[20:21], s[26:27], v26, s28, 0
	v_lshl_add_u64 v[20:21], v[20:21], 1, s[22:23]
	s_and_b64 s[30:31], s[4:5], s[18:19]
	s_and_saveexec_b64 s[26:27], s[30:31]
	s_cbranch_execnz .LBB210_258
; %bb.251:
	s_or_b64 exec, exec, s[26:27]
	s_and_b64 s[30:31], s[2:3], s[18:19]
	s_and_saveexec_b64 s[26:27], s[30:31]
	s_cbranch_execnz .LBB210_262
.LBB210_252:
	s_or_b64 exec, exec, s[26:27]
	s_and_b64 s[30:31], s[6:7], s[18:19]
	s_and_saveexec_b64 s[26:27], s[30:31]
	s_cbranch_execnz .LBB210_266
.LBB210_253:
	s_or_b64 exec, exec, s[26:27]
	s_and_b64 s[30:31], s[8:9], s[18:19]
	s_and_saveexec_b64 s[26:27], s[30:31]
	s_cbranch_execnz .LBB210_270
.LBB210_254:
	s_or_b64 exec, exec, s[26:27]
	s_and_b64 s[30:31], s[10:11], s[18:19]
	s_and_saveexec_b64 s[26:27], s[30:31]
	s_cbranch_execnz .LBB210_274
.LBB210_255:
	s_or_b64 exec, exec, s[26:27]
	s_and_b64 s[30:31], s[12:13], s[18:19]
	s_and_saveexec_b64 s[26:27], s[30:31]
	s_cbranch_execnz .LBB210_278
.LBB210_256:
	s_or_b64 exec, exec, s[26:27]
	s_and_b64 s[30:31], s[14:15], s[18:19]
	s_and_saveexec_b64 s[26:27], s[30:31]
	s_cbranch_execnz .LBB210_282
.LBB210_257:
	s_or_b64 exec, exec, s[26:27]
	s_and_b64 s[26:27], s[16:17], s[18:19]
	s_and_saveexec_b64 s[18:19], s[26:27]
	s_cbranch_execnz .LBB210_286
	s_branch .LBB210_290
.LBB210_258:
	s_and_b64 vcc, exec, s[0:1]
	s_cbranch_vccnz .LBB210_260
; %bb.259:
	v_lshl_add_u64 v[26:27], v[32:33], 1, v[24:25]
	flat_load_ushort v26, v[26:27]
	s_waitcnt vmcnt(0) lgkmcnt(0)
	v_mul_f16_e32 v26, v52, v26
	s_branch .LBB210_261
.LBB210_260:
	v_mov_b32_e32 v26, 0
.LBB210_261:
	v_pk_add_f16 v27, v16, v22
	v_pk_max_f16 v28, v76, v76
	s_nop 0
	v_pk_min_f16 v27, v28, v27
	v_pk_add_f16 v28, v17, v23
	s_nop 0
	v_pk_min_f16 v27, v27, v28
	s_nop 0
	v_lshrrev_b32_e32 v28, 16, v27
	v_min3_f16 v28, v26, v27, v28
	v_lshl_add_u64 v[26:27], v[32:33], 1, v[20:21]
	global_store_short v[26:27], v28, off
	s_or_b64 exec, exec, s[26:27]
	s_and_b64 s[30:31], s[2:3], s[18:19]
	s_and_saveexec_b64 s[26:27], s[30:31]
	s_cbranch_execz .LBB210_252
.LBB210_262:
	s_and_b64 vcc, exec, s[0:1]
	s_cbranch_vccnz .LBB210_264
; %bb.263:
	v_lshl_add_u64 v[26:27], v[34:35], 1, v[24:25]
	flat_load_ushort v26, v[26:27]
	s_waitcnt vmcnt(0) lgkmcnt(0)
	v_mul_f16_e32 v26, v52, v26
	s_branch .LBB210_265
.LBB210_264:
	v_mov_b32_e32 v26, 0
.LBB210_265:
	v_pk_add_f16 v27, v18, v22
	v_pk_max_f16 v28, v75, v75
	s_nop 0
	v_pk_min_f16 v27, v28, v27
	v_pk_add_f16 v28, v19, v23
	s_nop 0
	v_pk_min_f16 v27, v27, v28
	s_nop 0
	v_lshrrev_b32_e32 v28, 16, v27
	v_min3_f16 v28, v26, v27, v28
	v_lshl_add_u64 v[26:27], v[34:35], 1, v[20:21]
	global_store_short v[26:27], v28, off
	s_or_b64 exec, exec, s[26:27]
	s_and_b64 s[30:31], s[6:7], s[18:19]
	s_and_saveexec_b64 s[26:27], s[30:31]
	s_cbranch_execz .LBB210_253
.LBB210_266:
	s_and_b64 vcc, exec, s[0:1]
	s_cbranch_vccnz .LBB210_268
; %bb.267:
	v_lshl_add_u64 v[26:27], v[36:37], 1, v[24:25]
	flat_load_ushort v26, v[26:27]
	s_waitcnt vmcnt(0) lgkmcnt(0)
	v_mul_f16_e32 v26, v52, v26
	s_branch .LBB210_269
.LBB210_268:
	v_mov_b32_e32 v26, 0
.LBB210_269:
	v_pk_add_f16 v27, v12, v22
	v_pk_max_f16 v28, v74, v74
	s_nop 0
	v_pk_min_f16 v27, v28, v27
	v_pk_add_f16 v28, v13, v23
	s_nop 0
	v_pk_min_f16 v27, v27, v28
	s_nop 0
	v_lshrrev_b32_e32 v28, 16, v27
	v_min3_f16 v28, v26, v27, v28
	v_lshl_add_u64 v[26:27], v[36:37], 1, v[20:21]
	global_store_short v[26:27], v28, off
	s_or_b64 exec, exec, s[26:27]
	s_and_b64 s[30:31], s[8:9], s[18:19]
	s_and_saveexec_b64 s[26:27], s[30:31]
	s_cbranch_execz .LBB210_254
.LBB210_270:
	s_and_b64 vcc, exec, s[0:1]
	s_cbranch_vccnz .LBB210_272
; %bb.271:
	v_lshl_add_u64 v[26:27], v[38:39], 1, v[24:25]
	flat_load_ushort v26, v[26:27]
	s_waitcnt vmcnt(0) lgkmcnt(0)
	v_mul_f16_e32 v26, v52, v26
	s_branch .LBB210_273
.LBB210_272:
	v_mov_b32_e32 v26, 0
.LBB210_273:
	v_pk_add_f16 v27, v14, v22
	v_pk_max_f16 v28, v73, v73
	s_nop 0
	v_pk_min_f16 v27, v28, v27
	v_pk_add_f16 v28, v15, v23
	s_nop 0
	v_pk_min_f16 v27, v27, v28
	s_nop 0
	v_lshrrev_b32_e32 v28, 16, v27
	v_min3_f16 v28, v26, v27, v28
	v_lshl_add_u64 v[26:27], v[38:39], 1, v[20:21]
	global_store_short v[26:27], v28, off
	s_or_b64 exec, exec, s[26:27]
	s_and_b64 s[30:31], s[10:11], s[18:19]
	s_and_saveexec_b64 s[26:27], s[30:31]
	s_cbranch_execz .LBB210_255
.LBB210_274:
	s_and_b64 vcc, exec, s[0:1]
	s_cbranch_vccnz .LBB210_276
; %bb.275:
	v_lshl_add_u64 v[26:27], v[40:41], 1, v[24:25]
	flat_load_ushort v26, v[26:27]
	s_waitcnt vmcnt(0) lgkmcnt(0)
	v_mul_f16_e32 v26, v52, v26
	s_branch .LBB210_277
.LBB210_276:
	v_mov_b32_e32 v26, 0
.LBB210_277:
	v_pk_add_f16 v27, v8, v22
	v_pk_max_f16 v28, v72, v72
	s_nop 0
	v_pk_min_f16 v27, v28, v27
	v_pk_add_f16 v28, v9, v23
	s_nop 0
	v_pk_min_f16 v27, v27, v28
	s_nop 0
	v_lshrrev_b32_e32 v28, 16, v27
	v_min3_f16 v28, v26, v27, v28
	v_lshl_add_u64 v[26:27], v[40:41], 1, v[20:21]
	global_store_short v[26:27], v28, off
	s_or_b64 exec, exec, s[26:27]
	s_and_b64 s[30:31], s[12:13], s[18:19]
	s_and_saveexec_b64 s[26:27], s[30:31]
	s_cbranch_execz .LBB210_256
.LBB210_278:
	s_and_b64 vcc, exec, s[0:1]
	s_cbranch_vccnz .LBB210_280
; %bb.279:
	v_lshl_add_u64 v[26:27], v[42:43], 1, v[24:25]
	flat_load_ushort v26, v[26:27]
	s_waitcnt vmcnt(0) lgkmcnt(0)
	v_mul_f16_e32 v26, v52, v26
	s_branch .LBB210_281
.LBB210_280:
	v_mov_b32_e32 v26, 0
.LBB210_281:
	v_pk_add_f16 v27, v10, v22
	v_pk_max_f16 v28, v71, v71
	s_nop 0
	v_pk_min_f16 v27, v28, v27
	v_pk_add_f16 v28, v11, v23
	s_nop 0
	v_pk_min_f16 v27, v27, v28
	s_nop 0
	v_lshrrev_b32_e32 v28, 16, v27
	v_min3_f16 v28, v26, v27, v28
	v_lshl_add_u64 v[26:27], v[42:43], 1, v[20:21]
	global_store_short v[26:27], v28, off
	s_or_b64 exec, exec, s[26:27]
	s_and_b64 s[30:31], s[14:15], s[18:19]
	s_and_saveexec_b64 s[26:27], s[30:31]
	s_cbranch_execz .LBB210_257
.LBB210_282:
	s_and_b64 vcc, exec, s[0:1]
	s_cbranch_vccnz .LBB210_284
; %bb.283:
	v_lshl_add_u64 v[26:27], v[44:45], 1, v[24:25]
	flat_load_ushort v26, v[26:27]
	s_waitcnt vmcnt(0) lgkmcnt(0)
	v_mul_f16_e32 v26, v52, v26
	s_branch .LBB210_285
.LBB210_284:
	v_mov_b32_e32 v26, 0
.LBB210_285:
	v_pk_add_f16 v27, v0, v22
	v_pk_max_f16 v28, v70, v70
	s_nop 0
	v_pk_min_f16 v27, v28, v27
	v_pk_add_f16 v28, v1, v23
	s_nop 0
	v_pk_min_f16 v27, v27, v28
	s_nop 0
	v_lshrrev_b32_e32 v28, 16, v27
	v_min3_f16 v28, v26, v27, v28
	v_lshl_add_u64 v[26:27], v[44:45], 1, v[20:21]
	global_store_short v[26:27], v28, off
	s_or_b64 exec, exec, s[26:27]
	s_and_b64 s[26:27], s[16:17], s[18:19]
	s_and_saveexec_b64 s[18:19], s[26:27]
	s_cbranch_execz .LBB210_290
.LBB210_286:
	s_and_b64 vcc, exec, s[0:1]
	s_cbranch_vccnz .LBB210_288
; %bb.287:
	v_lshl_add_u64 v[24:25], v[46:47], 1, v[24:25]
	flat_load_ushort v24, v[24:25]
	s_waitcnt vmcnt(0) lgkmcnt(0)
	v_mul_f16_e32 v24, v52, v24
	s_branch .LBB210_289
.LBB210_288:
	v_mov_b32_e32 v24, 0
.LBB210_289:
	v_pk_add_f16 v22, v2, v22
	v_pk_max_f16 v25, v69, v69
	v_pk_add_f16 v23, v3, v23
	v_pk_min_f16 v22, v25, v22
	v_lshl_add_u64 v[20:21], v[46:47], 1, v[20:21]
	v_pk_min_f16 v22, v22, v23
	s_nop 0
	v_lshrrev_b32_e32 v23, 16, v22
	v_min3_f16 v22, v24, v22, v23
	global_store_short v[20:21], v22, off
.LBB210_290:
	s_or_b64 exec, exec, s[18:19]
	v_add_u32_e32 v24, 48, v94
	v_mad_i64_i32 v[20:21], s[26:27], v24, s29, 0
	v_cmp_gt_i32_e64 s[18:19], s21, v24
	v_lshl_add_u64 v[22:23], v[20:21], 1, s[24:25]
	v_mad_i64_i32 v[20:21], s[26:27], v24, s28, 0
	v_lshl_add_u64 v[20:21], v[20:21], 1, s[22:23]
	s_and_b64 s[30:31], s[4:5], s[18:19]
	s_and_saveexec_b64 s[26:27], s[30:31]
	s_cbranch_execnz .LBB210_298
; %bb.291:
	s_or_b64 exec, exec, s[26:27]
	s_and_b64 s[30:31], s[2:3], s[18:19]
	s_and_saveexec_b64 s[26:27], s[30:31]
	s_cbranch_execnz .LBB210_302
.LBB210_292:
	s_or_b64 exec, exec, s[26:27]
	s_and_b64 s[30:31], s[6:7], s[18:19]
	s_and_saveexec_b64 s[26:27], s[30:31]
	s_cbranch_execnz .LBB210_306
.LBB210_293:
	s_or_b64 exec, exec, s[26:27]
	s_and_b64 s[30:31], s[8:9], s[18:19]
	s_and_saveexec_b64 s[26:27], s[30:31]
	s_cbranch_execnz .LBB210_310
.LBB210_294:
	s_or_b64 exec, exec, s[26:27]
	s_and_b64 s[30:31], s[10:11], s[18:19]
	s_and_saveexec_b64 s[26:27], s[30:31]
	s_cbranch_execnz .LBB210_314
.LBB210_295:
	s_or_b64 exec, exec, s[26:27]
	s_and_b64 s[30:31], s[12:13], s[18:19]
	s_and_saveexec_b64 s[26:27], s[30:31]
	s_cbranch_execnz .LBB210_318
.LBB210_296:
	s_or_b64 exec, exec, s[26:27]
	s_and_b64 s[30:31], s[14:15], s[18:19]
	s_and_saveexec_b64 s[26:27], s[30:31]
	s_cbranch_execnz .LBB210_322
.LBB210_297:
	s_or_b64 exec, exec, s[26:27]
	s_and_b64 s[26:27], s[16:17], s[18:19]
	s_and_saveexec_b64 s[18:19], s[26:27]
	s_cbranch_execnz .LBB210_326
	s_branch .LBB210_330
.LBB210_298:
	s_and_b64 vcc, exec, s[0:1]
	s_cbranch_vccnz .LBB210_300
; %bb.299:
	v_lshl_add_u64 v[24:25], v[32:33], 1, v[22:23]
	flat_load_ushort v24, v[24:25]
	s_waitcnt vmcnt(0) lgkmcnt(0)
	v_mul_f16_e32 v24, v52, v24
	s_branch .LBB210_301
.LBB210_300:
	v_mov_b32_e32 v24, 0
.LBB210_301:
	v_pk_add_f16 v25, v16, v4
	v_pk_max_f16 v26, v68, v68
	s_nop 0
	v_pk_min_f16 v25, v26, v25
	v_pk_add_f16 v26, v17, v5
	s_nop 0
	v_pk_min_f16 v25, v25, v26
	s_nop 0
	v_lshrrev_b32_e32 v26, 16, v25
	v_min3_f16 v26, v24, v25, v26
	v_lshl_add_u64 v[24:25], v[32:33], 1, v[20:21]
	global_store_short v[24:25], v26, off
	s_or_b64 exec, exec, s[26:27]
	s_and_b64 s[30:31], s[2:3], s[18:19]
	s_and_saveexec_b64 s[26:27], s[30:31]
	s_cbranch_execz .LBB210_292
.LBB210_302:
	s_and_b64 vcc, exec, s[0:1]
	s_cbranch_vccnz .LBB210_304
; %bb.303:
	v_lshl_add_u64 v[24:25], v[34:35], 1, v[22:23]
	flat_load_ushort v24, v[24:25]
	s_waitcnt vmcnt(0) lgkmcnt(0)
	v_mul_f16_e32 v24, v52, v24
	s_branch .LBB210_305
.LBB210_304:
	v_mov_b32_e32 v24, 0
.LBB210_305:
	v_pk_add_f16 v25, v18, v4
	v_pk_max_f16 v26, v67, v67
	s_nop 0
	v_pk_min_f16 v25, v26, v25
	v_pk_add_f16 v26, v19, v5
	s_nop 0
	v_pk_min_f16 v25, v25, v26
	s_nop 0
	v_lshrrev_b32_e32 v26, 16, v25
	v_min3_f16 v26, v24, v25, v26
	v_lshl_add_u64 v[24:25], v[34:35], 1, v[20:21]
	global_store_short v[24:25], v26, off
	s_or_b64 exec, exec, s[26:27]
	s_and_b64 s[30:31], s[6:7], s[18:19]
	s_and_saveexec_b64 s[26:27], s[30:31]
	s_cbranch_execz .LBB210_293
.LBB210_306:
	s_and_b64 vcc, exec, s[0:1]
	s_cbranch_vccnz .LBB210_308
; %bb.307:
	v_lshl_add_u64 v[24:25], v[36:37], 1, v[22:23]
	flat_load_ushort v24, v[24:25]
	s_waitcnt vmcnt(0) lgkmcnt(0)
	v_mul_f16_e32 v24, v52, v24
	s_branch .LBB210_309
.LBB210_308:
	v_mov_b32_e32 v24, 0
.LBB210_309:
	v_pk_add_f16 v25, v12, v4
	v_pk_max_f16 v26, v66, v66
	s_nop 0
	v_pk_min_f16 v25, v26, v25
	v_pk_add_f16 v26, v13, v5
	s_nop 0
	v_pk_min_f16 v25, v25, v26
	s_nop 0
	v_lshrrev_b32_e32 v26, 16, v25
	v_min3_f16 v26, v24, v25, v26
	v_lshl_add_u64 v[24:25], v[36:37], 1, v[20:21]
	global_store_short v[24:25], v26, off
	s_or_b64 exec, exec, s[26:27]
	s_and_b64 s[30:31], s[8:9], s[18:19]
	s_and_saveexec_b64 s[26:27], s[30:31]
	s_cbranch_execz .LBB210_294
.LBB210_310:
	s_and_b64 vcc, exec, s[0:1]
	s_cbranch_vccnz .LBB210_312
; %bb.311:
	v_lshl_add_u64 v[24:25], v[38:39], 1, v[22:23]
	flat_load_ushort v24, v[24:25]
	s_waitcnt vmcnt(0) lgkmcnt(0)
	v_mul_f16_e32 v24, v52, v24
	s_branch .LBB210_313
.LBB210_312:
	v_mov_b32_e32 v24, 0
.LBB210_313:
	v_pk_add_f16 v25, v14, v4
	v_pk_max_f16 v26, v65, v65
	s_nop 0
	v_pk_min_f16 v25, v26, v25
	v_pk_add_f16 v26, v15, v5
	s_nop 0
	v_pk_min_f16 v25, v25, v26
	s_nop 0
	v_lshrrev_b32_e32 v26, 16, v25
	v_min3_f16 v26, v24, v25, v26
	v_lshl_add_u64 v[24:25], v[38:39], 1, v[20:21]
	global_store_short v[24:25], v26, off
	s_or_b64 exec, exec, s[26:27]
	s_and_b64 s[30:31], s[10:11], s[18:19]
	s_and_saveexec_b64 s[26:27], s[30:31]
	s_cbranch_execz .LBB210_295
.LBB210_314:
	s_and_b64 vcc, exec, s[0:1]
	s_cbranch_vccnz .LBB210_316
; %bb.315:
	v_lshl_add_u64 v[24:25], v[40:41], 1, v[22:23]
	flat_load_ushort v24, v[24:25]
	s_waitcnt vmcnt(0) lgkmcnt(0)
	v_mul_f16_e32 v24, v52, v24
	s_branch .LBB210_317
.LBB210_316:
	v_mov_b32_e32 v24, 0
.LBB210_317:
	v_pk_add_f16 v25, v8, v4
	v_pk_max_f16 v26, v64, v64
	s_nop 0
	v_pk_min_f16 v25, v26, v25
	v_pk_add_f16 v26, v9, v5
	s_nop 0
	v_pk_min_f16 v25, v25, v26
	s_nop 0
	v_lshrrev_b32_e32 v26, 16, v25
	v_min3_f16 v26, v24, v25, v26
	v_lshl_add_u64 v[24:25], v[40:41], 1, v[20:21]
	global_store_short v[24:25], v26, off
	s_or_b64 exec, exec, s[26:27]
	s_and_b64 s[30:31], s[12:13], s[18:19]
	s_and_saveexec_b64 s[26:27], s[30:31]
	s_cbranch_execz .LBB210_296
.LBB210_318:
	s_and_b64 vcc, exec, s[0:1]
	s_cbranch_vccnz .LBB210_320
; %bb.319:
	v_lshl_add_u64 v[24:25], v[42:43], 1, v[22:23]
	flat_load_ushort v24, v[24:25]
	s_waitcnt vmcnt(0) lgkmcnt(0)
	v_mul_f16_e32 v24, v52, v24
	s_branch .LBB210_321
.LBB210_320:
	v_mov_b32_e32 v24, 0
.LBB210_321:
	v_pk_add_f16 v25, v10, v4
	v_pk_max_f16 v26, v63, v63
	s_nop 0
	v_pk_min_f16 v25, v26, v25
	v_pk_add_f16 v26, v11, v5
	s_nop 0
	v_pk_min_f16 v25, v25, v26
	s_nop 0
	v_lshrrev_b32_e32 v26, 16, v25
	v_min3_f16 v26, v24, v25, v26
	v_lshl_add_u64 v[24:25], v[42:43], 1, v[20:21]
	global_store_short v[24:25], v26, off
	s_or_b64 exec, exec, s[26:27]
	s_and_b64 s[30:31], s[14:15], s[18:19]
	s_and_saveexec_b64 s[26:27], s[30:31]
	s_cbranch_execz .LBB210_297
.LBB210_322:
	s_and_b64 vcc, exec, s[0:1]
	s_cbranch_vccnz .LBB210_324
; %bb.323:
	v_lshl_add_u64 v[24:25], v[44:45], 1, v[22:23]
	flat_load_ushort v24, v[24:25]
	s_waitcnt vmcnt(0) lgkmcnt(0)
	v_mul_f16_e32 v24, v52, v24
	s_branch .LBB210_325
.LBB210_324:
	v_mov_b32_e32 v24, 0
.LBB210_325:
	v_pk_add_f16 v25, v0, v4
	v_pk_max_f16 v26, v62, v62
	s_nop 0
	v_pk_min_f16 v25, v26, v25
	v_pk_add_f16 v26, v1, v5
	s_nop 0
	v_pk_min_f16 v25, v25, v26
	s_nop 0
	v_lshrrev_b32_e32 v26, 16, v25
	v_min3_f16 v26, v24, v25, v26
	v_lshl_add_u64 v[24:25], v[44:45], 1, v[20:21]
	global_store_short v[24:25], v26, off
	s_or_b64 exec, exec, s[26:27]
	s_and_b64 s[26:27], s[16:17], s[18:19]
	s_and_saveexec_b64 s[18:19], s[26:27]
	s_cbranch_execz .LBB210_330
.LBB210_326:
	s_and_b64 vcc, exec, s[0:1]
	s_cbranch_vccnz .LBB210_328
; %bb.327:
	v_lshl_add_u64 v[22:23], v[46:47], 1, v[22:23]
	flat_load_ushort v22, v[22:23]
	s_waitcnt vmcnt(0) lgkmcnt(0)
	v_mul_f16_e32 v22, v52, v22
	s_branch .LBB210_329
.LBB210_328:
	v_mov_b32_e32 v22, 0
.LBB210_329:
	v_pk_add_f16 v4, v2, v4
	v_pk_max_f16 v23, v61, v61
	v_pk_add_f16 v5, v3, v5
	v_pk_min_f16 v4, v23, v4
	s_nop 0
	v_pk_min_f16 v4, v4, v5
	s_nop 0
	v_lshrrev_b32_e32 v5, 16, v4
	v_min3_f16 v22, v22, v4, v5
	v_lshl_add_u64 v[4:5], v[46:47], 1, v[20:21]
	global_store_short v[4:5], v22, off
.LBB210_330:
	s_or_b64 exec, exec, s[18:19]
	v_add_u32_e32 v22, 56, v94
	v_cmp_gt_i32_e64 s[18:19], s21, v22
	v_mad_i64_i32 v[4:5], s[20:21], v22, s29, 0
	v_lshl_add_u64 v[20:21], v[4:5], 1, s[24:25]
	v_mad_i64_i32 v[4:5], s[20:21], v22, s28, 0
	v_lshl_add_u64 v[4:5], v[4:5], 1, s[22:23]
	s_and_b64 s[20:21], s[4:5], s[18:19]
	s_and_saveexec_b64 s[4:5], s[20:21]
	s_cbranch_execnz .LBB210_339
; %bb.331:
	s_or_b64 exec, exec, s[4:5]
	s_and_b64 s[4:5], s[2:3], s[18:19]
	s_and_saveexec_b64 s[2:3], s[4:5]
	s_cbranch_execnz .LBB210_343
.LBB210_332:
	s_or_b64 exec, exec, s[2:3]
	s_and_b64 s[4:5], s[6:7], s[18:19]
	s_and_saveexec_b64 s[2:3], s[4:5]
	s_cbranch_execnz .LBB210_347
.LBB210_333:
	s_or_b64 exec, exec, s[2:3]
	s_and_b64 s[4:5], s[8:9], s[18:19]
	s_and_saveexec_b64 s[2:3], s[4:5]
	s_cbranch_execnz .LBB210_351
.LBB210_334:
	s_or_b64 exec, exec, s[2:3]
	s_and_b64 s[4:5], s[10:11], s[18:19]
	s_and_saveexec_b64 s[2:3], s[4:5]
	s_cbranch_execnz .LBB210_355
.LBB210_335:
	s_or_b64 exec, exec, s[2:3]
	s_and_b64 s[4:5], s[12:13], s[18:19]
	s_and_saveexec_b64 s[2:3], s[4:5]
	s_cbranch_execnz .LBB210_359
.LBB210_336:
	s_or_b64 exec, exec, s[2:3]
	s_and_b64 s[4:5], s[14:15], s[18:19]
	s_and_saveexec_b64 s[2:3], s[4:5]
	s_cbranch_execnz .LBB210_363
.LBB210_337:
	s_or_b64 exec, exec, s[2:3]
	s_and_b64 s[2:3], s[16:17], s[18:19]
	s_and_saveexec_b64 s[4:5], s[2:3]
	s_cbranch_execnz .LBB210_367
.LBB210_338:
	s_endpgm
.LBB210_339:
	s_and_b64 vcc, exec, s[0:1]
	s_cbranch_vccnz .LBB210_341
; %bb.340:
	v_lshl_add_u64 v[22:23], v[32:33], 1, v[20:21]
	flat_load_ushort v22, v[22:23]
	s_waitcnt vmcnt(0) lgkmcnt(0)
	v_mul_f16_e32 v22, v52, v22
	s_branch .LBB210_342
.LBB210_341:
	v_mov_b32_e32 v22, 0
.LBB210_342:
	v_pk_add_f16 v16, v16, v6
	v_pk_max_f16 v23, v60, v60
	v_pk_add_f16 v17, v17, v7
	v_pk_min_f16 v16, v23, v16
	s_nop 0
	v_pk_min_f16 v16, v16, v17
	s_nop 0
	v_lshrrev_b32_e32 v17, 16, v16
	v_min3_f16 v22, v22, v16, v17
	v_lshl_add_u64 v[16:17], v[32:33], 1, v[4:5]
	global_store_short v[16:17], v22, off
	s_or_b64 exec, exec, s[4:5]
	s_and_b64 s[4:5], s[2:3], s[18:19]
	s_and_saveexec_b64 s[2:3], s[4:5]
	s_cbranch_execz .LBB210_332
.LBB210_343:
	s_and_b64 vcc, exec, s[0:1]
	s_cbranch_vccnz .LBB210_345
; %bb.344:
	v_lshl_add_u64 v[16:17], v[34:35], 1, v[20:21]
	flat_load_ushort v16, v[16:17]
	s_waitcnt vmcnt(0) lgkmcnt(0)
	v_mul_f16_e32 v16, v52, v16
	s_branch .LBB210_346
.LBB210_345:
	v_mov_b32_e32 v16, 0
.LBB210_346:
	v_pk_add_f16 v17, v18, v6
	v_pk_max_f16 v18, v59, v59
	s_nop 0
	v_pk_min_f16 v17, v18, v17
	v_pk_add_f16 v18, v19, v7
	s_nop 0
	v_pk_min_f16 v17, v17, v18
	s_nop 0
	v_lshrrev_b32_e32 v18, 16, v17
	v_min3_f16 v18, v16, v17, v18
	v_lshl_add_u64 v[16:17], v[34:35], 1, v[4:5]
	global_store_short v[16:17], v18, off
	s_or_b64 exec, exec, s[2:3]
	s_and_b64 s[4:5], s[6:7], s[18:19]
	s_and_saveexec_b64 s[2:3], s[4:5]
	s_cbranch_execz .LBB210_333
.LBB210_347:
	s_and_b64 vcc, exec, s[0:1]
	s_cbranch_vccnz .LBB210_349
; %bb.348:
	v_lshl_add_u64 v[16:17], v[36:37], 1, v[20:21]
	flat_load_ushort v16, v[16:17]
	s_waitcnt vmcnt(0) lgkmcnt(0)
	v_mul_f16_e32 v16, v52, v16
	s_branch .LBB210_350
.LBB210_349:
	v_mov_b32_e32 v16, 0
.LBB210_350:
	v_pk_add_f16 v12, v12, v6
	v_pk_max_f16 v17, v58, v58
	v_pk_add_f16 v13, v13, v7
	v_pk_min_f16 v12, v17, v12
	s_nop 0
	v_pk_min_f16 v12, v12, v13
	s_nop 0
	v_lshrrev_b32_e32 v13, 16, v12
	v_min3_f16 v16, v16, v12, v13
	v_lshl_add_u64 v[12:13], v[36:37], 1, v[4:5]
	global_store_short v[12:13], v16, off
	s_or_b64 exec, exec, s[2:3]
	s_and_b64 s[4:5], s[8:9], s[18:19]
	s_and_saveexec_b64 s[2:3], s[4:5]
	s_cbranch_execz .LBB210_334
.LBB210_351:
	s_and_b64 vcc, exec, s[0:1]
	s_cbranch_vccnz .LBB210_353
; %bb.352:
	v_lshl_add_u64 v[12:13], v[38:39], 1, v[20:21]
	flat_load_ushort v12, v[12:13]
	s_waitcnt vmcnt(0) lgkmcnt(0)
	v_mul_f16_e32 v12, v52, v12
	s_branch .LBB210_354
.LBB210_353:
	v_mov_b32_e32 v12, 0
.LBB210_354:
	v_pk_add_f16 v13, v14, v6
	v_pk_max_f16 v14, v56, v56
	s_nop 0
	v_pk_min_f16 v13, v14, v13
	v_pk_add_f16 v14, v15, v7
	s_nop 0
	v_pk_min_f16 v13, v13, v14
	s_nop 0
	v_lshrrev_b32_e32 v14, 16, v13
	v_min3_f16 v14, v12, v13, v14
	v_lshl_add_u64 v[12:13], v[38:39], 1, v[4:5]
	global_store_short v[12:13], v14, off
	s_or_b64 exec, exec, s[2:3]
	s_and_b64 s[4:5], s[10:11], s[18:19]
	s_and_saveexec_b64 s[2:3], s[4:5]
	s_cbranch_execz .LBB210_335
.LBB210_355:
	s_and_b64 vcc, exec, s[0:1]
	s_cbranch_vccnz .LBB210_357
; %bb.356:
	v_lshl_add_u64 v[12:13], v[40:41], 1, v[20:21]
	flat_load_ushort v12, v[12:13]
	s_waitcnt vmcnt(0) lgkmcnt(0)
	v_mul_f16_e32 v12, v52, v12
	s_branch .LBB210_358
.LBB210_357:
	v_mov_b32_e32 v12, 0
.LBB210_358:
	v_pk_add_f16 v8, v8, v6
	v_pk_max_f16 v13, v55, v55
	v_pk_add_f16 v9, v9, v7
	v_pk_min_f16 v8, v13, v8
	s_nop 0
	v_pk_min_f16 v8, v8, v9
	s_nop 0
	v_lshrrev_b32_e32 v9, 16, v8
	v_min3_f16 v12, v12, v8, v9
	v_lshl_add_u64 v[8:9], v[40:41], 1, v[4:5]
	global_store_short v[8:9], v12, off
	s_or_b64 exec, exec, s[2:3]
	s_and_b64 s[4:5], s[12:13], s[18:19]
	s_and_saveexec_b64 s[2:3], s[4:5]
	s_cbranch_execz .LBB210_336
.LBB210_359:
	s_and_b64 vcc, exec, s[0:1]
	s_cbranch_vccnz .LBB210_361
; %bb.360:
	v_lshl_add_u64 v[8:9], v[42:43], 1, v[20:21]
	flat_load_ushort v8, v[8:9]
	s_waitcnt vmcnt(0) lgkmcnt(0)
	v_mul_f16_e32 v8, v52, v8
	s_branch .LBB210_362
.LBB210_361:
	v_mov_b32_e32 v8, 0
.LBB210_362:
	v_pk_add_f16 v9, v10, v6
	v_pk_max_f16 v10, v54, v54
	s_nop 0
	v_pk_min_f16 v9, v10, v9
	v_pk_add_f16 v10, v11, v7
	s_nop 0
	v_pk_min_f16 v9, v9, v10
	s_nop 0
	v_lshrrev_b32_e32 v10, 16, v9
	v_min3_f16 v10, v8, v9, v10
	v_lshl_add_u64 v[8:9], v[42:43], 1, v[4:5]
	global_store_short v[8:9], v10, off
	s_or_b64 exec, exec, s[2:3]
	s_and_b64 s[4:5], s[14:15], s[18:19]
	s_and_saveexec_b64 s[2:3], s[4:5]
	s_cbranch_execz .LBB210_337
.LBB210_363:
	s_and_b64 vcc, exec, s[0:1]
	s_cbranch_vccnz .LBB210_365
; %bb.364:
	v_lshl_add_u64 v[8:9], v[44:45], 1, v[20:21]
	flat_load_ushort v8, v[8:9]
	s_waitcnt vmcnt(0) lgkmcnt(0)
	v_mul_f16_e32 v8, v52, v8
	s_branch .LBB210_366
.LBB210_365:
	v_mov_b32_e32 v8, 0
.LBB210_366:
	v_pk_add_f16 v0, v0, v6
	v_pk_max_f16 v9, v53, v53
	v_pk_add_f16 v1, v1, v7
	v_pk_min_f16 v0, v9, v0
	s_nop 0
	v_pk_min_f16 v0, v0, v1
	s_nop 0
	v_lshrrev_b32_e32 v1, 16, v0
	v_min3_f16 v8, v8, v0, v1
	v_lshl_add_u64 v[0:1], v[44:45], 1, v[4:5]
	global_store_short v[0:1], v8, off
	s_or_b64 exec, exec, s[2:3]
	s_and_b64 s[2:3], s[16:17], s[18:19]
	s_and_saveexec_b64 s[4:5], s[2:3]
	s_cbranch_execz .LBB210_338
.LBB210_367:
	s_and_b64 vcc, exec, s[0:1]
	s_cbranch_vccnz .LBB210_369
; %bb.368:
	v_lshl_add_u64 v[0:1], v[46:47], 1, v[20:21]
	flat_load_ushort v0, v[0:1]
	s_waitcnt vmcnt(0) lgkmcnt(0)
	v_mul_f16_e32 v0, v52, v0
	s_branch .LBB210_370
.LBB210_369:
	v_mov_b32_e32 v0, 0
.LBB210_370:
	v_pk_add_f16 v1, v2, v6
	v_pk_max_f16 v2, v57, v57
	s_nop 0
	v_pk_min_f16 v1, v2, v1
	v_pk_add_f16 v2, v3, v7
	s_nop 0
	v_pk_min_f16 v1, v1, v2
	s_nop 0
	v_lshrrev_b32_e32 v2, 16, v1
	v_min3_f16 v2, v0, v1, v2
	v_lshl_add_u64 v[0:1], v[46:47], 1, v[4:5]
	global_store_short v[0:1], v2, off
	s_endpgm
	.section	.rodata,"a",@progbits
	.p2align	6, 0x0
	.amdhsa_kernel _ZN12_GLOBAL__N_120geam_min_plus_kernelIDF16_Dv2_DF16_S1_Li32ELi8ELi256ELi64ELi4ELi64ELi4ELi4ELi64ELc78ELc78ELb0ELb1ELb1EPKDF16_KS3_KPDF16_EEviiiT16_PT17_ilS9_ilS7_S9_ilPT18_ili26rocblas_geam_ex_operation_
		.amdhsa_group_segment_fixed_size 5120
		.amdhsa_private_segment_fixed_size 0
		.amdhsa_kernarg_size 136
		.amdhsa_user_sgpr_count 2
		.amdhsa_user_sgpr_dispatch_ptr 0
		.amdhsa_user_sgpr_queue_ptr 0
		.amdhsa_user_sgpr_kernarg_segment_ptr 1
		.amdhsa_user_sgpr_dispatch_id 0
		.amdhsa_user_sgpr_kernarg_preload_length 0
		.amdhsa_user_sgpr_kernarg_preload_offset 0
		.amdhsa_user_sgpr_private_segment_size 0
		.amdhsa_uses_dynamic_stack 0
		.amdhsa_enable_private_segment 0
		.amdhsa_system_sgpr_workgroup_id_x 1
		.amdhsa_system_sgpr_workgroup_id_y 0
		.amdhsa_system_sgpr_workgroup_id_z 1
		.amdhsa_system_sgpr_workgroup_info 0
		.amdhsa_system_vgpr_workitem_id 1
		.amdhsa_next_free_vgpr 171
		.amdhsa_next_free_sgpr 38
		.amdhsa_accum_offset 172
		.amdhsa_reserve_vcc 1
		.amdhsa_float_round_mode_32 0
		.amdhsa_float_round_mode_16_64 0
		.amdhsa_float_denorm_mode_32 3
		.amdhsa_float_denorm_mode_16_64 3
		.amdhsa_dx10_clamp 1
		.amdhsa_ieee_mode 1
		.amdhsa_fp16_overflow 0
		.amdhsa_tg_split 0
		.amdhsa_exception_fp_ieee_invalid_op 0
		.amdhsa_exception_fp_denorm_src 0
		.amdhsa_exception_fp_ieee_div_zero 0
		.amdhsa_exception_fp_ieee_overflow 0
		.amdhsa_exception_fp_ieee_underflow 0
		.amdhsa_exception_fp_ieee_inexact 0
		.amdhsa_exception_int_div_zero 0
	.end_amdhsa_kernel
	.section	.text._ZN12_GLOBAL__N_120geam_min_plus_kernelIDF16_Dv2_DF16_S1_Li32ELi8ELi256ELi64ELi4ELi64ELi4ELi4ELi64ELc78ELc78ELb0ELb1ELb1EPKDF16_KS3_KPDF16_EEviiiT16_PT17_ilS9_ilS7_S9_ilPT18_ili26rocblas_geam_ex_operation_,"axG",@progbits,_ZN12_GLOBAL__N_120geam_min_plus_kernelIDF16_Dv2_DF16_S1_Li32ELi8ELi256ELi64ELi4ELi64ELi4ELi4ELi64ELc78ELc78ELb0ELb1ELb1EPKDF16_KS3_KPDF16_EEviiiT16_PT17_ilS9_ilS7_S9_ilPT18_ili26rocblas_geam_ex_operation_,comdat
.Lfunc_end210:
	.size	_ZN12_GLOBAL__N_120geam_min_plus_kernelIDF16_Dv2_DF16_S1_Li32ELi8ELi256ELi64ELi4ELi64ELi4ELi4ELi64ELc78ELc78ELb0ELb1ELb1EPKDF16_KS3_KPDF16_EEviiiT16_PT17_ilS9_ilS7_S9_ilPT18_ili26rocblas_geam_ex_operation_, .Lfunc_end210-_ZN12_GLOBAL__N_120geam_min_plus_kernelIDF16_Dv2_DF16_S1_Li32ELi8ELi256ELi64ELi4ELi64ELi4ELi4ELi64ELc78ELc78ELb0ELb1ELb1EPKDF16_KS3_KPDF16_EEviiiT16_PT17_ilS9_ilS7_S9_ilPT18_ili26rocblas_geam_ex_operation_
                                        ; -- End function
	.section	.AMDGPU.csdata,"",@progbits
; Kernel info:
; codeLenInByte = 20048
; NumSgprs: 44
; NumVgprs: 171
; NumAgprs: 0
; TotalNumVgprs: 171
; ScratchSize: 0
; MemoryBound: 0
; FloatMode: 240
; IeeeMode: 1
; LDSByteSize: 5120 bytes/workgroup (compile time only)
; SGPRBlocks: 5
; VGPRBlocks: 21
; NumSGPRsForWavesPerEU: 44
; NumVGPRsForWavesPerEU: 171
; AccumOffset: 172
; Occupancy: 2
; WaveLimiterHint : 1
; COMPUTE_PGM_RSRC2:SCRATCH_EN: 0
; COMPUTE_PGM_RSRC2:USER_SGPR: 2
; COMPUTE_PGM_RSRC2:TRAP_HANDLER: 0
; COMPUTE_PGM_RSRC2:TGID_X_EN: 1
; COMPUTE_PGM_RSRC2:TGID_Y_EN: 0
; COMPUTE_PGM_RSRC2:TGID_Z_EN: 1
; COMPUTE_PGM_RSRC2:TIDIG_COMP_CNT: 1
; COMPUTE_PGM_RSRC3_GFX90A:ACCUM_OFFSET: 42
; COMPUTE_PGM_RSRC3_GFX90A:TG_SPLIT: 0
	.section	.text._ZN12_GLOBAL__N_120geam_min_plus_kernelIDF16_Dv2_DF16_S1_Li32ELi8ELi256ELi64ELi4ELi64ELi4ELi4ELi64ELc78ELc78ELb1ELb1ELb1EDF16_KPKDF16_KPDF16_EEviiiT16_PT17_ilS9_ilS7_S9_ilPT18_ili26rocblas_geam_ex_operation_,"axG",@progbits,_ZN12_GLOBAL__N_120geam_min_plus_kernelIDF16_Dv2_DF16_S1_Li32ELi8ELi256ELi64ELi4ELi64ELi4ELi4ELi64ELc78ELc78ELb1ELb1ELb1EDF16_KPKDF16_KPDF16_EEviiiT16_PT17_ilS9_ilS7_S9_ilPT18_ili26rocblas_geam_ex_operation_,comdat
	.globl	_ZN12_GLOBAL__N_120geam_min_plus_kernelIDF16_Dv2_DF16_S1_Li32ELi8ELi256ELi64ELi4ELi64ELi4ELi4ELi64ELc78ELc78ELb1ELb1ELb1EDF16_KPKDF16_KPDF16_EEviiiT16_PT17_ilS9_ilS7_S9_ilPT18_ili26rocblas_geam_ex_operation_ ; -- Begin function _ZN12_GLOBAL__N_120geam_min_plus_kernelIDF16_Dv2_DF16_S1_Li32ELi8ELi256ELi64ELi4ELi64ELi4ELi4ELi64ELc78ELc78ELb1ELb1ELb1EDF16_KPKDF16_KPDF16_EEviiiT16_PT17_ilS9_ilS7_S9_ilPT18_ili26rocblas_geam_ex_operation_
	.p2align	8
	.type	_ZN12_GLOBAL__N_120geam_min_plus_kernelIDF16_Dv2_DF16_S1_Li32ELi8ELi256ELi64ELi4ELi64ELi4ELi4ELi64ELc78ELc78ELb1ELb1ELb1EDF16_KPKDF16_KPDF16_EEviiiT16_PT17_ilS9_ilS7_S9_ilPT18_ili26rocblas_geam_ex_operation_,@function
_ZN12_GLOBAL__N_120geam_min_plus_kernelIDF16_Dv2_DF16_S1_Li32ELi8ELi256ELi64ELi4ELi64ELi4ELi4ELi64ELc78ELc78ELb1ELb1ELb1EDF16_KPKDF16_KPDF16_EEviiiT16_PT17_ilS9_ilS7_S9_ilPT18_ili26rocblas_geam_ex_operation_: ; @_ZN12_GLOBAL__N_120geam_min_plus_kernelIDF16_Dv2_DF16_S1_Li32ELi8ELi256ELi64ELi4ELi64ELi4ELi4ELi64ELc78ELc78ELb1ELb1ELb1EDF16_KPKDF16_KPDF16_EEviiiT16_PT17_ilS9_ilS7_S9_ilPT18_ili26rocblas_geam_ex_operation_
; %bb.0:
	s_load_dwordx4 s[20:23], s[0:1], 0x0
	s_load_dwordx4 s[4:7], s[0:1], 0x20
	s_mov_b32 s8, s3
	s_mov_b32 s9, 0
	s_waitcnt lgkmcnt(0)
	v_cmp_eq_f16_e64 s[10:11], s23, 0
	s_and_b64 vcc, exec, s[10:11]
	s_cbranch_vccnz .LBB211_3
; %bb.1:
	s_load_dwordx2 s[12:13], s[0:1], 0x10
	s_lshl_b64 s[14:15], s[8:9], 3
	s_waitcnt lgkmcnt(0)
	s_add_u32 s12, s12, s14
	s_addc_u32 s13, s13, s15
	s_load_dwordx2 s[12:13], s[12:13], 0x0
	s_lshl_b64 s[4:5], s[4:5], 1
	s_waitcnt lgkmcnt(0)
	s_add_u32 s16, s12, s4
	s_addc_u32 s17, s13, s5
	s_andn2_b64 vcc, exec, s[10:11]
	s_cbranch_vccnz .LBB211_4
.LBB211_2:
	s_mov_b64 s[18:19], 0
	s_cbranch_execz .LBB211_5
	s_branch .LBB211_6
.LBB211_3:
	s_mov_b64 s[16:17], 0
	s_andn2_b64 vcc, exec, s[10:11]
	s_cbranch_vccz .LBB211_2
.LBB211_4:
                                        ; implicit-def: $sgpr18_sgpr19
.LBB211_5:
	s_lshl_b64 s[10:11], s[8:9], 3
	s_add_u32 s6, s6, s10
	s_load_dwordx2 s[4:5], s[0:1], 0x38
	s_addc_u32 s7, s7, s11
	s_load_dwordx2 s[6:7], s[6:7], 0x0
	s_waitcnt lgkmcnt(0)
	s_lshl_b64 s[4:5], s[4:5], 1
	s_add_u32 s18, s6, s4
	s_addc_u32 s19, s7, s5
.LBB211_6:
	s_load_dword s30, s[0:1], 0x40
	s_load_dwordx4 s[4:7], s[0:1], 0x58
	s_waitcnt lgkmcnt(0)
	v_cmp_eq_f16_e64 s[10:11], s30, 0
	v_cmp_neq_f16_e64 s[12:13], s30, 0
	s_and_b64 vcc, exec, s[10:11]
	s_cbranch_vccnz .LBB211_8
; %bb.7:
	s_load_dwordx2 s[10:11], s[0:1], 0x48
	s_lshl_b64 s[14:15], s[8:9], 3
	s_waitcnt lgkmcnt(0)
	s_add_u32 s10, s10, s14
	s_addc_u32 s11, s11, s15
	s_load_dwordx2 s[10:11], s[10:11], 0x0
	s_lshl_b64 s[4:5], s[4:5], 1
	s_waitcnt lgkmcnt(0)
	s_add_u32 s24, s10, s4
	s_addc_u32 s25, s11, s5
	s_branch .LBB211_9
.LBB211_8:
	s_mov_b64 s[24:25], 0
.LBB211_9:
	s_lshl_b64 s[4:5], s[8:9], 3
	s_add_u32 s4, s6, s4
	s_addc_u32 s5, s7, s5
	s_add_i32 s3, s20, -1
	s_ashr_i32 s6, s3, 31
	s_lshr_b32 s6, s6, 24
	s_add_i32 s3, s3, s6
	s_ashr_i32 s3, s3, 8
	s_add_i32 s6, s3, 1
	v_cvt_f32_u32_e32 v1, s6
	v_and_b32_e32 v42, 0x3ff, v0
	v_bfe_u32 v43, v0, 10, 10
	s_load_dwordx2 s[14:15], s[4:5], 0x0
	v_rcp_iflag_f32_e32 v1, v1
	s_not_b32 s3, s3
	s_load_dword s26, s[0:1], 0x18
	v_lshl_add_u32 v7, v43, 5, v42
	v_mul_f32_e32 v0, 0x4f7ffffe, v1
	v_cvt_u32_f32_e32 v0, v0
	v_and_b32_e32 v2, 63, v7
	v_lshrrev_b32_e32 v44, 6, v7
	v_cmp_le_i32_e64 s[8:9], s22, v44
	v_readfirstlane_b32 s4, v0
	s_mul_i32 s3, s3, s4
	s_mul_hi_u32 s3, s4, s3
	s_add_i32 s4, s4, s3
	s_mul_hi_u32 s3, s2, s4
	s_mul_i32 s4, s3, s6
	s_sub_i32 s4, s2, s4
	s_add_i32 s5, s3, 1
	s_sub_i32 s7, s4, s6
	s_cmp_ge_u32 s4, s6
	s_cselect_b32 s3, s5, s3
	s_cselect_b32 s4, s7, s4
	s_add_i32 s5, s3, 1
	s_cmp_ge_u32 s4, s6
	s_cselect_b32 s10, s5, s3
	s_mul_i32 s3, s10, s6
	s_sub_i32 s2, s2, s3
	s_lshl_b32 s31, s2, 8
	v_or_b32_e32 v32, s31, v2
	s_waitcnt lgkmcnt(0)
	v_mad_i64_i32 v[0:1], s[2:3], s26, v44, 0
	v_cmp_le_i32_e32 vcc, s20, v32
	s_or_b64 s[2:3], vcc, s[8:9]
	v_lshl_add_u64 v[0:1], v[0:1], 1, s[16:17]
	s_xor_b64 s[4:5], s[2:3], -1
	v_mov_b32_e32 v3, 0x7c00
	v_ashrrev_i32_e32 v33, 31, v32
	v_mov_b32_e32 v4, 0x7c00
	s_and_saveexec_b64 s[2:3], s[4:5]
	s_cbranch_execz .LBB211_11
; %bb.10:
	v_lshl_add_u64 v[4:5], v[32:33], 1, v[0:1]
	flat_load_ushort v4, v[4:5]
.LBB211_11:
	s_or_b64 exec, exec, s[2:3]
	v_or_b32_e32 v5, 64, v32
	v_cmp_le_i32_e64 s[2:3], s20, v5
	s_or_b64 s[4:5], s[2:3], s[8:9]
	s_xor_b64 s[6:7], s[4:5], -1
	s_and_saveexec_b64 s[4:5], s[6:7]
	s_cbranch_execz .LBB211_13
; %bb.12:
	v_lshl_add_u64 v[8:9], v[32:33], 1, v[0:1]
	flat_load_ushort v3, v[8:9] offset:128
.LBB211_13:
	s_or_b64 exec, exec, s[4:5]
	v_or_b32_e32 v5, 0x80, v32
	v_cmp_le_i32_e64 s[4:5], s20, v5
	s_or_b64 s[6:7], s[4:5], s[8:9]
	s_ashr_i32 s27, s26, 31
	s_xor_b64 s[28:29], s[6:7], -1
	v_mov_b32_e32 v5, 0x7c00
	v_mov_b32_e32 v6, 0x7c00
	s_and_saveexec_b64 s[6:7], s[28:29]
	s_cbranch_execz .LBB211_15
; %bb.14:
	v_lshl_add_u64 v[8:9], v[32:33], 1, v[0:1]
	flat_load_ushort v6, v[8:9] offset:256
.LBB211_15:
	s_or_b64 exec, exec, s[6:7]
	v_or_b32_e32 v8, 0xc0, v32
	v_cmp_le_i32_e64 s[6:7], s20, v8
	s_or_b64 s[8:9], s[6:7], s[8:9]
	s_xor_b64 s[28:29], s[8:9], -1
	s_and_saveexec_b64 s[8:9], s[28:29]
	s_cbranch_execz .LBB211_17
; %bb.16:
	v_lshl_add_u64 v[0:1], v[32:33], 1, v[0:1]
	flat_load_ushort v5, v[0:1] offset:384
.LBB211_17:
	s_or_b64 exec, exec, s[8:9]
	s_load_dword s23, s[0:1], 0x30
	v_lshrrev_b32_e32 v7, 2, v7
	s_lshl_b32 s33, s10, 6
	v_add_u32_e32 v36, s33, v7
	v_and_b32_e32 v47, 3, v42
	v_cmp_le_i32_e64 s[10:11], s21, v36
	v_cmp_gt_i32_e64 s[8:9], s22, v47
	s_xor_b64 s[10:11], s[10:11], -1
	s_and_b64 s[28:29], s[8:9], s[10:11]
	v_mov_b32_e32 v37, 0x7c00
	v_lshlrev_b32_e32 v34, 1, v47
	v_mov_b32_e32 v8, 0x7c00
	s_and_saveexec_b64 s[8:9], s[28:29]
	s_cbranch_execz .LBB211_19
; %bb.18:
	s_waitcnt lgkmcnt(0)
	v_mad_i64_i32 v[0:1], s[28:29], v36, s23, 0
	v_lshl_add_u64 v[0:1], v[0:1], 1, s[18:19]
	v_mov_b32_e32 v35, 0
	v_lshl_add_u64 v[0:1], v[0:1], 0, v[34:35]
	flat_load_ushort v8, v[0:1]
.LBB211_19:
	s_or_b64 exec, exec, s[8:9]
	v_add_u32_e32 v0, 4, v44
	v_cmp_le_i32_e64 s[8:9], s22, v0
	v_mad_i64_i32 v[0:1], s[28:29], s26, v0, 0
	s_or_b64 s[28:29], vcc, s[8:9]
	v_lshl_add_u64 v[0:1], v[0:1], 1, s[16:17]
	s_xor_b64 s[34:35], s[28:29], -1
	s_and_saveexec_b64 s[28:29], s[34:35]
	s_cbranch_execz .LBB211_21
; %bb.20:
	v_lshl_add_u64 v[10:11], v[32:33], 1, v[0:1]
	flat_load_ushort v37, v[10:11]
.LBB211_21:
	s_or_b64 exec, exec, s[28:29]
	s_or_b64 s[28:29], s[2:3], s[8:9]
	s_xor_b64 s[34:35], s[28:29], -1
	v_mov_b32_e32 v38, 0x7c00
	v_mov_b32_e32 v39, 0x7c00
	s_and_saveexec_b64 s[28:29], s[34:35]
	s_cbranch_execz .LBB211_23
; %bb.22:
	v_lshl_add_u64 v[10:11], v[32:33], 1, v[0:1]
	flat_load_ushort v39, v[10:11] offset:128
.LBB211_23:
	s_or_b64 exec, exec, s[28:29]
	s_or_b64 s[28:29], s[4:5], s[8:9]
	s_xor_b64 s[34:35], s[28:29], -1
	s_and_saveexec_b64 s[28:29], s[34:35]
	s_cbranch_execz .LBB211_25
; %bb.24:
	v_lshl_add_u64 v[10:11], v[32:33], 1, v[0:1]
	flat_load_ushort v38, v[10:11] offset:256
.LBB211_25:
	s_or_b64 exec, exec, s[28:29]
	s_or_b64 s[8:9], s[6:7], s[8:9]
	s_xor_b64 s[28:29], s[8:9], -1
	v_mov_b32_e32 v35, 0x7c00
	v_mov_b32_e32 v40, 0x7c00
	s_and_saveexec_b64 s[8:9], s[28:29]
	s_cbranch_execz .LBB211_27
; %bb.26:
	v_lshl_add_u64 v[0:1], v[32:33], 1, v[0:1]
	flat_load_ushort v40, v[0:1] offset:384
.LBB211_27:
	s_or_b64 exec, exec, s[8:9]
	v_or_b32_e32 v0, 4, v47
	v_cmp_gt_i32_e64 s[8:9], s22, v0
	s_and_b64 s[28:29], s[8:9], s[10:11]
	s_and_saveexec_b64 s[8:9], s[28:29]
	s_cbranch_execz .LBB211_29
; %bb.28:
	s_waitcnt lgkmcnt(0)
	v_mad_i64_i32 v[0:1], s[28:29], v36, s23, 0
	v_lshl_add_u64 v[0:1], v[0:1], 1, s[18:19]
	v_mov_b32_e32 v35, 0
	v_lshl_add_u64 v[0:1], v[0:1], 0, v[34:35]
	flat_load_ushort v35, v[0:1] offset:8
.LBB211_29:
	s_or_b64 exec, exec, s[8:9]
	v_lshlrev_b32_e32 v0, 1, v44
	v_lshlrev_b32_e32 v46, 3, v43
	v_lshl_add_u32 v48, v2, 3, v0
	v_lshl_or_b32 v41, v7, 3, v34
	v_lshlrev_b32_e32 v45, 3, v42
	v_add_u32_e32 v49, 0x1000, v46
	s_waitcnt vmcnt(0) lgkmcnt(0)
	ds_write_b16 v48, v4
	ds_write_b16 v48, v3 offset:512
	ds_write_b16 v48, v6 offset:1024
	;; [unrolled: 1-line block ×4, first 2 shown]
	s_waitcnt lgkmcnt(0)
	s_barrier
	ds_read2_b64 v[16:19], v45 offset1:32
	ds_read2_b64 v[12:15], v45 offset0:64 offset1:96
	ds_read2_b64 v[4:7], v45 offset0:128 offset1:160
	ds_read2_b64 v[28:31], v49 offset1:8
	ds_read2_b64 v[0:3], v45 offset0:192 offset1:224
	ds_read2_b64 v[24:27], v49 offset0:16 offset1:24
	ds_read2_b64 v[20:23], v49 offset0:32 offset1:40
	ds_read2_b64 v[8:11], v49 offset0:48 offset1:56
	s_movk_i32 s8, 0x7c00
	s_waitcnt lgkmcnt(4)
	v_pk_add_f16 v50, v16, v28
	s_waitcnt lgkmcnt(3)
	v_pk_add_f16 v56, v0, v28
	;; [unrolled: 2-line block ×3, first 2 shown]
	v_pk_add_f16 v54, v4, v28
	v_pk_min_f16 v98, v81, s8 op_sel_hi:[1,0]
	v_pk_add_f16 v81, v4, v20
	v_pk_add_f16 v61, v4, v30
	v_pk_min_f16 v117, v81, s8 op_sel_hi:[1,0]
	v_pk_add_f16 v81, v6, v20
	;; [unrolled: 3-line block ×7, first 2 shown]
	v_pk_min_f16 v50, v50, s8 op_sel_hi:[1,0]
	v_pk_min_f16 v123, v81, s8 op_sel_hi:[1,0]
	v_pk_add_f16 v81, v4, v22
	v_pk_add_f16 v51, v18, v28
	v_pk_min_f16 v124, v81, s8 op_sel_hi:[1,0]
	v_pk_add_f16 v81, v6, v22
	v_pk_add_f16 v52, v12, v28
	;; [unrolled: 3-line block ×3, first 2 shown]
	v_pk_min_f16 v126, v81, s8 op_sel_hi:[1,0]
	s_waitcnt lgkmcnt(0)
	v_pk_add_f16 v81, v16, v8
	v_pk_add_f16 v55, v6, v28
	v_pk_min_f16 v127, v81, s8 op_sel_hi:[1,0]
	v_pk_add_f16 v81, v18, v8
	v_pk_add_f16 v28, v2, v28
	v_pk_min_f16 v128, v81, s8 op_sel_hi:[1,0]
	v_pk_add_f16 v81, v12, v8
	v_pk_add_f16 v57, v16, v30
	v_pk_min_f16 v129, v81, s8 op_sel_hi:[1,0]
	v_pk_add_f16 v81, v14, v8
	v_pk_add_f16 v58, v18, v30
	v_pk_min_f16 v130, v81, s8 op_sel_hi:[1,0]
	v_pk_add_f16 v81, v4, v8
	v_pk_add_f16 v4, v4, v10
	v_pk_min_f16 v131, v81, s8 op_sel_hi:[1,0]
	v_pk_add_f16 v81, v6, v8
	v_pk_min_f16 v134, v4, s8 op_sel_hi:[1,0]
	v_pk_min_f16 v132, v81, s8 op_sel_hi:[1,0]
	v_pk_add_f16 v81, v0, v8
	v_pk_add_f16 v4, v6, v10
	v_pk_add_f16 v0, v0, v10
	v_pk_add_f16 v59, v12, v30
	v_pk_add_f16 v60, v14, v30
	v_pk_add_f16 v62, v6, v30
	v_pk_add_f16 v30, v2, v30
	v_pk_add_f16 v64, v16, v24
	v_pk_add_f16 v65, v18, v24
	v_pk_add_f16 v66, v12, v24
	v_pk_add_f16 v67, v14, v24
	v_pk_add_f16 v69, v6, v24
	v_pk_add_f16 v24, v2, v24
	v_pk_add_f16 v71, v16, v26
	v_pk_add_f16 v72, v18, v26
	v_pk_add_f16 v73, v12, v26
	v_pk_add_f16 v74, v14, v26
	v_pk_add_f16 v76, v6, v26
	v_pk_add_f16 v26, v2, v26
	v_pk_add_f16 v78, v16, v20
	v_pk_add_f16 v79, v18, v20
	v_pk_add_f16 v80, v12, v20
	v_pk_add_f16 v20, v2, v20
	v_pk_add_f16 v22, v2, v22
	v_pk_add_f16 v8, v2, v8
	v_pk_min_f16 v6, v4, s8 op_sel_hi:[1,0]
	v_pk_min_f16 v4, v0, s8 op_sel_hi:[1,0]
	v_pk_add_f16 v0, v2, v10
	v_pk_add_f16 v2, v17, v29
	v_pk_min_f16 v51, v51, s8 op_sel_hi:[1,0]
	v_pk_min_f16 v116, v50, v2
	v_pk_add_f16 v2, v19, v29
	v_pk_min_f16 v52, v52, s8 op_sel_hi:[1,0]
	v_pk_min_f16 v115, v51, v2
	;; [unrolled: 3-line block ×38, first 2 shown]
	v_pk_add_f16 v2, v1, v21
	v_pk_add_f16 v16, v16, v10
	v_pk_min_f16 v77, v119, v2
	v_pk_add_f16 v2, v3, v21
	v_pk_min_f16 v16, v16, s8 op_sel_hi:[1,0]
	v_pk_min_f16 v76, v20, v2
	v_pk_add_f16 v2, v17, v23
	v_pk_add_f16 v18, v18, v10
	v_pk_min_f16 v75, v120, v2
	v_pk_add_f16 v2, v19, v23
	v_pk_min_f16 v18, v18, s8 op_sel_hi:[1,0]
	v_pk_min_f16 v74, v121, v2
	;; [unrolled: 6-line block ×4, first 2 shown]
	v_pk_add_f16 v2, v1, v23
	v_pk_min_f16 v0, v0, s8 op_sel_hi:[1,0]
	v_pk_min_f16 v69, v126, v2
	v_pk_add_f16 v2, v3, v23
	s_cmp_lt_i32 s22, 9
	v_pk_min_f16 v68, v22, v2
	v_pk_add_f16 v2, v17, v9
	ds_write_b16 v48, v37 offset:2048
	ds_write_b16 v48, v39 offset:2560
	;; [unrolled: 1-line block ×5, first 2 shown]
	v_pk_min_f16 v67, v127, v2
	v_pk_add_f16 v2, v19, v9
	s_waitcnt lgkmcnt(0)
	v_pk_min_f16 v66, v128, v2
	v_pk_add_f16 v2, v13, v9
	s_barrier
	v_pk_min_f16 v65, v129, v2
	v_pk_add_f16 v2, v15, v9
	s_nop 0
	v_pk_min_f16 v64, v130, v2
	v_pk_add_f16 v2, v5, v9
	s_nop 0
	;; [unrolled: 3-line block ×3, first 2 shown]
	v_pk_min_f16 v62, v132, v2
	v_pk_add_f16 v2, v1, v9
	v_pk_add_f16 v1, v1, v11
	v_pk_min_f16 v60, v133, v2
	v_pk_add_f16 v2, v3, v9
	v_pk_min_f16 v52, v4, v1
	v_pk_min_f16 v59, v8, v2
	v_pk_add_f16 v2, v17, v11
	v_pk_add_f16 v1, v3, v11
	v_pk_min_f16 v58, v16, v2
	v_pk_add_f16 v2, v19, v11
	v_pk_min_f16 v61, v0, v1
	v_pk_min_f16 v57, v18, v2
	v_pk_add_f16 v2, v13, v11
	s_nop 0
	v_pk_min_f16 v56, v12, v2
	v_pk_add_f16 v2, v15, v11
	s_nop 0
	;; [unrolled: 3-line block ×4, first 2 shown]
	v_pk_min_f16 v53, v6, v2
	s_cbranch_scc1 .LBB211_52
; %bb.30:
	v_mov_b32_e32 v0, 0x800
	v_lshl_add_u32 v117, v42, 3, v0
	v_mov_b32_e32 v0, 0x1200
	v_lshl_add_u32 v118, v43, 3, v0
	v_mad_i64_i32 v[0:1], s[8:9], s23, v36, 0
	v_mov_b32_e32 v35, 0
	v_lshl_add_u64 v[0:1], v[0:1], 1, v[34:35]
	v_lshl_add_u64 v[0:1], v[0:1], 0, s[18:19]
	;; [unrolled: 1-line block ×3, first 2 shown]
	v_add_u32_e32 v0, 8, v44
	v_mad_i64_i32 v[0:1], s[8:9], v0, s26, 0
	v_lshlrev_b64 v[36:37], 1, v[0:1]
	v_add_u32_e32 v0, 12, v44
	v_mad_i64_i32 v[0:1], s[8:9], v0, s26, 0
	v_add_u32_e32 v50, 0x1000, v41
	v_add_u32_e32 v51, 0x800, v48
	;; [unrolled: 1-line block ×3, first 2 shown]
	s_add_i32 s28, s22, -8
	v_lshl_add_u64 v[32:33], v[32:33], 1, s[16:17]
	s_lshl_b64 s[16:17], s[26:27], 4
	v_lshlrev_b64 v[38:39], 1, v[0:1]
	s_mov_b32 s23, 0
	s_branch .LBB211_32
.LBB211_31:                             ;   in Loop: Header=BB211_32 Depth=1
	s_or_b64 exec, exec, s[8:9]
	ds_read2_b64 v[8:11], v45 offset1:32
	ds_read2_b64 v[4:7], v45 offset0:64 offset1:96
	ds_read2_b64 v[0:3], v45 offset0:128 offset1:160
	ds_read2_b64 v[124:127], v49 offset1:8
	ds_read2_b64 v[12:15], v45 offset0:192 offset1:224
	ds_read2_b64 v[24:27], v49 offset0:16 offset1:24
	;; [unrolled: 1-line block ×4, first 2 shown]
	s_waitcnt lgkmcnt(0)
	v_pk_add_f16 v111, v8, v124
	v_pk_max_f16 v110, v110, v110
	v_pk_max_f16 v109, v109, v109
	v_pk_min_f16 v110, v110, v111
	v_pk_add_f16 v111, v10, v124
	v_pk_max_f16 v108, v108, v108
	v_pk_min_f16 v109, v109, v111
	v_pk_add_f16 v111, v4, v124
	;; [unrolled: 3-line block ×22, first 2 shown]
	v_pk_add_f16 v24, v14, v24
	v_pk_max_f16 v85, v85, v85
	v_pk_min_f16 v24, v86, v24
	v_pk_add_f16 v86, v8, v26
	v_pk_max_f16 v84, v84, v84
	v_pk_min_f16 v85, v85, v86
	v_pk_add_f16 v86, v10, v26
	v_pk_max_f16 v83, v83, v83
	v_pk_min_f16 v84, v84, v86
	v_pk_add_f16 v86, v4, v26
	v_pk_max_f16 v82, v82, v82
	v_pk_min_f16 v83, v83, v86
	v_pk_add_f16 v86, v6, v26
	v_pk_max_f16 v81, v81, v81
	v_pk_min_f16 v82, v82, v86
	v_pk_add_f16 v86, v0, v26
	v_pk_max_f16 v80, v80, v80
	v_pk_min_f16 v81, v81, v86
	v_pk_add_f16 v86, v2, v26
	v_pk_max_f16 v78, v78, v78
	v_pk_min_f16 v80, v80, v86
	v_pk_add_f16 v86, v12, v26
	v_pk_add_f16 v26, v14, v26
	v_pk_max_f16 v77, v77, v77
	v_pk_min_f16 v26, v78, v26
	v_pk_add_f16 v78, v8, v20
	v_pk_max_f16 v76, v76, v76
	v_pk_min_f16 v77, v77, v78
	v_pk_add_f16 v78, v10, v20
	v_pk_max_f16 v75, v75, v75
	v_pk_min_f16 v76, v76, v78
	v_pk_add_f16 v78, v4, v20
	v_pk_max_f16 v74, v74, v74
	v_pk_min_f16 v75, v75, v78
	v_pk_add_f16 v78, v6, v20
	v_pk_max_f16 v73, v73, v73
	v_pk_min_f16 v74, v74, v78
	v_pk_add_f16 v78, v0, v20
	v_pk_max_f16 v72, v72, v72
	v_pk_min_f16 v73, v73, v78
	v_pk_add_f16 v78, v2, v20
	v_pk_max_f16 v70, v70, v70
	v_pk_min_f16 v72, v72, v78
	v_pk_add_f16 v78, v12, v20
	;; [unrolled: 22-line block ×3, first 2 shown]
	v_pk_add_f16 v22, v14, v22
	v_pk_max_f16 v61, v61, v61
	v_pk_min_f16 v22, v62, v22
	v_pk_add_f16 v62, v8, v16
	v_pk_max_f16 v60, v60, v60
	v_pk_min_f16 v61, v61, v62
	;; [unrolled: 3-line block ×6, first 2 shown]
	v_pk_add_f16 v62, v2, v16
	v_pk_add_f16 v8, v8, v18
	v_pk_min_f16 v56, v56, v62
	v_pk_add_f16 v62, v12, v16
	v_pk_add_f16 v16, v14, v16
	;; [unrolled: 1-line block ×9, first 2 shown]
	v_pk_max_f16 v18, v28, v28
	v_pk_max_f16 v87, v87, v87
	v_pk_min_f16 v14, v18, v14
	v_pk_add_f16 v18, v9, v125
	v_pk_min_f16 v87, v87, v111
	v_pk_min_f16 v116, v110, v18
	v_pk_add_f16 v18, v11, v125
	v_pk_max_f16 v79, v79, v79
	v_pk_min_f16 v115, v109, v18
	v_pk_add_f16 v18, v5, v125
	v_pk_min_f16 v79, v79, v86
	v_pk_min_f16 v114, v108, v18
	v_pk_add_f16 v18, v7, v125
	;; [unrolled: 6-line block ×4, first 2 shown]
	v_pk_max_f16 v31, v31, v31
	v_pk_min_f16 v109, v103, v18
	v_pk_add_f16 v18, v9, v127
	v_pk_max_f16 v54, v54, v54
	v_pk_min_f16 v108, v102, v18
	v_pk_add_f16 v18, v11, v127
	v_pk_min_f16 v0, v31, v0
	v_pk_min_f16 v107, v101, v18
	v_pk_add_f16 v18, v5, v127
	v_pk_max_f16 v30, v30, v30
	v_pk_min_f16 v106, v100, v18
	v_pk_add_f16 v18, v7, v127
	v_pk_min_f16 v16, v54, v16
	v_pk_min_f16 v105, v99, v18
	v_pk_add_f16 v18, v1, v127
	v_pk_max_f16 v53, v53, v53
	v_pk_min_f16 v104, v97, v18
	v_pk_add_f16 v18, v3, v127
	v_pk_max_f16 v41, v41, v41
	v_pk_min_f16 v103, v96, v18
	v_pk_add_f16 v18, v13, v127
	v_pk_min_f16 v2, v30, v2
	v_pk_min_f16 v102, v95, v18
	v_pk_add_f16 v18, v15, v127
	v_pk_max_f16 v29, v29, v29
	;; [unrolled: 9-line block ×3, first 2 shown]
	v_pk_min_f16 v97, v91, v18
	v_pk_add_f16 v18, v7, v25
	v_pk_min_f16 v4, v41, v4
	v_pk_min_f16 v96, v90, v18
	v_pk_add_f16 v18, v1, v25
	v_pk_max_f16 v40, v40, v40
	v_pk_min_f16 v95, v89, v18
	v_pk_add_f16 v18, v3, v25
	v_pk_min_f16 v12, v29, v12
	v_pk_min_f16 v94, v88, v18
	v_pk_add_f16 v18, v13, v25
	v_pk_min_f16 v55, v55, v62
	;; [unrolled: 3-line block ×4, first 2 shown]
	v_pk_min_f16 v91, v85, v18
	v_pk_add_f16 v18, v11, v27
	s_add_i32 s23, s23, 8
	v_pk_min_f16 v90, v84, v18
	v_pk_add_f16 v18, v5, v27
	v_lshl_add_u64 v[34:35], v[34:35], 0, 16
	v_pk_min_f16 v89, v83, v18
	v_pk_add_f16 v18, v7, v27
	s_cmp_ge_i32 s23, s28
	v_pk_min_f16 v88, v82, v18
	v_pk_add_f16 v18, v1, v27
	v_lshl_add_u64 v[32:33], v[32:33], 0, s[16:17]
	v_pk_min_f16 v87, v81, v18
	v_pk_add_f16 v18, v3, v27
	s_waitcnt vmcnt(0)
	ds_write_b16 v51, v119
	ds_write_b16 v51, v121 offset:512
	ds_write_b16 v51, v120 offset:1024
	;; [unrolled: 1-line block ×3, first 2 shown]
	ds_write_b16 v98, v122
	v_pk_min_f16 v86, v80, v18
	v_pk_add_f16 v18, v13, v27
	s_waitcnt lgkmcnt(0)
	v_pk_min_f16 v85, v79, v18
	v_pk_add_f16 v18, v15, v27
	s_barrier
	v_pk_min_f16 v84, v26, v18
	v_pk_add_f16 v18, v9, v21
	s_nop 0
	v_pk_min_f16 v83, v77, v18
	v_pk_add_f16 v18, v11, v21
	s_nop 0
	;; [unrolled: 3-line block ×16, first 2 shown]
	v_pk_min_f16 v68, v22, v18
	v_pk_add_f16 v18, v9, v17
	v_pk_add_f16 v9, v9, v19
	v_pk_min_f16 v67, v61, v18
	v_pk_add_f16 v18, v11, v17
	s_nop 0
	v_pk_min_f16 v66, v60, v18
	v_pk_add_f16 v18, v5, v17
	v_pk_add_f16 v5, v5, v19
	v_pk_min_f16 v65, v59, v18
	v_pk_add_f16 v18, v7, v17
	s_nop 0
	v_pk_min_f16 v64, v58, v18
	v_pk_add_f16 v18, v1, v17
	v_pk_add_f16 v1, v1, v19
	v_pk_min_f16 v63, v57, v18
	v_pk_min_f16 v54, v0, v1
	v_pk_add_f16 v0, v3, v19
	v_pk_add_f16 v18, v3, v17
	v_pk_min_f16 v53, v2, v0
	v_pk_add_f16 v0, v13, v19
	v_pk_min_f16 v62, v56, v18
	v_pk_add_f16 v18, v13, v17
	v_pk_add_f16 v17, v15, v17
	v_pk_min_f16 v58, v8, v9
	v_pk_add_f16 v8, v11, v19
	v_pk_min_f16 v56, v4, v5
	;; [unrolled: 2-line block ×4, first 2 shown]
	v_pk_min_f16 v59, v16, v17
	v_pk_min_f16 v57, v10, v8
	v_pk_min_f16 v55, v6, v4
	v_pk_min_f16 v61, v14, v0
	s_cbranch_scc1 .LBB211_52
.LBB211_32:                             ; =>This Inner Loop Header: Depth=1
	v_add_u32_e32 v40, s23, v44
	v_add_u32_e32 v0, 8, v40
	v_cmp_le_i32_e64 s[8:9], s22, v0
	s_or_b64 s[18:19], vcc, s[8:9]
	s_xor_b64 s[26:27], s[18:19], -1
	v_mov_b32_e32 v41, 0x7c00
	v_lshl_add_u64 v[0:1], v[32:33], 0, v[36:37]
	v_mov_b32_e32 v120, 0x7c00
	s_and_saveexec_b64 s[18:19], s[26:27]
	s_cbranch_execz .LBB211_34
; %bb.33:                               ;   in Loop: Header=BB211_32 Depth=1
	flat_load_ushort v120, v[0:1]
.LBB211_34:                             ;   in Loop: Header=BB211_32 Depth=1
	s_or_b64 exec, exec, s[18:19]
	s_or_b64 s[18:19], s[2:3], s[8:9]
	s_xor_b64 s[26:27], s[18:19], -1
	s_and_saveexec_b64 s[18:19], s[26:27]
	s_cbranch_execz .LBB211_36
; %bb.35:                               ;   in Loop: Header=BB211_32 Depth=1
	flat_load_ushort v41, v[0:1] offset:128
.LBB211_36:                             ;   in Loop: Header=BB211_32 Depth=1
	s_or_b64 exec, exec, s[18:19]
	s_or_b64 s[18:19], s[4:5], s[8:9]
	s_xor_b64 s[26:27], s[18:19], -1
	v_mov_b32_e32 v121, 0x7c00
	v_mov_b32_e32 v122, 0x7c00
	s_and_saveexec_b64 s[18:19], s[26:27]
	s_cbranch_execz .LBB211_38
; %bb.37:                               ;   in Loop: Header=BB211_32 Depth=1
	flat_load_ushort v122, v[0:1] offset:256
.LBB211_38:                             ;   in Loop: Header=BB211_32 Depth=1
	s_or_b64 exec, exec, s[18:19]
	s_or_b64 s[8:9], s[6:7], s[8:9]
	s_xor_b64 s[18:19], s[8:9], -1
	s_and_saveexec_b64 s[8:9], s[18:19]
	s_cbranch_execz .LBB211_40
; %bb.39:                               ;   in Loop: Header=BB211_32 Depth=1
	flat_load_ushort v121, v[0:1] offset:384
.LBB211_40:                             ;   in Loop: Header=BB211_32 Depth=1
	s_or_b64 exec, exec, s[8:9]
	v_add_u32_e32 v124, s23, v47
	v_add_u32_e32 v0, 8, v124
	v_cmp_gt_i32_e64 s[8:9], s22, v0
	s_and_b64 s[8:9], s[8:9], s[10:11]
	v_mov_b32_e32 v119, 0x7c00
	v_mov_b32_e32 v123, 0x7c00
	s_and_saveexec_b64 s[18:19], s[8:9]
	s_cbranch_execz .LBB211_42
; %bb.41:                               ;   in Loop: Header=BB211_32 Depth=1
	v_add_co_u32_e64 v0, s[8:9], -8, v34
	s_nop 1
	v_addc_co_u32_e64 v1, s[8:9], -1, v35, s[8:9]
	flat_load_ushort v123, v[0:1]
.LBB211_42:                             ;   in Loop: Header=BB211_32 Depth=1
	s_or_b64 exec, exec, s[18:19]
	ds_read2_b64 v[12:15], v117 offset1:32
	ds_read2_b64 v[8:11], v117 offset0:64 offset1:96
	ds_read2_b64 v[4:7], v117 offset0:128 offset1:160
	;; [unrolled: 1-line block ×3, first 2 shown]
	ds_read2_b64 v[28:31], v118 offset1:8
	ds_read2_b64 v[24:27], v118 offset0:16 offset1:24
	ds_read2_b64 v[20:23], v118 offset0:32 offset1:40
	;; [unrolled: 1-line block ×3, first 2 shown]
	v_add_u32_e32 v40, 12, v40
	v_cmp_le_i32_e64 s[8:9], s22, v40
	s_or_b64 s[18:19], vcc, s[8:9]
	s_waitcnt vmcnt(0) lgkmcnt(0)
	ds_write_b16 v48, v120
	ds_write_b16 v48, v41 offset:512
	ds_write_b16 v48, v122 offset:1024
	;; [unrolled: 1-line block ×3, first 2 shown]
	ds_write_b16 v50, v123
	s_xor_b64 s[18:19], s[18:19], -1
	v_lshl_add_u64 v[40:41], v[32:33], 0, v[38:39]
	s_waitcnt lgkmcnt(0)
	s_barrier
	s_and_saveexec_b64 s[26:27], s[18:19]
	s_xor_b64 s[18:19], exec, s[26:27]
	s_cbranch_execz .LBB211_44
; %bb.43:                               ;   in Loop: Header=BB211_32 Depth=1
	flat_load_ushort v119, v[40:41]
.LBB211_44:                             ;   in Loop: Header=BB211_32 Depth=1
	s_or_b64 exec, exec, s[18:19]
	s_or_b64 s[18:19], s[2:3], s[8:9]
	s_xor_b64 s[26:27], s[18:19], -1
	v_mov_b32_e32 v120, 0x7c00
	v_mov_b32_e32 v121, 0x7c00
	s_and_saveexec_b64 s[18:19], s[26:27]
	s_cbranch_execz .LBB211_46
; %bb.45:                               ;   in Loop: Header=BB211_32 Depth=1
	flat_load_ushort v121, v[40:41] offset:128
.LBB211_46:                             ;   in Loop: Header=BB211_32 Depth=1
	s_or_b64 exec, exec, s[18:19]
	s_or_b64 s[18:19], s[4:5], s[8:9]
	s_xor_b64 s[26:27], s[18:19], -1
	s_and_saveexec_b64 s[18:19], s[26:27]
	s_cbranch_execz .LBB211_48
; %bb.47:                               ;   in Loop: Header=BB211_32 Depth=1
	flat_load_ushort v120, v[40:41] offset:256
.LBB211_48:                             ;   in Loop: Header=BB211_32 Depth=1
	s_or_b64 exec, exec, s[18:19]
	s_or_b64 s[8:9], s[6:7], s[8:9]
	s_xor_b64 s[18:19], s[8:9], -1
	v_mov_b32_e32 v122, 0x7c00
	v_mov_b32_e32 v123, 0x7c00
	s_and_saveexec_b64 s[8:9], s[18:19]
	s_cbranch_execz .LBB211_50
; %bb.49:                               ;   in Loop: Header=BB211_32 Depth=1
	flat_load_ushort v123, v[40:41] offset:384
.LBB211_50:                             ;   in Loop: Header=BB211_32 Depth=1
	s_or_b64 exec, exec, s[8:9]
	v_pk_add_f16 v40, v12, v28
	v_pk_max_f16 v41, v116, v116
	v_pk_max_f16 v115, v115, v115
	v_pk_min_f16 v40, v41, v40
	v_pk_add_f16 v41, v14, v28
	v_pk_max_f16 v114, v114, v114
	v_pk_min_f16 v41, v115, v41
	v_pk_add_f16 v115, v8, v28
	v_pk_max_f16 v113, v113, v113
	v_pk_min_f16 v114, v114, v115
	v_pk_add_f16 v115, v10, v28
	v_pk_max_f16 v112, v112, v112
	v_pk_min_f16 v113, v113, v115
	v_pk_add_f16 v115, v4, v28
	v_pk_max_f16 v111, v111, v111
	v_pk_min_f16 v112, v112, v115
	v_pk_add_f16 v115, v6, v28
	v_pk_max_f16 v109, v109, v109
	v_pk_min_f16 v111, v111, v115
	v_pk_add_f16 v115, v0, v28
	v_pk_add_f16 v28, v2, v28
	v_pk_max_f16 v108, v108, v108
	v_pk_min_f16 v28, v109, v28
	v_pk_add_f16 v109, v12, v30
	v_pk_max_f16 v107, v107, v107
	v_pk_min_f16 v116, v108, v109
	v_pk_add_f16 v108, v14, v30
	v_pk_max_f16 v106, v106, v106
	v_pk_min_f16 v125, v107, v108
	v_pk_add_f16 v107, v8, v30
	v_pk_max_f16 v105, v105, v105
	v_pk_min_f16 v126, v106, v107
	v_pk_add_f16 v106, v10, v30
	v_pk_max_f16 v104, v104, v104
	v_pk_min_f16 v127, v105, v106
	v_pk_add_f16 v105, v4, v30
	v_pk_max_f16 v103, v103, v103
	v_pk_min_f16 v128, v104, v105
	v_pk_add_f16 v104, v6, v30
	v_pk_max_f16 v101, v101, v101
	v_pk_min_f16 v129, v103, v104
	v_pk_add_f16 v103, v0, v30
	v_pk_add_f16 v30, v2, v30
	v_pk_max_f16 v100, v100, v100
	v_pk_min_f16 v30, v101, v30
	v_pk_add_f16 v101, v12, v24
	;; [unrolled: 22-line block ×6, first 2 shown]
	v_pk_max_f16 v66, v66, v66
	v_pk_min_f16 v159, v67, v68
	v_pk_add_f16 v67, v14, v16
	v_pk_max_f16 v65, v65, v65
	v_pk_min_f16 v160, v66, v67
	v_pk_add_f16 v66, v8, v16
	;; [unrolled: 3-line block ×5, first 2 shown]
	v_pk_add_f16 v12, v12, v18
	v_pk_min_f16 v164, v62, v63
	v_pk_add_f16 v62, v0, v16
	v_pk_add_f16 v16, v2, v16
	;; [unrolled: 1-line block ×9, first 2 shown]
	v_pk_max_f16 v18, v61, v61
	v_pk_max_f16 v110, v110, v110
	v_pk_min_f16 v2, v18, v2
	v_pk_add_f16 v18, v13, v29
	v_pk_min_f16 v115, v110, v115
	v_pk_min_f16 v110, v40, v18
	v_pk_add_f16 v18, v15, v29
	v_pk_max_f16 v102, v102, v102
	v_pk_min_f16 v109, v41, v18
	v_pk_add_f16 v18, v9, v29
	v_pk_min_f16 v130, v102, v103
	v_pk_min_f16 v108, v114, v18
	v_pk_add_f16 v18, v11, v29
	;; [unrolled: 6-line block ×10, first 2 shown]
	v_pk_max_f16 v56, v56, v56
	v_pk_min_f16 v90, v134, v18
	v_pk_add_f16 v18, v5, v25
	v_pk_max_f16 v52, v52, v52
	v_pk_min_f16 v89, v135, v18
	v_pk_add_f16 v18, v7, v25
	v_pk_min_f16 v8, v56, v8
	v_pk_min_f16 v88, v136, v18
	v_pk_add_f16 v18, v1, v25
	v_pk_min_f16 v0, v52, v0
	v_pk_min_f16 v87, v137, v18
	v_pk_add_f16 v18, v3, v25
	v_pk_max_f16 v54, v54, v54
	v_pk_min_f16 v86, v24, v18
	v_pk_add_f16 v18, v13, v27
	v_pk_max_f16 v55, v55, v55
	v_pk_min_f16 v85, v138, v18
	v_pk_add_f16 v18, v15, v27
	v_pk_min_f16 v4, v54, v4
	v_pk_min_f16 v84, v139, v18
	v_pk_add_f16 v18, v9, v27
	v_pk_max_f16 v53, v53, v53
	v_pk_min_f16 v83, v140, v18
	v_pk_add_f16 v18, v11, v27
	v_pk_min_f16 v10, v55, v10
	v_pk_min_f16 v82, v141, v18
	v_pk_add_f16 v18, v5, v27
	v_pk_min_f16 v6, v53, v6
	v_pk_min_f16 v81, v142, v18
	v_pk_add_f16 v18, v7, v27
	s_nop 0
	v_pk_min_f16 v80, v143, v18
	v_pk_add_f16 v18, v1, v27
	s_nop 0
	v_pk_min_f16 v79, v144, v18
	v_pk_add_f16 v18, v3, v27
	s_nop 0
	v_pk_min_f16 v78, v26, v18
	v_pk_add_f16 v18, v13, v21
	s_nop 0
	v_pk_min_f16 v77, v145, v18
	v_pk_add_f16 v18, v15, v21
	s_nop 0
	v_pk_min_f16 v76, v146, v18
	v_pk_add_f16 v18, v9, v21
	s_nop 0
	v_pk_min_f16 v75, v147, v18
	v_pk_add_f16 v18, v11, v21
	s_nop 0
	v_pk_min_f16 v74, v148, v18
	v_pk_add_f16 v18, v5, v21
	s_nop 0
	v_pk_min_f16 v73, v149, v18
	v_pk_add_f16 v18, v7, v21
	s_nop 0
	v_pk_min_f16 v72, v150, v18
	v_pk_add_f16 v18, v1, v21
	s_nop 0
	v_pk_min_f16 v71, v151, v18
	v_pk_add_f16 v18, v3, v21
	s_nop 0
	v_pk_min_f16 v70, v20, v18
	v_pk_add_f16 v18, v13, v23
	s_nop 0
	v_pk_min_f16 v69, v152, v18
	v_pk_add_f16 v18, v15, v23
	s_nop 0
	v_pk_min_f16 v68, v153, v18
	v_pk_add_f16 v18, v9, v23
	s_nop 0
	v_pk_min_f16 v67, v154, v18
	v_pk_add_f16 v18, v11, v23
	s_nop 0
	v_pk_min_f16 v66, v155, v18
	v_pk_add_f16 v18, v5, v23
	s_nop 0
	v_pk_min_f16 v65, v156, v18
	v_pk_add_f16 v18, v7, v23
	s_nop 0
	v_pk_min_f16 v64, v157, v18
	v_pk_add_f16 v18, v1, v23
	s_nop 0
	v_pk_min_f16 v63, v158, v18
	v_pk_add_f16 v18, v3, v23
	s_nop 0
	v_pk_min_f16 v62, v22, v18
	v_pk_add_f16 v18, v13, v17
	v_pk_add_f16 v13, v13, v19
	v_pk_min_f16 v61, v159, v18
	v_pk_add_f16 v18, v15, v17
	v_pk_min_f16 v53, v12, v13
	v_pk_min_f16 v60, v160, v18
	v_pk_add_f16 v18, v9, v17
	v_pk_add_f16 v9, v9, v19
	v_pk_min_f16 v59, v161, v18
	v_pk_add_f16 v18, v11, v17
	v_pk_add_f16 v12, v15, v19
	;; [unrolled: 3-line block ×3, first 2 shown]
	v_pk_min_f16 v57, v163, v18
	v_pk_add_f16 v18, v7, v17
	v_pk_min_f16 v41, v8, v9
	v_pk_min_f16 v56, v164, v18
	v_pk_add_f16 v18, v1, v17
	v_pk_add_f16 v1, v1, v19
	;; [unrolled: 1-line block ×3, first 2 shown]
	v_pk_min_f16 v29, v0, v1
	v_pk_add_f16 v0, v3, v19
	v_pk_add_f16 v8, v11, v19
	v_pk_min_f16 v28, v2, v0
	v_add_u32_e32 v0, 12, v124
	v_pk_min_f16 v31, v4, v5
	v_pk_add_f16 v4, v7, v19
	v_cmp_gt_i32_e64 s[8:9], s22, v0
	v_pk_min_f16 v55, v165, v18
	v_pk_min_f16 v54, v16, v17
	;; [unrolled: 1-line block ×5, first 2 shown]
	s_and_b64 s[18:19], s[8:9], s[10:11]
	s_and_saveexec_b64 s[8:9], s[18:19]
	s_cbranch_execz .LBB211_31
; %bb.51:                               ;   in Loop: Header=BB211_32 Depth=1
	flat_load_ushort v122, v[34:35]
	s_branch .LBB211_31
.LBB211_52:
	s_load_dwordx2 s[2:3], s[0:1], 0x70
	s_load_dword s29, s[0:1], 0x50
	s_load_dword s28, s[0:1], 0x68
	v_add_u32_e32 v0, 0x800, v45
	v_add_u32_e32 v4, 0x1000, v46
	ds_read2_b64 v[16:19], v0 offset1:32
	ds_read2_b64 v[12:15], v0 offset0:64 offset1:96
	ds_read2_b64 v[8:11], v0 offset0:128 offset1:160
	;; [unrolled: 1-line block ×7, first 2 shown]
	s_waitcnt lgkmcnt(0)
	s_lshl_b64 s[0:1], s[2:3], 1
	s_add_u32 s22, s14, s0
	v_add_u32_e32 v98, s33, v43
	s_addc_u32 s23, s15, s1
	v_mad_i64_i32 v[34:35], s[0:1], v98, s29, 0
	v_add_u32_e32 v32, s31, v42
	v_lshl_add_u64 v[50:51], v[34:35], 1, s[24:25]
	v_mad_i64_i32 v[34:35], s[0:1], v98, s28, 0
	v_cmp_gt_i32_e64 s[2:3], s20, v32
	v_cmp_gt_i32_e64 s[18:19], s21, v98
	v_lshl_add_u64 v[48:49], v[34:35], 1, s[22:23]
	v_cndmask_b32_e64 v34, 0, 1, s[12:13]
	v_ashrrev_i32_e32 v33, 31, v32
	s_and_b64 s[4:5], s[2:3], s[18:19]
	v_cmp_ne_u32_e64 s[0:1], 1, v34
	s_and_saveexec_b64 s[6:7], s[4:5]
	s_xor_b64 s[4:5], exec, s[6:7]
	s_cbranch_execz .LBB211_57
; %bb.53:
	s_and_b64 vcc, exec, s[0:1]
	s_cbranch_vccnz .LBB211_55
; %bb.54:
	v_lshl_add_u64 v[34:35], v[32:33], 1, v[50:51]
	flat_load_ushort v34, v[34:35]
	s_waitcnt vmcnt(0) lgkmcnt(0)
	v_mul_f16_e32 v34, s30, v34
	s_branch .LBB211_56
.LBB211_55:
	v_mov_b32_e32 v34, 0
.LBB211_56:
	v_pk_add_f16 v35, v16, v28
	v_pk_max_f16 v36, v116, v116
	s_nop 0
	v_pk_min_f16 v35, v36, v35
	v_pk_add_f16 v36, v17, v29
	s_nop 0
	v_pk_min_f16 v35, v35, v36
	s_nop 0
	v_lshrrev_b32_e32 v36, 16, v35
	v_min3_f16 v36, v34, v35, v36
	v_lshl_add_u64 v[34:35], v[32:33], 1, v[48:49]
	global_store_short v[34:35], v36, off
.LBB211_57:
	s_or_b64 exec, exec, s[4:5]
	v_add_u32_e32 v34, 32, v32
	v_cmp_gt_i32_e64 s[4:5], s20, v34
	v_ashrrev_i32_e32 v35, 31, v34
	s_and_b64 s[8:9], s[4:5], s[18:19]
	s_and_saveexec_b64 s[6:7], s[8:9]
	s_cbranch_execz .LBB211_62
; %bb.58:
	s_and_b64 vcc, exec, s[0:1]
	s_cbranch_vccnz .LBB211_60
; %bb.59:
	v_lshl_add_u64 v[36:37], v[34:35], 1, v[50:51]
	flat_load_ushort v36, v[36:37]
	s_waitcnt vmcnt(0) lgkmcnt(0)
	v_mul_f16_e32 v36, s30, v36
	s_branch .LBB211_61
.LBB211_60:
	v_mov_b32_e32 v36, 0
.LBB211_61:
	v_pk_add_f16 v37, v18, v28
	v_pk_max_f16 v38, v115, v115
	s_nop 0
	v_pk_min_f16 v37, v38, v37
	v_pk_add_f16 v38, v19, v29
	s_nop 0
	v_pk_min_f16 v37, v37, v38
	s_nop 0
	v_lshrrev_b32_e32 v38, 16, v37
	v_min3_f16 v38, v36, v37, v38
	v_lshl_add_u64 v[36:37], v[34:35], 1, v[48:49]
	global_store_short v[36:37], v38, off
.LBB211_62:
	s_or_b64 exec, exec, s[6:7]
	v_add_u32_e32 v36, 64, v32
	v_cmp_gt_i32_e64 s[6:7], s20, v36
	v_ashrrev_i32_e32 v37, 31, v36
	s_and_b64 s[10:11], s[6:7], s[18:19]
	s_and_saveexec_b64 s[8:9], s[10:11]
	s_cbranch_execz .LBB211_67
; %bb.63:
	s_and_b64 vcc, exec, s[0:1]
	s_cbranch_vccnz .LBB211_65
; %bb.64:
	v_lshl_add_u64 v[38:39], v[36:37], 1, v[50:51]
	flat_load_ushort v38, v[38:39]
	s_waitcnt vmcnt(0) lgkmcnt(0)
	v_mul_f16_e32 v38, s30, v38
	s_branch .LBB211_66
.LBB211_65:
	v_mov_b32_e32 v38, 0
.LBB211_66:
	v_pk_add_f16 v39, v12, v28
	v_pk_max_f16 v40, v114, v114
	s_nop 0
	v_pk_min_f16 v39, v40, v39
	v_pk_add_f16 v40, v13, v29
	s_nop 0
	v_pk_min_f16 v39, v39, v40
	s_nop 0
	v_lshrrev_b32_e32 v40, 16, v39
	v_min3_f16 v40, v38, v39, v40
	v_lshl_add_u64 v[38:39], v[36:37], 1, v[48:49]
	global_store_short v[38:39], v40, off
.LBB211_67:
	s_or_b64 exec, exec, s[8:9]
	v_add_u32_e32 v38, 0x60, v32
	v_cmp_gt_i32_e64 s[8:9], s20, v38
	v_ashrrev_i32_e32 v39, 31, v38
	s_and_b64 s[12:13], s[8:9], s[18:19]
	s_and_saveexec_b64 s[10:11], s[12:13]
	s_cbranch_execz .LBB211_72
; %bb.68:
	s_and_b64 vcc, exec, s[0:1]
	s_cbranch_vccnz .LBB211_70
; %bb.69:
	v_lshl_add_u64 v[40:41], v[38:39], 1, v[50:51]
	flat_load_ushort v40, v[40:41]
	s_waitcnt vmcnt(0) lgkmcnt(0)
	v_mul_f16_e32 v40, s30, v40
	s_branch .LBB211_71
.LBB211_70:
	v_mov_b32_e32 v40, 0
.LBB211_71:
	v_pk_add_f16 v41, v14, v28
	v_pk_max_f16 v42, v113, v113
	s_nop 0
	v_pk_min_f16 v41, v42, v41
	v_pk_add_f16 v42, v15, v29
	s_nop 0
	v_pk_min_f16 v41, v41, v42
	s_nop 0
	v_lshrrev_b32_e32 v42, 16, v41
	v_min3_f16 v42, v40, v41, v42
	v_lshl_add_u64 v[40:41], v[38:39], 1, v[48:49]
	global_store_short v[40:41], v42, off
.LBB211_72:
	s_or_b64 exec, exec, s[10:11]
	v_add_u32_e32 v40, 0x80, v32
	v_cmp_gt_i32_e64 s[10:11], s20, v40
	v_ashrrev_i32_e32 v41, 31, v40
	s_and_b64 s[14:15], s[10:11], s[18:19]
	s_and_saveexec_b64 s[12:13], s[14:15]
	s_cbranch_execz .LBB211_77
; %bb.73:
	s_and_b64 vcc, exec, s[0:1]
	s_cbranch_vccnz .LBB211_75
; %bb.74:
	v_lshl_add_u64 v[42:43], v[40:41], 1, v[50:51]
	flat_load_ushort v42, v[42:43]
	s_waitcnt vmcnt(0) lgkmcnt(0)
	v_mul_f16_e32 v42, s30, v42
	s_branch .LBB211_76
.LBB211_75:
	v_mov_b32_e32 v42, 0
.LBB211_76:
	v_pk_add_f16 v43, v8, v28
	v_pk_max_f16 v44, v112, v112
	s_nop 0
	v_pk_min_f16 v43, v44, v43
	v_pk_add_f16 v44, v9, v29
	s_nop 0
	v_pk_min_f16 v43, v43, v44
	s_nop 0
	v_lshrrev_b32_e32 v44, 16, v43
	v_min3_f16 v44, v42, v43, v44
	v_lshl_add_u64 v[42:43], v[40:41], 1, v[48:49]
	global_store_short v[42:43], v44, off
.LBB211_77:
	s_or_b64 exec, exec, s[12:13]
	v_add_u32_e32 v42, 0xa0, v32
	v_cmp_gt_i32_e64 s[12:13], s20, v42
	v_ashrrev_i32_e32 v43, 31, v42
	s_and_b64 s[16:17], s[12:13], s[18:19]
	s_and_saveexec_b64 s[14:15], s[16:17]
	s_cbranch_execz .LBB211_82
; %bb.78:
	s_and_b64 vcc, exec, s[0:1]
	s_cbranch_vccnz .LBB211_80
; %bb.79:
	v_lshl_add_u64 v[44:45], v[42:43], 1, v[50:51]
	flat_load_ushort v44, v[44:45]
	s_waitcnt vmcnt(0) lgkmcnt(0)
	v_mul_f16_e32 v44, s30, v44
	s_branch .LBB211_81
.LBB211_80:
	v_mov_b32_e32 v44, 0
.LBB211_81:
	v_pk_add_f16 v45, v10, v28
	v_pk_max_f16 v46, v111, v111
	s_nop 0
	v_pk_min_f16 v45, v46, v45
	v_pk_add_f16 v46, v11, v29
	s_nop 0
	v_pk_min_f16 v45, v45, v46
	s_nop 0
	v_lshrrev_b32_e32 v46, 16, v45
	v_min3_f16 v46, v44, v45, v46
	v_lshl_add_u64 v[44:45], v[42:43], 1, v[48:49]
	global_store_short v[44:45], v46, off
.LBB211_82:
	s_or_b64 exec, exec, s[14:15]
	v_add_u32_e32 v44, 0xc0, v32
	v_cmp_gt_i32_e64 s[14:15], s20, v44
	v_ashrrev_i32_e32 v45, 31, v44
	s_and_b64 s[26:27], s[14:15], s[18:19]
	s_and_saveexec_b64 s[16:17], s[26:27]
	s_cbranch_execz .LBB211_87
; %bb.83:
	s_and_b64 vcc, exec, s[0:1]
	s_cbranch_vccnz .LBB211_85
; %bb.84:
	v_lshl_add_u64 v[46:47], v[44:45], 1, v[50:51]
	flat_load_ushort v46, v[46:47]
	s_waitcnt vmcnt(0) lgkmcnt(0)
	v_mul_f16_e32 v46, s30, v46
	s_branch .LBB211_86
.LBB211_85:
	v_mov_b32_e32 v46, 0
.LBB211_86:
	v_pk_add_f16 v47, v0, v28
	v_pk_max_f16 v110, v110, v110
	s_nop 0
	v_pk_min_f16 v47, v110, v47
	v_pk_add_f16 v110, v1, v29
	s_nop 0
	v_pk_min_f16 v47, v47, v110
	s_nop 0
	v_lshrrev_b32_e32 v110, 16, v47
	v_min3_f16 v110, v46, v47, v110
	v_lshl_add_u64 v[46:47], v[44:45], 1, v[48:49]
	global_store_short v[46:47], v110, off
.LBB211_87:
	s_or_b64 exec, exec, s[16:17]
	v_add_u32_e32 v46, 0xe0, v32
	v_cmp_gt_i32_e64 s[16:17], s20, v46
	v_ashrrev_i32_e32 v47, 31, v46
	s_and_b64 s[26:27], s[16:17], s[18:19]
	s_and_saveexec_b64 s[18:19], s[26:27]
	s_cbranch_execz .LBB211_92
; %bb.88:
	s_and_b64 vcc, exec, s[0:1]
	s_cbranch_vccnz .LBB211_90
; %bb.89:
	v_lshl_add_u64 v[50:51], v[46:47], 1, v[50:51]
	flat_load_ushort v50, v[50:51]
	s_waitcnt vmcnt(0) lgkmcnt(0)
	v_mul_f16_e32 v50, s30, v50
	s_branch .LBB211_91
.LBB211_90:
	v_mov_b32_e32 v50, 0
.LBB211_91:
	v_pk_add_f16 v28, v2, v28
	v_pk_max_f16 v51, v109, v109
	v_pk_add_f16 v29, v3, v29
	v_pk_min_f16 v28, v51, v28
	s_nop 0
	v_pk_min_f16 v28, v28, v29
	s_nop 0
	v_lshrrev_b32_e32 v29, 16, v28
	v_min3_f16 v50, v50, v28, v29
	v_lshl_add_u64 v[28:29], v[46:47], 1, v[48:49]
	global_store_short v[28:29], v50, off
.LBB211_92:
	s_or_b64 exec, exec, s[18:19]
	v_add_u32_e32 v50, 8, v98
	v_mad_i64_i32 v[28:29], s[26:27], v50, s29, 0
	v_cmp_gt_i32_e64 s[18:19], s21, v50
	v_lshl_add_u64 v[48:49], v[28:29], 1, s[24:25]
	v_mad_i64_i32 v[28:29], s[26:27], v50, s28, 0
	v_lshl_add_u64 v[28:29], v[28:29], 1, s[22:23]
	s_and_b64 s[34:35], s[2:3], s[18:19]
	s_and_saveexec_b64 s[26:27], s[34:35]
	s_cbranch_execnz .LBB211_100
; %bb.93:
	s_or_b64 exec, exec, s[26:27]
	s_and_b64 s[34:35], s[4:5], s[18:19]
	s_and_saveexec_b64 s[26:27], s[34:35]
	s_cbranch_execnz .LBB211_104
.LBB211_94:
	s_or_b64 exec, exec, s[26:27]
	s_and_b64 s[34:35], s[6:7], s[18:19]
	s_and_saveexec_b64 s[26:27], s[34:35]
	s_cbranch_execnz .LBB211_108
.LBB211_95:
	s_or_b64 exec, exec, s[26:27]
	s_and_b64 s[34:35], s[8:9], s[18:19]
	s_and_saveexec_b64 s[26:27], s[34:35]
	s_cbranch_execnz .LBB211_112
.LBB211_96:
	s_or_b64 exec, exec, s[26:27]
	s_and_b64 s[34:35], s[10:11], s[18:19]
	s_and_saveexec_b64 s[26:27], s[34:35]
	s_cbranch_execnz .LBB211_116
.LBB211_97:
	s_or_b64 exec, exec, s[26:27]
	s_and_b64 s[34:35], s[12:13], s[18:19]
	s_and_saveexec_b64 s[26:27], s[34:35]
	s_cbranch_execnz .LBB211_120
.LBB211_98:
	s_or_b64 exec, exec, s[26:27]
	s_and_b64 s[34:35], s[14:15], s[18:19]
	s_and_saveexec_b64 s[26:27], s[34:35]
	s_cbranch_execnz .LBB211_124
.LBB211_99:
	s_or_b64 exec, exec, s[26:27]
	s_and_b64 s[26:27], s[16:17], s[18:19]
	s_and_saveexec_b64 s[18:19], s[26:27]
	s_cbranch_execnz .LBB211_128
	s_branch .LBB211_132
.LBB211_100:
	s_and_b64 vcc, exec, s[0:1]
	s_cbranch_vccnz .LBB211_102
; %bb.101:
	v_lshl_add_u64 v[50:51], v[32:33], 1, v[48:49]
	flat_load_ushort v50, v[50:51]
	s_waitcnt vmcnt(0) lgkmcnt(0)
	v_mul_f16_e32 v50, s30, v50
	s_branch .LBB211_103
.LBB211_102:
	v_mov_b32_e32 v50, 0
.LBB211_103:
	v_pk_add_f16 v51, v16, v30
	v_pk_max_f16 v108, v108, v108
	s_nop 0
	v_pk_min_f16 v51, v108, v51
	v_pk_add_f16 v108, v17, v31
	s_nop 0
	v_pk_min_f16 v51, v51, v108
	s_nop 0
	v_lshrrev_b32_e32 v108, 16, v51
	v_min3_f16 v108, v50, v51, v108
	v_lshl_add_u64 v[50:51], v[32:33], 1, v[28:29]
	global_store_short v[50:51], v108, off
	s_or_b64 exec, exec, s[26:27]
	s_and_b64 s[34:35], s[4:5], s[18:19]
	s_and_saveexec_b64 s[26:27], s[34:35]
	s_cbranch_execz .LBB211_94
.LBB211_104:
	s_and_b64 vcc, exec, s[0:1]
	s_cbranch_vccnz .LBB211_106
; %bb.105:
	v_lshl_add_u64 v[50:51], v[34:35], 1, v[48:49]
	flat_load_ushort v50, v[50:51]
	s_waitcnt vmcnt(0) lgkmcnt(0)
	v_mul_f16_e32 v50, s30, v50
	s_branch .LBB211_107
.LBB211_106:
	v_mov_b32_e32 v50, 0
.LBB211_107:
	v_pk_add_f16 v51, v18, v30
	v_pk_max_f16 v107, v107, v107
	s_nop 0
	v_pk_min_f16 v51, v107, v51
	v_pk_add_f16 v107, v19, v31
	s_nop 0
	v_pk_min_f16 v51, v51, v107
	s_nop 0
	v_lshrrev_b32_e32 v107, 16, v51
	v_min3_f16 v107, v50, v51, v107
	v_lshl_add_u64 v[50:51], v[34:35], 1, v[28:29]
	global_store_short v[50:51], v107, off
	s_or_b64 exec, exec, s[26:27]
	s_and_b64 s[34:35], s[6:7], s[18:19]
	s_and_saveexec_b64 s[26:27], s[34:35]
	s_cbranch_execz .LBB211_95
.LBB211_108:
	s_and_b64 vcc, exec, s[0:1]
	s_cbranch_vccnz .LBB211_110
; %bb.109:
	v_lshl_add_u64 v[50:51], v[36:37], 1, v[48:49]
	flat_load_ushort v50, v[50:51]
	s_waitcnt vmcnt(0) lgkmcnt(0)
	v_mul_f16_e32 v50, s30, v50
	s_branch .LBB211_111
.LBB211_110:
	v_mov_b32_e32 v50, 0
.LBB211_111:
	v_pk_add_f16 v51, v12, v30
	v_pk_max_f16 v106, v106, v106
	s_nop 0
	v_pk_min_f16 v51, v106, v51
	v_pk_add_f16 v106, v13, v31
	s_nop 0
	v_pk_min_f16 v51, v51, v106
	s_nop 0
	v_lshrrev_b32_e32 v106, 16, v51
	v_min3_f16 v106, v50, v51, v106
	v_lshl_add_u64 v[50:51], v[36:37], 1, v[28:29]
	global_store_short v[50:51], v106, off
	s_or_b64 exec, exec, s[26:27]
	s_and_b64 s[34:35], s[8:9], s[18:19]
	s_and_saveexec_b64 s[26:27], s[34:35]
	s_cbranch_execz .LBB211_96
.LBB211_112:
	s_and_b64 vcc, exec, s[0:1]
	s_cbranch_vccnz .LBB211_114
; %bb.113:
	v_lshl_add_u64 v[50:51], v[38:39], 1, v[48:49]
	flat_load_ushort v50, v[50:51]
	s_waitcnt vmcnt(0) lgkmcnt(0)
	v_mul_f16_e32 v50, s30, v50
	s_branch .LBB211_115
.LBB211_114:
	v_mov_b32_e32 v50, 0
.LBB211_115:
	v_pk_add_f16 v51, v14, v30
	v_pk_max_f16 v105, v105, v105
	s_nop 0
	v_pk_min_f16 v51, v105, v51
	v_pk_add_f16 v105, v15, v31
	s_nop 0
	v_pk_min_f16 v51, v51, v105
	s_nop 0
	v_lshrrev_b32_e32 v105, 16, v51
	v_min3_f16 v105, v50, v51, v105
	v_lshl_add_u64 v[50:51], v[38:39], 1, v[28:29]
	global_store_short v[50:51], v105, off
	s_or_b64 exec, exec, s[26:27]
	s_and_b64 s[34:35], s[10:11], s[18:19]
	s_and_saveexec_b64 s[26:27], s[34:35]
	s_cbranch_execz .LBB211_97
.LBB211_116:
	s_and_b64 vcc, exec, s[0:1]
	s_cbranch_vccnz .LBB211_118
; %bb.117:
	v_lshl_add_u64 v[50:51], v[40:41], 1, v[48:49]
	flat_load_ushort v50, v[50:51]
	s_waitcnt vmcnt(0) lgkmcnt(0)
	v_mul_f16_e32 v50, s30, v50
	s_branch .LBB211_119
.LBB211_118:
	v_mov_b32_e32 v50, 0
.LBB211_119:
	v_pk_add_f16 v51, v8, v30
	v_pk_max_f16 v104, v104, v104
	s_nop 0
	v_pk_min_f16 v51, v104, v51
	v_pk_add_f16 v104, v9, v31
	s_nop 0
	v_pk_min_f16 v51, v51, v104
	s_nop 0
	v_lshrrev_b32_e32 v104, 16, v51
	v_min3_f16 v104, v50, v51, v104
	v_lshl_add_u64 v[50:51], v[40:41], 1, v[28:29]
	global_store_short v[50:51], v104, off
	s_or_b64 exec, exec, s[26:27]
	s_and_b64 s[34:35], s[12:13], s[18:19]
	s_and_saveexec_b64 s[26:27], s[34:35]
	s_cbranch_execz .LBB211_98
.LBB211_120:
	s_and_b64 vcc, exec, s[0:1]
	s_cbranch_vccnz .LBB211_122
; %bb.121:
	v_lshl_add_u64 v[50:51], v[42:43], 1, v[48:49]
	flat_load_ushort v50, v[50:51]
	s_waitcnt vmcnt(0) lgkmcnt(0)
	v_mul_f16_e32 v50, s30, v50
	s_branch .LBB211_123
.LBB211_122:
	v_mov_b32_e32 v50, 0
.LBB211_123:
	v_pk_add_f16 v51, v10, v30
	v_pk_max_f16 v103, v103, v103
	s_nop 0
	v_pk_min_f16 v51, v103, v51
	v_pk_add_f16 v103, v11, v31
	s_nop 0
	v_pk_min_f16 v51, v51, v103
	s_nop 0
	v_lshrrev_b32_e32 v103, 16, v51
	v_min3_f16 v103, v50, v51, v103
	v_lshl_add_u64 v[50:51], v[42:43], 1, v[28:29]
	global_store_short v[50:51], v103, off
	s_or_b64 exec, exec, s[26:27]
	s_and_b64 s[34:35], s[14:15], s[18:19]
	s_and_saveexec_b64 s[26:27], s[34:35]
	s_cbranch_execz .LBB211_99
.LBB211_124:
	s_and_b64 vcc, exec, s[0:1]
	s_cbranch_vccnz .LBB211_126
; %bb.125:
	v_lshl_add_u64 v[50:51], v[44:45], 1, v[48:49]
	flat_load_ushort v50, v[50:51]
	s_waitcnt vmcnt(0) lgkmcnt(0)
	v_mul_f16_e32 v50, s30, v50
	s_branch .LBB211_127
.LBB211_126:
	v_mov_b32_e32 v50, 0
.LBB211_127:
	v_pk_add_f16 v51, v0, v30
	v_pk_max_f16 v102, v102, v102
	s_nop 0
	v_pk_min_f16 v51, v102, v51
	v_pk_add_f16 v102, v1, v31
	s_nop 0
	v_pk_min_f16 v51, v51, v102
	s_nop 0
	v_lshrrev_b32_e32 v102, 16, v51
	v_min3_f16 v102, v50, v51, v102
	v_lshl_add_u64 v[50:51], v[44:45], 1, v[28:29]
	global_store_short v[50:51], v102, off
	s_or_b64 exec, exec, s[26:27]
	s_and_b64 s[26:27], s[16:17], s[18:19]
	s_and_saveexec_b64 s[18:19], s[26:27]
	s_cbranch_execz .LBB211_132
.LBB211_128:
	s_and_b64 vcc, exec, s[0:1]
	s_cbranch_vccnz .LBB211_130
; %bb.129:
	v_lshl_add_u64 v[48:49], v[46:47], 1, v[48:49]
	flat_load_ushort v48, v[48:49]
	s_waitcnt vmcnt(0) lgkmcnt(0)
	v_mul_f16_e32 v48, s30, v48
	s_branch .LBB211_131
.LBB211_130:
	v_mov_b32_e32 v48, 0
.LBB211_131:
	v_pk_add_f16 v30, v2, v30
	v_pk_max_f16 v49, v101, v101
	v_pk_add_f16 v31, v3, v31
	v_pk_min_f16 v30, v49, v30
	v_lshl_add_u64 v[28:29], v[46:47], 1, v[28:29]
	v_pk_min_f16 v30, v30, v31
	s_nop 0
	v_lshrrev_b32_e32 v31, 16, v30
	v_min3_f16 v30, v48, v30, v31
	global_store_short v[28:29], v30, off
.LBB211_132:
	s_or_b64 exec, exec, s[18:19]
	v_add_u32_e32 v48, 16, v98
	v_mad_i64_i32 v[28:29], s[26:27], v48, s29, 0
	v_cmp_gt_i32_e64 s[18:19], s21, v48
	v_lshl_add_u64 v[30:31], v[28:29], 1, s[24:25]
	v_mad_i64_i32 v[28:29], s[26:27], v48, s28, 0
	v_lshl_add_u64 v[28:29], v[28:29], 1, s[22:23]
	s_and_b64 s[34:35], s[2:3], s[18:19]
	s_and_saveexec_b64 s[26:27], s[34:35]
	s_cbranch_execnz .LBB211_140
; %bb.133:
	s_or_b64 exec, exec, s[26:27]
	s_and_b64 s[34:35], s[4:5], s[18:19]
	s_and_saveexec_b64 s[26:27], s[34:35]
	s_cbranch_execnz .LBB211_144
.LBB211_134:
	s_or_b64 exec, exec, s[26:27]
	s_and_b64 s[34:35], s[6:7], s[18:19]
	s_and_saveexec_b64 s[26:27], s[34:35]
	s_cbranch_execnz .LBB211_148
.LBB211_135:
	s_or_b64 exec, exec, s[26:27]
	s_and_b64 s[34:35], s[8:9], s[18:19]
	s_and_saveexec_b64 s[26:27], s[34:35]
	s_cbranch_execnz .LBB211_152
.LBB211_136:
	s_or_b64 exec, exec, s[26:27]
	s_and_b64 s[34:35], s[10:11], s[18:19]
	s_and_saveexec_b64 s[26:27], s[34:35]
	s_cbranch_execnz .LBB211_156
.LBB211_137:
	s_or_b64 exec, exec, s[26:27]
	s_and_b64 s[34:35], s[12:13], s[18:19]
	s_and_saveexec_b64 s[26:27], s[34:35]
	s_cbranch_execnz .LBB211_160
.LBB211_138:
	s_or_b64 exec, exec, s[26:27]
	s_and_b64 s[34:35], s[14:15], s[18:19]
	s_and_saveexec_b64 s[26:27], s[34:35]
	s_cbranch_execnz .LBB211_164
.LBB211_139:
	s_or_b64 exec, exec, s[26:27]
	s_and_b64 s[26:27], s[16:17], s[18:19]
	s_and_saveexec_b64 s[18:19], s[26:27]
	s_cbranch_execnz .LBB211_168
	s_branch .LBB211_172
.LBB211_140:
	s_and_b64 vcc, exec, s[0:1]
	s_cbranch_vccnz .LBB211_142
; %bb.141:
	v_lshl_add_u64 v[48:49], v[32:33], 1, v[30:31]
	flat_load_ushort v48, v[48:49]
	s_waitcnt vmcnt(0) lgkmcnt(0)
	v_mul_f16_e32 v48, s30, v48
	s_branch .LBB211_143
.LBB211_142:
	v_mov_b32_e32 v48, 0
.LBB211_143:
	v_pk_add_f16 v49, v16, v24
	v_pk_max_f16 v50, v100, v100
	s_nop 0
	v_pk_min_f16 v49, v50, v49
	v_pk_add_f16 v50, v17, v25
	s_nop 0
	v_pk_min_f16 v49, v49, v50
	s_nop 0
	v_lshrrev_b32_e32 v50, 16, v49
	v_min3_f16 v50, v48, v49, v50
	v_lshl_add_u64 v[48:49], v[32:33], 1, v[28:29]
	global_store_short v[48:49], v50, off
	s_or_b64 exec, exec, s[26:27]
	s_and_b64 s[34:35], s[4:5], s[18:19]
	s_and_saveexec_b64 s[26:27], s[34:35]
	s_cbranch_execz .LBB211_134
.LBB211_144:
	s_and_b64 vcc, exec, s[0:1]
	s_cbranch_vccnz .LBB211_146
; %bb.145:
	v_lshl_add_u64 v[48:49], v[34:35], 1, v[30:31]
	flat_load_ushort v48, v[48:49]
	s_waitcnt vmcnt(0) lgkmcnt(0)
	v_mul_f16_e32 v48, s30, v48
	s_branch .LBB211_147
.LBB211_146:
	v_mov_b32_e32 v48, 0
.LBB211_147:
	v_pk_add_f16 v49, v18, v24
	v_pk_max_f16 v50, v99, v99
	s_nop 0
	v_pk_min_f16 v49, v50, v49
	v_pk_add_f16 v50, v19, v25
	s_nop 0
	v_pk_min_f16 v49, v49, v50
	s_nop 0
	v_lshrrev_b32_e32 v50, 16, v49
	v_min3_f16 v50, v48, v49, v50
	v_lshl_add_u64 v[48:49], v[34:35], 1, v[28:29]
	global_store_short v[48:49], v50, off
	s_or_b64 exec, exec, s[26:27]
	s_and_b64 s[34:35], s[6:7], s[18:19]
	s_and_saveexec_b64 s[26:27], s[34:35]
	s_cbranch_execz .LBB211_135
.LBB211_148:
	s_and_b64 vcc, exec, s[0:1]
	s_cbranch_vccnz .LBB211_150
; %bb.149:
	v_lshl_add_u64 v[48:49], v[36:37], 1, v[30:31]
	flat_load_ushort v48, v[48:49]
	s_waitcnt vmcnt(0) lgkmcnt(0)
	v_mul_f16_e32 v48, s30, v48
	s_branch .LBB211_151
.LBB211_150:
	v_mov_b32_e32 v48, 0
.LBB211_151:
	v_pk_add_f16 v49, v12, v24
	v_pk_max_f16 v50, v97, v97
	s_nop 0
	v_pk_min_f16 v49, v50, v49
	v_pk_add_f16 v50, v13, v25
	s_nop 0
	v_pk_min_f16 v49, v49, v50
	s_nop 0
	v_lshrrev_b32_e32 v50, 16, v49
	v_min3_f16 v50, v48, v49, v50
	v_lshl_add_u64 v[48:49], v[36:37], 1, v[28:29]
	global_store_short v[48:49], v50, off
	s_or_b64 exec, exec, s[26:27]
	s_and_b64 s[34:35], s[8:9], s[18:19]
	s_and_saveexec_b64 s[26:27], s[34:35]
	s_cbranch_execz .LBB211_136
.LBB211_152:
	s_and_b64 vcc, exec, s[0:1]
	s_cbranch_vccnz .LBB211_154
; %bb.153:
	v_lshl_add_u64 v[48:49], v[38:39], 1, v[30:31]
	flat_load_ushort v48, v[48:49]
	s_waitcnt vmcnt(0) lgkmcnt(0)
	v_mul_f16_e32 v48, s30, v48
	s_branch .LBB211_155
.LBB211_154:
	v_mov_b32_e32 v48, 0
.LBB211_155:
	v_pk_add_f16 v49, v14, v24
	v_pk_max_f16 v50, v96, v96
	s_nop 0
	v_pk_min_f16 v49, v50, v49
	v_pk_add_f16 v50, v15, v25
	s_nop 0
	v_pk_min_f16 v49, v49, v50
	s_nop 0
	v_lshrrev_b32_e32 v50, 16, v49
	v_min3_f16 v50, v48, v49, v50
	v_lshl_add_u64 v[48:49], v[38:39], 1, v[28:29]
	global_store_short v[48:49], v50, off
	s_or_b64 exec, exec, s[26:27]
	s_and_b64 s[34:35], s[10:11], s[18:19]
	s_and_saveexec_b64 s[26:27], s[34:35]
	s_cbranch_execz .LBB211_137
.LBB211_156:
	s_and_b64 vcc, exec, s[0:1]
	s_cbranch_vccnz .LBB211_158
; %bb.157:
	v_lshl_add_u64 v[48:49], v[40:41], 1, v[30:31]
	flat_load_ushort v48, v[48:49]
	s_waitcnt vmcnt(0) lgkmcnt(0)
	v_mul_f16_e32 v48, s30, v48
	s_branch .LBB211_159
.LBB211_158:
	v_mov_b32_e32 v48, 0
.LBB211_159:
	v_pk_add_f16 v49, v8, v24
	v_pk_max_f16 v50, v95, v95
	s_nop 0
	v_pk_min_f16 v49, v50, v49
	v_pk_add_f16 v50, v9, v25
	s_nop 0
	v_pk_min_f16 v49, v49, v50
	s_nop 0
	v_lshrrev_b32_e32 v50, 16, v49
	v_min3_f16 v50, v48, v49, v50
	v_lshl_add_u64 v[48:49], v[40:41], 1, v[28:29]
	global_store_short v[48:49], v50, off
	s_or_b64 exec, exec, s[26:27]
	s_and_b64 s[34:35], s[12:13], s[18:19]
	s_and_saveexec_b64 s[26:27], s[34:35]
	s_cbranch_execz .LBB211_138
.LBB211_160:
	s_and_b64 vcc, exec, s[0:1]
	s_cbranch_vccnz .LBB211_162
; %bb.161:
	v_lshl_add_u64 v[48:49], v[42:43], 1, v[30:31]
	flat_load_ushort v48, v[48:49]
	s_waitcnt vmcnt(0) lgkmcnt(0)
	v_mul_f16_e32 v48, s30, v48
	s_branch .LBB211_163
.LBB211_162:
	v_mov_b32_e32 v48, 0
.LBB211_163:
	v_pk_add_f16 v49, v10, v24
	v_pk_max_f16 v50, v94, v94
	s_nop 0
	v_pk_min_f16 v49, v50, v49
	v_pk_add_f16 v50, v11, v25
	s_nop 0
	v_pk_min_f16 v49, v49, v50
	s_nop 0
	v_lshrrev_b32_e32 v50, 16, v49
	v_min3_f16 v50, v48, v49, v50
	v_lshl_add_u64 v[48:49], v[42:43], 1, v[28:29]
	global_store_short v[48:49], v50, off
	s_or_b64 exec, exec, s[26:27]
	s_and_b64 s[34:35], s[14:15], s[18:19]
	s_and_saveexec_b64 s[26:27], s[34:35]
	s_cbranch_execz .LBB211_139
.LBB211_164:
	s_and_b64 vcc, exec, s[0:1]
	s_cbranch_vccnz .LBB211_166
; %bb.165:
	v_lshl_add_u64 v[48:49], v[44:45], 1, v[30:31]
	flat_load_ushort v48, v[48:49]
	s_waitcnt vmcnt(0) lgkmcnt(0)
	v_mul_f16_e32 v48, s30, v48
	s_branch .LBB211_167
.LBB211_166:
	v_mov_b32_e32 v48, 0
.LBB211_167:
	v_pk_add_f16 v49, v0, v24
	v_pk_max_f16 v50, v93, v93
	s_nop 0
	v_pk_min_f16 v49, v50, v49
	v_pk_add_f16 v50, v1, v25
	s_nop 0
	v_pk_min_f16 v49, v49, v50
	s_nop 0
	v_lshrrev_b32_e32 v50, 16, v49
	v_min3_f16 v50, v48, v49, v50
	v_lshl_add_u64 v[48:49], v[44:45], 1, v[28:29]
	global_store_short v[48:49], v50, off
	s_or_b64 exec, exec, s[26:27]
	s_and_b64 s[26:27], s[16:17], s[18:19]
	s_and_saveexec_b64 s[18:19], s[26:27]
	s_cbranch_execz .LBB211_172
.LBB211_168:
	s_and_b64 vcc, exec, s[0:1]
	s_cbranch_vccnz .LBB211_170
; %bb.169:
	v_lshl_add_u64 v[30:31], v[46:47], 1, v[30:31]
	flat_load_ushort v30, v[30:31]
	s_waitcnt vmcnt(0) lgkmcnt(0)
	v_mul_f16_e32 v30, s30, v30
	s_branch .LBB211_171
.LBB211_170:
	v_mov_b32_e32 v30, 0
.LBB211_171:
	v_pk_add_f16 v24, v2, v24
	v_pk_max_f16 v31, v92, v92
	v_pk_add_f16 v25, v3, v25
	v_pk_min_f16 v24, v31, v24
	s_nop 0
	v_pk_min_f16 v24, v24, v25
	s_nop 0
	v_lshrrev_b32_e32 v25, 16, v24
	v_min3_f16 v30, v30, v24, v25
	v_lshl_add_u64 v[24:25], v[46:47], 1, v[28:29]
	global_store_short v[24:25], v30, off
.LBB211_172:
	s_or_b64 exec, exec, s[18:19]
	v_add_u32_e32 v30, 24, v98
	v_mad_i64_i32 v[24:25], s[26:27], v30, s29, 0
	v_cmp_gt_i32_e64 s[18:19], s21, v30
	v_lshl_add_u64 v[28:29], v[24:25], 1, s[24:25]
	v_mad_i64_i32 v[24:25], s[26:27], v30, s28, 0
	v_lshl_add_u64 v[24:25], v[24:25], 1, s[22:23]
	s_and_b64 s[34:35], s[2:3], s[18:19]
	s_and_saveexec_b64 s[26:27], s[34:35]
	s_cbranch_execnz .LBB211_180
; %bb.173:
	s_or_b64 exec, exec, s[26:27]
	s_and_b64 s[34:35], s[4:5], s[18:19]
	s_and_saveexec_b64 s[26:27], s[34:35]
	s_cbranch_execnz .LBB211_184
.LBB211_174:
	s_or_b64 exec, exec, s[26:27]
	s_and_b64 s[34:35], s[6:7], s[18:19]
	s_and_saveexec_b64 s[26:27], s[34:35]
	s_cbranch_execnz .LBB211_188
.LBB211_175:
	s_or_b64 exec, exec, s[26:27]
	s_and_b64 s[34:35], s[8:9], s[18:19]
	s_and_saveexec_b64 s[26:27], s[34:35]
	s_cbranch_execnz .LBB211_192
.LBB211_176:
	s_or_b64 exec, exec, s[26:27]
	s_and_b64 s[34:35], s[10:11], s[18:19]
	s_and_saveexec_b64 s[26:27], s[34:35]
	s_cbranch_execnz .LBB211_196
.LBB211_177:
	s_or_b64 exec, exec, s[26:27]
	s_and_b64 s[34:35], s[12:13], s[18:19]
	s_and_saveexec_b64 s[26:27], s[34:35]
	s_cbranch_execnz .LBB211_200
.LBB211_178:
	s_or_b64 exec, exec, s[26:27]
	s_and_b64 s[34:35], s[14:15], s[18:19]
	s_and_saveexec_b64 s[26:27], s[34:35]
	s_cbranch_execnz .LBB211_204
.LBB211_179:
	s_or_b64 exec, exec, s[26:27]
	s_and_b64 s[26:27], s[16:17], s[18:19]
	s_and_saveexec_b64 s[18:19], s[26:27]
	s_cbranch_execnz .LBB211_208
	s_branch .LBB211_212
.LBB211_180:
	s_and_b64 vcc, exec, s[0:1]
	s_cbranch_vccnz .LBB211_182
; %bb.181:
	v_lshl_add_u64 v[30:31], v[32:33], 1, v[28:29]
	flat_load_ushort v30, v[30:31]
	s_waitcnt vmcnt(0) lgkmcnt(0)
	v_mul_f16_e32 v30, s30, v30
	s_branch .LBB211_183
.LBB211_182:
	v_mov_b32_e32 v30, 0
.LBB211_183:
	v_pk_add_f16 v31, v16, v26
	v_pk_max_f16 v48, v91, v91
	s_nop 0
	v_pk_min_f16 v31, v48, v31
	v_pk_add_f16 v48, v17, v27
	s_nop 0
	v_pk_min_f16 v31, v31, v48
	s_nop 0
	v_lshrrev_b32_e32 v48, 16, v31
	v_min3_f16 v48, v30, v31, v48
	v_lshl_add_u64 v[30:31], v[32:33], 1, v[24:25]
	global_store_short v[30:31], v48, off
	s_or_b64 exec, exec, s[26:27]
	s_and_b64 s[34:35], s[4:5], s[18:19]
	s_and_saveexec_b64 s[26:27], s[34:35]
	s_cbranch_execz .LBB211_174
.LBB211_184:
	s_and_b64 vcc, exec, s[0:1]
	s_cbranch_vccnz .LBB211_186
; %bb.185:
	v_lshl_add_u64 v[30:31], v[34:35], 1, v[28:29]
	flat_load_ushort v30, v[30:31]
	s_waitcnt vmcnt(0) lgkmcnt(0)
	v_mul_f16_e32 v30, s30, v30
	s_branch .LBB211_187
.LBB211_186:
	v_mov_b32_e32 v30, 0
.LBB211_187:
	v_pk_add_f16 v31, v18, v26
	v_pk_max_f16 v48, v90, v90
	s_nop 0
	v_pk_min_f16 v31, v48, v31
	v_pk_add_f16 v48, v19, v27
	s_nop 0
	v_pk_min_f16 v31, v31, v48
	s_nop 0
	v_lshrrev_b32_e32 v48, 16, v31
	v_min3_f16 v48, v30, v31, v48
	v_lshl_add_u64 v[30:31], v[34:35], 1, v[24:25]
	global_store_short v[30:31], v48, off
	s_or_b64 exec, exec, s[26:27]
	s_and_b64 s[34:35], s[6:7], s[18:19]
	s_and_saveexec_b64 s[26:27], s[34:35]
	s_cbranch_execz .LBB211_175
.LBB211_188:
	s_and_b64 vcc, exec, s[0:1]
	s_cbranch_vccnz .LBB211_190
; %bb.189:
	v_lshl_add_u64 v[30:31], v[36:37], 1, v[28:29]
	flat_load_ushort v30, v[30:31]
	s_waitcnt vmcnt(0) lgkmcnt(0)
	v_mul_f16_e32 v30, s30, v30
	s_branch .LBB211_191
.LBB211_190:
	v_mov_b32_e32 v30, 0
.LBB211_191:
	v_pk_add_f16 v31, v12, v26
	v_pk_max_f16 v48, v89, v89
	s_nop 0
	v_pk_min_f16 v31, v48, v31
	v_pk_add_f16 v48, v13, v27
	s_nop 0
	v_pk_min_f16 v31, v31, v48
	s_nop 0
	v_lshrrev_b32_e32 v48, 16, v31
	v_min3_f16 v48, v30, v31, v48
	v_lshl_add_u64 v[30:31], v[36:37], 1, v[24:25]
	global_store_short v[30:31], v48, off
	s_or_b64 exec, exec, s[26:27]
	s_and_b64 s[34:35], s[8:9], s[18:19]
	s_and_saveexec_b64 s[26:27], s[34:35]
	s_cbranch_execz .LBB211_176
.LBB211_192:
	s_and_b64 vcc, exec, s[0:1]
	s_cbranch_vccnz .LBB211_194
; %bb.193:
	v_lshl_add_u64 v[30:31], v[38:39], 1, v[28:29]
	flat_load_ushort v30, v[30:31]
	s_waitcnt vmcnt(0) lgkmcnt(0)
	v_mul_f16_e32 v30, s30, v30
	s_branch .LBB211_195
.LBB211_194:
	v_mov_b32_e32 v30, 0
.LBB211_195:
	v_pk_add_f16 v31, v14, v26
	v_pk_max_f16 v48, v88, v88
	s_nop 0
	v_pk_min_f16 v31, v48, v31
	v_pk_add_f16 v48, v15, v27
	s_nop 0
	v_pk_min_f16 v31, v31, v48
	s_nop 0
	v_lshrrev_b32_e32 v48, 16, v31
	v_min3_f16 v48, v30, v31, v48
	v_lshl_add_u64 v[30:31], v[38:39], 1, v[24:25]
	global_store_short v[30:31], v48, off
	s_or_b64 exec, exec, s[26:27]
	s_and_b64 s[34:35], s[10:11], s[18:19]
	s_and_saveexec_b64 s[26:27], s[34:35]
	s_cbranch_execz .LBB211_177
.LBB211_196:
	s_and_b64 vcc, exec, s[0:1]
	s_cbranch_vccnz .LBB211_198
; %bb.197:
	v_lshl_add_u64 v[30:31], v[40:41], 1, v[28:29]
	flat_load_ushort v30, v[30:31]
	s_waitcnt vmcnt(0) lgkmcnt(0)
	v_mul_f16_e32 v30, s30, v30
	s_branch .LBB211_199
.LBB211_198:
	v_mov_b32_e32 v30, 0
.LBB211_199:
	v_pk_add_f16 v31, v8, v26
	v_pk_max_f16 v48, v87, v87
	s_nop 0
	v_pk_min_f16 v31, v48, v31
	v_pk_add_f16 v48, v9, v27
	s_nop 0
	v_pk_min_f16 v31, v31, v48
	s_nop 0
	v_lshrrev_b32_e32 v48, 16, v31
	v_min3_f16 v48, v30, v31, v48
	v_lshl_add_u64 v[30:31], v[40:41], 1, v[24:25]
	global_store_short v[30:31], v48, off
	s_or_b64 exec, exec, s[26:27]
	s_and_b64 s[34:35], s[12:13], s[18:19]
	s_and_saveexec_b64 s[26:27], s[34:35]
	s_cbranch_execz .LBB211_178
.LBB211_200:
	s_and_b64 vcc, exec, s[0:1]
	s_cbranch_vccnz .LBB211_202
; %bb.201:
	v_lshl_add_u64 v[30:31], v[42:43], 1, v[28:29]
	flat_load_ushort v30, v[30:31]
	s_waitcnt vmcnt(0) lgkmcnt(0)
	v_mul_f16_e32 v30, s30, v30
	s_branch .LBB211_203
.LBB211_202:
	v_mov_b32_e32 v30, 0
.LBB211_203:
	v_pk_add_f16 v31, v10, v26
	v_pk_max_f16 v48, v86, v86
	s_nop 0
	v_pk_min_f16 v31, v48, v31
	v_pk_add_f16 v48, v11, v27
	s_nop 0
	v_pk_min_f16 v31, v31, v48
	s_nop 0
	v_lshrrev_b32_e32 v48, 16, v31
	v_min3_f16 v48, v30, v31, v48
	v_lshl_add_u64 v[30:31], v[42:43], 1, v[24:25]
	global_store_short v[30:31], v48, off
	s_or_b64 exec, exec, s[26:27]
	s_and_b64 s[34:35], s[14:15], s[18:19]
	s_and_saveexec_b64 s[26:27], s[34:35]
	s_cbranch_execz .LBB211_179
.LBB211_204:
	s_and_b64 vcc, exec, s[0:1]
	s_cbranch_vccnz .LBB211_206
; %bb.205:
	v_lshl_add_u64 v[30:31], v[44:45], 1, v[28:29]
	flat_load_ushort v30, v[30:31]
	s_waitcnt vmcnt(0) lgkmcnt(0)
	v_mul_f16_e32 v30, s30, v30
	s_branch .LBB211_207
.LBB211_206:
	v_mov_b32_e32 v30, 0
.LBB211_207:
	v_pk_add_f16 v31, v0, v26
	v_pk_max_f16 v48, v85, v85
	s_nop 0
	v_pk_min_f16 v31, v48, v31
	v_pk_add_f16 v48, v1, v27
	s_nop 0
	v_pk_min_f16 v31, v31, v48
	s_nop 0
	v_lshrrev_b32_e32 v48, 16, v31
	v_min3_f16 v48, v30, v31, v48
	v_lshl_add_u64 v[30:31], v[44:45], 1, v[24:25]
	global_store_short v[30:31], v48, off
	s_or_b64 exec, exec, s[26:27]
	s_and_b64 s[26:27], s[16:17], s[18:19]
	s_and_saveexec_b64 s[18:19], s[26:27]
	s_cbranch_execz .LBB211_212
.LBB211_208:
	s_and_b64 vcc, exec, s[0:1]
	s_cbranch_vccnz .LBB211_210
; %bb.209:
	v_lshl_add_u64 v[28:29], v[46:47], 1, v[28:29]
	flat_load_ushort v28, v[28:29]
	s_waitcnt vmcnt(0) lgkmcnt(0)
	v_mul_f16_e32 v28, s30, v28
	s_branch .LBB211_211
.LBB211_210:
	v_mov_b32_e32 v28, 0
.LBB211_211:
	v_pk_add_f16 v26, v2, v26
	v_pk_max_f16 v29, v84, v84
	v_pk_add_f16 v27, v3, v27
	v_pk_min_f16 v26, v29, v26
	v_lshl_add_u64 v[24:25], v[46:47], 1, v[24:25]
	v_pk_min_f16 v26, v26, v27
	s_nop 0
	v_lshrrev_b32_e32 v27, 16, v26
	v_min3_f16 v26, v28, v26, v27
	global_store_short v[24:25], v26, off
.LBB211_212:
	s_or_b64 exec, exec, s[18:19]
	v_add_u32_e32 v28, 32, v98
	v_mad_i64_i32 v[24:25], s[26:27], v28, s29, 0
	v_cmp_gt_i32_e64 s[18:19], s21, v28
	v_lshl_add_u64 v[26:27], v[24:25], 1, s[24:25]
	v_mad_i64_i32 v[24:25], s[26:27], v28, s28, 0
	v_lshl_add_u64 v[24:25], v[24:25], 1, s[22:23]
	s_and_b64 s[34:35], s[2:3], s[18:19]
	s_and_saveexec_b64 s[26:27], s[34:35]
	s_cbranch_execnz .LBB211_220
; %bb.213:
	s_or_b64 exec, exec, s[26:27]
	s_and_b64 s[34:35], s[4:5], s[18:19]
	s_and_saveexec_b64 s[26:27], s[34:35]
	s_cbranch_execnz .LBB211_224
.LBB211_214:
	s_or_b64 exec, exec, s[26:27]
	s_and_b64 s[34:35], s[6:7], s[18:19]
	s_and_saveexec_b64 s[26:27], s[34:35]
	s_cbranch_execnz .LBB211_228
.LBB211_215:
	s_or_b64 exec, exec, s[26:27]
	s_and_b64 s[34:35], s[8:9], s[18:19]
	s_and_saveexec_b64 s[26:27], s[34:35]
	s_cbranch_execnz .LBB211_232
.LBB211_216:
	s_or_b64 exec, exec, s[26:27]
	s_and_b64 s[34:35], s[10:11], s[18:19]
	s_and_saveexec_b64 s[26:27], s[34:35]
	s_cbranch_execnz .LBB211_236
.LBB211_217:
	s_or_b64 exec, exec, s[26:27]
	s_and_b64 s[34:35], s[12:13], s[18:19]
	s_and_saveexec_b64 s[26:27], s[34:35]
	s_cbranch_execnz .LBB211_240
.LBB211_218:
	s_or_b64 exec, exec, s[26:27]
	s_and_b64 s[34:35], s[14:15], s[18:19]
	s_and_saveexec_b64 s[26:27], s[34:35]
	s_cbranch_execnz .LBB211_244
.LBB211_219:
	s_or_b64 exec, exec, s[26:27]
	s_and_b64 s[26:27], s[16:17], s[18:19]
	s_and_saveexec_b64 s[18:19], s[26:27]
	s_cbranch_execnz .LBB211_248
	s_branch .LBB211_252
.LBB211_220:
	s_and_b64 vcc, exec, s[0:1]
	s_cbranch_vccnz .LBB211_222
; %bb.221:
	v_lshl_add_u64 v[28:29], v[32:33], 1, v[26:27]
	flat_load_ushort v28, v[28:29]
	s_waitcnt vmcnt(0) lgkmcnt(0)
	v_mul_f16_e32 v28, s30, v28
	s_branch .LBB211_223
.LBB211_222:
	v_mov_b32_e32 v28, 0
.LBB211_223:
	v_pk_add_f16 v29, v16, v20
	v_pk_max_f16 v30, v83, v83
	s_nop 0
	v_pk_min_f16 v29, v30, v29
	v_pk_add_f16 v30, v17, v21
	s_nop 0
	v_pk_min_f16 v29, v29, v30
	s_nop 0
	v_lshrrev_b32_e32 v30, 16, v29
	v_min3_f16 v30, v28, v29, v30
	v_lshl_add_u64 v[28:29], v[32:33], 1, v[24:25]
	global_store_short v[28:29], v30, off
	s_or_b64 exec, exec, s[26:27]
	s_and_b64 s[34:35], s[4:5], s[18:19]
	s_and_saveexec_b64 s[26:27], s[34:35]
	s_cbranch_execz .LBB211_214
.LBB211_224:
	s_and_b64 vcc, exec, s[0:1]
	s_cbranch_vccnz .LBB211_226
; %bb.225:
	v_lshl_add_u64 v[28:29], v[34:35], 1, v[26:27]
	flat_load_ushort v28, v[28:29]
	s_waitcnt vmcnt(0) lgkmcnt(0)
	v_mul_f16_e32 v28, s30, v28
	s_branch .LBB211_227
.LBB211_226:
	v_mov_b32_e32 v28, 0
.LBB211_227:
	v_pk_add_f16 v29, v18, v20
	v_pk_max_f16 v30, v82, v82
	s_nop 0
	v_pk_min_f16 v29, v30, v29
	v_pk_add_f16 v30, v19, v21
	s_nop 0
	v_pk_min_f16 v29, v29, v30
	s_nop 0
	v_lshrrev_b32_e32 v30, 16, v29
	v_min3_f16 v30, v28, v29, v30
	v_lshl_add_u64 v[28:29], v[34:35], 1, v[24:25]
	global_store_short v[28:29], v30, off
	s_or_b64 exec, exec, s[26:27]
	s_and_b64 s[34:35], s[6:7], s[18:19]
	s_and_saveexec_b64 s[26:27], s[34:35]
	s_cbranch_execz .LBB211_215
.LBB211_228:
	s_and_b64 vcc, exec, s[0:1]
	s_cbranch_vccnz .LBB211_230
; %bb.229:
	v_lshl_add_u64 v[28:29], v[36:37], 1, v[26:27]
	flat_load_ushort v28, v[28:29]
	s_waitcnt vmcnt(0) lgkmcnt(0)
	v_mul_f16_e32 v28, s30, v28
	s_branch .LBB211_231
.LBB211_230:
	v_mov_b32_e32 v28, 0
.LBB211_231:
	v_pk_add_f16 v29, v12, v20
	v_pk_max_f16 v30, v81, v81
	s_nop 0
	v_pk_min_f16 v29, v30, v29
	v_pk_add_f16 v30, v13, v21
	s_nop 0
	v_pk_min_f16 v29, v29, v30
	s_nop 0
	v_lshrrev_b32_e32 v30, 16, v29
	v_min3_f16 v30, v28, v29, v30
	v_lshl_add_u64 v[28:29], v[36:37], 1, v[24:25]
	global_store_short v[28:29], v30, off
	s_or_b64 exec, exec, s[26:27]
	s_and_b64 s[34:35], s[8:9], s[18:19]
	s_and_saveexec_b64 s[26:27], s[34:35]
	s_cbranch_execz .LBB211_216
.LBB211_232:
	s_and_b64 vcc, exec, s[0:1]
	s_cbranch_vccnz .LBB211_234
; %bb.233:
	v_lshl_add_u64 v[28:29], v[38:39], 1, v[26:27]
	flat_load_ushort v28, v[28:29]
	s_waitcnt vmcnt(0) lgkmcnt(0)
	v_mul_f16_e32 v28, s30, v28
	s_branch .LBB211_235
.LBB211_234:
	v_mov_b32_e32 v28, 0
.LBB211_235:
	v_pk_add_f16 v29, v14, v20
	v_pk_max_f16 v30, v80, v80
	s_nop 0
	v_pk_min_f16 v29, v30, v29
	v_pk_add_f16 v30, v15, v21
	s_nop 0
	v_pk_min_f16 v29, v29, v30
	s_nop 0
	v_lshrrev_b32_e32 v30, 16, v29
	v_min3_f16 v30, v28, v29, v30
	v_lshl_add_u64 v[28:29], v[38:39], 1, v[24:25]
	global_store_short v[28:29], v30, off
	s_or_b64 exec, exec, s[26:27]
	s_and_b64 s[34:35], s[10:11], s[18:19]
	s_and_saveexec_b64 s[26:27], s[34:35]
	s_cbranch_execz .LBB211_217
.LBB211_236:
	s_and_b64 vcc, exec, s[0:1]
	s_cbranch_vccnz .LBB211_238
; %bb.237:
	v_lshl_add_u64 v[28:29], v[40:41], 1, v[26:27]
	flat_load_ushort v28, v[28:29]
	s_waitcnt vmcnt(0) lgkmcnt(0)
	v_mul_f16_e32 v28, s30, v28
	s_branch .LBB211_239
.LBB211_238:
	v_mov_b32_e32 v28, 0
.LBB211_239:
	v_pk_add_f16 v29, v8, v20
	v_pk_max_f16 v30, v79, v79
	s_nop 0
	v_pk_min_f16 v29, v30, v29
	v_pk_add_f16 v30, v9, v21
	s_nop 0
	v_pk_min_f16 v29, v29, v30
	s_nop 0
	v_lshrrev_b32_e32 v30, 16, v29
	v_min3_f16 v30, v28, v29, v30
	v_lshl_add_u64 v[28:29], v[40:41], 1, v[24:25]
	global_store_short v[28:29], v30, off
	s_or_b64 exec, exec, s[26:27]
	s_and_b64 s[34:35], s[12:13], s[18:19]
	s_and_saveexec_b64 s[26:27], s[34:35]
	s_cbranch_execz .LBB211_218
.LBB211_240:
	s_and_b64 vcc, exec, s[0:1]
	s_cbranch_vccnz .LBB211_242
; %bb.241:
	v_lshl_add_u64 v[28:29], v[42:43], 1, v[26:27]
	flat_load_ushort v28, v[28:29]
	s_waitcnt vmcnt(0) lgkmcnt(0)
	v_mul_f16_e32 v28, s30, v28
	s_branch .LBB211_243
.LBB211_242:
	v_mov_b32_e32 v28, 0
.LBB211_243:
	v_pk_add_f16 v29, v10, v20
	v_pk_max_f16 v30, v78, v78
	s_nop 0
	v_pk_min_f16 v29, v30, v29
	v_pk_add_f16 v30, v11, v21
	s_nop 0
	v_pk_min_f16 v29, v29, v30
	s_nop 0
	v_lshrrev_b32_e32 v30, 16, v29
	v_min3_f16 v30, v28, v29, v30
	v_lshl_add_u64 v[28:29], v[42:43], 1, v[24:25]
	global_store_short v[28:29], v30, off
	s_or_b64 exec, exec, s[26:27]
	s_and_b64 s[34:35], s[14:15], s[18:19]
	s_and_saveexec_b64 s[26:27], s[34:35]
	s_cbranch_execz .LBB211_219
.LBB211_244:
	s_and_b64 vcc, exec, s[0:1]
	s_cbranch_vccnz .LBB211_246
; %bb.245:
	v_lshl_add_u64 v[28:29], v[44:45], 1, v[26:27]
	flat_load_ushort v28, v[28:29]
	s_waitcnt vmcnt(0) lgkmcnt(0)
	v_mul_f16_e32 v28, s30, v28
	s_branch .LBB211_247
.LBB211_246:
	v_mov_b32_e32 v28, 0
.LBB211_247:
	v_pk_add_f16 v29, v0, v20
	v_pk_max_f16 v30, v77, v77
	s_nop 0
	v_pk_min_f16 v29, v30, v29
	v_pk_add_f16 v30, v1, v21
	s_nop 0
	v_pk_min_f16 v29, v29, v30
	s_nop 0
	v_lshrrev_b32_e32 v30, 16, v29
	v_min3_f16 v30, v28, v29, v30
	v_lshl_add_u64 v[28:29], v[44:45], 1, v[24:25]
	global_store_short v[28:29], v30, off
	s_or_b64 exec, exec, s[26:27]
	s_and_b64 s[26:27], s[16:17], s[18:19]
	s_and_saveexec_b64 s[18:19], s[26:27]
	s_cbranch_execz .LBB211_252
.LBB211_248:
	s_and_b64 vcc, exec, s[0:1]
	s_cbranch_vccnz .LBB211_250
; %bb.249:
	v_lshl_add_u64 v[26:27], v[46:47], 1, v[26:27]
	flat_load_ushort v26, v[26:27]
	s_waitcnt vmcnt(0) lgkmcnt(0)
	v_mul_f16_e32 v26, s30, v26
	s_branch .LBB211_251
.LBB211_250:
	v_mov_b32_e32 v26, 0
.LBB211_251:
	v_pk_add_f16 v20, v2, v20
	v_pk_max_f16 v27, v76, v76
	v_pk_add_f16 v21, v3, v21
	v_pk_min_f16 v20, v27, v20
	s_nop 0
	v_pk_min_f16 v20, v20, v21
	s_nop 0
	v_lshrrev_b32_e32 v21, 16, v20
	v_min3_f16 v26, v26, v20, v21
	v_lshl_add_u64 v[20:21], v[46:47], 1, v[24:25]
	global_store_short v[20:21], v26, off
.LBB211_252:
	s_or_b64 exec, exec, s[18:19]
	v_add_u32_e32 v26, 40, v98
	v_mad_i64_i32 v[20:21], s[26:27], v26, s29, 0
	v_cmp_gt_i32_e64 s[18:19], s21, v26
	v_lshl_add_u64 v[24:25], v[20:21], 1, s[24:25]
	v_mad_i64_i32 v[20:21], s[26:27], v26, s28, 0
	v_lshl_add_u64 v[20:21], v[20:21], 1, s[22:23]
	s_and_b64 s[34:35], s[2:3], s[18:19]
	s_and_saveexec_b64 s[26:27], s[34:35]
	s_cbranch_execnz .LBB211_260
; %bb.253:
	s_or_b64 exec, exec, s[26:27]
	s_and_b64 s[34:35], s[4:5], s[18:19]
	s_and_saveexec_b64 s[26:27], s[34:35]
	s_cbranch_execnz .LBB211_264
.LBB211_254:
	s_or_b64 exec, exec, s[26:27]
	s_and_b64 s[34:35], s[6:7], s[18:19]
	s_and_saveexec_b64 s[26:27], s[34:35]
	s_cbranch_execnz .LBB211_268
.LBB211_255:
	s_or_b64 exec, exec, s[26:27]
	s_and_b64 s[34:35], s[8:9], s[18:19]
	s_and_saveexec_b64 s[26:27], s[34:35]
	s_cbranch_execnz .LBB211_272
.LBB211_256:
	s_or_b64 exec, exec, s[26:27]
	s_and_b64 s[34:35], s[10:11], s[18:19]
	s_and_saveexec_b64 s[26:27], s[34:35]
	s_cbranch_execnz .LBB211_276
.LBB211_257:
	s_or_b64 exec, exec, s[26:27]
	s_and_b64 s[34:35], s[12:13], s[18:19]
	s_and_saveexec_b64 s[26:27], s[34:35]
	s_cbranch_execnz .LBB211_280
.LBB211_258:
	s_or_b64 exec, exec, s[26:27]
	s_and_b64 s[34:35], s[14:15], s[18:19]
	s_and_saveexec_b64 s[26:27], s[34:35]
	s_cbranch_execnz .LBB211_284
.LBB211_259:
	s_or_b64 exec, exec, s[26:27]
	s_and_b64 s[26:27], s[16:17], s[18:19]
	s_and_saveexec_b64 s[18:19], s[26:27]
	s_cbranch_execnz .LBB211_288
	s_branch .LBB211_292
.LBB211_260:
	s_and_b64 vcc, exec, s[0:1]
	s_cbranch_vccnz .LBB211_262
; %bb.261:
	v_lshl_add_u64 v[26:27], v[32:33], 1, v[24:25]
	flat_load_ushort v26, v[26:27]
	s_waitcnt vmcnt(0) lgkmcnt(0)
	v_mul_f16_e32 v26, s30, v26
	s_branch .LBB211_263
.LBB211_262:
	v_mov_b32_e32 v26, 0
.LBB211_263:
	v_pk_add_f16 v27, v16, v22
	v_pk_max_f16 v28, v75, v75
	s_nop 0
	v_pk_min_f16 v27, v28, v27
	v_pk_add_f16 v28, v17, v23
	s_nop 0
	v_pk_min_f16 v27, v27, v28
	s_nop 0
	v_lshrrev_b32_e32 v28, 16, v27
	v_min3_f16 v28, v26, v27, v28
	v_lshl_add_u64 v[26:27], v[32:33], 1, v[20:21]
	global_store_short v[26:27], v28, off
	s_or_b64 exec, exec, s[26:27]
	s_and_b64 s[34:35], s[4:5], s[18:19]
	s_and_saveexec_b64 s[26:27], s[34:35]
	s_cbranch_execz .LBB211_254
.LBB211_264:
	s_and_b64 vcc, exec, s[0:1]
	s_cbranch_vccnz .LBB211_266
; %bb.265:
	v_lshl_add_u64 v[26:27], v[34:35], 1, v[24:25]
	flat_load_ushort v26, v[26:27]
	s_waitcnt vmcnt(0) lgkmcnt(0)
	v_mul_f16_e32 v26, s30, v26
	s_branch .LBB211_267
.LBB211_266:
	v_mov_b32_e32 v26, 0
.LBB211_267:
	v_pk_add_f16 v27, v18, v22
	v_pk_max_f16 v28, v74, v74
	s_nop 0
	v_pk_min_f16 v27, v28, v27
	v_pk_add_f16 v28, v19, v23
	s_nop 0
	v_pk_min_f16 v27, v27, v28
	s_nop 0
	v_lshrrev_b32_e32 v28, 16, v27
	v_min3_f16 v28, v26, v27, v28
	v_lshl_add_u64 v[26:27], v[34:35], 1, v[20:21]
	global_store_short v[26:27], v28, off
	s_or_b64 exec, exec, s[26:27]
	s_and_b64 s[34:35], s[6:7], s[18:19]
	s_and_saveexec_b64 s[26:27], s[34:35]
	s_cbranch_execz .LBB211_255
.LBB211_268:
	s_and_b64 vcc, exec, s[0:1]
	s_cbranch_vccnz .LBB211_270
; %bb.269:
	v_lshl_add_u64 v[26:27], v[36:37], 1, v[24:25]
	flat_load_ushort v26, v[26:27]
	s_waitcnt vmcnt(0) lgkmcnt(0)
	v_mul_f16_e32 v26, s30, v26
	s_branch .LBB211_271
.LBB211_270:
	v_mov_b32_e32 v26, 0
.LBB211_271:
	v_pk_add_f16 v27, v12, v22
	v_pk_max_f16 v28, v73, v73
	s_nop 0
	v_pk_min_f16 v27, v28, v27
	v_pk_add_f16 v28, v13, v23
	s_nop 0
	v_pk_min_f16 v27, v27, v28
	s_nop 0
	v_lshrrev_b32_e32 v28, 16, v27
	v_min3_f16 v28, v26, v27, v28
	v_lshl_add_u64 v[26:27], v[36:37], 1, v[20:21]
	global_store_short v[26:27], v28, off
	s_or_b64 exec, exec, s[26:27]
	s_and_b64 s[34:35], s[8:9], s[18:19]
	s_and_saveexec_b64 s[26:27], s[34:35]
	s_cbranch_execz .LBB211_256
.LBB211_272:
	s_and_b64 vcc, exec, s[0:1]
	s_cbranch_vccnz .LBB211_274
; %bb.273:
	v_lshl_add_u64 v[26:27], v[38:39], 1, v[24:25]
	flat_load_ushort v26, v[26:27]
	s_waitcnt vmcnt(0) lgkmcnt(0)
	v_mul_f16_e32 v26, s30, v26
	s_branch .LBB211_275
.LBB211_274:
	v_mov_b32_e32 v26, 0
.LBB211_275:
	v_pk_add_f16 v27, v14, v22
	v_pk_max_f16 v28, v72, v72
	s_nop 0
	v_pk_min_f16 v27, v28, v27
	v_pk_add_f16 v28, v15, v23
	s_nop 0
	v_pk_min_f16 v27, v27, v28
	s_nop 0
	v_lshrrev_b32_e32 v28, 16, v27
	v_min3_f16 v28, v26, v27, v28
	v_lshl_add_u64 v[26:27], v[38:39], 1, v[20:21]
	global_store_short v[26:27], v28, off
	s_or_b64 exec, exec, s[26:27]
	s_and_b64 s[34:35], s[10:11], s[18:19]
	s_and_saveexec_b64 s[26:27], s[34:35]
	s_cbranch_execz .LBB211_257
.LBB211_276:
	s_and_b64 vcc, exec, s[0:1]
	s_cbranch_vccnz .LBB211_278
; %bb.277:
	v_lshl_add_u64 v[26:27], v[40:41], 1, v[24:25]
	flat_load_ushort v26, v[26:27]
	s_waitcnt vmcnt(0) lgkmcnt(0)
	v_mul_f16_e32 v26, s30, v26
	s_branch .LBB211_279
.LBB211_278:
	v_mov_b32_e32 v26, 0
.LBB211_279:
	v_pk_add_f16 v27, v8, v22
	v_pk_max_f16 v28, v71, v71
	s_nop 0
	v_pk_min_f16 v27, v28, v27
	v_pk_add_f16 v28, v9, v23
	s_nop 0
	v_pk_min_f16 v27, v27, v28
	s_nop 0
	v_lshrrev_b32_e32 v28, 16, v27
	v_min3_f16 v28, v26, v27, v28
	v_lshl_add_u64 v[26:27], v[40:41], 1, v[20:21]
	global_store_short v[26:27], v28, off
	s_or_b64 exec, exec, s[26:27]
	s_and_b64 s[34:35], s[12:13], s[18:19]
	s_and_saveexec_b64 s[26:27], s[34:35]
	s_cbranch_execz .LBB211_258
.LBB211_280:
	s_and_b64 vcc, exec, s[0:1]
	s_cbranch_vccnz .LBB211_282
; %bb.281:
	v_lshl_add_u64 v[26:27], v[42:43], 1, v[24:25]
	flat_load_ushort v26, v[26:27]
	s_waitcnt vmcnt(0) lgkmcnt(0)
	v_mul_f16_e32 v26, s30, v26
	s_branch .LBB211_283
.LBB211_282:
	v_mov_b32_e32 v26, 0
.LBB211_283:
	v_pk_add_f16 v27, v10, v22
	v_pk_max_f16 v28, v70, v70
	s_nop 0
	v_pk_min_f16 v27, v28, v27
	v_pk_add_f16 v28, v11, v23
	s_nop 0
	v_pk_min_f16 v27, v27, v28
	s_nop 0
	v_lshrrev_b32_e32 v28, 16, v27
	v_min3_f16 v28, v26, v27, v28
	v_lshl_add_u64 v[26:27], v[42:43], 1, v[20:21]
	global_store_short v[26:27], v28, off
	s_or_b64 exec, exec, s[26:27]
	s_and_b64 s[34:35], s[14:15], s[18:19]
	s_and_saveexec_b64 s[26:27], s[34:35]
	s_cbranch_execz .LBB211_259
.LBB211_284:
	s_and_b64 vcc, exec, s[0:1]
	s_cbranch_vccnz .LBB211_286
; %bb.285:
	v_lshl_add_u64 v[26:27], v[44:45], 1, v[24:25]
	flat_load_ushort v26, v[26:27]
	s_waitcnt vmcnt(0) lgkmcnt(0)
	v_mul_f16_e32 v26, s30, v26
	s_branch .LBB211_287
.LBB211_286:
	v_mov_b32_e32 v26, 0
.LBB211_287:
	v_pk_add_f16 v27, v0, v22
	v_pk_max_f16 v28, v69, v69
	s_nop 0
	v_pk_min_f16 v27, v28, v27
	v_pk_add_f16 v28, v1, v23
	s_nop 0
	v_pk_min_f16 v27, v27, v28
	s_nop 0
	v_lshrrev_b32_e32 v28, 16, v27
	v_min3_f16 v28, v26, v27, v28
	v_lshl_add_u64 v[26:27], v[44:45], 1, v[20:21]
	global_store_short v[26:27], v28, off
	s_or_b64 exec, exec, s[26:27]
	s_and_b64 s[26:27], s[16:17], s[18:19]
	s_and_saveexec_b64 s[18:19], s[26:27]
	s_cbranch_execz .LBB211_292
.LBB211_288:
	s_and_b64 vcc, exec, s[0:1]
	s_cbranch_vccnz .LBB211_290
; %bb.289:
	v_lshl_add_u64 v[24:25], v[46:47], 1, v[24:25]
	flat_load_ushort v24, v[24:25]
	s_waitcnt vmcnt(0) lgkmcnt(0)
	v_mul_f16_e32 v24, s30, v24
	s_branch .LBB211_291
.LBB211_290:
	v_mov_b32_e32 v24, 0
.LBB211_291:
	v_pk_add_f16 v22, v2, v22
	v_pk_max_f16 v25, v68, v68
	v_pk_add_f16 v23, v3, v23
	v_pk_min_f16 v22, v25, v22
	v_lshl_add_u64 v[20:21], v[46:47], 1, v[20:21]
	v_pk_min_f16 v22, v22, v23
	s_nop 0
	v_lshrrev_b32_e32 v23, 16, v22
	v_min3_f16 v22, v24, v22, v23
	global_store_short v[20:21], v22, off
.LBB211_292:
	s_or_b64 exec, exec, s[18:19]
	v_add_u32_e32 v24, 48, v98
	v_mad_i64_i32 v[20:21], s[26:27], v24, s29, 0
	v_cmp_gt_i32_e64 s[18:19], s21, v24
	v_lshl_add_u64 v[22:23], v[20:21], 1, s[24:25]
	v_mad_i64_i32 v[20:21], s[26:27], v24, s28, 0
	v_lshl_add_u64 v[20:21], v[20:21], 1, s[22:23]
	s_and_b64 s[34:35], s[2:3], s[18:19]
	s_and_saveexec_b64 s[26:27], s[34:35]
	s_cbranch_execnz .LBB211_300
; %bb.293:
	s_or_b64 exec, exec, s[26:27]
	s_and_b64 s[34:35], s[4:5], s[18:19]
	s_and_saveexec_b64 s[26:27], s[34:35]
	s_cbranch_execnz .LBB211_304
.LBB211_294:
	s_or_b64 exec, exec, s[26:27]
	s_and_b64 s[34:35], s[6:7], s[18:19]
	s_and_saveexec_b64 s[26:27], s[34:35]
	s_cbranch_execnz .LBB211_308
.LBB211_295:
	s_or_b64 exec, exec, s[26:27]
	s_and_b64 s[34:35], s[8:9], s[18:19]
	s_and_saveexec_b64 s[26:27], s[34:35]
	s_cbranch_execnz .LBB211_312
.LBB211_296:
	s_or_b64 exec, exec, s[26:27]
	s_and_b64 s[34:35], s[10:11], s[18:19]
	s_and_saveexec_b64 s[26:27], s[34:35]
	s_cbranch_execnz .LBB211_316
.LBB211_297:
	s_or_b64 exec, exec, s[26:27]
	s_and_b64 s[34:35], s[12:13], s[18:19]
	s_and_saveexec_b64 s[26:27], s[34:35]
	s_cbranch_execnz .LBB211_320
.LBB211_298:
	s_or_b64 exec, exec, s[26:27]
	s_and_b64 s[34:35], s[14:15], s[18:19]
	s_and_saveexec_b64 s[26:27], s[34:35]
	s_cbranch_execnz .LBB211_324
.LBB211_299:
	s_or_b64 exec, exec, s[26:27]
	s_and_b64 s[26:27], s[16:17], s[18:19]
	s_and_saveexec_b64 s[18:19], s[26:27]
	s_cbranch_execnz .LBB211_328
	s_branch .LBB211_332
.LBB211_300:
	s_and_b64 vcc, exec, s[0:1]
	s_cbranch_vccnz .LBB211_302
; %bb.301:
	v_lshl_add_u64 v[24:25], v[32:33], 1, v[22:23]
	flat_load_ushort v24, v[24:25]
	s_waitcnt vmcnt(0) lgkmcnt(0)
	v_mul_f16_e32 v24, s30, v24
	s_branch .LBB211_303
.LBB211_302:
	v_mov_b32_e32 v24, 0
.LBB211_303:
	v_pk_add_f16 v25, v16, v4
	v_pk_max_f16 v26, v67, v67
	s_nop 0
	v_pk_min_f16 v25, v26, v25
	v_pk_add_f16 v26, v17, v5
	s_nop 0
	v_pk_min_f16 v25, v25, v26
	s_nop 0
	v_lshrrev_b32_e32 v26, 16, v25
	v_min3_f16 v26, v24, v25, v26
	v_lshl_add_u64 v[24:25], v[32:33], 1, v[20:21]
	global_store_short v[24:25], v26, off
	s_or_b64 exec, exec, s[26:27]
	s_and_b64 s[34:35], s[4:5], s[18:19]
	s_and_saveexec_b64 s[26:27], s[34:35]
	s_cbranch_execz .LBB211_294
.LBB211_304:
	s_and_b64 vcc, exec, s[0:1]
	s_cbranch_vccnz .LBB211_306
; %bb.305:
	v_lshl_add_u64 v[24:25], v[34:35], 1, v[22:23]
	flat_load_ushort v24, v[24:25]
	s_waitcnt vmcnt(0) lgkmcnt(0)
	v_mul_f16_e32 v24, s30, v24
	s_branch .LBB211_307
.LBB211_306:
	v_mov_b32_e32 v24, 0
.LBB211_307:
	v_pk_add_f16 v25, v18, v4
	v_pk_max_f16 v26, v66, v66
	s_nop 0
	v_pk_min_f16 v25, v26, v25
	v_pk_add_f16 v26, v19, v5
	s_nop 0
	v_pk_min_f16 v25, v25, v26
	s_nop 0
	v_lshrrev_b32_e32 v26, 16, v25
	v_min3_f16 v26, v24, v25, v26
	v_lshl_add_u64 v[24:25], v[34:35], 1, v[20:21]
	global_store_short v[24:25], v26, off
	s_or_b64 exec, exec, s[26:27]
	s_and_b64 s[34:35], s[6:7], s[18:19]
	s_and_saveexec_b64 s[26:27], s[34:35]
	s_cbranch_execz .LBB211_295
.LBB211_308:
	s_and_b64 vcc, exec, s[0:1]
	s_cbranch_vccnz .LBB211_310
; %bb.309:
	v_lshl_add_u64 v[24:25], v[36:37], 1, v[22:23]
	flat_load_ushort v24, v[24:25]
	s_waitcnt vmcnt(0) lgkmcnt(0)
	v_mul_f16_e32 v24, s30, v24
	s_branch .LBB211_311
.LBB211_310:
	v_mov_b32_e32 v24, 0
.LBB211_311:
	v_pk_add_f16 v25, v12, v4
	v_pk_max_f16 v26, v65, v65
	s_nop 0
	v_pk_min_f16 v25, v26, v25
	v_pk_add_f16 v26, v13, v5
	s_nop 0
	v_pk_min_f16 v25, v25, v26
	s_nop 0
	v_lshrrev_b32_e32 v26, 16, v25
	v_min3_f16 v26, v24, v25, v26
	v_lshl_add_u64 v[24:25], v[36:37], 1, v[20:21]
	global_store_short v[24:25], v26, off
	s_or_b64 exec, exec, s[26:27]
	s_and_b64 s[34:35], s[8:9], s[18:19]
	s_and_saveexec_b64 s[26:27], s[34:35]
	s_cbranch_execz .LBB211_296
.LBB211_312:
	s_and_b64 vcc, exec, s[0:1]
	s_cbranch_vccnz .LBB211_314
; %bb.313:
	v_lshl_add_u64 v[24:25], v[38:39], 1, v[22:23]
	flat_load_ushort v24, v[24:25]
	s_waitcnt vmcnt(0) lgkmcnt(0)
	v_mul_f16_e32 v24, s30, v24
	s_branch .LBB211_315
.LBB211_314:
	v_mov_b32_e32 v24, 0
.LBB211_315:
	v_pk_add_f16 v25, v14, v4
	v_pk_max_f16 v26, v64, v64
	s_nop 0
	v_pk_min_f16 v25, v26, v25
	v_pk_add_f16 v26, v15, v5
	s_nop 0
	v_pk_min_f16 v25, v25, v26
	s_nop 0
	v_lshrrev_b32_e32 v26, 16, v25
	v_min3_f16 v26, v24, v25, v26
	v_lshl_add_u64 v[24:25], v[38:39], 1, v[20:21]
	global_store_short v[24:25], v26, off
	s_or_b64 exec, exec, s[26:27]
	s_and_b64 s[34:35], s[10:11], s[18:19]
	s_and_saveexec_b64 s[26:27], s[34:35]
	s_cbranch_execz .LBB211_297
.LBB211_316:
	s_and_b64 vcc, exec, s[0:1]
	s_cbranch_vccnz .LBB211_318
; %bb.317:
	v_lshl_add_u64 v[24:25], v[40:41], 1, v[22:23]
	flat_load_ushort v24, v[24:25]
	s_waitcnt vmcnt(0) lgkmcnt(0)
	v_mul_f16_e32 v24, s30, v24
	s_branch .LBB211_319
.LBB211_318:
	v_mov_b32_e32 v24, 0
.LBB211_319:
	v_pk_add_f16 v25, v8, v4
	v_pk_max_f16 v26, v63, v63
	s_nop 0
	v_pk_min_f16 v25, v26, v25
	v_pk_add_f16 v26, v9, v5
	s_nop 0
	v_pk_min_f16 v25, v25, v26
	s_nop 0
	v_lshrrev_b32_e32 v26, 16, v25
	v_min3_f16 v26, v24, v25, v26
	v_lshl_add_u64 v[24:25], v[40:41], 1, v[20:21]
	global_store_short v[24:25], v26, off
	s_or_b64 exec, exec, s[26:27]
	s_and_b64 s[34:35], s[12:13], s[18:19]
	s_and_saveexec_b64 s[26:27], s[34:35]
	s_cbranch_execz .LBB211_298
.LBB211_320:
	s_and_b64 vcc, exec, s[0:1]
	s_cbranch_vccnz .LBB211_322
; %bb.321:
	v_lshl_add_u64 v[24:25], v[42:43], 1, v[22:23]
	flat_load_ushort v24, v[24:25]
	s_waitcnt vmcnt(0) lgkmcnt(0)
	v_mul_f16_e32 v24, s30, v24
	s_branch .LBB211_323
.LBB211_322:
	v_mov_b32_e32 v24, 0
.LBB211_323:
	v_pk_add_f16 v25, v10, v4
	v_pk_max_f16 v26, v62, v62
	s_nop 0
	v_pk_min_f16 v25, v26, v25
	v_pk_add_f16 v26, v11, v5
	s_nop 0
	v_pk_min_f16 v25, v25, v26
	s_nop 0
	v_lshrrev_b32_e32 v26, 16, v25
	v_min3_f16 v26, v24, v25, v26
	v_lshl_add_u64 v[24:25], v[42:43], 1, v[20:21]
	global_store_short v[24:25], v26, off
	s_or_b64 exec, exec, s[26:27]
	s_and_b64 s[34:35], s[14:15], s[18:19]
	s_and_saveexec_b64 s[26:27], s[34:35]
	s_cbranch_execz .LBB211_299
.LBB211_324:
	s_and_b64 vcc, exec, s[0:1]
	s_cbranch_vccnz .LBB211_326
; %bb.325:
	v_lshl_add_u64 v[24:25], v[44:45], 1, v[22:23]
	flat_load_ushort v24, v[24:25]
	s_waitcnt vmcnt(0) lgkmcnt(0)
	v_mul_f16_e32 v24, s30, v24
	s_branch .LBB211_327
.LBB211_326:
	v_mov_b32_e32 v24, 0
.LBB211_327:
	v_pk_add_f16 v25, v0, v4
	v_pk_max_f16 v26, v60, v60
	s_nop 0
	v_pk_min_f16 v25, v26, v25
	v_pk_add_f16 v26, v1, v5
	s_nop 0
	v_pk_min_f16 v25, v25, v26
	s_nop 0
	v_lshrrev_b32_e32 v26, 16, v25
	v_min3_f16 v26, v24, v25, v26
	v_lshl_add_u64 v[24:25], v[44:45], 1, v[20:21]
	global_store_short v[24:25], v26, off
	s_or_b64 exec, exec, s[26:27]
	s_and_b64 s[26:27], s[16:17], s[18:19]
	s_and_saveexec_b64 s[18:19], s[26:27]
	s_cbranch_execz .LBB211_332
.LBB211_328:
	s_and_b64 vcc, exec, s[0:1]
	s_cbranch_vccnz .LBB211_330
; %bb.329:
	v_lshl_add_u64 v[22:23], v[46:47], 1, v[22:23]
	flat_load_ushort v22, v[22:23]
	s_waitcnt vmcnt(0) lgkmcnt(0)
	v_mul_f16_e32 v22, s30, v22
	s_branch .LBB211_331
.LBB211_330:
	v_mov_b32_e32 v22, 0
.LBB211_331:
	v_pk_add_f16 v4, v2, v4
	v_pk_max_f16 v23, v59, v59
	v_pk_add_f16 v5, v3, v5
	v_pk_min_f16 v4, v23, v4
	s_nop 0
	v_pk_min_f16 v4, v4, v5
	s_nop 0
	v_lshrrev_b32_e32 v5, 16, v4
	v_min3_f16 v22, v22, v4, v5
	v_lshl_add_u64 v[4:5], v[46:47], 1, v[20:21]
	global_store_short v[4:5], v22, off
.LBB211_332:
	s_or_b64 exec, exec, s[18:19]
	v_add_u32_e32 v22, 56, v98
	v_cmp_gt_i32_e64 s[18:19], s21, v22
	v_mad_i64_i32 v[4:5], s[20:21], v22, s29, 0
	v_lshl_add_u64 v[20:21], v[4:5], 1, s[24:25]
	v_mad_i64_i32 v[4:5], s[20:21], v22, s28, 0
	v_lshl_add_u64 v[4:5], v[4:5], 1, s[22:23]
	s_and_b64 s[20:21], s[2:3], s[18:19]
	s_and_saveexec_b64 s[2:3], s[20:21]
	s_cbranch_execnz .LBB211_341
; %bb.333:
	s_or_b64 exec, exec, s[2:3]
	s_and_b64 s[4:5], s[4:5], s[18:19]
	s_and_saveexec_b64 s[2:3], s[4:5]
	s_cbranch_execnz .LBB211_345
.LBB211_334:
	s_or_b64 exec, exec, s[2:3]
	s_and_b64 s[4:5], s[6:7], s[18:19]
	s_and_saveexec_b64 s[2:3], s[4:5]
	s_cbranch_execnz .LBB211_349
.LBB211_335:
	s_or_b64 exec, exec, s[2:3]
	s_and_b64 s[4:5], s[8:9], s[18:19]
	s_and_saveexec_b64 s[2:3], s[4:5]
	s_cbranch_execnz .LBB211_353
.LBB211_336:
	s_or_b64 exec, exec, s[2:3]
	s_and_b64 s[4:5], s[10:11], s[18:19]
	s_and_saveexec_b64 s[2:3], s[4:5]
	s_cbranch_execnz .LBB211_357
.LBB211_337:
	s_or_b64 exec, exec, s[2:3]
	s_and_b64 s[4:5], s[12:13], s[18:19]
	s_and_saveexec_b64 s[2:3], s[4:5]
	s_cbranch_execnz .LBB211_361
.LBB211_338:
	s_or_b64 exec, exec, s[2:3]
	s_and_b64 s[4:5], s[14:15], s[18:19]
	s_and_saveexec_b64 s[2:3], s[4:5]
	s_cbranch_execnz .LBB211_365
.LBB211_339:
	s_or_b64 exec, exec, s[2:3]
	s_and_b64 s[2:3], s[16:17], s[18:19]
	s_and_saveexec_b64 s[4:5], s[2:3]
	s_cbranch_execnz .LBB211_369
.LBB211_340:
	s_endpgm
.LBB211_341:
	s_and_b64 vcc, exec, s[0:1]
	s_cbranch_vccnz .LBB211_343
; %bb.342:
	v_lshl_add_u64 v[22:23], v[32:33], 1, v[20:21]
	flat_load_ushort v22, v[22:23]
	s_waitcnt vmcnt(0) lgkmcnt(0)
	v_mul_f16_e32 v22, s30, v22
	s_branch .LBB211_344
.LBB211_343:
	v_mov_b32_e32 v22, 0
.LBB211_344:
	v_pk_add_f16 v16, v16, v6
	v_pk_max_f16 v23, v58, v58
	v_pk_add_f16 v17, v17, v7
	v_pk_min_f16 v16, v23, v16
	s_nop 0
	v_pk_min_f16 v16, v16, v17
	s_nop 0
	v_lshrrev_b32_e32 v17, 16, v16
	v_min3_f16 v22, v22, v16, v17
	v_lshl_add_u64 v[16:17], v[32:33], 1, v[4:5]
	global_store_short v[16:17], v22, off
	s_or_b64 exec, exec, s[2:3]
	s_and_b64 s[4:5], s[4:5], s[18:19]
	s_and_saveexec_b64 s[2:3], s[4:5]
	s_cbranch_execz .LBB211_334
.LBB211_345:
	s_and_b64 vcc, exec, s[0:1]
	s_cbranch_vccnz .LBB211_347
; %bb.346:
	v_lshl_add_u64 v[16:17], v[34:35], 1, v[20:21]
	flat_load_ushort v16, v[16:17]
	s_waitcnt vmcnt(0) lgkmcnt(0)
	v_mul_f16_e32 v16, s30, v16
	s_branch .LBB211_348
.LBB211_347:
	v_mov_b32_e32 v16, 0
.LBB211_348:
	v_pk_add_f16 v17, v18, v6
	v_pk_max_f16 v18, v57, v57
	s_nop 0
	v_pk_min_f16 v17, v18, v17
	v_pk_add_f16 v18, v19, v7
	s_nop 0
	v_pk_min_f16 v17, v17, v18
	s_nop 0
	v_lshrrev_b32_e32 v18, 16, v17
	v_min3_f16 v18, v16, v17, v18
	v_lshl_add_u64 v[16:17], v[34:35], 1, v[4:5]
	global_store_short v[16:17], v18, off
	s_or_b64 exec, exec, s[2:3]
	s_and_b64 s[4:5], s[6:7], s[18:19]
	s_and_saveexec_b64 s[2:3], s[4:5]
	s_cbranch_execz .LBB211_335
.LBB211_349:
	s_and_b64 vcc, exec, s[0:1]
	s_cbranch_vccnz .LBB211_351
; %bb.350:
	v_lshl_add_u64 v[16:17], v[36:37], 1, v[20:21]
	flat_load_ushort v16, v[16:17]
	s_waitcnt vmcnt(0) lgkmcnt(0)
	v_mul_f16_e32 v16, s30, v16
	s_branch .LBB211_352
.LBB211_351:
	v_mov_b32_e32 v16, 0
.LBB211_352:
	v_pk_add_f16 v12, v12, v6
	v_pk_max_f16 v17, v56, v56
	v_pk_add_f16 v13, v13, v7
	v_pk_min_f16 v12, v17, v12
	s_nop 0
	v_pk_min_f16 v12, v12, v13
	s_nop 0
	v_lshrrev_b32_e32 v13, 16, v12
	v_min3_f16 v16, v16, v12, v13
	v_lshl_add_u64 v[12:13], v[36:37], 1, v[4:5]
	global_store_short v[12:13], v16, off
	s_or_b64 exec, exec, s[2:3]
	s_and_b64 s[4:5], s[8:9], s[18:19]
	s_and_saveexec_b64 s[2:3], s[4:5]
	s_cbranch_execz .LBB211_336
.LBB211_353:
	s_and_b64 vcc, exec, s[0:1]
	s_cbranch_vccnz .LBB211_355
; %bb.354:
	v_lshl_add_u64 v[12:13], v[38:39], 1, v[20:21]
	flat_load_ushort v12, v[12:13]
	s_waitcnt vmcnt(0) lgkmcnt(0)
	v_mul_f16_e32 v12, s30, v12
	s_branch .LBB211_356
.LBB211_355:
	v_mov_b32_e32 v12, 0
.LBB211_356:
	v_pk_add_f16 v13, v14, v6
	v_pk_max_f16 v14, v55, v55
	s_nop 0
	v_pk_min_f16 v13, v14, v13
	v_pk_add_f16 v14, v15, v7
	s_nop 0
	v_pk_min_f16 v13, v13, v14
	s_nop 0
	v_lshrrev_b32_e32 v14, 16, v13
	v_min3_f16 v14, v12, v13, v14
	v_lshl_add_u64 v[12:13], v[38:39], 1, v[4:5]
	global_store_short v[12:13], v14, off
	s_or_b64 exec, exec, s[2:3]
	s_and_b64 s[4:5], s[10:11], s[18:19]
	s_and_saveexec_b64 s[2:3], s[4:5]
	s_cbranch_execz .LBB211_337
.LBB211_357:
	s_and_b64 vcc, exec, s[0:1]
	s_cbranch_vccnz .LBB211_359
; %bb.358:
	v_lshl_add_u64 v[12:13], v[40:41], 1, v[20:21]
	flat_load_ushort v12, v[12:13]
	s_waitcnt vmcnt(0) lgkmcnt(0)
	v_mul_f16_e32 v12, s30, v12
	s_branch .LBB211_360
.LBB211_359:
	v_mov_b32_e32 v12, 0
.LBB211_360:
	v_pk_add_f16 v8, v8, v6
	v_pk_max_f16 v13, v54, v54
	v_pk_add_f16 v9, v9, v7
	v_pk_min_f16 v8, v13, v8
	s_nop 0
	v_pk_min_f16 v8, v8, v9
	s_nop 0
	v_lshrrev_b32_e32 v9, 16, v8
	v_min3_f16 v12, v12, v8, v9
	v_lshl_add_u64 v[8:9], v[40:41], 1, v[4:5]
	global_store_short v[8:9], v12, off
	s_or_b64 exec, exec, s[2:3]
	s_and_b64 s[4:5], s[12:13], s[18:19]
	s_and_saveexec_b64 s[2:3], s[4:5]
	s_cbranch_execz .LBB211_338
.LBB211_361:
	s_and_b64 vcc, exec, s[0:1]
	s_cbranch_vccnz .LBB211_363
; %bb.362:
	v_lshl_add_u64 v[8:9], v[42:43], 1, v[20:21]
	flat_load_ushort v8, v[8:9]
	s_waitcnt vmcnt(0) lgkmcnt(0)
	v_mul_f16_e32 v8, s30, v8
	s_branch .LBB211_364
.LBB211_363:
	v_mov_b32_e32 v8, 0
.LBB211_364:
	v_pk_add_f16 v9, v10, v6
	v_pk_max_f16 v10, v53, v53
	s_nop 0
	v_pk_min_f16 v9, v10, v9
	v_pk_add_f16 v10, v11, v7
	s_nop 0
	v_pk_min_f16 v9, v9, v10
	s_nop 0
	v_lshrrev_b32_e32 v10, 16, v9
	v_min3_f16 v10, v8, v9, v10
	v_lshl_add_u64 v[8:9], v[42:43], 1, v[4:5]
	global_store_short v[8:9], v10, off
	s_or_b64 exec, exec, s[2:3]
	s_and_b64 s[4:5], s[14:15], s[18:19]
	s_and_saveexec_b64 s[2:3], s[4:5]
	s_cbranch_execz .LBB211_339
.LBB211_365:
	s_and_b64 vcc, exec, s[0:1]
	s_cbranch_vccnz .LBB211_367
; %bb.366:
	v_lshl_add_u64 v[8:9], v[44:45], 1, v[20:21]
	flat_load_ushort v8, v[8:9]
	s_waitcnt vmcnt(0) lgkmcnt(0)
	v_mul_f16_e32 v8, s30, v8
	s_branch .LBB211_368
.LBB211_367:
	v_mov_b32_e32 v8, 0
.LBB211_368:
	v_pk_add_f16 v0, v0, v6
	v_pk_max_f16 v9, v52, v52
	v_pk_add_f16 v1, v1, v7
	v_pk_min_f16 v0, v9, v0
	s_nop 0
	v_pk_min_f16 v0, v0, v1
	s_nop 0
	v_lshrrev_b32_e32 v1, 16, v0
	v_min3_f16 v8, v8, v0, v1
	v_lshl_add_u64 v[0:1], v[44:45], 1, v[4:5]
	global_store_short v[0:1], v8, off
	s_or_b64 exec, exec, s[2:3]
	s_and_b64 s[2:3], s[16:17], s[18:19]
	s_and_saveexec_b64 s[4:5], s[2:3]
	s_cbranch_execz .LBB211_340
.LBB211_369:
	s_and_b64 vcc, exec, s[0:1]
	s_cbranch_vccnz .LBB211_371
; %bb.370:
	v_lshl_add_u64 v[0:1], v[46:47], 1, v[20:21]
	flat_load_ushort v0, v[0:1]
	s_waitcnt vmcnt(0) lgkmcnt(0)
	v_mul_f16_e32 v0, s30, v0
	s_branch .LBB211_372
.LBB211_371:
	v_mov_b32_e32 v0, 0
.LBB211_372:
	v_pk_add_f16 v1, v2, v6
	v_pk_max_f16 v2, v61, v61
	s_nop 0
	v_pk_min_f16 v1, v2, v1
	v_pk_add_f16 v2, v3, v7
	s_nop 0
	v_pk_min_f16 v1, v1, v2
	s_nop 0
	v_lshrrev_b32_e32 v2, 16, v1
	v_min3_f16 v2, v0, v1, v2
	v_lshl_add_u64 v[0:1], v[46:47], 1, v[4:5]
	global_store_short v[0:1], v2, off
	s_endpgm
	.section	.rodata,"a",@progbits
	.p2align	6, 0x0
	.amdhsa_kernel _ZN12_GLOBAL__N_120geam_min_plus_kernelIDF16_Dv2_DF16_S1_Li32ELi8ELi256ELi64ELi4ELi64ELi4ELi4ELi64ELc78ELc78ELb1ELb1ELb1EDF16_KPKDF16_KPDF16_EEviiiT16_PT17_ilS9_ilS7_S9_ilPT18_ili26rocblas_geam_ex_operation_
		.amdhsa_group_segment_fixed_size 5120
		.amdhsa_private_segment_fixed_size 0
		.amdhsa_kernarg_size 128
		.amdhsa_user_sgpr_count 2
		.amdhsa_user_sgpr_dispatch_ptr 0
		.amdhsa_user_sgpr_queue_ptr 0
		.amdhsa_user_sgpr_kernarg_segment_ptr 1
		.amdhsa_user_sgpr_dispatch_id 0
		.amdhsa_user_sgpr_kernarg_preload_length 0
		.amdhsa_user_sgpr_kernarg_preload_offset 0
		.amdhsa_user_sgpr_private_segment_size 0
		.amdhsa_uses_dynamic_stack 0
		.amdhsa_enable_private_segment 0
		.amdhsa_system_sgpr_workgroup_id_x 1
		.amdhsa_system_sgpr_workgroup_id_y 0
		.amdhsa_system_sgpr_workgroup_id_z 1
		.amdhsa_system_sgpr_workgroup_info 0
		.amdhsa_system_vgpr_workitem_id 1
		.amdhsa_next_free_vgpr 166
		.amdhsa_next_free_sgpr 36
		.amdhsa_accum_offset 168
		.amdhsa_reserve_vcc 1
		.amdhsa_float_round_mode_32 0
		.amdhsa_float_round_mode_16_64 0
		.amdhsa_float_denorm_mode_32 3
		.amdhsa_float_denorm_mode_16_64 3
		.amdhsa_dx10_clamp 1
		.amdhsa_ieee_mode 1
		.amdhsa_fp16_overflow 0
		.amdhsa_tg_split 0
		.amdhsa_exception_fp_ieee_invalid_op 0
		.amdhsa_exception_fp_denorm_src 0
		.amdhsa_exception_fp_ieee_div_zero 0
		.amdhsa_exception_fp_ieee_overflow 0
		.amdhsa_exception_fp_ieee_underflow 0
		.amdhsa_exception_fp_ieee_inexact 0
		.amdhsa_exception_int_div_zero 0
	.end_amdhsa_kernel
	.section	.text._ZN12_GLOBAL__N_120geam_min_plus_kernelIDF16_Dv2_DF16_S1_Li32ELi8ELi256ELi64ELi4ELi64ELi4ELi4ELi64ELc78ELc78ELb1ELb1ELb1EDF16_KPKDF16_KPDF16_EEviiiT16_PT17_ilS9_ilS7_S9_ilPT18_ili26rocblas_geam_ex_operation_,"axG",@progbits,_ZN12_GLOBAL__N_120geam_min_plus_kernelIDF16_Dv2_DF16_S1_Li32ELi8ELi256ELi64ELi4ELi64ELi4ELi4ELi64ELc78ELc78ELb1ELb1ELb1EDF16_KPKDF16_KPDF16_EEviiiT16_PT17_ilS9_ilS7_S9_ilPT18_ili26rocblas_geam_ex_operation_,comdat
.Lfunc_end211:
	.size	_ZN12_GLOBAL__N_120geam_min_plus_kernelIDF16_Dv2_DF16_S1_Li32ELi8ELi256ELi64ELi4ELi64ELi4ELi4ELi64ELc78ELc78ELb1ELb1ELb1EDF16_KPKDF16_KPDF16_EEviiiT16_PT17_ilS9_ilS7_S9_ilPT18_ili26rocblas_geam_ex_operation_, .Lfunc_end211-_ZN12_GLOBAL__N_120geam_min_plus_kernelIDF16_Dv2_DF16_S1_Li32ELi8ELi256ELi64ELi4ELi64ELi4ELi4ELi64ELc78ELc78ELb1ELb1ELb1EDF16_KPKDF16_KPDF16_EEviiiT16_PT17_ilS9_ilS7_S9_ilPT18_ili26rocblas_geam_ex_operation_
                                        ; -- End function
	.section	.AMDGPU.csdata,"",@progbits
; Kernel info:
; codeLenInByte = 19648
; NumSgprs: 42
; NumVgprs: 166
; NumAgprs: 0
; TotalNumVgprs: 166
; ScratchSize: 0
; MemoryBound: 0
; FloatMode: 240
; IeeeMode: 1
; LDSByteSize: 5120 bytes/workgroup (compile time only)
; SGPRBlocks: 5
; VGPRBlocks: 20
; NumSGPRsForWavesPerEU: 42
; NumVGPRsForWavesPerEU: 166
; AccumOffset: 168
; Occupancy: 3
; WaveLimiterHint : 1
; COMPUTE_PGM_RSRC2:SCRATCH_EN: 0
; COMPUTE_PGM_RSRC2:USER_SGPR: 2
; COMPUTE_PGM_RSRC2:TRAP_HANDLER: 0
; COMPUTE_PGM_RSRC2:TGID_X_EN: 1
; COMPUTE_PGM_RSRC2:TGID_Y_EN: 0
; COMPUTE_PGM_RSRC2:TGID_Z_EN: 1
; COMPUTE_PGM_RSRC2:TIDIG_COMP_CNT: 1
; COMPUTE_PGM_RSRC3_GFX90A:ACCUM_OFFSET: 41
; COMPUTE_PGM_RSRC3_GFX90A:TG_SPLIT: 0
	.section	.text._ZN12_GLOBAL__N_120geam_min_plus_kernelIDF16_Dv2_DF16_S1_Li32ELi8ELi256ELi64ELi4ELi64ELi4ELi4ELi64ELc78ELc78ELb0ELb1ELb1EDF16_KPKDF16_KPDF16_EEviiiT16_PT17_ilS9_ilS7_S9_ilPT18_ili26rocblas_geam_ex_operation_,"axG",@progbits,_ZN12_GLOBAL__N_120geam_min_plus_kernelIDF16_Dv2_DF16_S1_Li32ELi8ELi256ELi64ELi4ELi64ELi4ELi4ELi64ELc78ELc78ELb0ELb1ELb1EDF16_KPKDF16_KPDF16_EEviiiT16_PT17_ilS9_ilS7_S9_ilPT18_ili26rocblas_geam_ex_operation_,comdat
	.globl	_ZN12_GLOBAL__N_120geam_min_plus_kernelIDF16_Dv2_DF16_S1_Li32ELi8ELi256ELi64ELi4ELi64ELi4ELi4ELi64ELc78ELc78ELb0ELb1ELb1EDF16_KPKDF16_KPDF16_EEviiiT16_PT17_ilS9_ilS7_S9_ilPT18_ili26rocblas_geam_ex_operation_ ; -- Begin function _ZN12_GLOBAL__N_120geam_min_plus_kernelIDF16_Dv2_DF16_S1_Li32ELi8ELi256ELi64ELi4ELi64ELi4ELi4ELi64ELc78ELc78ELb0ELb1ELb1EDF16_KPKDF16_KPDF16_EEviiiT16_PT17_ilS9_ilS7_S9_ilPT18_ili26rocblas_geam_ex_operation_
	.p2align	8
	.type	_ZN12_GLOBAL__N_120geam_min_plus_kernelIDF16_Dv2_DF16_S1_Li32ELi8ELi256ELi64ELi4ELi64ELi4ELi4ELi64ELc78ELc78ELb0ELb1ELb1EDF16_KPKDF16_KPDF16_EEviiiT16_PT17_ilS9_ilS7_S9_ilPT18_ili26rocblas_geam_ex_operation_,@function
_ZN12_GLOBAL__N_120geam_min_plus_kernelIDF16_Dv2_DF16_S1_Li32ELi8ELi256ELi64ELi4ELi64ELi4ELi4ELi64ELc78ELc78ELb0ELb1ELb1EDF16_KPKDF16_KPDF16_EEviiiT16_PT17_ilS9_ilS7_S9_ilPT18_ili26rocblas_geam_ex_operation_: ; @_ZN12_GLOBAL__N_120geam_min_plus_kernelIDF16_Dv2_DF16_S1_Li32ELi8ELi256ELi64ELi4ELi64ELi4ELi4ELi64ELc78ELc78ELb0ELb1ELb1EDF16_KPKDF16_KPDF16_EEviiiT16_PT17_ilS9_ilS7_S9_ilPT18_ili26rocblas_geam_ex_operation_
; %bb.0:
	s_load_dwordx4 s[20:23], s[0:1], 0x0
	s_load_dwordx4 s[4:7], s[0:1], 0x20
	s_mov_b32 s8, s3
	s_mov_b32 s9, 0
	s_waitcnt lgkmcnt(0)
	v_cmp_eq_f16_e64 s[10:11], s23, 0
	s_and_b64 vcc, exec, s[10:11]
	s_cbranch_vccnz .LBB212_3
; %bb.1:
	s_load_dwordx2 s[12:13], s[0:1], 0x10
	s_lshl_b64 s[14:15], s[8:9], 3
	s_waitcnt lgkmcnt(0)
	s_add_u32 s12, s12, s14
	s_addc_u32 s13, s13, s15
	s_load_dwordx2 s[12:13], s[12:13], 0x0
	s_lshl_b64 s[4:5], s[4:5], 1
	s_waitcnt lgkmcnt(0)
	s_add_u32 s18, s12, s4
	s_addc_u32 s19, s13, s5
	s_andn2_b64 vcc, exec, s[10:11]
	s_cbranch_vccnz .LBB212_4
.LBB212_2:
	s_mov_b64 s[28:29], 0
	s_cbranch_execz .LBB212_5
	s_branch .LBB212_6
.LBB212_3:
	s_mov_b64 s[18:19], 0
	s_andn2_b64 vcc, exec, s[10:11]
	s_cbranch_vccz .LBB212_2
.LBB212_4:
                                        ; implicit-def: $sgpr28_sgpr29
.LBB212_5:
	s_lshl_b64 s[10:11], s[8:9], 3
	s_add_u32 s6, s6, s10
	s_load_dwordx2 s[4:5], s[0:1], 0x38
	s_addc_u32 s7, s7, s11
	s_load_dwordx2 s[6:7], s[6:7], 0x0
	s_waitcnt lgkmcnt(0)
	s_lshl_b64 s[4:5], s[4:5], 1
	s_add_u32 s28, s6, s4
	s_addc_u32 s29, s7, s5
.LBB212_6:
	s_load_dword s30, s[0:1], 0x40
	s_load_dwordx4 s[4:7], s[0:1], 0x58
	s_waitcnt lgkmcnt(0)
	v_cmp_eq_f16_e64 s[10:11], s30, 0
	v_cmp_neq_f16_e64 s[14:15], s30, 0
	s_and_b64 vcc, exec, s[10:11]
	s_cbranch_vccnz .LBB212_8
; %bb.7:
	s_load_dwordx2 s[10:11], s[0:1], 0x48
	s_lshl_b64 s[12:13], s[8:9], 3
	s_waitcnt lgkmcnt(0)
	s_add_u32 s10, s10, s12
	s_addc_u32 s11, s11, s13
	s_load_dwordx2 s[10:11], s[10:11], 0x0
	s_lshl_b64 s[4:5], s[4:5], 1
	s_waitcnt lgkmcnt(0)
	s_add_u32 s24, s10, s4
	s_addc_u32 s25, s11, s5
	s_branch .LBB212_9
.LBB212_8:
	s_mov_b64 s[24:25], 0
.LBB212_9:
	s_lshl_b64 s[4:5], s[8:9], 3
	s_add_u32 s4, s6, s4
	s_addc_u32 s5, s7, s5
	s_add_i32 s10, s20, -1
	s_ashr_i32 s3, s10, 31
	s_lshr_b32 s3, s3, 24
	s_add_i32 s3, s10, s3
	s_ashr_i32 s3, s3, 8
	s_add_i32 s6, s3, 1
	v_cvt_f32_u32_e32 v1, s6
	v_and_b32_e32 v44, 0x3ff, v0
	v_bfe_u32 v45, v0, 10, 10
	s_load_dwordx2 s[16:17], s[4:5], 0x0
	v_rcp_iflag_f32_e32 v1, v1
	s_not_b32 s3, s3
	s_load_dword s34, s[0:1], 0x18
	v_lshl_add_u32 v7, v45, 5, v44
	v_mul_f32_e32 v0, 0x4f7ffffe, v1
	v_cvt_u32_f32_e32 v0, v0
	v_and_b32_e32 v2, 63, v7
	v_lshrrev_b32_e32 v46, 6, v7
	v_cmp_le_i32_e64 s[8:9], s22, v46
	v_readfirstlane_b32 s4, v0
	s_mul_i32 s3, s3, s4
	s_mul_hi_u32 s3, s4, s3
	s_add_i32 s4, s4, s3
	s_mul_hi_u32 s3, s2, s4
	s_mul_i32 s4, s3, s6
	s_sub_i32 s4, s2, s4
	s_add_i32 s5, s3, 1
	s_sub_i32 s7, s4, s6
	s_cmp_ge_u32 s4, s6
	s_cselect_b32 s3, s5, s3
	s_cselect_b32 s4, s7, s4
	s_add_i32 s5, s3, 1
	s_cmp_ge_u32 s4, s6
	s_cselect_b32 s11, s5, s3
	s_mul_i32 s3, s11, s6
	s_sub_i32 s2, s2, s3
	s_lshl_b32 s31, s2, 8
	s_add_i32 s35, s22, -1
	v_or_b32_e32 v32, s31, v2
	v_min_i32_e32 v0, s35, v46
	s_waitcnt lgkmcnt(0)
	v_mad_i64_i32 v[0:1], s[2:3], s34, v0, 0
	v_cmp_le_i32_e32 vcc, s20, v32
	v_cmp_eq_f16_e64 s[26:27], s23, 0
	v_mov_b32_e32 v4, 0x7c00
	s_or_b64 s[2:3], vcc, s[8:9]
	v_cndmask_b32_e64 v3, 0, v4, s[2:3]
	s_or_b64 s[2:3], s[26:27], s[2:3]
	v_lshl_add_u64 v[0:1], v[0:1], 1, s[18:19]
	s_xor_b64 s[4:5], s[2:3], -1
	v_ashrrev_i32_e32 v33, 31, v32
	s_and_saveexec_b64 s[2:3], s[4:5]
	s_cbranch_execz .LBB212_11
; %bb.10:
	v_lshl_add_u64 v[8:9], v[32:33], 1, v[0:1]
	flat_load_ushort v3, v[8:9]
	s_waitcnt vmcnt(0) lgkmcnt(0)
	v_mul_f16_e32 v3, s23, v3
.LBB212_11:
	s_or_b64 exec, exec, s[2:3]
	v_or_b32_e32 v5, 64, v32
	v_cmp_le_i32_e64 s[2:3], s20, v5
	s_or_b64 s[4:5], s[2:3], s[8:9]
	v_min_i32_e32 v34, s10, v5
	v_cndmask_b32_e64 v4, 0, v4, s[4:5]
	s_or_b64 s[4:5], s[26:27], s[4:5]
	s_xor_b64 s[6:7], s[4:5], -1
	v_ashrrev_i32_e32 v35, 31, v34
	s_and_saveexec_b64 s[4:5], s[6:7]
	s_cbranch_execz .LBB212_13
; %bb.12:
	v_lshl_add_u64 v[4:5], v[34:35], 1, v[0:1]
	flat_load_ushort v4, v[4:5]
	s_waitcnt vmcnt(0) lgkmcnt(0)
	v_mul_f16_e32 v4, s23, v4
.LBB212_13:
	s_or_b64 exec, exec, s[4:5]
	v_or_b32_e32 v5, 0x80, v32
	v_cmp_le_i32_e64 s[4:5], s20, v5
	v_mov_b32_e32 v6, 0x7c00
	s_or_b64 s[6:7], s[4:5], s[8:9]
	v_min_i32_e32 v36, s10, v5
	v_cndmask_b32_e64 v5, 0, v6, s[6:7]
	s_or_b64 s[6:7], s[26:27], s[6:7]
	s_xor_b64 s[12:13], s[6:7], -1
	v_ashrrev_i32_e32 v37, 31, v36
	s_and_saveexec_b64 s[6:7], s[12:13]
	s_cbranch_execz .LBB212_15
; %bb.14:
	v_lshl_add_u64 v[8:9], v[36:37], 1, v[0:1]
	flat_load_ushort v5, v[8:9]
	s_waitcnt vmcnt(0) lgkmcnt(0)
	v_mul_f16_e32 v5, s23, v5
.LBB212_15:
	s_or_b64 exec, exec, s[6:7]
	v_or_b32_e32 v8, 0xc0, v32
	v_cmp_le_i32_e64 s[6:7], s20, v8
	s_or_b64 s[8:9], s[6:7], s[8:9]
	v_min_i32_e32 v38, s10, v8
	v_cndmask_b32_e64 v6, 0, v6, s[8:9]
	s_or_b64 s[8:9], s[26:27], s[8:9]
	s_xor_b64 s[12:13], s[8:9], -1
	v_ashrrev_i32_e32 v39, 31, v38
	s_and_saveexec_b64 s[8:9], s[12:13]
	s_cbranch_execz .LBB212_17
; %bb.16:
	v_lshl_add_u64 v[0:1], v[38:39], 1, v[0:1]
	flat_load_ushort v0, v[0:1]
	s_waitcnt vmcnt(0) lgkmcnt(0)
	v_mul_f16_e32 v6, s23, v0
.LBB212_17:
	s_or_b64 exec, exec, s[8:9]
	v_lshrrev_b32_e32 v7, 2, v7
	s_lshl_b32 s33, s11, 6
	s_load_dword s36, s[0:1], 0x30
	v_and_b32_e32 v49, 3, v44
	v_add_u32_e32 v41, s33, v7
	v_cmp_le_i32_e64 s[10:11], s22, v49
	v_cmp_le_i32_e64 s[8:9], s21, v41
	v_mov_b32_e32 v9, 0x7c00
	s_or_b64 s[10:11], s[10:11], s[8:9]
	v_cndmask_b32_e64 v8, 0, v9, s[10:11]
	s_or_b64 s[10:11], s[26:27], s[10:11]
	s_xor_b64 s[12:13], s[10:11], -1
	s_and_saveexec_b64 s[10:11], s[12:13]
	s_cbranch_execz .LBB212_19
; %bb.18:
	v_min_u32_e32 v8, s35, v49
	s_waitcnt lgkmcnt(0)
	v_mad_i64_i32 v[0:1], s[12:13], v41, s36, 0
	v_lshl_add_u64 v[0:1], v[0:1], 1, s[28:29]
	v_lshlrev_b32_e32 v10, 1, v8
	v_mov_b32_e32 v11, 0
	v_lshl_add_u64 v[0:1], v[0:1], 0, v[10:11]
	flat_load_ushort v0, v[0:1]
	s_waitcnt vmcnt(0) lgkmcnt(0)
	v_mul_f16_e32 v8, s23, v0
.LBB212_19:
	s_or_b64 exec, exec, s[10:11]
	v_add_u32_e32 v0, 4, v46
	v_cmp_le_i32_e64 s[10:11], s22, v0
	v_min_i32_e32 v0, s35, v0
	v_mad_i64_i32 v[0:1], s[12:13], s34, v0, 0
	s_or_b64 s[12:13], vcc, s[10:11]
	s_nop 0
	v_cndmask_b32_e64 v42, 0, v9, s[12:13]
	s_or_b64 s[12:13], s[26:27], s[12:13]
	v_lshl_add_u64 v[0:1], v[0:1], 1, s[18:19]
	s_xor_b64 s[38:39], s[12:13], -1
	s_and_saveexec_b64 s[12:13], s[38:39]
	s_cbranch_execz .LBB212_21
; %bb.20:
	v_lshl_add_u64 v[10:11], v[32:33], 1, v[0:1]
	flat_load_ushort v9, v[10:11]
	s_waitcnt vmcnt(0) lgkmcnt(0)
	v_mul_f16_e32 v42, s23, v9
.LBB212_21:
	s_or_b64 exec, exec, s[12:13]
	v_mov_b32_e32 v9, 0x7c00
	s_or_b64 s[12:13], s[2:3], s[10:11]
	v_cndmask_b32_e64 v43, 0, v9, s[12:13]
	s_or_b64 s[12:13], s[26:27], s[12:13]
	s_xor_b64 s[38:39], s[12:13], -1
	s_and_saveexec_b64 s[12:13], s[38:39]
	s_cbranch_execz .LBB212_23
; %bb.22:
	v_lshl_add_u64 v[10:11], v[34:35], 1, v[0:1]
	flat_load_ushort v10, v[10:11]
	s_waitcnt vmcnt(0) lgkmcnt(0)
	v_mul_f16_e32 v43, s23, v10
.LBB212_23:
	s_or_b64 exec, exec, s[12:13]
	s_or_b64 s[12:13], s[4:5], s[10:11]
	v_cndmask_b32_e64 v99, 0, v9, s[12:13]
	s_or_b64 s[12:13], s[26:27], s[12:13]
	s_xor_b64 s[38:39], s[12:13], -1
	s_and_saveexec_b64 s[12:13], s[38:39]
	s_cbranch_execz .LBB212_25
; %bb.24:
	v_lshl_add_u64 v[10:11], v[36:37], 1, v[0:1]
	flat_load_ushort v9, v[10:11]
	s_waitcnt vmcnt(0) lgkmcnt(0)
	v_mul_f16_e32 v99, s23, v9
.LBB212_25:
	s_or_b64 exec, exec, s[12:13]
	v_mov_b32_e32 v9, 0x7c00
	s_or_b64 s[10:11], s[6:7], s[10:11]
	v_cndmask_b32_e64 v117, 0, v9, s[10:11]
	s_or_b64 s[10:11], s[26:27], s[10:11]
	s_xor_b64 s[12:13], s[10:11], -1
	s_and_saveexec_b64 s[10:11], s[12:13]
	s_cbranch_execz .LBB212_27
; %bb.26:
	v_lshl_add_u64 v[0:1], v[38:39], 1, v[0:1]
	flat_load_ushort v0, v[0:1]
	s_waitcnt vmcnt(0) lgkmcnt(0)
	v_mul_f16_e32 v117, s23, v0
.LBB212_27:
	s_or_b64 exec, exec, s[10:11]
	v_or_b32_e32 v0, 4, v49
	v_cmp_le_i32_e64 s[10:11], s22, v0
	s_or_b64 s[10:11], s[10:11], s[8:9]
	s_movk_i32 s12, 0x7c00
	v_cndmask_b32_e64 v118, 0, v9, s[10:11]
	s_or_b64 s[10:11], s[26:27], s[10:11]
	s_xor_b64 s[38:39], s[10:11], -1
	s_and_saveexec_b64 s[10:11], s[38:39]
	s_cbranch_execz .LBB212_29
; %bb.28:
	v_min_u32_e32 v9, s35, v0
	s_waitcnt lgkmcnt(0)
	v_mad_i64_i32 v[0:1], s[38:39], v41, s36, 0
	v_lshl_add_u64 v[0:1], v[0:1], 1, s[28:29]
	v_lshlrev_b32_e32 v10, 1, v9
	v_mov_b32_e32 v11, 0
	v_lshl_add_u64 v[0:1], v[0:1], 0, v[10:11]
	flat_load_ushort v0, v[0:1]
	s_waitcnt vmcnt(0) lgkmcnt(0)
	v_mul_f16_e32 v118, s23, v0
.LBB212_29:
	s_or_b64 exec, exec, s[10:11]
	v_lshlrev_b32_e32 v0, 1, v46
	v_lshlrev_b32_e32 v40, 1, v49
	;; [unrolled: 1-line block ×3, first 2 shown]
	v_lshl_add_u32 v50, v2, 3, v0
	v_lshl_or_b32 v119, v7, 3, v40
	v_lshlrev_b32_e32 v47, 3, v44
	v_add_u32_e32 v51, 0x1000, v48
	ds_write_b16 v50, v3
	ds_write_b16 v50, v4 offset:512
	ds_write_b16 v50, v5 offset:1024
	;; [unrolled: 1-line block ×4, first 2 shown]
	s_waitcnt lgkmcnt(0)
	s_barrier
	ds_read2_b64 v[16:19], v47 offset1:32
	ds_read2_b64 v[12:15], v47 offset0:64 offset1:96
	ds_read2_b64 v[4:7], v47 offset0:128 offset1:160
	ds_read2_b64 v[28:31], v51 offset1:8
	ds_read2_b64 v[0:3], v47 offset0:192 offset1:224
	ds_read2_b64 v[24:27], v51 offset0:16 offset1:24
	;; [unrolled: 1-line block ×4, first 2 shown]
	s_cmp_lt_i32 s22, 9
	s_waitcnt lgkmcnt(4)
	v_pk_add_f16 v52, v16, v28
	v_pk_add_f16 v59, v16, v30
	s_waitcnt lgkmcnt(1)
	v_pk_add_f16 v82, v12, v20
	v_pk_add_f16 v66, v16, v24
	v_pk_min_f16 v120, v82, s12 op_sel_hi:[1,0]
	v_pk_add_f16 v82, v14, v20
	v_pk_add_f16 v73, v16, v26
	v_pk_min_f16 v121, v82, s12 op_sel_hi:[1,0]
	;; [unrolled: 3-line block ×12, first 2 shown]
	s_waitcnt lgkmcnt(0)
	v_pk_add_f16 v82, v16, v8
	v_pk_add_f16 v68, v12, v24
	v_pk_min_f16 v132, v82, s12 op_sel_hi:[1,0]
	v_pk_add_f16 v82, v18, v8
	v_pk_add_f16 v70, v4, v24
	v_pk_min_f16 v133, v82, s12 op_sel_hi:[1,0]
	;; [unrolled: 3-line block ×6, first 2 shown]
	v_pk_add_f16 v82, v0, v8
	v_pk_add_f16 v8, v2, v8
	;; [unrolled: 1-line block ×3, first 2 shown]
	v_pk_min_f16 v139, v8, s12 op_sel_hi:[1,0]
	v_pk_add_f16 v8, v16, v10
	v_pk_add_f16 v62, v14, v30
	v_pk_min_f16 v16, v8, s12 op_sel_hi:[1,0]
	v_pk_add_f16 v8, v18, v10
	v_pk_add_f16 v65, v0, v30
	;; [unrolled: 3-line block ×4, first 2 shown]
	v_pk_add_f16 v76, v14, v26
	v_pk_add_f16 v79, v0, v26
	v_pk_min_f16 v14, v8, s12 op_sel_hi:[1,0]
	v_pk_min_f16 v8, v4, s12 op_sel_hi:[1,0]
	v_pk_add_f16 v4, v6, v10
	v_pk_add_f16 v0, v0, v10
	v_pk_min_f16 v52, v52, s12 op_sel_hi:[1,0]
	v_pk_add_f16 v57, v6, v28
	v_pk_add_f16 v28, v2, v28
	;; [unrolled: 1-line block ×10, first 2 shown]
	v_pk_min_f16 v6, v4, s12 op_sel_hi:[1,0]
	v_pk_min_f16 v4, v0, s12 op_sel_hi:[1,0]
	v_pk_add_f16 v0, v2, v10
	v_pk_add_f16 v2, v17, v29
	v_pk_min_f16 v53, v53, s12 op_sel_hi:[1,0]
	v_pk_min_f16 v116, v52, v2
	v_pk_add_f16 v2, v19, v29
	v_pk_min_f16 v54, v54, s12 op_sel_hi:[1,0]
	v_pk_min_f16 v115, v53, v2
	;; [unrolled: 3-line block ×37, first 2 shown]
	v_pk_add_f16 v2, v7, v21
	ds_write_b16 v50, v42 offset:2048
	ds_write_b16 v50, v43 offset:2560
	;; [unrolled: 1-line block ×5, first 2 shown]
	v_pk_min_f16 v78, v123, v2
	v_pk_add_f16 v2, v1, v21
	s_waitcnt lgkmcnt(0)
	v_pk_min_f16 v77, v124, v2
	v_pk_add_f16 v2, v3, v21
	s_barrier
	v_pk_min_f16 v76, v20, v2
	v_pk_add_f16 v2, v17, v23
	s_nop 0
	v_pk_min_f16 v75, v125, v2
	v_pk_add_f16 v2, v19, v23
	s_nop 0
	;; [unrolled: 3-line block ×14, first 2 shown]
	v_pk_min_f16 v62, v137, v2
	v_pk_add_f16 v2, v1, v9
	v_pk_add_f16 v1, v1, v11
	v_pk_min_f16 v60, v138, v2
	v_pk_add_f16 v2, v3, v9
	v_pk_min_f16 v52, v4, v1
	v_pk_min_f16 v59, v139, v2
	v_pk_add_f16 v2, v17, v11
	v_pk_add_f16 v1, v3, v11
	v_pk_min_f16 v58, v16, v2
	v_pk_add_f16 v2, v19, v11
	v_pk_min_f16 v61, v0, v1
	v_pk_min_f16 v57, v18, v2
	v_pk_add_f16 v2, v13, v11
	s_nop 0
	v_pk_min_f16 v56, v12, v2
	v_pk_add_f16 v2, v15, v11
	s_nop 0
	;; [unrolled: 3-line block ×4, first 2 shown]
	v_pk_min_f16 v53, v6, v2
	s_cbranch_scc1 .LBB212_52
; %bb.30:
	v_mov_b32_e32 v0, 0x800
	v_add_u32_e32 v99, 0x1000, v119
	v_add_u32_e32 v118, 0x1200, v119
	v_lshl_add_u32 v119, v44, 3, v0
	v_mov_b32_e32 v0, 0x1200
	v_lshl_add_u32 v120, v45, 3, v0
	v_mad_i64_i32 v[0:1], s[10:11], s36, v41, 0
	v_mov_b32_e32 v41, 0
	v_lshl_add_u64 v[0:1], v[0:1], 1, v[40:41]
	v_lshl_add_u64 v[0:1], v[0:1], 0, s[28:29]
	v_add_u32_e32 v117, 0x800, v50
	s_add_i32 s37, s22, -8
	v_lshl_add_u64 v[40:41], v[0:1], 0, 24
	s_mov_b32 s28, 0
	v_mov_b32_e32 v121, 0x7c00
	s_branch .LBB212_32
.LBB212_31:                             ;   in Loop: Header=BB212_32 Depth=1
	s_or_b64 exec, exec, s[10:11]
	ds_read2_b64 v[8:11], v47 offset1:32
	ds_read2_b64 v[4:7], v47 offset0:64 offset1:96
	ds_read2_b64 v[0:3], v47 offset0:128 offset1:160
	ds_read2_b64 v[126:129], v51 offset1:8
	ds_read2_b64 v[12:15], v47 offset0:192 offset1:224
	ds_read2_b64 v[24:27], v51 offset0:16 offset1:24
	ds_read2_b64 v[20:23], v51 offset0:32 offset1:40
	ds_read2_b64 v[16:19], v51 offset0:48 offset1:56
	s_waitcnt lgkmcnt(4)
	v_pk_add_f16 v112, v8, v126
	v_pk_max_f16 v111, v111, v111
	v_pk_max_f16 v110, v110, v110
	v_pk_min_f16 v111, v111, v112
	v_pk_add_f16 v112, v10, v126
	v_pk_max_f16 v109, v109, v109
	v_pk_min_f16 v110, v110, v112
	v_pk_add_f16 v112, v4, v126
	v_pk_max_f16 v108, v108, v108
	v_pk_min_f16 v109, v109, v112
	v_pk_add_f16 v112, v6, v126
	v_pk_max_f16 v107, v107, v107
	v_pk_min_f16 v108, v108, v112
	v_pk_add_f16 v112, v0, v126
	v_pk_max_f16 v106, v106, v106
	v_pk_min_f16 v107, v107, v112
	v_pk_add_f16 v112, v2, v126
	v_pk_max_f16 v105, v105, v105
	v_pk_min_f16 v106, v106, v112
	s_waitcnt lgkmcnt(3)
	v_pk_add_f16 v112, v12, v126
	v_pk_max_f16 v104, v104, v104
	v_pk_min_f16 v105, v105, v112
	v_pk_add_f16 v112, v14, v126
	v_pk_max_f16 v103, v103, v103
	v_pk_min_f16 v104, v104, v112
	;; [unrolled: 3-line block ×10, first 2 shown]
	s_waitcnt lgkmcnt(2)
	v_pk_add_f16 v112, v8, v24
	v_pk_max_f16 v93, v93, v93
	v_pk_min_f16 v94, v94, v112
	v_pk_add_f16 v112, v10, v24
	v_pk_max_f16 v92, v92, v92
	v_pk_min_f16 v93, v93, v112
	;; [unrolled: 3-line block ×6, first 2 shown]
	v_pk_add_f16 v112, v12, v24
	v_pk_add_f16 v24, v14, v24
	v_pk_max_f16 v86, v86, v86
	v_pk_min_f16 v24, v87, v24
	v_pk_add_f16 v87, v8, v26
	v_pk_max_f16 v85, v85, v85
	v_pk_min_f16 v86, v86, v87
	;; [unrolled: 3-line block ×7, first 2 shown]
	v_pk_add_f16 v87, v12, v26
	v_pk_add_f16 v26, v14, v26
	v_pk_max_f16 v78, v78, v78
	v_pk_min_f16 v26, v79, v26
	s_waitcnt lgkmcnt(1)
	v_pk_add_f16 v79, v8, v20
	v_pk_max_f16 v77, v77, v77
	v_pk_min_f16 v78, v78, v79
	v_pk_add_f16 v79, v10, v20
	v_pk_max_f16 v76, v76, v76
	v_pk_min_f16 v77, v77, v79
	;; [unrolled: 3-line block ×6, first 2 shown]
	v_pk_add_f16 v79, v12, v20
	v_pk_add_f16 v20, v14, v20
	v_pk_max_f16 v70, v70, v70
	v_pk_min_f16 v20, v71, v20
	v_pk_add_f16 v71, v8, v22
	v_pk_max_f16 v69, v69, v69
	v_pk_min_f16 v70, v70, v71
	;; [unrolled: 3-line block ×7, first 2 shown]
	v_pk_add_f16 v71, v12, v22
	v_pk_add_f16 v22, v14, v22
	v_pk_max_f16 v62, v62, v62
	v_pk_min_f16 v22, v63, v22
	s_waitcnt lgkmcnt(0)
	v_pk_add_f16 v63, v8, v16
	v_pk_max_f16 v61, v61, v61
	v_pk_min_f16 v62, v62, v63
	v_pk_add_f16 v63, v10, v16
	v_pk_max_f16 v60, v60, v60
	v_pk_min_f16 v61, v61, v63
	;; [unrolled: 3-line block ×5, first 2 shown]
	v_pk_add_f16 v63, v2, v16
	v_pk_add_f16 v8, v8, v18
	v_pk_min_f16 v57, v57, v63
	v_pk_add_f16 v63, v12, v16
	v_pk_add_f16 v16, v14, v16
	;; [unrolled: 1-line block ×9, first 2 shown]
	v_pk_max_f16 v18, v29, v29
	v_pk_max_f16 v88, v88, v88
	v_pk_min_f16 v14, v18, v14
	v_pk_add_f16 v18, v9, v127
	v_pk_min_f16 v88, v88, v112
	v_pk_min_f16 v116, v111, v18
	v_pk_add_f16 v18, v11, v127
	v_pk_max_f16 v80, v80, v80
	v_pk_min_f16 v115, v110, v18
	v_pk_add_f16 v18, v5, v127
	v_pk_min_f16 v80, v80, v87
	v_pk_min_f16 v114, v109, v18
	v_pk_add_f16 v18, v7, v127
	;; [unrolled: 6-line block ×4, first 2 shown]
	v_pk_max_f16 v42, v42, v42
	v_pk_min_f16 v109, v104, v18
	v_pk_add_f16 v18, v9, v129
	v_pk_max_f16 v56, v56, v56
	v_pk_min_f16 v108, v103, v18
	v_pk_add_f16 v18, v11, v129
	;; [unrolled: 3-line block ×3, first 2 shown]
	v_pk_min_f16 v0, v42, v0
	v_pk_min_f16 v106, v101, v18
	v_pk_add_f16 v18, v7, v129
	v_pk_max_f16 v31, v31, v31
	v_pk_min_f16 v105, v100, v18
	v_pk_add_f16 v18, v1, v129
	v_pk_min_f16 v56, v56, v63
	v_pk_min_f16 v104, v98, v18
	v_pk_add_f16 v18, v3, v129
	v_pk_min_f16 v8, v54, v8
	v_pk_min_f16 v103, v97, v18
	v_pk_add_f16 v18, v13, v129
	v_pk_max_f16 v53, v53, v53
	v_pk_min_f16 v102, v96, v18
	v_pk_add_f16 v18, v15, v129
	v_pk_max_f16 v52, v52, v52
	v_pk_min_f16 v101, v95, v18
	v_pk_add_f16 v18, v9, v25
	v_pk_min_f16 v2, v31, v2
	v_pk_min_f16 v100, v94, v18
	v_pk_add_f16 v18, v11, v25
	v_pk_max_f16 v30, v30, v30
	v_pk_min_f16 v98, v93, v18
	v_pk_add_f16 v18, v5, v25
	v_pk_max_f16 v55, v55, v55
	v_pk_min_f16 v97, v92, v18
	v_pk_add_f16 v18, v7, v25
	v_pk_min_f16 v10, v53, v10
	v_pk_min_f16 v96, v91, v18
	v_pk_add_f16 v18, v1, v25
	v_pk_min_f16 v4, v52, v4
	v_pk_min_f16 v95, v90, v18
	v_pk_add_f16 v18, v3, v25
	v_pk_max_f16 v43, v43, v43
	v_pk_min_f16 v94, v89, v18
	v_pk_add_f16 v18, v13, v25
	v_pk_min_f16 v12, v30, v12
	v_pk_min_f16 v93, v88, v18
	v_pk_add_f16 v18, v15, v25
	v_pk_min_f16 v16, v55, v16
	;; [unrolled: 3-line block ×3, first 2 shown]
	v_pk_min_f16 v91, v86, v18
	v_pk_add_f16 v18, v11, v27
	s_add_i32 s28, s28, 8
	v_pk_min_f16 v90, v85, v18
	v_pk_add_f16 v18, v5, v27
	s_cmp_ge_i32 s28, s37
	v_pk_min_f16 v89, v84, v18
	v_pk_add_f16 v18, v7, v27
	v_lshl_add_u64 v[40:41], v[40:41], 0, 16
	v_pk_min_f16 v88, v83, v18
	v_pk_add_f16 v18, v1, v27
	ds_write_b16 v117, v122
	ds_write_b16 v117, v123 offset:512
	ds_write_b16 v117, v124 offset:1024
	;; [unrolled: 1-line block ×3, first 2 shown]
	ds_write_b16 v118, v28
	v_pk_min_f16 v87, v82, v18
	v_pk_add_f16 v18, v3, v27
	s_waitcnt lgkmcnt(0)
	v_pk_min_f16 v86, v81, v18
	v_pk_add_f16 v18, v13, v27
	s_barrier
	v_pk_min_f16 v85, v80, v18
	v_pk_add_f16 v18, v15, v27
	s_nop 0
	v_pk_min_f16 v84, v26, v18
	v_pk_add_f16 v18, v9, v21
	s_nop 0
	;; [unrolled: 3-line block ×17, first 2 shown]
	v_pk_min_f16 v68, v22, v18
	v_pk_add_f16 v18, v9, v17
	v_pk_add_f16 v9, v9, v19
	v_pk_min_f16 v67, v62, v18
	v_pk_add_f16 v18, v11, v17
	s_nop 0
	v_pk_min_f16 v66, v61, v18
	v_pk_add_f16 v18, v5, v17
	v_pk_add_f16 v5, v5, v19
	v_pk_min_f16 v65, v60, v18
	v_pk_add_f16 v18, v7, v17
	s_nop 0
	v_pk_min_f16 v64, v59, v18
	v_pk_add_f16 v18, v1, v17
	v_pk_add_f16 v1, v1, v19
	v_pk_min_f16 v63, v58, v18
	v_pk_add_f16 v18, v3, v17
	v_pk_min_f16 v54, v0, v1
	;; [unrolled: 2-line block ×9, first 2 shown]
	v_pk_min_f16 v57, v10, v8
	v_pk_min_f16 v55, v6, v4
	;; [unrolled: 1-line block ×3, first 2 shown]
	s_cbranch_scc1 .LBB212_52
.LBB212_32:                             ; =>This Inner Loop Header: Depth=1
	v_add_u32_e32 v42, s28, v46
	v_add_u32_e32 v0, 8, v42
	v_cmp_le_i32_e64 s[10:11], s22, v0
	v_min_i32_e32 v0, s35, v0
	v_mad_i64_i32 v[0:1], s[12:13], v0, s34, 0
	s_or_b64 s[12:13], vcc, s[10:11]
	s_nop 0
	v_cndmask_b32_e64 v43, 0, v121, s[12:13]
	s_or_b64 s[12:13], s[26:27], s[12:13]
	v_lshl_add_u64 v[0:1], v[0:1], 1, s[18:19]
	s_xor_b64 s[38:39], s[12:13], -1
	s_and_saveexec_b64 s[12:13], s[38:39]
	s_cbranch_execz .LBB212_34
; %bb.33:                               ;   in Loop: Header=BB212_32 Depth=1
	v_lshl_add_u64 v[2:3], v[32:33], 1, v[0:1]
	flat_load_ushort v2, v[2:3]
	s_waitcnt vmcnt(0) lgkmcnt(0)
	v_mul_f16_e32 v43, s23, v2
.LBB212_34:                             ;   in Loop: Header=BB212_32 Depth=1
	s_or_b64 exec, exec, s[12:13]
	s_or_b64 s[12:13], s[2:3], s[10:11]
	v_cndmask_b32_e64 v122, 0, v121, s[12:13]
	s_or_b64 s[12:13], s[26:27], s[12:13]
	s_xor_b64 s[38:39], s[12:13], -1
	s_and_saveexec_b64 s[12:13], s[38:39]
	s_cbranch_execz .LBB212_36
; %bb.35:                               ;   in Loop: Header=BB212_32 Depth=1
	v_lshl_add_u64 v[2:3], v[34:35], 1, v[0:1]
	flat_load_ushort v2, v[2:3]
	s_waitcnt vmcnt(0) lgkmcnt(0)
	v_mul_f16_e32 v122, s23, v2
.LBB212_36:                             ;   in Loop: Header=BB212_32 Depth=1
	s_or_b64 exec, exec, s[12:13]
	s_or_b64 s[12:13], s[4:5], s[10:11]
	v_cndmask_b32_e64 v123, 0, v121, s[12:13]
	s_or_b64 s[12:13], s[26:27], s[12:13]
	;; [unrolled: 13-line block ×3, first 2 shown]
	s_xor_b64 s[12:13], s[10:11], -1
	s_and_saveexec_b64 s[10:11], s[12:13]
	s_cbranch_execz .LBB212_40
; %bb.39:                               ;   in Loop: Header=BB212_32 Depth=1
	v_lshl_add_u64 v[0:1], v[38:39], 1, v[0:1]
	flat_load_ushort v0, v[0:1]
	s_waitcnt vmcnt(0) lgkmcnt(0)
	v_mul_f16_e32 v124, s23, v0
.LBB212_40:                             ;   in Loop: Header=BB212_32 Depth=1
	s_or_b64 exec, exec, s[10:11]
	v_add_u32_e32 v126, s28, v49
	v_add_u32_e32 v0, 8, v126
	v_cmp_le_i32_e64 s[10:11], s22, v0
	s_or_b64 s[10:11], s[10:11], s[8:9]
	s_nop 0
	v_cndmask_b32_e64 v125, 0, v121, s[10:11]
	s_or_b64 s[10:11], s[26:27], s[10:11]
	s_xor_b64 s[10:11], s[10:11], -1
	s_and_saveexec_b64 s[12:13], s[10:11]
	s_cbranch_execz .LBB212_42
; %bb.41:                               ;   in Loop: Header=BB212_32 Depth=1
	v_add_co_u32_e64 v0, s[10:11], -8, v40
	s_nop 1
	v_addc_co_u32_e64 v1, s[10:11], -1, v41, s[10:11]
	flat_load_ushort v0, v[0:1]
	s_waitcnt vmcnt(0) lgkmcnt(0)
	v_mul_f16_e32 v125, s23, v0
.LBB212_42:                             ;   in Loop: Header=BB212_32 Depth=1
	s_or_b64 exec, exec, s[12:13]
	ds_read2_b64 v[12:15], v119 offset1:32
	ds_read2_b64 v[8:11], v119 offset0:64 offset1:96
	ds_read2_b64 v[4:7], v119 offset0:128 offset1:160
	;; [unrolled: 1-line block ×3, first 2 shown]
	ds_read2_b64 v[28:31], v120 offset1:8
	ds_read2_b64 v[24:27], v120 offset0:16 offset1:24
	ds_read2_b64 v[20:23], v120 offset0:32 offset1:40
	;; [unrolled: 1-line block ×3, first 2 shown]
	v_add_u32_e32 v42, 12, v42
	v_cmp_le_i32_e64 s[10:11], s22, v42
	v_min_i32_e32 v42, s35, v42
	ds_write_b16 v50, v43
	ds_write_b16 v50, v122 offset:512
	ds_write_b16 v50, v123 offset:1024
	ds_write_b16 v50, v124 offset:1536
	ds_write_b16 v99, v125
	v_mad_i64_i32 v[42:43], s[12:13], v42, s34, 0
	s_or_b64 s[12:13], vcc, s[10:11]
	s_nop 0
	v_cndmask_b32_e64 v122, 0, v121, s[12:13]
	s_or_b64 s[12:13], s[26:27], s[12:13]
	v_lshl_add_u64 v[42:43], v[42:43], 1, s[18:19]
	s_xor_b64 s[12:13], s[12:13], -1
	s_waitcnt lgkmcnt(0)
	s_barrier
	s_and_saveexec_b64 s[38:39], s[12:13]
	s_xor_b64 s[12:13], exec, s[38:39]
	s_cbranch_execz .LBB212_44
; %bb.43:                               ;   in Loop: Header=BB212_32 Depth=1
	v_lshl_add_u64 v[122:123], v[32:33], 1, v[42:43]
	flat_load_ushort v122, v[122:123]
	s_waitcnt vmcnt(0) lgkmcnt(0)
	v_mul_f16_e32 v122, s23, v122
.LBB212_44:                             ;   in Loop: Header=BB212_32 Depth=1
	s_or_b64 exec, exec, s[12:13]
	s_or_b64 s[12:13], s[2:3], s[10:11]
	v_cndmask_b32_e64 v123, 0, v121, s[12:13]
	s_or_b64 s[12:13], s[26:27], s[12:13]
	s_xor_b64 s[38:39], s[12:13], -1
	s_and_saveexec_b64 s[12:13], s[38:39]
	s_cbranch_execz .LBB212_46
; %bb.45:                               ;   in Loop: Header=BB212_32 Depth=1
	v_lshl_add_u64 v[124:125], v[34:35], 1, v[42:43]
	flat_load_ushort v123, v[124:125]
	s_waitcnt vmcnt(0) lgkmcnt(0)
	v_mul_f16_e32 v123, s23, v123
.LBB212_46:                             ;   in Loop: Header=BB212_32 Depth=1
	s_or_b64 exec, exec, s[12:13]
	s_or_b64 s[12:13], s[4:5], s[10:11]
	v_cndmask_b32_e64 v124, 0, v121, s[12:13]
	s_or_b64 s[12:13], s[26:27], s[12:13]
	s_xor_b64 s[38:39], s[12:13], -1
	s_and_saveexec_b64 s[12:13], s[38:39]
	;; [unrolled: 13-line block ×3, first 2 shown]
	s_cbranch_execz .LBB212_50
; %bb.49:                               ;   in Loop: Header=BB212_32 Depth=1
	v_lshl_add_u64 v[42:43], v[38:39], 1, v[42:43]
	flat_load_ushort v42, v[42:43]
	s_waitcnt vmcnt(0) lgkmcnt(0)
	v_mul_f16_e32 v125, s23, v42
.LBB212_50:                             ;   in Loop: Header=BB212_32 Depth=1
	s_or_b64 exec, exec, s[10:11]
	v_pk_add_f16 v42, v12, v28
	v_pk_max_f16 v43, v116, v116
	v_pk_max_f16 v115, v115, v115
	v_pk_min_f16 v42, v43, v42
	v_pk_add_f16 v43, v14, v28
	v_pk_max_f16 v114, v114, v114
	v_pk_min_f16 v43, v115, v43
	v_pk_add_f16 v115, v8, v28
	v_pk_max_f16 v113, v113, v113
	v_pk_min_f16 v114, v114, v115
	v_pk_add_f16 v115, v10, v28
	v_pk_max_f16 v112, v112, v112
	v_pk_min_f16 v113, v113, v115
	v_pk_add_f16 v115, v4, v28
	v_pk_max_f16 v111, v111, v111
	v_pk_min_f16 v112, v112, v115
	v_pk_add_f16 v115, v6, v28
	v_pk_max_f16 v109, v109, v109
	v_pk_min_f16 v115, v111, v115
	v_pk_add_f16 v111, v0, v28
	v_pk_add_f16 v28, v2, v28
	v_pk_max_f16 v108, v108, v108
	v_pk_min_f16 v28, v109, v28
	v_pk_add_f16 v109, v12, v30
	v_pk_max_f16 v107, v107, v107
	v_pk_min_f16 v127, v108, v109
	v_pk_add_f16 v108, v14, v30
	v_pk_max_f16 v106, v106, v106
	v_pk_min_f16 v128, v107, v108
	v_pk_add_f16 v107, v8, v30
	v_pk_max_f16 v105, v105, v105
	v_pk_min_f16 v129, v106, v107
	v_pk_add_f16 v106, v10, v30
	v_pk_max_f16 v104, v104, v104
	v_pk_min_f16 v130, v105, v106
	v_pk_add_f16 v105, v4, v30
	v_pk_max_f16 v103, v103, v103
	v_pk_min_f16 v131, v104, v105
	v_pk_add_f16 v104, v6, v30
	v_pk_max_f16 v101, v101, v101
	v_pk_min_f16 v132, v103, v104
	v_pk_add_f16 v103, v0, v30
	v_pk_add_f16 v30, v2, v30
	v_pk_max_f16 v100, v100, v100
	v_pk_min_f16 v30, v101, v30
	v_pk_add_f16 v101, v12, v24
	;; [unrolled: 22-line block ×6, first 2 shown]
	v_pk_max_f16 v66, v66, v66
	v_pk_min_f16 v162, v67, v68
	v_pk_add_f16 v67, v14, v16
	v_pk_max_f16 v65, v65, v65
	v_pk_min_f16 v163, v66, v67
	v_pk_add_f16 v66, v8, v16
	;; [unrolled: 3-line block ×5, first 2 shown]
	v_pk_add_f16 v12, v12, v18
	v_pk_min_f16 v167, v62, v63
	v_pk_add_f16 v62, v0, v16
	v_pk_add_f16 v16, v2, v16
	;; [unrolled: 1-line block ×9, first 2 shown]
	v_pk_max_f16 v18, v61, v61
	v_pk_max_f16 v110, v110, v110
	v_pk_min_f16 v2, v18, v2
	v_pk_add_f16 v18, v13, v29
	v_pk_min_f16 v116, v110, v111
	v_pk_min_f16 v111, v42, v18
	v_pk_add_f16 v18, v15, v29
	v_pk_max_f16 v102, v102, v102
	v_pk_min_f16 v110, v43, v18
	v_pk_add_f16 v18, v9, v29
	v_pk_min_f16 v133, v102, v103
	v_pk_min_f16 v109, v114, v18
	v_pk_add_f16 v18, v11, v29
	;; [unrolled: 6-line block ×9, first 2 shown]
	v_pk_max_f16 v57, v57, v57
	v_pk_min_f16 v93, v135, v18
	v_pk_add_f16 v18, v9, v25
	v_pk_max_f16 v52, v52, v52
	v_pk_min_f16 v92, v136, v18
	v_pk_add_f16 v18, v11, v25
	v_pk_min_f16 v14, v57, v14
	v_pk_min_f16 v91, v137, v18
	v_pk_add_f16 v18, v5, v25
	v_pk_min_f16 v0, v52, v0
	v_pk_min_f16 v90, v138, v18
	v_pk_add_f16 v18, v7, v25
	v_pk_max_f16 v56, v56, v56
	v_pk_min_f16 v89, v139, v18
	v_pk_add_f16 v18, v1, v25
	v_pk_max_f16 v54, v54, v54
	v_pk_min_f16 v88, v140, v18
	v_pk_add_f16 v18, v3, v25
	v_pk_min_f16 v8, v56, v8
	v_pk_min_f16 v87, v24, v18
	v_pk_add_f16 v18, v13, v27
	v_pk_max_f16 v55, v55, v55
	v_pk_min_f16 v86, v141, v18
	v_pk_add_f16 v18, v15, v27
	v_pk_min_f16 v4, v54, v4
	;; [unrolled: 6-line block ×3, first 2 shown]
	v_pk_min_f16 v83, v144, v18
	v_pk_add_f16 v18, v5, v27
	v_pk_min_f16 v6, v53, v6
	v_pk_min_f16 v82, v145, v18
	v_pk_add_f16 v18, v7, v27
	s_nop 0
	v_pk_min_f16 v81, v146, v18
	v_pk_add_f16 v18, v1, v27
	s_nop 0
	;; [unrolled: 3-line block ×19, first 2 shown]
	v_pk_min_f16 v63, v22, v18
	v_pk_add_f16 v18, v13, v17
	v_pk_add_f16 v13, v13, v19
	v_pk_min_f16 v62, v162, v18
	v_pk_add_f16 v18, v15, v17
	v_pk_min_f16 v54, v12, v13
	v_pk_min_f16 v61, v163, v18
	v_pk_add_f16 v18, v9, v17
	v_pk_add_f16 v9, v9, v19
	v_pk_min_f16 v60, v164, v18
	v_pk_add_f16 v18, v11, v17
	v_pk_add_f16 v12, v15, v19
	;; [unrolled: 3-line block ×3, first 2 shown]
	v_pk_min_f16 v58, v166, v18
	v_pk_add_f16 v18, v7, v17
	v_pk_min_f16 v52, v8, v9
	v_pk_min_f16 v57, v167, v18
	v_pk_add_f16 v18, v1, v17
	v_pk_add_f16 v1, v1, v19
	v_pk_add_f16 v17, v3, v17
	v_pk_min_f16 v30, v0, v1
	v_pk_add_f16 v0, v3, v19
	v_pk_add_f16 v8, v11, v19
	v_pk_min_f16 v29, v2, v0
	v_add_u32_e32 v0, 12, v126
	v_cmp_le_i32_e64 s[10:11], s22, v0
	s_or_b64 s[10:11], s[10:11], s[8:9]
	v_pk_min_f16 v42, v4, v5
	v_pk_add_f16 v4, v7, v19
	v_cndmask_b32_e64 v28, 0, v121, s[10:11]
	s_or_b64 s[10:11], s[26:27], s[10:11]
	v_pk_min_f16 v56, v168, v18
	v_pk_min_f16 v55, v16, v17
	;; [unrolled: 1-line block ×5, first 2 shown]
	s_xor_b64 s[12:13], s[10:11], -1
	s_and_saveexec_b64 s[10:11], s[12:13]
	s_cbranch_execz .LBB212_31
; %bb.51:                               ;   in Loop: Header=BB212_32 Depth=1
	flat_load_ushort v0, v[40:41]
	s_waitcnt vmcnt(0) lgkmcnt(0)
	v_mul_f16_e32 v28, s23, v0
	s_branch .LBB212_31
.LBB212_52:
	s_load_dwordx2 s[2:3], s[0:1], 0x70
	s_load_dword s29, s[0:1], 0x50
	s_load_dword s28, s[0:1], 0x68
	v_add_u32_e32 v0, 0x800, v47
	v_add_u32_e32 v4, 0x1000, v48
	ds_read2_b64 v[16:19], v0 offset1:32
	ds_read2_b64 v[12:15], v0 offset0:64 offset1:96
	ds_read2_b64 v[8:11], v0 offset0:128 offset1:160
	;; [unrolled: 1-line block ×7, first 2 shown]
	s_waitcnt lgkmcnt(0)
	s_lshl_b64 s[0:1], s[2:3], 1
	s_add_u32 s22, s16, s0
	v_add_u32_e32 v99, s33, v45
	s_addc_u32 s23, s17, s1
	v_mad_i64_i32 v[34:35], s[0:1], v99, s29, 0
	v_add_u32_e32 v32, s31, v44
	v_lshl_add_u64 v[50:51], v[34:35], 1, s[24:25]
	v_mad_i64_i32 v[34:35], s[0:1], v99, s28, 0
	v_cmp_gt_i32_e64 s[2:3], s20, v32
	v_cmp_gt_i32_e64 s[18:19], s21, v99
	v_lshl_add_u64 v[48:49], v[34:35], 1, s[22:23]
	v_cndmask_b32_e64 v34, 0, 1, s[14:15]
	v_ashrrev_i32_e32 v33, 31, v32
	s_and_b64 s[4:5], s[2:3], s[18:19]
	v_cmp_ne_u32_e64 s[0:1], 1, v34
	s_and_saveexec_b64 s[6:7], s[4:5]
	s_xor_b64 s[4:5], exec, s[6:7]
	s_cbranch_execz .LBB212_57
; %bb.53:
	s_and_b64 vcc, exec, s[0:1]
	s_cbranch_vccnz .LBB212_55
; %bb.54:
	v_lshl_add_u64 v[34:35], v[32:33], 1, v[50:51]
	flat_load_ushort v34, v[34:35]
	s_waitcnt vmcnt(0) lgkmcnt(0)
	v_mul_f16_e32 v34, s30, v34
	s_branch .LBB212_56
.LBB212_55:
	v_mov_b32_e32 v34, 0
.LBB212_56:
	v_pk_add_f16 v35, v16, v28
	v_pk_max_f16 v36, v116, v116
	s_nop 0
	v_pk_min_f16 v35, v36, v35
	v_pk_add_f16 v36, v17, v29
	s_nop 0
	v_pk_min_f16 v35, v35, v36
	s_nop 0
	v_lshrrev_b32_e32 v36, 16, v35
	v_min3_f16 v36, v34, v35, v36
	v_lshl_add_u64 v[34:35], v[32:33], 1, v[48:49]
	global_store_short v[34:35], v36, off
.LBB212_57:
	s_or_b64 exec, exec, s[4:5]
	v_add_u32_e32 v34, 32, v32
	v_cmp_gt_i32_e64 s[4:5], s20, v34
	v_ashrrev_i32_e32 v35, 31, v34
	s_and_b64 s[8:9], s[4:5], s[18:19]
	s_and_saveexec_b64 s[6:7], s[8:9]
	s_cbranch_execz .LBB212_62
; %bb.58:
	s_and_b64 vcc, exec, s[0:1]
	s_cbranch_vccnz .LBB212_60
; %bb.59:
	v_lshl_add_u64 v[36:37], v[34:35], 1, v[50:51]
	flat_load_ushort v36, v[36:37]
	s_waitcnt vmcnt(0) lgkmcnt(0)
	v_mul_f16_e32 v36, s30, v36
	s_branch .LBB212_61
.LBB212_60:
	v_mov_b32_e32 v36, 0
.LBB212_61:
	v_pk_add_f16 v37, v18, v28
	v_pk_max_f16 v38, v115, v115
	s_nop 0
	v_pk_min_f16 v37, v38, v37
	v_pk_add_f16 v38, v19, v29
	s_nop 0
	v_pk_min_f16 v37, v37, v38
	s_nop 0
	v_lshrrev_b32_e32 v38, 16, v37
	v_min3_f16 v38, v36, v37, v38
	v_lshl_add_u64 v[36:37], v[34:35], 1, v[48:49]
	global_store_short v[36:37], v38, off
.LBB212_62:
	s_or_b64 exec, exec, s[6:7]
	v_add_u32_e32 v36, 64, v32
	v_cmp_gt_i32_e64 s[6:7], s20, v36
	v_ashrrev_i32_e32 v37, 31, v36
	s_and_b64 s[10:11], s[6:7], s[18:19]
	s_and_saveexec_b64 s[8:9], s[10:11]
	;; [unrolled: 32-line block ×7, first 2 shown]
	s_cbranch_execz .LBB212_92
; %bb.88:
	s_and_b64 vcc, exec, s[0:1]
	s_cbranch_vccnz .LBB212_90
; %bb.89:
	v_lshl_add_u64 v[50:51], v[46:47], 1, v[50:51]
	flat_load_ushort v50, v[50:51]
	s_waitcnt vmcnt(0) lgkmcnt(0)
	v_mul_f16_e32 v50, s30, v50
	s_branch .LBB212_91
.LBB212_90:
	v_mov_b32_e32 v50, 0
.LBB212_91:
	v_pk_add_f16 v28, v2, v28
	v_pk_max_f16 v51, v109, v109
	v_pk_add_f16 v29, v3, v29
	v_pk_min_f16 v28, v51, v28
	s_nop 0
	v_pk_min_f16 v28, v28, v29
	s_nop 0
	v_lshrrev_b32_e32 v29, 16, v28
	v_min3_f16 v50, v50, v28, v29
	v_lshl_add_u64 v[28:29], v[46:47], 1, v[48:49]
	global_store_short v[28:29], v50, off
.LBB212_92:
	s_or_b64 exec, exec, s[18:19]
	v_add_u32_e32 v50, 8, v99
	v_mad_i64_i32 v[28:29], s[26:27], v50, s29, 0
	v_cmp_gt_i32_e64 s[18:19], s21, v50
	v_lshl_add_u64 v[48:49], v[28:29], 1, s[24:25]
	v_mad_i64_i32 v[28:29], s[26:27], v50, s28, 0
	v_lshl_add_u64 v[28:29], v[28:29], 1, s[22:23]
	s_and_b64 s[34:35], s[2:3], s[18:19]
	s_and_saveexec_b64 s[26:27], s[34:35]
	s_cbranch_execnz .LBB212_100
; %bb.93:
	s_or_b64 exec, exec, s[26:27]
	s_and_b64 s[34:35], s[4:5], s[18:19]
	s_and_saveexec_b64 s[26:27], s[34:35]
	s_cbranch_execnz .LBB212_104
.LBB212_94:
	s_or_b64 exec, exec, s[26:27]
	s_and_b64 s[34:35], s[6:7], s[18:19]
	s_and_saveexec_b64 s[26:27], s[34:35]
	s_cbranch_execnz .LBB212_108
.LBB212_95:
	s_or_b64 exec, exec, s[26:27]
	s_and_b64 s[34:35], s[8:9], s[18:19]
	s_and_saveexec_b64 s[26:27], s[34:35]
	s_cbranch_execnz .LBB212_112
.LBB212_96:
	s_or_b64 exec, exec, s[26:27]
	s_and_b64 s[34:35], s[10:11], s[18:19]
	s_and_saveexec_b64 s[26:27], s[34:35]
	s_cbranch_execnz .LBB212_116
.LBB212_97:
	s_or_b64 exec, exec, s[26:27]
	s_and_b64 s[34:35], s[12:13], s[18:19]
	s_and_saveexec_b64 s[26:27], s[34:35]
	s_cbranch_execnz .LBB212_120
.LBB212_98:
	s_or_b64 exec, exec, s[26:27]
	s_and_b64 s[34:35], s[14:15], s[18:19]
	s_and_saveexec_b64 s[26:27], s[34:35]
	s_cbranch_execnz .LBB212_124
.LBB212_99:
	s_or_b64 exec, exec, s[26:27]
	s_and_b64 s[26:27], s[16:17], s[18:19]
	s_and_saveexec_b64 s[18:19], s[26:27]
	s_cbranch_execnz .LBB212_128
	s_branch .LBB212_132
.LBB212_100:
	s_and_b64 vcc, exec, s[0:1]
	s_cbranch_vccnz .LBB212_102
; %bb.101:
	v_lshl_add_u64 v[50:51], v[32:33], 1, v[48:49]
	flat_load_ushort v50, v[50:51]
	s_waitcnt vmcnt(0) lgkmcnt(0)
	v_mul_f16_e32 v50, s30, v50
	s_branch .LBB212_103
.LBB212_102:
	v_mov_b32_e32 v50, 0
.LBB212_103:
	v_pk_add_f16 v51, v16, v30
	v_pk_max_f16 v108, v108, v108
	s_nop 0
	v_pk_min_f16 v51, v108, v51
	v_pk_add_f16 v108, v17, v31
	s_nop 0
	v_pk_min_f16 v51, v51, v108
	s_nop 0
	v_lshrrev_b32_e32 v108, 16, v51
	v_min3_f16 v108, v50, v51, v108
	v_lshl_add_u64 v[50:51], v[32:33], 1, v[28:29]
	global_store_short v[50:51], v108, off
	s_or_b64 exec, exec, s[26:27]
	s_and_b64 s[34:35], s[4:5], s[18:19]
	s_and_saveexec_b64 s[26:27], s[34:35]
	s_cbranch_execz .LBB212_94
.LBB212_104:
	s_and_b64 vcc, exec, s[0:1]
	s_cbranch_vccnz .LBB212_106
; %bb.105:
	v_lshl_add_u64 v[50:51], v[34:35], 1, v[48:49]
	flat_load_ushort v50, v[50:51]
	s_waitcnt vmcnt(0) lgkmcnt(0)
	v_mul_f16_e32 v50, s30, v50
	s_branch .LBB212_107
.LBB212_106:
	v_mov_b32_e32 v50, 0
.LBB212_107:
	v_pk_add_f16 v51, v18, v30
	v_pk_max_f16 v107, v107, v107
	s_nop 0
	v_pk_min_f16 v51, v107, v51
	v_pk_add_f16 v107, v19, v31
	s_nop 0
	v_pk_min_f16 v51, v51, v107
	s_nop 0
	v_lshrrev_b32_e32 v107, 16, v51
	v_min3_f16 v107, v50, v51, v107
	v_lshl_add_u64 v[50:51], v[34:35], 1, v[28:29]
	global_store_short v[50:51], v107, off
	s_or_b64 exec, exec, s[26:27]
	s_and_b64 s[34:35], s[6:7], s[18:19]
	s_and_saveexec_b64 s[26:27], s[34:35]
	s_cbranch_execz .LBB212_95
.LBB212_108:
	s_and_b64 vcc, exec, s[0:1]
	s_cbranch_vccnz .LBB212_110
; %bb.109:
	v_lshl_add_u64 v[50:51], v[36:37], 1, v[48:49]
	flat_load_ushort v50, v[50:51]
	s_waitcnt vmcnt(0) lgkmcnt(0)
	v_mul_f16_e32 v50, s30, v50
	s_branch .LBB212_111
.LBB212_110:
	v_mov_b32_e32 v50, 0
.LBB212_111:
	v_pk_add_f16 v51, v12, v30
	v_pk_max_f16 v106, v106, v106
	s_nop 0
	v_pk_min_f16 v51, v106, v51
	v_pk_add_f16 v106, v13, v31
	s_nop 0
	v_pk_min_f16 v51, v51, v106
	s_nop 0
	v_lshrrev_b32_e32 v106, 16, v51
	v_min3_f16 v106, v50, v51, v106
	v_lshl_add_u64 v[50:51], v[36:37], 1, v[28:29]
	global_store_short v[50:51], v106, off
	s_or_b64 exec, exec, s[26:27]
	s_and_b64 s[34:35], s[8:9], s[18:19]
	s_and_saveexec_b64 s[26:27], s[34:35]
	s_cbranch_execz .LBB212_96
.LBB212_112:
	s_and_b64 vcc, exec, s[0:1]
	s_cbranch_vccnz .LBB212_114
; %bb.113:
	v_lshl_add_u64 v[50:51], v[38:39], 1, v[48:49]
	flat_load_ushort v50, v[50:51]
	s_waitcnt vmcnt(0) lgkmcnt(0)
	v_mul_f16_e32 v50, s30, v50
	s_branch .LBB212_115
.LBB212_114:
	v_mov_b32_e32 v50, 0
.LBB212_115:
	v_pk_add_f16 v51, v14, v30
	v_pk_max_f16 v105, v105, v105
	s_nop 0
	v_pk_min_f16 v51, v105, v51
	v_pk_add_f16 v105, v15, v31
	s_nop 0
	v_pk_min_f16 v51, v51, v105
	s_nop 0
	v_lshrrev_b32_e32 v105, 16, v51
	v_min3_f16 v105, v50, v51, v105
	v_lshl_add_u64 v[50:51], v[38:39], 1, v[28:29]
	global_store_short v[50:51], v105, off
	s_or_b64 exec, exec, s[26:27]
	s_and_b64 s[34:35], s[10:11], s[18:19]
	s_and_saveexec_b64 s[26:27], s[34:35]
	s_cbranch_execz .LBB212_97
.LBB212_116:
	s_and_b64 vcc, exec, s[0:1]
	s_cbranch_vccnz .LBB212_118
; %bb.117:
	v_lshl_add_u64 v[50:51], v[40:41], 1, v[48:49]
	flat_load_ushort v50, v[50:51]
	s_waitcnt vmcnt(0) lgkmcnt(0)
	v_mul_f16_e32 v50, s30, v50
	s_branch .LBB212_119
.LBB212_118:
	v_mov_b32_e32 v50, 0
.LBB212_119:
	v_pk_add_f16 v51, v8, v30
	v_pk_max_f16 v104, v104, v104
	s_nop 0
	v_pk_min_f16 v51, v104, v51
	v_pk_add_f16 v104, v9, v31
	s_nop 0
	v_pk_min_f16 v51, v51, v104
	s_nop 0
	v_lshrrev_b32_e32 v104, 16, v51
	v_min3_f16 v104, v50, v51, v104
	v_lshl_add_u64 v[50:51], v[40:41], 1, v[28:29]
	global_store_short v[50:51], v104, off
	s_or_b64 exec, exec, s[26:27]
	s_and_b64 s[34:35], s[12:13], s[18:19]
	s_and_saveexec_b64 s[26:27], s[34:35]
	s_cbranch_execz .LBB212_98
.LBB212_120:
	s_and_b64 vcc, exec, s[0:1]
	s_cbranch_vccnz .LBB212_122
; %bb.121:
	v_lshl_add_u64 v[50:51], v[42:43], 1, v[48:49]
	flat_load_ushort v50, v[50:51]
	s_waitcnt vmcnt(0) lgkmcnt(0)
	v_mul_f16_e32 v50, s30, v50
	s_branch .LBB212_123
.LBB212_122:
	v_mov_b32_e32 v50, 0
.LBB212_123:
	v_pk_add_f16 v51, v10, v30
	v_pk_max_f16 v103, v103, v103
	s_nop 0
	v_pk_min_f16 v51, v103, v51
	v_pk_add_f16 v103, v11, v31
	s_nop 0
	v_pk_min_f16 v51, v51, v103
	s_nop 0
	v_lshrrev_b32_e32 v103, 16, v51
	v_min3_f16 v103, v50, v51, v103
	v_lshl_add_u64 v[50:51], v[42:43], 1, v[28:29]
	global_store_short v[50:51], v103, off
	s_or_b64 exec, exec, s[26:27]
	s_and_b64 s[34:35], s[14:15], s[18:19]
	s_and_saveexec_b64 s[26:27], s[34:35]
	s_cbranch_execz .LBB212_99
.LBB212_124:
	s_and_b64 vcc, exec, s[0:1]
	s_cbranch_vccnz .LBB212_126
; %bb.125:
	v_lshl_add_u64 v[50:51], v[44:45], 1, v[48:49]
	flat_load_ushort v50, v[50:51]
	s_waitcnt vmcnt(0) lgkmcnt(0)
	v_mul_f16_e32 v50, s30, v50
	s_branch .LBB212_127
.LBB212_126:
	v_mov_b32_e32 v50, 0
.LBB212_127:
	v_pk_add_f16 v51, v0, v30
	v_pk_max_f16 v102, v102, v102
	s_nop 0
	v_pk_min_f16 v51, v102, v51
	v_pk_add_f16 v102, v1, v31
	s_nop 0
	v_pk_min_f16 v51, v51, v102
	s_nop 0
	v_lshrrev_b32_e32 v102, 16, v51
	v_min3_f16 v102, v50, v51, v102
	v_lshl_add_u64 v[50:51], v[44:45], 1, v[28:29]
	global_store_short v[50:51], v102, off
	s_or_b64 exec, exec, s[26:27]
	s_and_b64 s[26:27], s[16:17], s[18:19]
	s_and_saveexec_b64 s[18:19], s[26:27]
	s_cbranch_execz .LBB212_132
.LBB212_128:
	s_and_b64 vcc, exec, s[0:1]
	s_cbranch_vccnz .LBB212_130
; %bb.129:
	v_lshl_add_u64 v[48:49], v[46:47], 1, v[48:49]
	flat_load_ushort v48, v[48:49]
	s_waitcnt vmcnt(0) lgkmcnt(0)
	v_mul_f16_e32 v48, s30, v48
	s_branch .LBB212_131
.LBB212_130:
	v_mov_b32_e32 v48, 0
.LBB212_131:
	v_pk_add_f16 v30, v2, v30
	v_pk_max_f16 v49, v101, v101
	v_pk_add_f16 v31, v3, v31
	v_pk_min_f16 v30, v49, v30
	v_lshl_add_u64 v[28:29], v[46:47], 1, v[28:29]
	v_pk_min_f16 v30, v30, v31
	s_nop 0
	v_lshrrev_b32_e32 v31, 16, v30
	v_min3_f16 v30, v48, v30, v31
	global_store_short v[28:29], v30, off
.LBB212_132:
	s_or_b64 exec, exec, s[18:19]
	v_add_u32_e32 v48, 16, v99
	v_mad_i64_i32 v[28:29], s[26:27], v48, s29, 0
	v_cmp_gt_i32_e64 s[18:19], s21, v48
	v_lshl_add_u64 v[30:31], v[28:29], 1, s[24:25]
	v_mad_i64_i32 v[28:29], s[26:27], v48, s28, 0
	v_lshl_add_u64 v[28:29], v[28:29], 1, s[22:23]
	s_and_b64 s[34:35], s[2:3], s[18:19]
	s_and_saveexec_b64 s[26:27], s[34:35]
	s_cbranch_execnz .LBB212_140
; %bb.133:
	s_or_b64 exec, exec, s[26:27]
	s_and_b64 s[34:35], s[4:5], s[18:19]
	s_and_saveexec_b64 s[26:27], s[34:35]
	s_cbranch_execnz .LBB212_144
.LBB212_134:
	s_or_b64 exec, exec, s[26:27]
	s_and_b64 s[34:35], s[6:7], s[18:19]
	s_and_saveexec_b64 s[26:27], s[34:35]
	s_cbranch_execnz .LBB212_148
.LBB212_135:
	s_or_b64 exec, exec, s[26:27]
	s_and_b64 s[34:35], s[8:9], s[18:19]
	s_and_saveexec_b64 s[26:27], s[34:35]
	s_cbranch_execnz .LBB212_152
.LBB212_136:
	s_or_b64 exec, exec, s[26:27]
	s_and_b64 s[34:35], s[10:11], s[18:19]
	s_and_saveexec_b64 s[26:27], s[34:35]
	s_cbranch_execnz .LBB212_156
.LBB212_137:
	s_or_b64 exec, exec, s[26:27]
	s_and_b64 s[34:35], s[12:13], s[18:19]
	s_and_saveexec_b64 s[26:27], s[34:35]
	s_cbranch_execnz .LBB212_160
.LBB212_138:
	s_or_b64 exec, exec, s[26:27]
	s_and_b64 s[34:35], s[14:15], s[18:19]
	s_and_saveexec_b64 s[26:27], s[34:35]
	s_cbranch_execnz .LBB212_164
.LBB212_139:
	s_or_b64 exec, exec, s[26:27]
	s_and_b64 s[26:27], s[16:17], s[18:19]
	s_and_saveexec_b64 s[18:19], s[26:27]
	s_cbranch_execnz .LBB212_168
	s_branch .LBB212_172
.LBB212_140:
	s_and_b64 vcc, exec, s[0:1]
	s_cbranch_vccnz .LBB212_142
; %bb.141:
	v_lshl_add_u64 v[48:49], v[32:33], 1, v[30:31]
	flat_load_ushort v48, v[48:49]
	s_waitcnt vmcnt(0) lgkmcnt(0)
	v_mul_f16_e32 v48, s30, v48
	s_branch .LBB212_143
.LBB212_142:
	v_mov_b32_e32 v48, 0
.LBB212_143:
	v_pk_add_f16 v49, v16, v24
	v_pk_max_f16 v50, v100, v100
	s_nop 0
	v_pk_min_f16 v49, v50, v49
	v_pk_add_f16 v50, v17, v25
	s_nop 0
	v_pk_min_f16 v49, v49, v50
	s_nop 0
	v_lshrrev_b32_e32 v50, 16, v49
	v_min3_f16 v50, v48, v49, v50
	v_lshl_add_u64 v[48:49], v[32:33], 1, v[28:29]
	global_store_short v[48:49], v50, off
	s_or_b64 exec, exec, s[26:27]
	s_and_b64 s[34:35], s[4:5], s[18:19]
	s_and_saveexec_b64 s[26:27], s[34:35]
	s_cbranch_execz .LBB212_134
.LBB212_144:
	s_and_b64 vcc, exec, s[0:1]
	s_cbranch_vccnz .LBB212_146
; %bb.145:
	v_lshl_add_u64 v[48:49], v[34:35], 1, v[30:31]
	flat_load_ushort v48, v[48:49]
	s_waitcnt vmcnt(0) lgkmcnt(0)
	v_mul_f16_e32 v48, s30, v48
	s_branch .LBB212_147
.LBB212_146:
	v_mov_b32_e32 v48, 0
.LBB212_147:
	v_pk_add_f16 v49, v18, v24
	v_pk_max_f16 v50, v98, v98
	s_nop 0
	v_pk_min_f16 v49, v50, v49
	v_pk_add_f16 v50, v19, v25
	s_nop 0
	v_pk_min_f16 v49, v49, v50
	s_nop 0
	v_lshrrev_b32_e32 v50, 16, v49
	v_min3_f16 v50, v48, v49, v50
	v_lshl_add_u64 v[48:49], v[34:35], 1, v[28:29]
	global_store_short v[48:49], v50, off
	s_or_b64 exec, exec, s[26:27]
	s_and_b64 s[34:35], s[6:7], s[18:19]
	s_and_saveexec_b64 s[26:27], s[34:35]
	s_cbranch_execz .LBB212_135
.LBB212_148:
	s_and_b64 vcc, exec, s[0:1]
	s_cbranch_vccnz .LBB212_150
; %bb.149:
	v_lshl_add_u64 v[48:49], v[36:37], 1, v[30:31]
	flat_load_ushort v48, v[48:49]
	s_waitcnt vmcnt(0) lgkmcnt(0)
	v_mul_f16_e32 v48, s30, v48
	s_branch .LBB212_151
.LBB212_150:
	v_mov_b32_e32 v48, 0
.LBB212_151:
	v_pk_add_f16 v49, v12, v24
	v_pk_max_f16 v50, v97, v97
	s_nop 0
	v_pk_min_f16 v49, v50, v49
	v_pk_add_f16 v50, v13, v25
	s_nop 0
	v_pk_min_f16 v49, v49, v50
	s_nop 0
	v_lshrrev_b32_e32 v50, 16, v49
	v_min3_f16 v50, v48, v49, v50
	v_lshl_add_u64 v[48:49], v[36:37], 1, v[28:29]
	global_store_short v[48:49], v50, off
	s_or_b64 exec, exec, s[26:27]
	s_and_b64 s[34:35], s[8:9], s[18:19]
	s_and_saveexec_b64 s[26:27], s[34:35]
	s_cbranch_execz .LBB212_136
.LBB212_152:
	s_and_b64 vcc, exec, s[0:1]
	s_cbranch_vccnz .LBB212_154
; %bb.153:
	v_lshl_add_u64 v[48:49], v[38:39], 1, v[30:31]
	flat_load_ushort v48, v[48:49]
	s_waitcnt vmcnt(0) lgkmcnt(0)
	v_mul_f16_e32 v48, s30, v48
	s_branch .LBB212_155
.LBB212_154:
	v_mov_b32_e32 v48, 0
.LBB212_155:
	v_pk_add_f16 v49, v14, v24
	v_pk_max_f16 v50, v96, v96
	s_nop 0
	v_pk_min_f16 v49, v50, v49
	v_pk_add_f16 v50, v15, v25
	s_nop 0
	v_pk_min_f16 v49, v49, v50
	s_nop 0
	v_lshrrev_b32_e32 v50, 16, v49
	v_min3_f16 v50, v48, v49, v50
	v_lshl_add_u64 v[48:49], v[38:39], 1, v[28:29]
	global_store_short v[48:49], v50, off
	s_or_b64 exec, exec, s[26:27]
	s_and_b64 s[34:35], s[10:11], s[18:19]
	s_and_saveexec_b64 s[26:27], s[34:35]
	s_cbranch_execz .LBB212_137
.LBB212_156:
	s_and_b64 vcc, exec, s[0:1]
	s_cbranch_vccnz .LBB212_158
; %bb.157:
	v_lshl_add_u64 v[48:49], v[40:41], 1, v[30:31]
	flat_load_ushort v48, v[48:49]
	s_waitcnt vmcnt(0) lgkmcnt(0)
	v_mul_f16_e32 v48, s30, v48
	s_branch .LBB212_159
.LBB212_158:
	v_mov_b32_e32 v48, 0
.LBB212_159:
	v_pk_add_f16 v49, v8, v24
	v_pk_max_f16 v50, v95, v95
	s_nop 0
	v_pk_min_f16 v49, v50, v49
	v_pk_add_f16 v50, v9, v25
	s_nop 0
	v_pk_min_f16 v49, v49, v50
	s_nop 0
	v_lshrrev_b32_e32 v50, 16, v49
	v_min3_f16 v50, v48, v49, v50
	v_lshl_add_u64 v[48:49], v[40:41], 1, v[28:29]
	global_store_short v[48:49], v50, off
	s_or_b64 exec, exec, s[26:27]
	s_and_b64 s[34:35], s[12:13], s[18:19]
	s_and_saveexec_b64 s[26:27], s[34:35]
	s_cbranch_execz .LBB212_138
.LBB212_160:
	s_and_b64 vcc, exec, s[0:1]
	s_cbranch_vccnz .LBB212_162
; %bb.161:
	v_lshl_add_u64 v[48:49], v[42:43], 1, v[30:31]
	flat_load_ushort v48, v[48:49]
	s_waitcnt vmcnt(0) lgkmcnt(0)
	v_mul_f16_e32 v48, s30, v48
	s_branch .LBB212_163
.LBB212_162:
	v_mov_b32_e32 v48, 0
.LBB212_163:
	v_pk_add_f16 v49, v10, v24
	v_pk_max_f16 v50, v94, v94
	s_nop 0
	v_pk_min_f16 v49, v50, v49
	v_pk_add_f16 v50, v11, v25
	s_nop 0
	v_pk_min_f16 v49, v49, v50
	s_nop 0
	v_lshrrev_b32_e32 v50, 16, v49
	v_min3_f16 v50, v48, v49, v50
	v_lshl_add_u64 v[48:49], v[42:43], 1, v[28:29]
	global_store_short v[48:49], v50, off
	s_or_b64 exec, exec, s[26:27]
	s_and_b64 s[34:35], s[14:15], s[18:19]
	s_and_saveexec_b64 s[26:27], s[34:35]
	s_cbranch_execz .LBB212_139
.LBB212_164:
	s_and_b64 vcc, exec, s[0:1]
	s_cbranch_vccnz .LBB212_166
; %bb.165:
	v_lshl_add_u64 v[48:49], v[44:45], 1, v[30:31]
	flat_load_ushort v48, v[48:49]
	s_waitcnt vmcnt(0) lgkmcnt(0)
	v_mul_f16_e32 v48, s30, v48
	s_branch .LBB212_167
.LBB212_166:
	v_mov_b32_e32 v48, 0
.LBB212_167:
	v_pk_add_f16 v49, v0, v24
	v_pk_max_f16 v50, v93, v93
	s_nop 0
	v_pk_min_f16 v49, v50, v49
	v_pk_add_f16 v50, v1, v25
	s_nop 0
	v_pk_min_f16 v49, v49, v50
	s_nop 0
	v_lshrrev_b32_e32 v50, 16, v49
	v_min3_f16 v50, v48, v49, v50
	v_lshl_add_u64 v[48:49], v[44:45], 1, v[28:29]
	global_store_short v[48:49], v50, off
	s_or_b64 exec, exec, s[26:27]
	s_and_b64 s[26:27], s[16:17], s[18:19]
	s_and_saveexec_b64 s[18:19], s[26:27]
	s_cbranch_execz .LBB212_172
.LBB212_168:
	s_and_b64 vcc, exec, s[0:1]
	s_cbranch_vccnz .LBB212_170
; %bb.169:
	v_lshl_add_u64 v[30:31], v[46:47], 1, v[30:31]
	flat_load_ushort v30, v[30:31]
	s_waitcnt vmcnt(0) lgkmcnt(0)
	v_mul_f16_e32 v30, s30, v30
	s_branch .LBB212_171
.LBB212_170:
	v_mov_b32_e32 v30, 0
.LBB212_171:
	v_pk_add_f16 v24, v2, v24
	v_pk_max_f16 v31, v92, v92
	v_pk_add_f16 v25, v3, v25
	v_pk_min_f16 v24, v31, v24
	s_nop 0
	v_pk_min_f16 v24, v24, v25
	s_nop 0
	v_lshrrev_b32_e32 v25, 16, v24
	v_min3_f16 v30, v30, v24, v25
	v_lshl_add_u64 v[24:25], v[46:47], 1, v[28:29]
	global_store_short v[24:25], v30, off
.LBB212_172:
	s_or_b64 exec, exec, s[18:19]
	v_add_u32_e32 v30, 24, v99
	v_mad_i64_i32 v[24:25], s[26:27], v30, s29, 0
	v_cmp_gt_i32_e64 s[18:19], s21, v30
	v_lshl_add_u64 v[28:29], v[24:25], 1, s[24:25]
	v_mad_i64_i32 v[24:25], s[26:27], v30, s28, 0
	v_lshl_add_u64 v[24:25], v[24:25], 1, s[22:23]
	s_and_b64 s[34:35], s[2:3], s[18:19]
	s_and_saveexec_b64 s[26:27], s[34:35]
	s_cbranch_execnz .LBB212_180
; %bb.173:
	s_or_b64 exec, exec, s[26:27]
	s_and_b64 s[34:35], s[4:5], s[18:19]
	s_and_saveexec_b64 s[26:27], s[34:35]
	s_cbranch_execnz .LBB212_184
.LBB212_174:
	s_or_b64 exec, exec, s[26:27]
	s_and_b64 s[34:35], s[6:7], s[18:19]
	s_and_saveexec_b64 s[26:27], s[34:35]
	s_cbranch_execnz .LBB212_188
.LBB212_175:
	s_or_b64 exec, exec, s[26:27]
	s_and_b64 s[34:35], s[8:9], s[18:19]
	s_and_saveexec_b64 s[26:27], s[34:35]
	s_cbranch_execnz .LBB212_192
.LBB212_176:
	s_or_b64 exec, exec, s[26:27]
	s_and_b64 s[34:35], s[10:11], s[18:19]
	s_and_saveexec_b64 s[26:27], s[34:35]
	s_cbranch_execnz .LBB212_196
.LBB212_177:
	s_or_b64 exec, exec, s[26:27]
	s_and_b64 s[34:35], s[12:13], s[18:19]
	s_and_saveexec_b64 s[26:27], s[34:35]
	s_cbranch_execnz .LBB212_200
.LBB212_178:
	s_or_b64 exec, exec, s[26:27]
	s_and_b64 s[34:35], s[14:15], s[18:19]
	s_and_saveexec_b64 s[26:27], s[34:35]
	s_cbranch_execnz .LBB212_204
.LBB212_179:
	s_or_b64 exec, exec, s[26:27]
	s_and_b64 s[26:27], s[16:17], s[18:19]
	s_and_saveexec_b64 s[18:19], s[26:27]
	s_cbranch_execnz .LBB212_208
	s_branch .LBB212_212
.LBB212_180:
	s_and_b64 vcc, exec, s[0:1]
	s_cbranch_vccnz .LBB212_182
; %bb.181:
	v_lshl_add_u64 v[30:31], v[32:33], 1, v[28:29]
	flat_load_ushort v30, v[30:31]
	s_waitcnt vmcnt(0) lgkmcnt(0)
	v_mul_f16_e32 v30, s30, v30
	s_branch .LBB212_183
.LBB212_182:
	v_mov_b32_e32 v30, 0
.LBB212_183:
	v_pk_add_f16 v31, v16, v26
	v_pk_max_f16 v48, v91, v91
	s_nop 0
	v_pk_min_f16 v31, v48, v31
	v_pk_add_f16 v48, v17, v27
	s_nop 0
	v_pk_min_f16 v31, v31, v48
	s_nop 0
	v_lshrrev_b32_e32 v48, 16, v31
	v_min3_f16 v48, v30, v31, v48
	v_lshl_add_u64 v[30:31], v[32:33], 1, v[24:25]
	global_store_short v[30:31], v48, off
	s_or_b64 exec, exec, s[26:27]
	s_and_b64 s[34:35], s[4:5], s[18:19]
	s_and_saveexec_b64 s[26:27], s[34:35]
	s_cbranch_execz .LBB212_174
.LBB212_184:
	s_and_b64 vcc, exec, s[0:1]
	s_cbranch_vccnz .LBB212_186
; %bb.185:
	v_lshl_add_u64 v[30:31], v[34:35], 1, v[28:29]
	flat_load_ushort v30, v[30:31]
	s_waitcnt vmcnt(0) lgkmcnt(0)
	v_mul_f16_e32 v30, s30, v30
	s_branch .LBB212_187
.LBB212_186:
	v_mov_b32_e32 v30, 0
.LBB212_187:
	v_pk_add_f16 v31, v18, v26
	v_pk_max_f16 v48, v90, v90
	s_nop 0
	v_pk_min_f16 v31, v48, v31
	v_pk_add_f16 v48, v19, v27
	s_nop 0
	v_pk_min_f16 v31, v31, v48
	s_nop 0
	v_lshrrev_b32_e32 v48, 16, v31
	v_min3_f16 v48, v30, v31, v48
	v_lshl_add_u64 v[30:31], v[34:35], 1, v[24:25]
	global_store_short v[30:31], v48, off
	s_or_b64 exec, exec, s[26:27]
	s_and_b64 s[34:35], s[6:7], s[18:19]
	s_and_saveexec_b64 s[26:27], s[34:35]
	s_cbranch_execz .LBB212_175
.LBB212_188:
	s_and_b64 vcc, exec, s[0:1]
	s_cbranch_vccnz .LBB212_190
; %bb.189:
	v_lshl_add_u64 v[30:31], v[36:37], 1, v[28:29]
	flat_load_ushort v30, v[30:31]
	s_waitcnt vmcnt(0) lgkmcnt(0)
	v_mul_f16_e32 v30, s30, v30
	s_branch .LBB212_191
.LBB212_190:
	v_mov_b32_e32 v30, 0
.LBB212_191:
	v_pk_add_f16 v31, v12, v26
	v_pk_max_f16 v48, v89, v89
	s_nop 0
	v_pk_min_f16 v31, v48, v31
	v_pk_add_f16 v48, v13, v27
	s_nop 0
	v_pk_min_f16 v31, v31, v48
	s_nop 0
	v_lshrrev_b32_e32 v48, 16, v31
	v_min3_f16 v48, v30, v31, v48
	v_lshl_add_u64 v[30:31], v[36:37], 1, v[24:25]
	global_store_short v[30:31], v48, off
	s_or_b64 exec, exec, s[26:27]
	s_and_b64 s[34:35], s[8:9], s[18:19]
	s_and_saveexec_b64 s[26:27], s[34:35]
	s_cbranch_execz .LBB212_176
.LBB212_192:
	s_and_b64 vcc, exec, s[0:1]
	s_cbranch_vccnz .LBB212_194
; %bb.193:
	v_lshl_add_u64 v[30:31], v[38:39], 1, v[28:29]
	flat_load_ushort v30, v[30:31]
	s_waitcnt vmcnt(0) lgkmcnt(0)
	v_mul_f16_e32 v30, s30, v30
	s_branch .LBB212_195
.LBB212_194:
	v_mov_b32_e32 v30, 0
.LBB212_195:
	v_pk_add_f16 v31, v14, v26
	v_pk_max_f16 v48, v88, v88
	s_nop 0
	v_pk_min_f16 v31, v48, v31
	v_pk_add_f16 v48, v15, v27
	s_nop 0
	v_pk_min_f16 v31, v31, v48
	s_nop 0
	v_lshrrev_b32_e32 v48, 16, v31
	v_min3_f16 v48, v30, v31, v48
	v_lshl_add_u64 v[30:31], v[38:39], 1, v[24:25]
	global_store_short v[30:31], v48, off
	s_or_b64 exec, exec, s[26:27]
	s_and_b64 s[34:35], s[10:11], s[18:19]
	s_and_saveexec_b64 s[26:27], s[34:35]
	s_cbranch_execz .LBB212_177
.LBB212_196:
	s_and_b64 vcc, exec, s[0:1]
	s_cbranch_vccnz .LBB212_198
; %bb.197:
	v_lshl_add_u64 v[30:31], v[40:41], 1, v[28:29]
	flat_load_ushort v30, v[30:31]
	s_waitcnt vmcnt(0) lgkmcnt(0)
	v_mul_f16_e32 v30, s30, v30
	s_branch .LBB212_199
.LBB212_198:
	v_mov_b32_e32 v30, 0
.LBB212_199:
	v_pk_add_f16 v31, v8, v26
	v_pk_max_f16 v48, v87, v87
	s_nop 0
	v_pk_min_f16 v31, v48, v31
	v_pk_add_f16 v48, v9, v27
	s_nop 0
	v_pk_min_f16 v31, v31, v48
	s_nop 0
	v_lshrrev_b32_e32 v48, 16, v31
	v_min3_f16 v48, v30, v31, v48
	v_lshl_add_u64 v[30:31], v[40:41], 1, v[24:25]
	global_store_short v[30:31], v48, off
	s_or_b64 exec, exec, s[26:27]
	s_and_b64 s[34:35], s[12:13], s[18:19]
	s_and_saveexec_b64 s[26:27], s[34:35]
	s_cbranch_execz .LBB212_178
.LBB212_200:
	s_and_b64 vcc, exec, s[0:1]
	s_cbranch_vccnz .LBB212_202
; %bb.201:
	v_lshl_add_u64 v[30:31], v[42:43], 1, v[28:29]
	flat_load_ushort v30, v[30:31]
	s_waitcnt vmcnt(0) lgkmcnt(0)
	v_mul_f16_e32 v30, s30, v30
	s_branch .LBB212_203
.LBB212_202:
	v_mov_b32_e32 v30, 0
.LBB212_203:
	v_pk_add_f16 v31, v10, v26
	v_pk_max_f16 v48, v86, v86
	s_nop 0
	v_pk_min_f16 v31, v48, v31
	v_pk_add_f16 v48, v11, v27
	s_nop 0
	v_pk_min_f16 v31, v31, v48
	s_nop 0
	v_lshrrev_b32_e32 v48, 16, v31
	v_min3_f16 v48, v30, v31, v48
	v_lshl_add_u64 v[30:31], v[42:43], 1, v[24:25]
	global_store_short v[30:31], v48, off
	s_or_b64 exec, exec, s[26:27]
	s_and_b64 s[34:35], s[14:15], s[18:19]
	s_and_saveexec_b64 s[26:27], s[34:35]
	s_cbranch_execz .LBB212_179
.LBB212_204:
	s_and_b64 vcc, exec, s[0:1]
	s_cbranch_vccnz .LBB212_206
; %bb.205:
	v_lshl_add_u64 v[30:31], v[44:45], 1, v[28:29]
	flat_load_ushort v30, v[30:31]
	s_waitcnt vmcnt(0) lgkmcnt(0)
	v_mul_f16_e32 v30, s30, v30
	s_branch .LBB212_207
.LBB212_206:
	v_mov_b32_e32 v30, 0
.LBB212_207:
	v_pk_add_f16 v31, v0, v26
	v_pk_max_f16 v48, v85, v85
	s_nop 0
	v_pk_min_f16 v31, v48, v31
	v_pk_add_f16 v48, v1, v27
	s_nop 0
	v_pk_min_f16 v31, v31, v48
	s_nop 0
	v_lshrrev_b32_e32 v48, 16, v31
	v_min3_f16 v48, v30, v31, v48
	v_lshl_add_u64 v[30:31], v[44:45], 1, v[24:25]
	global_store_short v[30:31], v48, off
	s_or_b64 exec, exec, s[26:27]
	s_and_b64 s[26:27], s[16:17], s[18:19]
	s_and_saveexec_b64 s[18:19], s[26:27]
	s_cbranch_execz .LBB212_212
.LBB212_208:
	s_and_b64 vcc, exec, s[0:1]
	s_cbranch_vccnz .LBB212_210
; %bb.209:
	v_lshl_add_u64 v[28:29], v[46:47], 1, v[28:29]
	flat_load_ushort v28, v[28:29]
	s_waitcnt vmcnt(0) lgkmcnt(0)
	v_mul_f16_e32 v28, s30, v28
	s_branch .LBB212_211
.LBB212_210:
	v_mov_b32_e32 v28, 0
.LBB212_211:
	v_pk_add_f16 v26, v2, v26
	v_pk_max_f16 v29, v84, v84
	v_pk_add_f16 v27, v3, v27
	v_pk_min_f16 v26, v29, v26
	v_lshl_add_u64 v[24:25], v[46:47], 1, v[24:25]
	v_pk_min_f16 v26, v26, v27
	s_nop 0
	v_lshrrev_b32_e32 v27, 16, v26
	v_min3_f16 v26, v28, v26, v27
	global_store_short v[24:25], v26, off
.LBB212_212:
	s_or_b64 exec, exec, s[18:19]
	v_add_u32_e32 v28, 32, v99
	v_mad_i64_i32 v[24:25], s[26:27], v28, s29, 0
	v_cmp_gt_i32_e64 s[18:19], s21, v28
	v_lshl_add_u64 v[26:27], v[24:25], 1, s[24:25]
	v_mad_i64_i32 v[24:25], s[26:27], v28, s28, 0
	v_lshl_add_u64 v[24:25], v[24:25], 1, s[22:23]
	s_and_b64 s[34:35], s[2:3], s[18:19]
	s_and_saveexec_b64 s[26:27], s[34:35]
	s_cbranch_execnz .LBB212_220
; %bb.213:
	s_or_b64 exec, exec, s[26:27]
	s_and_b64 s[34:35], s[4:5], s[18:19]
	s_and_saveexec_b64 s[26:27], s[34:35]
	s_cbranch_execnz .LBB212_224
.LBB212_214:
	s_or_b64 exec, exec, s[26:27]
	s_and_b64 s[34:35], s[6:7], s[18:19]
	s_and_saveexec_b64 s[26:27], s[34:35]
	s_cbranch_execnz .LBB212_228
.LBB212_215:
	s_or_b64 exec, exec, s[26:27]
	s_and_b64 s[34:35], s[8:9], s[18:19]
	s_and_saveexec_b64 s[26:27], s[34:35]
	s_cbranch_execnz .LBB212_232
.LBB212_216:
	s_or_b64 exec, exec, s[26:27]
	s_and_b64 s[34:35], s[10:11], s[18:19]
	s_and_saveexec_b64 s[26:27], s[34:35]
	s_cbranch_execnz .LBB212_236
.LBB212_217:
	s_or_b64 exec, exec, s[26:27]
	s_and_b64 s[34:35], s[12:13], s[18:19]
	s_and_saveexec_b64 s[26:27], s[34:35]
	s_cbranch_execnz .LBB212_240
.LBB212_218:
	s_or_b64 exec, exec, s[26:27]
	s_and_b64 s[34:35], s[14:15], s[18:19]
	s_and_saveexec_b64 s[26:27], s[34:35]
	s_cbranch_execnz .LBB212_244
.LBB212_219:
	s_or_b64 exec, exec, s[26:27]
	s_and_b64 s[26:27], s[16:17], s[18:19]
	s_and_saveexec_b64 s[18:19], s[26:27]
	s_cbranch_execnz .LBB212_248
	s_branch .LBB212_252
.LBB212_220:
	s_and_b64 vcc, exec, s[0:1]
	s_cbranch_vccnz .LBB212_222
; %bb.221:
	v_lshl_add_u64 v[28:29], v[32:33], 1, v[26:27]
	flat_load_ushort v28, v[28:29]
	s_waitcnt vmcnt(0) lgkmcnt(0)
	v_mul_f16_e32 v28, s30, v28
	s_branch .LBB212_223
.LBB212_222:
	v_mov_b32_e32 v28, 0
.LBB212_223:
	v_pk_add_f16 v29, v16, v20
	v_pk_max_f16 v30, v83, v83
	s_nop 0
	v_pk_min_f16 v29, v30, v29
	v_pk_add_f16 v30, v17, v21
	s_nop 0
	v_pk_min_f16 v29, v29, v30
	s_nop 0
	v_lshrrev_b32_e32 v30, 16, v29
	v_min3_f16 v30, v28, v29, v30
	v_lshl_add_u64 v[28:29], v[32:33], 1, v[24:25]
	global_store_short v[28:29], v30, off
	s_or_b64 exec, exec, s[26:27]
	s_and_b64 s[34:35], s[4:5], s[18:19]
	s_and_saveexec_b64 s[26:27], s[34:35]
	s_cbranch_execz .LBB212_214
.LBB212_224:
	s_and_b64 vcc, exec, s[0:1]
	s_cbranch_vccnz .LBB212_226
; %bb.225:
	v_lshl_add_u64 v[28:29], v[34:35], 1, v[26:27]
	flat_load_ushort v28, v[28:29]
	s_waitcnt vmcnt(0) lgkmcnt(0)
	v_mul_f16_e32 v28, s30, v28
	s_branch .LBB212_227
.LBB212_226:
	v_mov_b32_e32 v28, 0
.LBB212_227:
	v_pk_add_f16 v29, v18, v20
	v_pk_max_f16 v30, v82, v82
	s_nop 0
	v_pk_min_f16 v29, v30, v29
	v_pk_add_f16 v30, v19, v21
	s_nop 0
	v_pk_min_f16 v29, v29, v30
	s_nop 0
	v_lshrrev_b32_e32 v30, 16, v29
	v_min3_f16 v30, v28, v29, v30
	v_lshl_add_u64 v[28:29], v[34:35], 1, v[24:25]
	global_store_short v[28:29], v30, off
	s_or_b64 exec, exec, s[26:27]
	s_and_b64 s[34:35], s[6:7], s[18:19]
	s_and_saveexec_b64 s[26:27], s[34:35]
	s_cbranch_execz .LBB212_215
.LBB212_228:
	s_and_b64 vcc, exec, s[0:1]
	s_cbranch_vccnz .LBB212_230
; %bb.229:
	v_lshl_add_u64 v[28:29], v[36:37], 1, v[26:27]
	flat_load_ushort v28, v[28:29]
	s_waitcnt vmcnt(0) lgkmcnt(0)
	v_mul_f16_e32 v28, s30, v28
	s_branch .LBB212_231
.LBB212_230:
	v_mov_b32_e32 v28, 0
.LBB212_231:
	v_pk_add_f16 v29, v12, v20
	v_pk_max_f16 v30, v81, v81
	s_nop 0
	v_pk_min_f16 v29, v30, v29
	v_pk_add_f16 v30, v13, v21
	s_nop 0
	v_pk_min_f16 v29, v29, v30
	s_nop 0
	v_lshrrev_b32_e32 v30, 16, v29
	v_min3_f16 v30, v28, v29, v30
	v_lshl_add_u64 v[28:29], v[36:37], 1, v[24:25]
	global_store_short v[28:29], v30, off
	s_or_b64 exec, exec, s[26:27]
	s_and_b64 s[34:35], s[8:9], s[18:19]
	s_and_saveexec_b64 s[26:27], s[34:35]
	s_cbranch_execz .LBB212_216
.LBB212_232:
	s_and_b64 vcc, exec, s[0:1]
	s_cbranch_vccnz .LBB212_234
; %bb.233:
	v_lshl_add_u64 v[28:29], v[38:39], 1, v[26:27]
	flat_load_ushort v28, v[28:29]
	s_waitcnt vmcnt(0) lgkmcnt(0)
	v_mul_f16_e32 v28, s30, v28
	s_branch .LBB212_235
.LBB212_234:
	v_mov_b32_e32 v28, 0
.LBB212_235:
	v_pk_add_f16 v29, v14, v20
	v_pk_max_f16 v30, v80, v80
	s_nop 0
	v_pk_min_f16 v29, v30, v29
	v_pk_add_f16 v30, v15, v21
	s_nop 0
	v_pk_min_f16 v29, v29, v30
	s_nop 0
	v_lshrrev_b32_e32 v30, 16, v29
	v_min3_f16 v30, v28, v29, v30
	v_lshl_add_u64 v[28:29], v[38:39], 1, v[24:25]
	global_store_short v[28:29], v30, off
	s_or_b64 exec, exec, s[26:27]
	s_and_b64 s[34:35], s[10:11], s[18:19]
	s_and_saveexec_b64 s[26:27], s[34:35]
	s_cbranch_execz .LBB212_217
.LBB212_236:
	s_and_b64 vcc, exec, s[0:1]
	s_cbranch_vccnz .LBB212_238
; %bb.237:
	v_lshl_add_u64 v[28:29], v[40:41], 1, v[26:27]
	flat_load_ushort v28, v[28:29]
	s_waitcnt vmcnt(0) lgkmcnt(0)
	v_mul_f16_e32 v28, s30, v28
	s_branch .LBB212_239
.LBB212_238:
	v_mov_b32_e32 v28, 0
.LBB212_239:
	v_pk_add_f16 v29, v8, v20
	v_pk_max_f16 v30, v79, v79
	s_nop 0
	v_pk_min_f16 v29, v30, v29
	v_pk_add_f16 v30, v9, v21
	s_nop 0
	v_pk_min_f16 v29, v29, v30
	s_nop 0
	v_lshrrev_b32_e32 v30, 16, v29
	v_min3_f16 v30, v28, v29, v30
	v_lshl_add_u64 v[28:29], v[40:41], 1, v[24:25]
	global_store_short v[28:29], v30, off
	s_or_b64 exec, exec, s[26:27]
	s_and_b64 s[34:35], s[12:13], s[18:19]
	s_and_saveexec_b64 s[26:27], s[34:35]
	s_cbranch_execz .LBB212_218
.LBB212_240:
	s_and_b64 vcc, exec, s[0:1]
	s_cbranch_vccnz .LBB212_242
; %bb.241:
	v_lshl_add_u64 v[28:29], v[42:43], 1, v[26:27]
	flat_load_ushort v28, v[28:29]
	s_waitcnt vmcnt(0) lgkmcnt(0)
	v_mul_f16_e32 v28, s30, v28
	s_branch .LBB212_243
.LBB212_242:
	v_mov_b32_e32 v28, 0
.LBB212_243:
	v_pk_add_f16 v29, v10, v20
	v_pk_max_f16 v30, v78, v78
	s_nop 0
	v_pk_min_f16 v29, v30, v29
	v_pk_add_f16 v30, v11, v21
	s_nop 0
	v_pk_min_f16 v29, v29, v30
	s_nop 0
	v_lshrrev_b32_e32 v30, 16, v29
	v_min3_f16 v30, v28, v29, v30
	v_lshl_add_u64 v[28:29], v[42:43], 1, v[24:25]
	global_store_short v[28:29], v30, off
	s_or_b64 exec, exec, s[26:27]
	s_and_b64 s[34:35], s[14:15], s[18:19]
	s_and_saveexec_b64 s[26:27], s[34:35]
	s_cbranch_execz .LBB212_219
.LBB212_244:
	s_and_b64 vcc, exec, s[0:1]
	s_cbranch_vccnz .LBB212_246
; %bb.245:
	v_lshl_add_u64 v[28:29], v[44:45], 1, v[26:27]
	flat_load_ushort v28, v[28:29]
	s_waitcnt vmcnt(0) lgkmcnt(0)
	v_mul_f16_e32 v28, s30, v28
	s_branch .LBB212_247
.LBB212_246:
	v_mov_b32_e32 v28, 0
.LBB212_247:
	v_pk_add_f16 v29, v0, v20
	v_pk_max_f16 v30, v77, v77
	s_nop 0
	v_pk_min_f16 v29, v30, v29
	v_pk_add_f16 v30, v1, v21
	s_nop 0
	v_pk_min_f16 v29, v29, v30
	s_nop 0
	v_lshrrev_b32_e32 v30, 16, v29
	v_min3_f16 v30, v28, v29, v30
	v_lshl_add_u64 v[28:29], v[44:45], 1, v[24:25]
	global_store_short v[28:29], v30, off
	s_or_b64 exec, exec, s[26:27]
	s_and_b64 s[26:27], s[16:17], s[18:19]
	s_and_saveexec_b64 s[18:19], s[26:27]
	s_cbranch_execz .LBB212_252
.LBB212_248:
	s_and_b64 vcc, exec, s[0:1]
	s_cbranch_vccnz .LBB212_250
; %bb.249:
	v_lshl_add_u64 v[26:27], v[46:47], 1, v[26:27]
	flat_load_ushort v26, v[26:27]
	s_waitcnt vmcnt(0) lgkmcnt(0)
	v_mul_f16_e32 v26, s30, v26
	s_branch .LBB212_251
.LBB212_250:
	v_mov_b32_e32 v26, 0
.LBB212_251:
	v_pk_add_f16 v20, v2, v20
	v_pk_max_f16 v27, v76, v76
	v_pk_add_f16 v21, v3, v21
	v_pk_min_f16 v20, v27, v20
	s_nop 0
	v_pk_min_f16 v20, v20, v21
	s_nop 0
	v_lshrrev_b32_e32 v21, 16, v20
	v_min3_f16 v26, v26, v20, v21
	v_lshl_add_u64 v[20:21], v[46:47], 1, v[24:25]
	global_store_short v[20:21], v26, off
.LBB212_252:
	s_or_b64 exec, exec, s[18:19]
	v_add_u32_e32 v26, 40, v99
	v_mad_i64_i32 v[20:21], s[26:27], v26, s29, 0
	v_cmp_gt_i32_e64 s[18:19], s21, v26
	v_lshl_add_u64 v[24:25], v[20:21], 1, s[24:25]
	v_mad_i64_i32 v[20:21], s[26:27], v26, s28, 0
	v_lshl_add_u64 v[20:21], v[20:21], 1, s[22:23]
	s_and_b64 s[34:35], s[2:3], s[18:19]
	s_and_saveexec_b64 s[26:27], s[34:35]
	s_cbranch_execnz .LBB212_260
; %bb.253:
	s_or_b64 exec, exec, s[26:27]
	s_and_b64 s[34:35], s[4:5], s[18:19]
	s_and_saveexec_b64 s[26:27], s[34:35]
	s_cbranch_execnz .LBB212_264
.LBB212_254:
	s_or_b64 exec, exec, s[26:27]
	s_and_b64 s[34:35], s[6:7], s[18:19]
	s_and_saveexec_b64 s[26:27], s[34:35]
	s_cbranch_execnz .LBB212_268
.LBB212_255:
	s_or_b64 exec, exec, s[26:27]
	s_and_b64 s[34:35], s[8:9], s[18:19]
	s_and_saveexec_b64 s[26:27], s[34:35]
	s_cbranch_execnz .LBB212_272
.LBB212_256:
	s_or_b64 exec, exec, s[26:27]
	s_and_b64 s[34:35], s[10:11], s[18:19]
	s_and_saveexec_b64 s[26:27], s[34:35]
	s_cbranch_execnz .LBB212_276
.LBB212_257:
	s_or_b64 exec, exec, s[26:27]
	s_and_b64 s[34:35], s[12:13], s[18:19]
	s_and_saveexec_b64 s[26:27], s[34:35]
	s_cbranch_execnz .LBB212_280
.LBB212_258:
	s_or_b64 exec, exec, s[26:27]
	s_and_b64 s[34:35], s[14:15], s[18:19]
	s_and_saveexec_b64 s[26:27], s[34:35]
	s_cbranch_execnz .LBB212_284
.LBB212_259:
	s_or_b64 exec, exec, s[26:27]
	s_and_b64 s[26:27], s[16:17], s[18:19]
	s_and_saveexec_b64 s[18:19], s[26:27]
	s_cbranch_execnz .LBB212_288
	s_branch .LBB212_292
.LBB212_260:
	s_and_b64 vcc, exec, s[0:1]
	s_cbranch_vccnz .LBB212_262
; %bb.261:
	v_lshl_add_u64 v[26:27], v[32:33], 1, v[24:25]
	flat_load_ushort v26, v[26:27]
	s_waitcnt vmcnt(0) lgkmcnt(0)
	v_mul_f16_e32 v26, s30, v26
	s_branch .LBB212_263
.LBB212_262:
	v_mov_b32_e32 v26, 0
.LBB212_263:
	v_pk_add_f16 v27, v16, v22
	v_pk_max_f16 v28, v75, v75
	s_nop 0
	v_pk_min_f16 v27, v28, v27
	v_pk_add_f16 v28, v17, v23
	s_nop 0
	v_pk_min_f16 v27, v27, v28
	s_nop 0
	v_lshrrev_b32_e32 v28, 16, v27
	v_min3_f16 v28, v26, v27, v28
	v_lshl_add_u64 v[26:27], v[32:33], 1, v[20:21]
	global_store_short v[26:27], v28, off
	s_or_b64 exec, exec, s[26:27]
	s_and_b64 s[34:35], s[4:5], s[18:19]
	s_and_saveexec_b64 s[26:27], s[34:35]
	s_cbranch_execz .LBB212_254
.LBB212_264:
	s_and_b64 vcc, exec, s[0:1]
	s_cbranch_vccnz .LBB212_266
; %bb.265:
	v_lshl_add_u64 v[26:27], v[34:35], 1, v[24:25]
	flat_load_ushort v26, v[26:27]
	s_waitcnt vmcnt(0) lgkmcnt(0)
	v_mul_f16_e32 v26, s30, v26
	s_branch .LBB212_267
.LBB212_266:
	v_mov_b32_e32 v26, 0
.LBB212_267:
	v_pk_add_f16 v27, v18, v22
	v_pk_max_f16 v28, v74, v74
	s_nop 0
	v_pk_min_f16 v27, v28, v27
	v_pk_add_f16 v28, v19, v23
	s_nop 0
	v_pk_min_f16 v27, v27, v28
	s_nop 0
	v_lshrrev_b32_e32 v28, 16, v27
	v_min3_f16 v28, v26, v27, v28
	v_lshl_add_u64 v[26:27], v[34:35], 1, v[20:21]
	global_store_short v[26:27], v28, off
	s_or_b64 exec, exec, s[26:27]
	s_and_b64 s[34:35], s[6:7], s[18:19]
	s_and_saveexec_b64 s[26:27], s[34:35]
	s_cbranch_execz .LBB212_255
.LBB212_268:
	s_and_b64 vcc, exec, s[0:1]
	s_cbranch_vccnz .LBB212_270
; %bb.269:
	v_lshl_add_u64 v[26:27], v[36:37], 1, v[24:25]
	flat_load_ushort v26, v[26:27]
	s_waitcnt vmcnt(0) lgkmcnt(0)
	v_mul_f16_e32 v26, s30, v26
	s_branch .LBB212_271
.LBB212_270:
	v_mov_b32_e32 v26, 0
.LBB212_271:
	v_pk_add_f16 v27, v12, v22
	v_pk_max_f16 v28, v73, v73
	s_nop 0
	v_pk_min_f16 v27, v28, v27
	v_pk_add_f16 v28, v13, v23
	s_nop 0
	v_pk_min_f16 v27, v27, v28
	s_nop 0
	v_lshrrev_b32_e32 v28, 16, v27
	v_min3_f16 v28, v26, v27, v28
	v_lshl_add_u64 v[26:27], v[36:37], 1, v[20:21]
	global_store_short v[26:27], v28, off
	s_or_b64 exec, exec, s[26:27]
	s_and_b64 s[34:35], s[8:9], s[18:19]
	s_and_saveexec_b64 s[26:27], s[34:35]
	s_cbranch_execz .LBB212_256
.LBB212_272:
	s_and_b64 vcc, exec, s[0:1]
	s_cbranch_vccnz .LBB212_274
; %bb.273:
	v_lshl_add_u64 v[26:27], v[38:39], 1, v[24:25]
	flat_load_ushort v26, v[26:27]
	s_waitcnt vmcnt(0) lgkmcnt(0)
	v_mul_f16_e32 v26, s30, v26
	s_branch .LBB212_275
.LBB212_274:
	v_mov_b32_e32 v26, 0
.LBB212_275:
	v_pk_add_f16 v27, v14, v22
	v_pk_max_f16 v28, v72, v72
	s_nop 0
	v_pk_min_f16 v27, v28, v27
	v_pk_add_f16 v28, v15, v23
	s_nop 0
	v_pk_min_f16 v27, v27, v28
	s_nop 0
	v_lshrrev_b32_e32 v28, 16, v27
	v_min3_f16 v28, v26, v27, v28
	v_lshl_add_u64 v[26:27], v[38:39], 1, v[20:21]
	global_store_short v[26:27], v28, off
	s_or_b64 exec, exec, s[26:27]
	s_and_b64 s[34:35], s[10:11], s[18:19]
	s_and_saveexec_b64 s[26:27], s[34:35]
	s_cbranch_execz .LBB212_257
.LBB212_276:
	s_and_b64 vcc, exec, s[0:1]
	s_cbranch_vccnz .LBB212_278
; %bb.277:
	v_lshl_add_u64 v[26:27], v[40:41], 1, v[24:25]
	flat_load_ushort v26, v[26:27]
	s_waitcnt vmcnt(0) lgkmcnt(0)
	v_mul_f16_e32 v26, s30, v26
	s_branch .LBB212_279
.LBB212_278:
	v_mov_b32_e32 v26, 0
.LBB212_279:
	v_pk_add_f16 v27, v8, v22
	v_pk_max_f16 v28, v71, v71
	s_nop 0
	v_pk_min_f16 v27, v28, v27
	v_pk_add_f16 v28, v9, v23
	s_nop 0
	v_pk_min_f16 v27, v27, v28
	s_nop 0
	v_lshrrev_b32_e32 v28, 16, v27
	v_min3_f16 v28, v26, v27, v28
	v_lshl_add_u64 v[26:27], v[40:41], 1, v[20:21]
	global_store_short v[26:27], v28, off
	s_or_b64 exec, exec, s[26:27]
	s_and_b64 s[34:35], s[12:13], s[18:19]
	s_and_saveexec_b64 s[26:27], s[34:35]
	s_cbranch_execz .LBB212_258
.LBB212_280:
	s_and_b64 vcc, exec, s[0:1]
	s_cbranch_vccnz .LBB212_282
; %bb.281:
	v_lshl_add_u64 v[26:27], v[42:43], 1, v[24:25]
	flat_load_ushort v26, v[26:27]
	s_waitcnt vmcnt(0) lgkmcnt(0)
	v_mul_f16_e32 v26, s30, v26
	s_branch .LBB212_283
.LBB212_282:
	v_mov_b32_e32 v26, 0
.LBB212_283:
	v_pk_add_f16 v27, v10, v22
	v_pk_max_f16 v28, v70, v70
	s_nop 0
	v_pk_min_f16 v27, v28, v27
	v_pk_add_f16 v28, v11, v23
	s_nop 0
	v_pk_min_f16 v27, v27, v28
	s_nop 0
	v_lshrrev_b32_e32 v28, 16, v27
	v_min3_f16 v28, v26, v27, v28
	v_lshl_add_u64 v[26:27], v[42:43], 1, v[20:21]
	global_store_short v[26:27], v28, off
	s_or_b64 exec, exec, s[26:27]
	s_and_b64 s[34:35], s[14:15], s[18:19]
	s_and_saveexec_b64 s[26:27], s[34:35]
	s_cbranch_execz .LBB212_259
.LBB212_284:
	s_and_b64 vcc, exec, s[0:1]
	s_cbranch_vccnz .LBB212_286
; %bb.285:
	v_lshl_add_u64 v[26:27], v[44:45], 1, v[24:25]
	flat_load_ushort v26, v[26:27]
	s_waitcnt vmcnt(0) lgkmcnt(0)
	v_mul_f16_e32 v26, s30, v26
	s_branch .LBB212_287
.LBB212_286:
	v_mov_b32_e32 v26, 0
.LBB212_287:
	v_pk_add_f16 v27, v0, v22
	v_pk_max_f16 v28, v69, v69
	s_nop 0
	v_pk_min_f16 v27, v28, v27
	v_pk_add_f16 v28, v1, v23
	s_nop 0
	v_pk_min_f16 v27, v27, v28
	s_nop 0
	v_lshrrev_b32_e32 v28, 16, v27
	v_min3_f16 v28, v26, v27, v28
	v_lshl_add_u64 v[26:27], v[44:45], 1, v[20:21]
	global_store_short v[26:27], v28, off
	s_or_b64 exec, exec, s[26:27]
	s_and_b64 s[26:27], s[16:17], s[18:19]
	s_and_saveexec_b64 s[18:19], s[26:27]
	s_cbranch_execz .LBB212_292
.LBB212_288:
	s_and_b64 vcc, exec, s[0:1]
	s_cbranch_vccnz .LBB212_290
; %bb.289:
	v_lshl_add_u64 v[24:25], v[46:47], 1, v[24:25]
	flat_load_ushort v24, v[24:25]
	s_waitcnt vmcnt(0) lgkmcnt(0)
	v_mul_f16_e32 v24, s30, v24
	s_branch .LBB212_291
.LBB212_290:
	v_mov_b32_e32 v24, 0
.LBB212_291:
	v_pk_add_f16 v22, v2, v22
	v_pk_max_f16 v25, v68, v68
	v_pk_add_f16 v23, v3, v23
	v_pk_min_f16 v22, v25, v22
	v_lshl_add_u64 v[20:21], v[46:47], 1, v[20:21]
	v_pk_min_f16 v22, v22, v23
	s_nop 0
	v_lshrrev_b32_e32 v23, 16, v22
	v_min3_f16 v22, v24, v22, v23
	global_store_short v[20:21], v22, off
.LBB212_292:
	s_or_b64 exec, exec, s[18:19]
	v_add_u32_e32 v24, 48, v99
	v_mad_i64_i32 v[20:21], s[26:27], v24, s29, 0
	v_cmp_gt_i32_e64 s[18:19], s21, v24
	v_lshl_add_u64 v[22:23], v[20:21], 1, s[24:25]
	v_mad_i64_i32 v[20:21], s[26:27], v24, s28, 0
	v_lshl_add_u64 v[20:21], v[20:21], 1, s[22:23]
	s_and_b64 s[34:35], s[2:3], s[18:19]
	s_and_saveexec_b64 s[26:27], s[34:35]
	s_cbranch_execnz .LBB212_300
; %bb.293:
	s_or_b64 exec, exec, s[26:27]
	s_and_b64 s[34:35], s[4:5], s[18:19]
	s_and_saveexec_b64 s[26:27], s[34:35]
	s_cbranch_execnz .LBB212_304
.LBB212_294:
	s_or_b64 exec, exec, s[26:27]
	s_and_b64 s[34:35], s[6:7], s[18:19]
	s_and_saveexec_b64 s[26:27], s[34:35]
	s_cbranch_execnz .LBB212_308
.LBB212_295:
	s_or_b64 exec, exec, s[26:27]
	s_and_b64 s[34:35], s[8:9], s[18:19]
	s_and_saveexec_b64 s[26:27], s[34:35]
	s_cbranch_execnz .LBB212_312
.LBB212_296:
	s_or_b64 exec, exec, s[26:27]
	s_and_b64 s[34:35], s[10:11], s[18:19]
	s_and_saveexec_b64 s[26:27], s[34:35]
	s_cbranch_execnz .LBB212_316
.LBB212_297:
	s_or_b64 exec, exec, s[26:27]
	s_and_b64 s[34:35], s[12:13], s[18:19]
	s_and_saveexec_b64 s[26:27], s[34:35]
	s_cbranch_execnz .LBB212_320
.LBB212_298:
	s_or_b64 exec, exec, s[26:27]
	s_and_b64 s[34:35], s[14:15], s[18:19]
	s_and_saveexec_b64 s[26:27], s[34:35]
	s_cbranch_execnz .LBB212_324
.LBB212_299:
	s_or_b64 exec, exec, s[26:27]
	s_and_b64 s[26:27], s[16:17], s[18:19]
	s_and_saveexec_b64 s[18:19], s[26:27]
	s_cbranch_execnz .LBB212_328
	s_branch .LBB212_332
.LBB212_300:
	s_and_b64 vcc, exec, s[0:1]
	s_cbranch_vccnz .LBB212_302
; %bb.301:
	v_lshl_add_u64 v[24:25], v[32:33], 1, v[22:23]
	flat_load_ushort v24, v[24:25]
	s_waitcnt vmcnt(0) lgkmcnt(0)
	v_mul_f16_e32 v24, s30, v24
	s_branch .LBB212_303
.LBB212_302:
	v_mov_b32_e32 v24, 0
.LBB212_303:
	v_pk_add_f16 v25, v16, v4
	v_pk_max_f16 v26, v67, v67
	s_nop 0
	v_pk_min_f16 v25, v26, v25
	v_pk_add_f16 v26, v17, v5
	s_nop 0
	v_pk_min_f16 v25, v25, v26
	s_nop 0
	v_lshrrev_b32_e32 v26, 16, v25
	v_min3_f16 v26, v24, v25, v26
	v_lshl_add_u64 v[24:25], v[32:33], 1, v[20:21]
	global_store_short v[24:25], v26, off
	s_or_b64 exec, exec, s[26:27]
	s_and_b64 s[34:35], s[4:5], s[18:19]
	s_and_saveexec_b64 s[26:27], s[34:35]
	s_cbranch_execz .LBB212_294
.LBB212_304:
	s_and_b64 vcc, exec, s[0:1]
	s_cbranch_vccnz .LBB212_306
; %bb.305:
	v_lshl_add_u64 v[24:25], v[34:35], 1, v[22:23]
	flat_load_ushort v24, v[24:25]
	s_waitcnt vmcnt(0) lgkmcnt(0)
	v_mul_f16_e32 v24, s30, v24
	s_branch .LBB212_307
.LBB212_306:
	v_mov_b32_e32 v24, 0
.LBB212_307:
	v_pk_add_f16 v25, v18, v4
	v_pk_max_f16 v26, v66, v66
	s_nop 0
	v_pk_min_f16 v25, v26, v25
	v_pk_add_f16 v26, v19, v5
	s_nop 0
	v_pk_min_f16 v25, v25, v26
	s_nop 0
	v_lshrrev_b32_e32 v26, 16, v25
	v_min3_f16 v26, v24, v25, v26
	v_lshl_add_u64 v[24:25], v[34:35], 1, v[20:21]
	global_store_short v[24:25], v26, off
	s_or_b64 exec, exec, s[26:27]
	s_and_b64 s[34:35], s[6:7], s[18:19]
	s_and_saveexec_b64 s[26:27], s[34:35]
	s_cbranch_execz .LBB212_295
.LBB212_308:
	s_and_b64 vcc, exec, s[0:1]
	s_cbranch_vccnz .LBB212_310
; %bb.309:
	v_lshl_add_u64 v[24:25], v[36:37], 1, v[22:23]
	flat_load_ushort v24, v[24:25]
	s_waitcnt vmcnt(0) lgkmcnt(0)
	v_mul_f16_e32 v24, s30, v24
	s_branch .LBB212_311
.LBB212_310:
	v_mov_b32_e32 v24, 0
.LBB212_311:
	v_pk_add_f16 v25, v12, v4
	v_pk_max_f16 v26, v65, v65
	s_nop 0
	v_pk_min_f16 v25, v26, v25
	v_pk_add_f16 v26, v13, v5
	s_nop 0
	v_pk_min_f16 v25, v25, v26
	s_nop 0
	v_lshrrev_b32_e32 v26, 16, v25
	v_min3_f16 v26, v24, v25, v26
	v_lshl_add_u64 v[24:25], v[36:37], 1, v[20:21]
	global_store_short v[24:25], v26, off
	s_or_b64 exec, exec, s[26:27]
	s_and_b64 s[34:35], s[8:9], s[18:19]
	s_and_saveexec_b64 s[26:27], s[34:35]
	s_cbranch_execz .LBB212_296
.LBB212_312:
	s_and_b64 vcc, exec, s[0:1]
	s_cbranch_vccnz .LBB212_314
; %bb.313:
	v_lshl_add_u64 v[24:25], v[38:39], 1, v[22:23]
	flat_load_ushort v24, v[24:25]
	s_waitcnt vmcnt(0) lgkmcnt(0)
	v_mul_f16_e32 v24, s30, v24
	s_branch .LBB212_315
.LBB212_314:
	v_mov_b32_e32 v24, 0
.LBB212_315:
	v_pk_add_f16 v25, v14, v4
	v_pk_max_f16 v26, v64, v64
	s_nop 0
	v_pk_min_f16 v25, v26, v25
	v_pk_add_f16 v26, v15, v5
	s_nop 0
	v_pk_min_f16 v25, v25, v26
	s_nop 0
	v_lshrrev_b32_e32 v26, 16, v25
	v_min3_f16 v26, v24, v25, v26
	v_lshl_add_u64 v[24:25], v[38:39], 1, v[20:21]
	global_store_short v[24:25], v26, off
	s_or_b64 exec, exec, s[26:27]
	s_and_b64 s[34:35], s[10:11], s[18:19]
	s_and_saveexec_b64 s[26:27], s[34:35]
	s_cbranch_execz .LBB212_297
.LBB212_316:
	s_and_b64 vcc, exec, s[0:1]
	s_cbranch_vccnz .LBB212_318
; %bb.317:
	v_lshl_add_u64 v[24:25], v[40:41], 1, v[22:23]
	flat_load_ushort v24, v[24:25]
	s_waitcnt vmcnt(0) lgkmcnt(0)
	v_mul_f16_e32 v24, s30, v24
	s_branch .LBB212_319
.LBB212_318:
	v_mov_b32_e32 v24, 0
.LBB212_319:
	v_pk_add_f16 v25, v8, v4
	v_pk_max_f16 v26, v63, v63
	s_nop 0
	v_pk_min_f16 v25, v26, v25
	v_pk_add_f16 v26, v9, v5
	s_nop 0
	v_pk_min_f16 v25, v25, v26
	s_nop 0
	v_lshrrev_b32_e32 v26, 16, v25
	v_min3_f16 v26, v24, v25, v26
	v_lshl_add_u64 v[24:25], v[40:41], 1, v[20:21]
	global_store_short v[24:25], v26, off
	s_or_b64 exec, exec, s[26:27]
	s_and_b64 s[34:35], s[12:13], s[18:19]
	s_and_saveexec_b64 s[26:27], s[34:35]
	s_cbranch_execz .LBB212_298
.LBB212_320:
	s_and_b64 vcc, exec, s[0:1]
	s_cbranch_vccnz .LBB212_322
; %bb.321:
	v_lshl_add_u64 v[24:25], v[42:43], 1, v[22:23]
	flat_load_ushort v24, v[24:25]
	s_waitcnt vmcnt(0) lgkmcnt(0)
	v_mul_f16_e32 v24, s30, v24
	s_branch .LBB212_323
.LBB212_322:
	v_mov_b32_e32 v24, 0
.LBB212_323:
	v_pk_add_f16 v25, v10, v4
	v_pk_max_f16 v26, v62, v62
	s_nop 0
	v_pk_min_f16 v25, v26, v25
	v_pk_add_f16 v26, v11, v5
	s_nop 0
	v_pk_min_f16 v25, v25, v26
	s_nop 0
	v_lshrrev_b32_e32 v26, 16, v25
	v_min3_f16 v26, v24, v25, v26
	v_lshl_add_u64 v[24:25], v[42:43], 1, v[20:21]
	global_store_short v[24:25], v26, off
	s_or_b64 exec, exec, s[26:27]
	s_and_b64 s[34:35], s[14:15], s[18:19]
	s_and_saveexec_b64 s[26:27], s[34:35]
	s_cbranch_execz .LBB212_299
.LBB212_324:
	s_and_b64 vcc, exec, s[0:1]
	s_cbranch_vccnz .LBB212_326
; %bb.325:
	v_lshl_add_u64 v[24:25], v[44:45], 1, v[22:23]
	flat_load_ushort v24, v[24:25]
	s_waitcnt vmcnt(0) lgkmcnt(0)
	v_mul_f16_e32 v24, s30, v24
	s_branch .LBB212_327
.LBB212_326:
	v_mov_b32_e32 v24, 0
.LBB212_327:
	v_pk_add_f16 v25, v0, v4
	v_pk_max_f16 v26, v60, v60
	s_nop 0
	v_pk_min_f16 v25, v26, v25
	v_pk_add_f16 v26, v1, v5
	s_nop 0
	v_pk_min_f16 v25, v25, v26
	s_nop 0
	v_lshrrev_b32_e32 v26, 16, v25
	v_min3_f16 v26, v24, v25, v26
	v_lshl_add_u64 v[24:25], v[44:45], 1, v[20:21]
	global_store_short v[24:25], v26, off
	s_or_b64 exec, exec, s[26:27]
	s_and_b64 s[26:27], s[16:17], s[18:19]
	s_and_saveexec_b64 s[18:19], s[26:27]
	s_cbranch_execz .LBB212_332
.LBB212_328:
	s_and_b64 vcc, exec, s[0:1]
	s_cbranch_vccnz .LBB212_330
; %bb.329:
	v_lshl_add_u64 v[22:23], v[46:47], 1, v[22:23]
	flat_load_ushort v22, v[22:23]
	s_waitcnt vmcnt(0) lgkmcnt(0)
	v_mul_f16_e32 v22, s30, v22
	s_branch .LBB212_331
.LBB212_330:
	v_mov_b32_e32 v22, 0
.LBB212_331:
	v_pk_add_f16 v4, v2, v4
	v_pk_max_f16 v23, v59, v59
	v_pk_add_f16 v5, v3, v5
	v_pk_min_f16 v4, v23, v4
	s_nop 0
	v_pk_min_f16 v4, v4, v5
	s_nop 0
	v_lshrrev_b32_e32 v5, 16, v4
	v_min3_f16 v22, v22, v4, v5
	v_lshl_add_u64 v[4:5], v[46:47], 1, v[20:21]
	global_store_short v[4:5], v22, off
.LBB212_332:
	s_or_b64 exec, exec, s[18:19]
	v_add_u32_e32 v22, 56, v99
	v_cmp_gt_i32_e64 s[18:19], s21, v22
	v_mad_i64_i32 v[4:5], s[20:21], v22, s29, 0
	v_lshl_add_u64 v[20:21], v[4:5], 1, s[24:25]
	v_mad_i64_i32 v[4:5], s[20:21], v22, s28, 0
	v_lshl_add_u64 v[4:5], v[4:5], 1, s[22:23]
	s_and_b64 s[20:21], s[2:3], s[18:19]
	s_and_saveexec_b64 s[2:3], s[20:21]
	s_cbranch_execnz .LBB212_341
; %bb.333:
	s_or_b64 exec, exec, s[2:3]
	s_and_b64 s[4:5], s[4:5], s[18:19]
	s_and_saveexec_b64 s[2:3], s[4:5]
	s_cbranch_execnz .LBB212_345
.LBB212_334:
	s_or_b64 exec, exec, s[2:3]
	s_and_b64 s[4:5], s[6:7], s[18:19]
	s_and_saveexec_b64 s[2:3], s[4:5]
	s_cbranch_execnz .LBB212_349
.LBB212_335:
	s_or_b64 exec, exec, s[2:3]
	s_and_b64 s[4:5], s[8:9], s[18:19]
	s_and_saveexec_b64 s[2:3], s[4:5]
	s_cbranch_execnz .LBB212_353
.LBB212_336:
	s_or_b64 exec, exec, s[2:3]
	s_and_b64 s[4:5], s[10:11], s[18:19]
	s_and_saveexec_b64 s[2:3], s[4:5]
	s_cbranch_execnz .LBB212_357
.LBB212_337:
	s_or_b64 exec, exec, s[2:3]
	s_and_b64 s[4:5], s[12:13], s[18:19]
	s_and_saveexec_b64 s[2:3], s[4:5]
	s_cbranch_execnz .LBB212_361
.LBB212_338:
	s_or_b64 exec, exec, s[2:3]
	s_and_b64 s[4:5], s[14:15], s[18:19]
	s_and_saveexec_b64 s[2:3], s[4:5]
	s_cbranch_execnz .LBB212_365
.LBB212_339:
	s_or_b64 exec, exec, s[2:3]
	s_and_b64 s[2:3], s[16:17], s[18:19]
	s_and_saveexec_b64 s[4:5], s[2:3]
	s_cbranch_execnz .LBB212_369
.LBB212_340:
	s_endpgm
.LBB212_341:
	s_and_b64 vcc, exec, s[0:1]
	s_cbranch_vccnz .LBB212_343
; %bb.342:
	v_lshl_add_u64 v[22:23], v[32:33], 1, v[20:21]
	flat_load_ushort v22, v[22:23]
	s_waitcnt vmcnt(0) lgkmcnt(0)
	v_mul_f16_e32 v22, s30, v22
	s_branch .LBB212_344
.LBB212_343:
	v_mov_b32_e32 v22, 0
.LBB212_344:
	v_pk_add_f16 v16, v16, v6
	v_pk_max_f16 v23, v58, v58
	v_pk_add_f16 v17, v17, v7
	v_pk_min_f16 v16, v23, v16
	s_nop 0
	v_pk_min_f16 v16, v16, v17
	s_nop 0
	v_lshrrev_b32_e32 v17, 16, v16
	v_min3_f16 v22, v22, v16, v17
	v_lshl_add_u64 v[16:17], v[32:33], 1, v[4:5]
	global_store_short v[16:17], v22, off
	s_or_b64 exec, exec, s[2:3]
	s_and_b64 s[4:5], s[4:5], s[18:19]
	s_and_saveexec_b64 s[2:3], s[4:5]
	s_cbranch_execz .LBB212_334
.LBB212_345:
	s_and_b64 vcc, exec, s[0:1]
	s_cbranch_vccnz .LBB212_347
; %bb.346:
	v_lshl_add_u64 v[16:17], v[34:35], 1, v[20:21]
	flat_load_ushort v16, v[16:17]
	s_waitcnt vmcnt(0) lgkmcnt(0)
	v_mul_f16_e32 v16, s30, v16
	s_branch .LBB212_348
.LBB212_347:
	v_mov_b32_e32 v16, 0
.LBB212_348:
	v_pk_add_f16 v17, v18, v6
	v_pk_max_f16 v18, v57, v57
	s_nop 0
	v_pk_min_f16 v17, v18, v17
	v_pk_add_f16 v18, v19, v7
	s_nop 0
	v_pk_min_f16 v17, v17, v18
	s_nop 0
	v_lshrrev_b32_e32 v18, 16, v17
	v_min3_f16 v18, v16, v17, v18
	v_lshl_add_u64 v[16:17], v[34:35], 1, v[4:5]
	global_store_short v[16:17], v18, off
	s_or_b64 exec, exec, s[2:3]
	s_and_b64 s[4:5], s[6:7], s[18:19]
	s_and_saveexec_b64 s[2:3], s[4:5]
	s_cbranch_execz .LBB212_335
.LBB212_349:
	s_and_b64 vcc, exec, s[0:1]
	s_cbranch_vccnz .LBB212_351
; %bb.350:
	v_lshl_add_u64 v[16:17], v[36:37], 1, v[20:21]
	flat_load_ushort v16, v[16:17]
	s_waitcnt vmcnt(0) lgkmcnt(0)
	v_mul_f16_e32 v16, s30, v16
	s_branch .LBB212_352
.LBB212_351:
	v_mov_b32_e32 v16, 0
.LBB212_352:
	v_pk_add_f16 v12, v12, v6
	v_pk_max_f16 v17, v56, v56
	v_pk_add_f16 v13, v13, v7
	v_pk_min_f16 v12, v17, v12
	s_nop 0
	v_pk_min_f16 v12, v12, v13
	s_nop 0
	v_lshrrev_b32_e32 v13, 16, v12
	v_min3_f16 v16, v16, v12, v13
	v_lshl_add_u64 v[12:13], v[36:37], 1, v[4:5]
	global_store_short v[12:13], v16, off
	s_or_b64 exec, exec, s[2:3]
	s_and_b64 s[4:5], s[8:9], s[18:19]
	s_and_saveexec_b64 s[2:3], s[4:5]
	s_cbranch_execz .LBB212_336
.LBB212_353:
	s_and_b64 vcc, exec, s[0:1]
	s_cbranch_vccnz .LBB212_355
; %bb.354:
	v_lshl_add_u64 v[12:13], v[38:39], 1, v[20:21]
	flat_load_ushort v12, v[12:13]
	s_waitcnt vmcnt(0) lgkmcnt(0)
	v_mul_f16_e32 v12, s30, v12
	s_branch .LBB212_356
.LBB212_355:
	v_mov_b32_e32 v12, 0
.LBB212_356:
	v_pk_add_f16 v13, v14, v6
	v_pk_max_f16 v14, v55, v55
	s_nop 0
	v_pk_min_f16 v13, v14, v13
	v_pk_add_f16 v14, v15, v7
	s_nop 0
	v_pk_min_f16 v13, v13, v14
	s_nop 0
	v_lshrrev_b32_e32 v14, 16, v13
	v_min3_f16 v14, v12, v13, v14
	v_lshl_add_u64 v[12:13], v[38:39], 1, v[4:5]
	global_store_short v[12:13], v14, off
	s_or_b64 exec, exec, s[2:3]
	s_and_b64 s[4:5], s[10:11], s[18:19]
	s_and_saveexec_b64 s[2:3], s[4:5]
	s_cbranch_execz .LBB212_337
.LBB212_357:
	s_and_b64 vcc, exec, s[0:1]
	s_cbranch_vccnz .LBB212_359
; %bb.358:
	v_lshl_add_u64 v[12:13], v[40:41], 1, v[20:21]
	flat_load_ushort v12, v[12:13]
	s_waitcnt vmcnt(0) lgkmcnt(0)
	v_mul_f16_e32 v12, s30, v12
	s_branch .LBB212_360
.LBB212_359:
	v_mov_b32_e32 v12, 0
.LBB212_360:
	v_pk_add_f16 v8, v8, v6
	v_pk_max_f16 v13, v54, v54
	v_pk_add_f16 v9, v9, v7
	v_pk_min_f16 v8, v13, v8
	s_nop 0
	v_pk_min_f16 v8, v8, v9
	s_nop 0
	v_lshrrev_b32_e32 v9, 16, v8
	v_min3_f16 v12, v12, v8, v9
	v_lshl_add_u64 v[8:9], v[40:41], 1, v[4:5]
	global_store_short v[8:9], v12, off
	s_or_b64 exec, exec, s[2:3]
	s_and_b64 s[4:5], s[12:13], s[18:19]
	s_and_saveexec_b64 s[2:3], s[4:5]
	s_cbranch_execz .LBB212_338
.LBB212_361:
	s_and_b64 vcc, exec, s[0:1]
	s_cbranch_vccnz .LBB212_363
; %bb.362:
	v_lshl_add_u64 v[8:9], v[42:43], 1, v[20:21]
	flat_load_ushort v8, v[8:9]
	s_waitcnt vmcnt(0) lgkmcnt(0)
	v_mul_f16_e32 v8, s30, v8
	s_branch .LBB212_364
.LBB212_363:
	v_mov_b32_e32 v8, 0
.LBB212_364:
	v_pk_add_f16 v9, v10, v6
	v_pk_max_f16 v10, v53, v53
	s_nop 0
	v_pk_min_f16 v9, v10, v9
	v_pk_add_f16 v10, v11, v7
	s_nop 0
	v_pk_min_f16 v9, v9, v10
	s_nop 0
	v_lshrrev_b32_e32 v10, 16, v9
	v_min3_f16 v10, v8, v9, v10
	v_lshl_add_u64 v[8:9], v[42:43], 1, v[4:5]
	global_store_short v[8:9], v10, off
	s_or_b64 exec, exec, s[2:3]
	s_and_b64 s[4:5], s[14:15], s[18:19]
	s_and_saveexec_b64 s[2:3], s[4:5]
	s_cbranch_execz .LBB212_339
.LBB212_365:
	s_and_b64 vcc, exec, s[0:1]
	s_cbranch_vccnz .LBB212_367
; %bb.366:
	v_lshl_add_u64 v[8:9], v[44:45], 1, v[20:21]
	flat_load_ushort v8, v[8:9]
	s_waitcnt vmcnt(0) lgkmcnt(0)
	v_mul_f16_e32 v8, s30, v8
	s_branch .LBB212_368
.LBB212_367:
	v_mov_b32_e32 v8, 0
.LBB212_368:
	v_pk_add_f16 v0, v0, v6
	v_pk_max_f16 v9, v52, v52
	v_pk_add_f16 v1, v1, v7
	v_pk_min_f16 v0, v9, v0
	s_nop 0
	v_pk_min_f16 v0, v0, v1
	s_nop 0
	v_lshrrev_b32_e32 v1, 16, v0
	v_min3_f16 v8, v8, v0, v1
	v_lshl_add_u64 v[0:1], v[44:45], 1, v[4:5]
	global_store_short v[0:1], v8, off
	s_or_b64 exec, exec, s[2:3]
	s_and_b64 s[2:3], s[16:17], s[18:19]
	s_and_saveexec_b64 s[4:5], s[2:3]
	s_cbranch_execz .LBB212_340
.LBB212_369:
	s_and_b64 vcc, exec, s[0:1]
	s_cbranch_vccnz .LBB212_371
; %bb.370:
	v_lshl_add_u64 v[0:1], v[46:47], 1, v[20:21]
	flat_load_ushort v0, v[0:1]
	s_waitcnt vmcnt(0) lgkmcnt(0)
	v_mul_f16_e32 v0, s30, v0
	s_branch .LBB212_372
.LBB212_371:
	v_mov_b32_e32 v0, 0
.LBB212_372:
	v_pk_add_f16 v1, v2, v6
	v_pk_max_f16 v2, v61, v61
	s_nop 0
	v_pk_min_f16 v1, v2, v1
	v_pk_add_f16 v2, v3, v7
	s_nop 0
	v_pk_min_f16 v1, v1, v2
	s_nop 0
	v_lshrrev_b32_e32 v2, 16, v1
	v_min3_f16 v2, v0, v1, v2
	v_lshl_add_u64 v[0:1], v[46:47], 1, v[4:5]
	global_store_short v[0:1], v2, off
	s_endpgm
	.section	.rodata,"a",@progbits
	.p2align	6, 0x0
	.amdhsa_kernel _ZN12_GLOBAL__N_120geam_min_plus_kernelIDF16_Dv2_DF16_S1_Li32ELi8ELi256ELi64ELi4ELi64ELi4ELi4ELi64ELc78ELc78ELb0ELb1ELb1EDF16_KPKDF16_KPDF16_EEviiiT16_PT17_ilS9_ilS7_S9_ilPT18_ili26rocblas_geam_ex_operation_
		.amdhsa_group_segment_fixed_size 5120
		.amdhsa_private_segment_fixed_size 0
		.amdhsa_kernarg_size 128
		.amdhsa_user_sgpr_count 2
		.amdhsa_user_sgpr_dispatch_ptr 0
		.amdhsa_user_sgpr_queue_ptr 0
		.amdhsa_user_sgpr_kernarg_segment_ptr 1
		.amdhsa_user_sgpr_dispatch_id 0
		.amdhsa_user_sgpr_kernarg_preload_length 0
		.amdhsa_user_sgpr_kernarg_preload_offset 0
		.amdhsa_user_sgpr_private_segment_size 0
		.amdhsa_uses_dynamic_stack 0
		.amdhsa_enable_private_segment 0
		.amdhsa_system_sgpr_workgroup_id_x 1
		.amdhsa_system_sgpr_workgroup_id_y 0
		.amdhsa_system_sgpr_workgroup_id_z 1
		.amdhsa_system_sgpr_workgroup_info 0
		.amdhsa_system_vgpr_workitem_id 1
		.amdhsa_next_free_vgpr 169
		.amdhsa_next_free_sgpr 40
		.amdhsa_accum_offset 172
		.amdhsa_reserve_vcc 1
		.amdhsa_float_round_mode_32 0
		.amdhsa_float_round_mode_16_64 0
		.amdhsa_float_denorm_mode_32 3
		.amdhsa_float_denorm_mode_16_64 3
		.amdhsa_dx10_clamp 1
		.amdhsa_ieee_mode 1
		.amdhsa_fp16_overflow 0
		.amdhsa_tg_split 0
		.amdhsa_exception_fp_ieee_invalid_op 0
		.amdhsa_exception_fp_denorm_src 0
		.amdhsa_exception_fp_ieee_div_zero 0
		.amdhsa_exception_fp_ieee_overflow 0
		.amdhsa_exception_fp_ieee_underflow 0
		.amdhsa_exception_fp_ieee_inexact 0
		.amdhsa_exception_int_div_zero 0
	.end_amdhsa_kernel
	.section	.text._ZN12_GLOBAL__N_120geam_min_plus_kernelIDF16_Dv2_DF16_S1_Li32ELi8ELi256ELi64ELi4ELi64ELi4ELi4ELi64ELc78ELc78ELb0ELb1ELb1EDF16_KPKDF16_KPDF16_EEviiiT16_PT17_ilS9_ilS7_S9_ilPT18_ili26rocblas_geam_ex_operation_,"axG",@progbits,_ZN12_GLOBAL__N_120geam_min_plus_kernelIDF16_Dv2_DF16_S1_Li32ELi8ELi256ELi64ELi4ELi64ELi4ELi4ELi64ELc78ELc78ELb0ELb1ELb1EDF16_KPKDF16_KPDF16_EEviiiT16_PT17_ilS9_ilS7_S9_ilPT18_ili26rocblas_geam_ex_operation_,comdat
.Lfunc_end212:
	.size	_ZN12_GLOBAL__N_120geam_min_plus_kernelIDF16_Dv2_DF16_S1_Li32ELi8ELi256ELi64ELi4ELi64ELi4ELi4ELi64ELc78ELc78ELb0ELb1ELb1EDF16_KPKDF16_KPDF16_EEviiiT16_PT17_ilS9_ilS7_S9_ilPT18_ili26rocblas_geam_ex_operation_, .Lfunc_end212-_ZN12_GLOBAL__N_120geam_min_plus_kernelIDF16_Dv2_DF16_S1_Li32ELi8ELi256ELi64ELi4ELi64ELi4ELi4ELi64ELc78ELc78ELb0ELb1ELb1EDF16_KPKDF16_KPDF16_EEviiiT16_PT17_ilS9_ilS7_S9_ilPT18_ili26rocblas_geam_ex_operation_
                                        ; -- End function
	.section	.AMDGPU.csdata,"",@progbits
; Kernel info:
; codeLenInByte = 20096
; NumSgprs: 46
; NumVgprs: 169
; NumAgprs: 0
; TotalNumVgprs: 169
; ScratchSize: 0
; MemoryBound: 0
; FloatMode: 240
; IeeeMode: 1
; LDSByteSize: 5120 bytes/workgroup (compile time only)
; SGPRBlocks: 5
; VGPRBlocks: 21
; NumSGPRsForWavesPerEU: 46
; NumVGPRsForWavesPerEU: 169
; AccumOffset: 172
; Occupancy: 2
; WaveLimiterHint : 1
; COMPUTE_PGM_RSRC2:SCRATCH_EN: 0
; COMPUTE_PGM_RSRC2:USER_SGPR: 2
; COMPUTE_PGM_RSRC2:TRAP_HANDLER: 0
; COMPUTE_PGM_RSRC2:TGID_X_EN: 1
; COMPUTE_PGM_RSRC2:TGID_Y_EN: 0
; COMPUTE_PGM_RSRC2:TGID_Z_EN: 1
; COMPUTE_PGM_RSRC2:TIDIG_COMP_CNT: 1
; COMPUTE_PGM_RSRC3_GFX90A:ACCUM_OFFSET: 42
; COMPUTE_PGM_RSRC3_GFX90A:TG_SPLIT: 0
	.section	.text._ZN12_GLOBAL__N_120geam_min_plus_kernelIDF16_Dv2_DF16_S1_Li32ELi8ELi128ELi128ELi4ELi4ELi64ELi4ELi64ELc84ELc78ELb0ELb0ELb1EPKDF16_KS3_KPDF16_EEviiiT16_PT17_ilS9_ilS7_S9_ilPT18_ili26rocblas_geam_ex_operation_,"axG",@progbits,_ZN12_GLOBAL__N_120geam_min_plus_kernelIDF16_Dv2_DF16_S1_Li32ELi8ELi128ELi128ELi4ELi4ELi64ELi4ELi64ELc84ELc78ELb0ELb0ELb1EPKDF16_KS3_KPDF16_EEviiiT16_PT17_ilS9_ilS7_S9_ilPT18_ili26rocblas_geam_ex_operation_,comdat
	.globl	_ZN12_GLOBAL__N_120geam_min_plus_kernelIDF16_Dv2_DF16_S1_Li32ELi8ELi128ELi128ELi4ELi4ELi64ELi4ELi64ELc84ELc78ELb0ELb0ELb1EPKDF16_KS3_KPDF16_EEviiiT16_PT17_ilS9_ilS7_S9_ilPT18_ili26rocblas_geam_ex_operation_ ; -- Begin function _ZN12_GLOBAL__N_120geam_min_plus_kernelIDF16_Dv2_DF16_S1_Li32ELi8ELi128ELi128ELi4ELi4ELi64ELi4ELi64ELc84ELc78ELb0ELb0ELb1EPKDF16_KS3_KPDF16_EEviiiT16_PT17_ilS9_ilS7_S9_ilPT18_ili26rocblas_geam_ex_operation_
	.p2align	8
	.type	_ZN12_GLOBAL__N_120geam_min_plus_kernelIDF16_Dv2_DF16_S1_Li32ELi8ELi128ELi128ELi4ELi4ELi64ELi4ELi64ELc84ELc78ELb0ELb0ELb1EPKDF16_KS3_KPDF16_EEviiiT16_PT17_ilS9_ilS7_S9_ilPT18_ili26rocblas_geam_ex_operation_,@function
_ZN12_GLOBAL__N_120geam_min_plus_kernelIDF16_Dv2_DF16_S1_Li32ELi8ELi128ELi128ELi4ELi4ELi64ELi4ELi64ELc84ELc78ELb0ELb0ELb1EPKDF16_KS3_KPDF16_EEviiiT16_PT17_ilS9_ilS7_S9_ilPT18_ili26rocblas_geam_ex_operation_: ; @_ZN12_GLOBAL__N_120geam_min_plus_kernelIDF16_Dv2_DF16_S1_Li32ELi8ELi128ELi128ELi4ELi4ELi64ELi4ELi64ELc84ELc78ELb0ELb0ELb1EPKDF16_KS3_KPDF16_EEviiiT16_PT17_ilS9_ilS7_S9_ilPT18_ili26rocblas_geam_ex_operation_
; %bb.0:
	s_load_dwordx4 s[16:19], s[0:1], 0x10
	s_load_dwordx4 s[8:11], s[0:1], 0x28
	s_mov_b32 s22, s3
	s_mov_b32 s23, 0
	s_lshl_b64 s[4:5], s[22:23], 1
	s_waitcnt lgkmcnt(0)
	s_add_u32 s6, s16, s4
	s_addc_u32 s7, s17, s5
	v_mov_b32_e32 v1, 0
	global_load_ushort v82, v1, s[6:7]
	s_load_dwordx4 s[12:15], s[0:1], 0x40
	s_load_dwordx2 s[24:25], s[0:1], 0x50
	s_mov_b64 s[20:21], 0
	s_mov_b64 s[16:17], 0
	s_waitcnt lgkmcnt(0)
	s_add_u32 s4, s14, s4
	s_addc_u32 s5, s15, s5
	s_waitcnt vmcnt(0)
	v_cmp_eq_f16_e32 vcc, 0, v82
	v_cmp_neq_f16_e64 s[6:7], 0, v82
	s_cbranch_vccnz .LBB213_2
; %bb.1:
	s_lshl_b64 s[14:15], s[22:23], 3
	s_add_u32 s14, s18, s14
	s_addc_u32 s15, s19, s15
	s_load_dwordx2 s[14:15], s[14:15], 0x0
	s_lshl_b64 s[8:9], s[8:9], 1
	s_waitcnt lgkmcnt(0)
	s_add_u32 s16, s14, s8
	s_addc_u32 s17, s15, s9
.LBB213_2:
	global_load_ushort v58, v1, s[4:5]
	v_cndmask_b32_e64 v1, 0, 1, s[6:7]
	v_cmp_ne_u32_e64 s[4:5], 1, v1
	s_andn2_b64 vcc, exec, s[6:7]
	s_cbranch_vccnz .LBB213_4
; %bb.3:
	s_lshl_b64 s[8:9], s[22:23], 3
	s_add_u32 s8, s10, s8
	s_addc_u32 s9, s11, s9
	s_load_dwordx2 s[8:9], s[8:9], 0x0
	s_lshl_b64 s[10:11], s[12:13], 1
	s_waitcnt lgkmcnt(0)
	s_add_u32 s20, s8, s10
	s_addc_u32 s21, s9, s11
.LBB213_4:
	s_load_dwordx4 s[12:15], s[0:1], 0x60
	s_waitcnt vmcnt(0)
	v_cmp_eq_f16_e32 vcc, 0, v58
	s_and_b64 s[8:9], exec, vcc
	s_mov_b64 vcc, s[8:9]
	s_cbranch_vccnz .LBB213_6
; %bb.5:
	s_lshl_b64 s[10:11], s[22:23], 3
	s_add_u32 s10, s24, s10
	s_addc_u32 s11, s25, s11
	s_load_dwordx2 s[10:11], s[10:11], 0x0
	s_waitcnt lgkmcnt(0)
	s_lshl_b64 s[12:13], s[12:13], 1
	s_add_u32 s10, s10, s12
	s_addc_u32 s11, s11, s13
	s_branch .LBB213_7
.LBB213_6:
	s_mov_b64 s[10:11], 0
.LBB213_7:
	s_load_dword s3, s[0:1], 0x0
	s_load_dword s18, s[0:1], 0x20
	s_waitcnt lgkmcnt(0)
	s_lshl_b64 s[12:13], s[22:23], 3
	s_add_u32 s12, s14, s12
	s_addc_u32 s13, s15, s13
	s_add_i32 s3, s3, -1
	s_ashr_i32 s14, s3, 31
	s_lshr_b32 s14, s14, 25
	s_add_i32 s3, s3, s14
	s_ashr_i32 s3, s3, 7
	s_add_i32 s14, s3, 1
	v_cvt_f32_u32_e32 v1, s14
	s_not_b32 s3, s3
	v_and_b32_e32 v76, 0x3ff, v0
	v_bfe_u32 v77, v0, 10, 10
	v_rcp_iflag_f32_e32 v1, v1
	v_lshl_add_u32 v0, v77, 5, v76
	v_lshrrev_b32_e32 v0, 2, v0
	v_and_b32_e32 v2, 3, v76
	v_mul_f32_e32 v1, 0x4f7ffffe, v1
	v_cvt_u32_f32_e32 v1, v1
	v_lshlrev_b32_e32 v40, 1, v2
	v_readfirstlane_b32 s15, v1
	s_mul_i32 s3, s3, s15
	s_mul_hi_u32 s3, s15, s3
	s_add_i32 s15, s15, s3
	s_mul_hi_u32 s3, s2, s15
	s_mul_i32 s15, s3, s14
	s_sub_i32 s15, s2, s15
	s_add_i32 s19, s3, 1
	s_sub_i32 s22, s15, s14
	s_cmp_ge_u32 s15, s14
	s_cselect_b32 s3, s19, s3
	s_cselect_b32 s15, s22, s15
	s_add_i32 s19, s3, 1
	s_cmp_ge_u32 s15, s14
	s_cselect_b32 s3, s19, s3
	s_mul_i32 s14, s3, s14
	s_sub_i32 s2, s2, s14
	s_lshl_b32 s14, s2, 7
	v_add_u32_e32 v48, s14, v0
	s_and_b64 vcc, exec, s[4:5]
	v_add_u32_e32 v46, 64, v48
	s_cbranch_vccnz .LBB213_9
; %bb.8:
	v_mov_b32_e32 v41, 0
	v_lshl_add_u64 v[2:3], s[16:17], 0, v[40:41]
	v_mad_i64_i32 v[4:5], s[22:23], v48, s18, 0
	v_lshl_add_u64 v[4:5], v[4:5], 1, v[2:3]
	v_mad_i64_i32 v[6:7], s[22:23], v46, s18, 0
	v_lshl_add_u64 v[2:3], v[6:7], 1, v[2:3]
	flat_load_ushort v1, v[4:5]
	flat_load_ushort v6, v[2:3]
	s_waitcnt vmcnt(0) lgkmcnt(0)
	v_mul_f16_e32 v1, v82, v1
	v_mul_f16_e32 v2, v82, v6
	s_branch .LBB213_10
.LBB213_9:
	v_mov_b32_e32 v1, 0
	v_mov_b32_e32 v2, 0
.LBB213_10:
	s_load_dword s19, s[0:1], 0x38
	s_lshl_b32 s15, s3, 7
	v_add_u32_e32 v44, s15, v0
	s_and_b64 vcc, exec, s[4:5]
	v_add_u32_e32 v42, 64, v44
	s_cbranch_vccnz .LBB213_14
; %bb.11:
	v_mov_b32_e32 v41, 0
	v_lshl_add_u64 v[4:5], s[20:21], 0, v[40:41]
	s_waitcnt lgkmcnt(0)
	v_mad_i64_i32 v[6:7], s[2:3], v44, s19, 0
	v_lshl_add_u64 v[6:7], v[6:7], 1, v[4:5]
	v_mad_i64_i32 v[8:9], s[2:3], v42, s19, 0
	v_lshl_add_u64 v[4:5], v[8:9], 1, v[4:5]
	flat_load_ushort v3, v[6:7]
	flat_load_ushort v8, v[4:5]
	s_waitcnt vmcnt(0) lgkmcnt(0)
	v_mul_f16_e32 v3, v82, v3
	v_mul_f16_e32 v4, v82, v8
	s_and_b64 vcc, exec, s[4:5]
	s_cbranch_vccnz .LBB213_15
.LBB213_12:
	v_mov_b32_e32 v41, 0
	v_lshl_add_u64 v[6:7], s[16:17], 0, v[40:41]
	v_mad_i64_i32 v[8:9], s[2:3], v48, s18, 0
	v_lshl_add_u64 v[8:9], v[8:9], 1, v[6:7]
	v_mad_i64_i32 v[10:11], s[2:3], v46, s18, 0
	v_lshl_add_u64 v[6:7], v[10:11], 1, v[6:7]
	flat_load_ushort v5, v[8:9] offset:8
	flat_load_ushort v10, v[6:7] offset:8
	s_waitcnt vmcnt(0) lgkmcnt(0)
	v_mul_f16_e32 v43, v82, v5
	v_mul_f16_e32 v45, v82, v10
	v_mov_b32_e32 v41, 0
	s_and_b64 vcc, exec, s[4:5]
	s_cbranch_vccnz .LBB213_16
.LBB213_13:
	v_lshl_add_u64 v[6:7], s[20:21], 0, v[40:41]
	s_waitcnt lgkmcnt(0)
	v_mad_i64_i32 v[8:9], s[2:3], v44, s19, 0
	v_lshl_add_u64 v[8:9], v[8:9], 1, v[6:7]
	v_mad_i64_i32 v[10:11], s[2:3], v42, s19, 0
	v_lshl_add_u64 v[6:7], v[10:11], 1, v[6:7]
	flat_load_ushort v5, v[8:9] offset:8
	flat_load_ushort v10, v[6:7] offset:8
	s_waitcnt vmcnt(0) lgkmcnt(0)
	v_mul_f16_e32 v41, v82, v5
	v_mul_f16_e32 v47, v82, v10
	s_branch .LBB213_17
.LBB213_14:
	v_mov_b32_e32 v3, 0
	v_mov_b32_e32 v4, 0
	s_and_b64 vcc, exec, s[4:5]
	s_cbranch_vccz .LBB213_12
.LBB213_15:
	v_mov_b32_e32 v43, 0
	v_mov_b32_e32 v45, 0
	v_mov_b32_e32 v41, 0
	s_and_b64 vcc, exec, s[4:5]
	s_cbranch_vccz .LBB213_13
.LBB213_16:
	v_mov_b32_e32 v47, 0
.LBB213_17:
	v_lshl_or_b32 v100, v0, 3, v40
	v_lshlrev_b32_e32 v88, 3, v76
	s_load_dwordx2 s[2:3], s[12:13], 0x0
	s_load_dword s22, s[0:1], 0x8
	ds_write_b16 v100, v1
	ds_write_b16 v100, v2 offset:512
	ds_write_b16 v100, v3 offset:2048
	;; [unrolled: 1-line block ×3, first 2 shown]
	s_waitcnt lgkmcnt(0)
	s_barrier
	ds_read2_b64 v[4:7], v88 offset1:32
	ds_read2_b64 v[0:3], v88 offset0:64 offset1:96
	v_lshlrev_b32_e32 v86, 3, v77
	v_add_u32_e32 v102, 0x800, v86
	ds_read2_b64 v[36:39], v102 offset1:8
	ds_read2_b64 v[32:35], v102 offset0:16 offset1:24
	ds_read2_b64 v[28:31], v102 offset0:32 offset1:40
	;; [unrolled: 1-line block ×7, first 2 shown]
	s_movk_i32 s12, 0x7c00
	s_waitcnt lgkmcnt(7)
	v_pk_add_f16 v49, v4, v36
	s_waitcnt lgkmcnt(2)
	v_pk_add_f16 v85, v0, v16
	v_pk_min_f16 v49, v49, s12 op_sel_hi:[1,0]
	v_pk_min_f16 v130, v85, s12 op_sel_hi:[1,0]
	v_pk_add_f16 v85, v4, v18
	v_pk_add_f16 v50, v6, v36
	v_pk_min_f16 v131, v85, s12 op_sel_hi:[1,0]
	v_pk_add_f16 v85, v6, v18
	v_pk_add_f16 v51, v0, v36
	;; [unrolled: 3-line block ×3, first 2 shown]
	v_pk_min_f16 v133, v85, s12 op_sel_hi:[1,0]
	s_waitcnt lgkmcnt(1)
	v_pk_add_f16 v85, v4, v12
	v_pk_add_f16 v52, v4, v38
	v_pk_min_f16 v134, v85, s12 op_sel_hi:[1,0]
	v_pk_add_f16 v85, v6, v12
	v_pk_add_f16 v53, v6, v38
	v_pk_min_f16 v135, v85, s12 op_sel_hi:[1,0]
	;; [unrolled: 3-line block ×6, first 2 shown]
	s_waitcnt lgkmcnt(0)
	v_pk_add_f16 v85, v4, v8
	v_pk_add_f16 v57, v0, v32
	v_pk_min_f16 v140, v85, s12 op_sel_hi:[1,0]
	v_pk_add_f16 v85, v6, v8
	v_pk_add_f16 v32, v2, v32
	;; [unrolled: 1-line block ×36, first 2 shown]
	v_pk_min_f16 v141, v85, s12 op_sel_hi:[1,0]
	v_pk_add_f16 v85, v0, v8
	v_pk_add_f16 v8, v2, v8
	;; [unrolled: 1-line block ×7, first 2 shown]
	v_pk_min_f16 v50, v50, s12 op_sel_hi:[1,0]
	v_pk_min_f16 v129, v49, v10
	v_pk_add_f16 v10, v7, v37
	v_pk_min_f16 v51, v51, s12 op_sel_hi:[1,0]
	v_pk_min_f16 v128, v50, v10
	v_pk_add_f16 v10, v1, v37
	v_pk_min_f16 v36, v36, s12 op_sel_hi:[1,0]
	v_pk_min_f16 v127, v51, v10
	v_pk_add_f16 v10, v3, v37
	v_pk_min_f16 v52, v52, s12 op_sel_hi:[1,0]
	v_pk_min_f16 v126, v36, v10
	v_pk_add_f16 v10, v5, v39
	v_pk_min_f16 v53, v53, s12 op_sel_hi:[1,0]
	v_pk_min_f16 v125, v52, v10
	v_pk_add_f16 v10, v7, v39
	v_pk_min_f16 v54, v54, s12 op_sel_hi:[1,0]
	v_pk_min_f16 v124, v53, v10
	v_pk_add_f16 v10, v1, v39
	v_pk_min_f16 v38, v38, s12 op_sel_hi:[1,0]
	v_pk_min_f16 v123, v54, v10
	v_pk_add_f16 v10, v3, v39
	v_pk_min_f16 v55, v55, s12 op_sel_hi:[1,0]
	v_pk_min_f16 v122, v38, v10
	v_pk_add_f16 v10, v5, v33
	v_pk_min_f16 v56, v56, s12 op_sel_hi:[1,0]
	v_pk_min_f16 v121, v55, v10
	v_pk_add_f16 v10, v7, v33
	v_pk_min_f16 v57, v57, s12 op_sel_hi:[1,0]
	v_pk_min_f16 v120, v56, v10
	v_pk_add_f16 v10, v1, v33
	v_pk_min_f16 v32, v32, s12 op_sel_hi:[1,0]
	v_pk_min_f16 v119, v57, v10
	v_pk_add_f16 v10, v3, v33
	v_pk_min_f16 v59, v59, s12 op_sel_hi:[1,0]
	v_pk_min_f16 v118, v32, v10
	v_pk_add_f16 v10, v5, v35
	v_pk_min_f16 v60, v60, s12 op_sel_hi:[1,0]
	v_pk_min_f16 v117, v59, v10
	v_pk_add_f16 v10, v7, v35
	v_pk_min_f16 v61, v61, s12 op_sel_hi:[1,0]
	v_pk_min_f16 v116, v60, v10
	v_pk_add_f16 v10, v1, v35
	v_pk_min_f16 v34, v34, s12 op_sel_hi:[1,0]
	v_pk_min_f16 v115, v61, v10
	v_pk_add_f16 v10, v3, v35
	v_pk_min_f16 v62, v62, s12 op_sel_hi:[1,0]
	v_pk_min_f16 v114, v34, v10
	v_pk_add_f16 v10, v5, v29
	v_pk_min_f16 v63, v63, s12 op_sel_hi:[1,0]
	v_pk_min_f16 v113, v62, v10
	v_pk_add_f16 v10, v7, v29
	v_pk_min_f16 v64, v64, s12 op_sel_hi:[1,0]
	v_pk_min_f16 v112, v63, v10
	v_pk_add_f16 v10, v1, v29
	v_pk_min_f16 v28, v28, s12 op_sel_hi:[1,0]
	v_pk_min_f16 v111, v64, v10
	v_pk_add_f16 v10, v3, v29
	v_pk_min_f16 v65, v65, s12 op_sel_hi:[1,0]
	v_pk_min_f16 v110, v28, v10
	v_pk_add_f16 v10, v5, v31
	v_pk_min_f16 v66, v66, s12 op_sel_hi:[1,0]
	v_pk_min_f16 v109, v65, v10
	v_pk_add_f16 v10, v7, v31
	v_pk_min_f16 v67, v67, s12 op_sel_hi:[1,0]
	v_pk_min_f16 v108, v66, v10
	v_pk_add_f16 v10, v1, v31
	v_pk_min_f16 v30, v30, s12 op_sel_hi:[1,0]
	v_pk_min_f16 v107, v67, v10
	v_pk_add_f16 v10, v3, v31
	v_pk_min_f16 v68, v68, s12 op_sel_hi:[1,0]
	v_pk_min_f16 v106, v30, v10
	v_pk_add_f16 v10, v5, v25
	v_pk_min_f16 v69, v69, s12 op_sel_hi:[1,0]
	v_pk_min_f16 v105, v68, v10
	v_pk_add_f16 v10, v7, v25
	v_pk_min_f16 v70, v70, s12 op_sel_hi:[1,0]
	v_pk_min_f16 v104, v69, v10
	v_pk_add_f16 v10, v1, v25
	v_pk_min_f16 v24, v24, s12 op_sel_hi:[1,0]
	v_pk_min_f16 v103, v70, v10
	v_pk_add_f16 v10, v3, v25
	v_pk_min_f16 v71, v71, s12 op_sel_hi:[1,0]
	v_pk_min_f16 v101, v24, v10
	v_pk_add_f16 v10, v5, v27
	v_pk_min_f16 v72, v72, s12 op_sel_hi:[1,0]
	v_pk_min_f16 v99, v71, v10
	v_pk_add_f16 v10, v7, v27
	v_pk_min_f16 v73, v73, s12 op_sel_hi:[1,0]
	v_pk_min_f16 v98, v72, v10
	v_pk_add_f16 v10, v1, v27
	v_pk_min_f16 v26, v26, s12 op_sel_hi:[1,0]
	v_pk_min_f16 v97, v73, v10
	v_pk_add_f16 v10, v3, v27
	v_pk_min_f16 v74, v74, s12 op_sel_hi:[1,0]
	v_pk_min_f16 v96, v26, v10
	v_pk_add_f16 v10, v5, v21
	v_pk_min_f16 v75, v75, s12 op_sel_hi:[1,0]
	v_pk_min_f16 v95, v74, v10
	v_pk_add_f16 v10, v7, v21
	v_pk_min_f16 v78, v78, s12 op_sel_hi:[1,0]
	v_pk_min_f16 v94, v75, v10
	v_pk_add_f16 v10, v1, v21
	v_pk_min_f16 v20, v20, s12 op_sel_hi:[1,0]
	v_pk_min_f16 v93, v78, v10
	v_pk_add_f16 v10, v3, v21
	v_pk_min_f16 v79, v79, s12 op_sel_hi:[1,0]
	v_pk_min_f16 v92, v20, v10
	v_pk_add_f16 v10, v5, v23
	v_pk_min_f16 v80, v80, s12 op_sel_hi:[1,0]
	v_pk_min_f16 v91, v79, v10
	v_pk_add_f16 v10, v7, v23
	v_pk_min_f16 v81, v81, s12 op_sel_hi:[1,0]
	v_pk_min_f16 v90, v80, v10
	v_pk_add_f16 v10, v1, v23
	v_pk_min_f16 v22, v22, s12 op_sel_hi:[1,0]
	v_pk_min_f16 v89, v81, v10
	v_pk_add_f16 v10, v3, v23
	v_pk_min_f16 v83, v83, s12 op_sel_hi:[1,0]
	v_pk_min_f16 v87, v22, v10
	v_pk_add_f16 v10, v5, v17
	v_pk_min_f16 v84, v84, s12 op_sel_hi:[1,0]
	v_pk_min_f16 v142, v85, s12 op_sel_hi:[1,0]
	v_pk_min_f16 v85, v83, v10
	v_pk_add_f16 v10, v7, v17
	v_pk_min_f16 v16, v16, s12 op_sel_hi:[1,0]
	v_pk_min_f16 v84, v84, v10
	v_pk_add_f16 v10, v1, v17
	;; [unrolled: 3-line block ×10, first 2 shown]
	s_cmp_lt_i32 s22, 9
	v_pk_min_f16 v72, v136, v10
	v_pk_add_f16 v10, v3, v13
	ds_write_b16 v100, v43 offset:1024
	ds_write_b16 v100, v45 offset:1536
	;; [unrolled: 1-line block ×4, first 2 shown]
	v_pk_min_f16 v71, v12, v10
	v_pk_add_f16 v10, v5, v15
	s_waitcnt lgkmcnt(0)
	v_pk_min_f16 v70, v137, v10
	v_pk_add_f16 v10, v7, v15
	s_barrier
	v_pk_min_f16 v69, v138, v10
	v_pk_add_f16 v10, v1, v15
	s_nop 0
	v_pk_min_f16 v68, v139, v10
	v_pk_add_f16 v10, v3, v15
	s_nop 0
	v_pk_min_f16 v67, v14, v10
	v_pk_add_f16 v10, v5, v9
	v_pk_add_f16 v5, v5, v11
	v_pk_min_f16 v66, v140, v10
	v_pk_add_f16 v10, v7, v9
	v_pk_min_f16 v61, v4, v5
	v_pk_min_f16 v65, v141, v10
	v_pk_add_f16 v10, v1, v9
	v_pk_add_f16 v1, v1, v11
	;; [unrolled: 1-line block ×4, first 2 shown]
	v_pk_min_f16 v60, v0, v1
	v_pk_add_f16 v0, v3, v11
	v_pk_min_f16 v63, v142, v10
	v_pk_min_f16 v62, v8, v9
	;; [unrolled: 1-line block ×4, first 2 shown]
	s_cbranch_scc1 .LBB213_31
; %bb.18:
	v_mov_b32_e32 v0, 0x400
	v_lshl_add_u32 v133, v76, 3, v0
	v_mov_b32_e32 v0, 0xc00
	s_add_i32 s12, s22, -8
	v_lshl_add_u32 v134, v77, 3, v0
	v_mad_i64_i32 v[0:1], s[22:23], s19, v42, 0
	v_lshl_add_u64 v[42:43], v[0:1], 1, s[20:21]
	v_mad_i64_i32 v[0:1], s[22:23], s19, v44, 0
	v_lshl_add_u64 v[44:45], v[0:1], 1, s[20:21]
	;; [unrolled: 2-line block ×3, first 2 shown]
	v_mad_i64_i32 v[0:1], s[18:19], s18, v48, 0
	v_add_u32_e32 v130, 0x800, v100
	v_add_u32_e32 v131, 0x400, v100
	;; [unrolled: 1-line block ×3, first 2 shown]
	v_mov_b32_e32 v41, 0
	v_lshl_add_u64 v[48:49], v[0:1], 1, s[16:17]
	s_mov_b32 s13, 0
	s_and_b64 s[6:7], exec, s[6:7]
	s_branch .LBB213_21
.LBB213_19:                             ;   in Loop: Header=BB213_21 Depth=1
	flat_load_ushort v0, v[50:51] offset:24
	flat_load_ushort v1, v[52:53] offset:24
	s_waitcnt vmcnt(0) lgkmcnt(0)
	v_mul_f16_e32 v32, v82, v0
	v_mul_f16_e32 v33, v82, v1
.LBB213_20:                             ;   in Loop: Header=BB213_21 Depth=1
	ds_read2_b64 v[4:7], v88 offset1:32
	ds_read2_b64 v[0:3], v88 offset0:64 offset1:96
	ds_read2_b64 v[50:53], v102 offset1:8
	ds_read2_b64 v[136:139], v102 offset0:16 offset1:24
	ds_read2_b64 v[28:31], v102 offset0:32 offset1:40
	;; [unrolled: 1-line block ×7, first 2 shown]
	s_waitcnt lgkmcnt(7)
	v_pk_add_f16 v122, v4, v50
	v_pk_max_f16 v121, v121, v121
	v_pk_max_f16 v120, v120, v120
	v_pk_min_f16 v121, v121, v122
	v_pk_add_f16 v122, v6, v50
	v_pk_max_f16 v118, v118, v118
	v_pk_min_f16 v120, v120, v122
	v_pk_add_f16 v122, v0, v50
	v_pk_add_f16 v50, v2, v50
	v_pk_max_f16 v117, v117, v117
	v_pk_min_f16 v50, v118, v50
	v_pk_add_f16 v118, v4, v52
	v_pk_max_f16 v116, v116, v116
	v_pk_min_f16 v117, v117, v118
	;; [unrolled: 3-line block ×3, first 2 shown]
	v_pk_add_f16 v118, v0, v52
	v_pk_add_f16 v52, v2, v52
	v_pk_max_f16 v113, v113, v113
	v_pk_min_f16 v52, v114, v52
	s_waitcnt lgkmcnt(6)
	v_pk_add_f16 v114, v4, v136
	v_pk_max_f16 v112, v112, v112
	v_pk_min_f16 v113, v113, v114
	v_pk_add_f16 v114, v6, v136
	v_pk_max_f16 v111, v111, v111
	v_pk_min_f16 v112, v112, v114
	;; [unrolled: 3-line block ×8, first 2 shown]
	s_waitcnt lgkmcnt(5)
	v_pk_add_f16 v114, v4, v28
	v_pk_max_f16 v104, v104, v104
	v_pk_min_f16 v105, v105, v114
	v_pk_add_f16 v114, v6, v28
	v_pk_max_f16 v101, v101, v101
	v_pk_min_f16 v104, v104, v114
	v_pk_add_f16 v114, v0, v28
	v_pk_add_f16 v28, v2, v28
	v_pk_max_f16 v99, v99, v99
	v_pk_min_f16 v28, v101, v28
	v_pk_add_f16 v101, v4, v30
	v_pk_max_f16 v98, v98, v98
	v_pk_min_f16 v99, v99, v101
	v_pk_add_f16 v101, v6, v30
	v_pk_max_f16 v96, v96, v96
	v_pk_min_f16 v98, v98, v101
	v_pk_add_f16 v101, v0, v30
	v_pk_add_f16 v30, v2, v30
	v_pk_max_f16 v95, v95, v95
	v_pk_min_f16 v30, v96, v30
	s_waitcnt lgkmcnt(4)
	v_pk_add_f16 v96, v4, v24
	v_pk_max_f16 v94, v94, v94
	v_pk_min_f16 v95, v95, v96
	v_pk_add_f16 v96, v6, v24
	v_pk_max_f16 v92, v92, v92
	v_pk_min_f16 v94, v94, v96
	v_pk_add_f16 v96, v0, v24
	v_pk_add_f16 v24, v2, v24
	v_pk_max_f16 v91, v91, v91
	v_pk_min_f16 v24, v92, v24
	v_pk_add_f16 v92, v4, v26
	v_pk_max_f16 v90, v90, v90
	v_pk_min_f16 v91, v91, v92
	v_pk_add_f16 v92, v6, v26
	v_pk_max_f16 v87, v87, v87
	v_pk_min_f16 v90, v90, v92
	v_pk_add_f16 v92, v0, v26
	v_pk_add_f16 v26, v2, v26
	v_pk_max_f16 v85, v85, v85
	v_pk_min_f16 v26, v87, v26
	;; [unrolled: 21-line block ×5, first 2 shown]
	s_waitcnt lgkmcnt(0)
	v_pk_add_f16 v59, v4, v8
	v_pk_max_f16 v56, v56, v56
	v_pk_min_f16 v57, v57, v59
	v_pk_add_f16 v59, v6, v8
	v_pk_add_f16 v4, v4, v10
	v_pk_min_f16 v56, v56, v59
	v_pk_add_f16 v59, v0, v8
	v_pk_add_f16 v8, v2, v8
	;; [unrolled: 1-line block ×5, first 2 shown]
	v_pk_max_f16 v10, v36, v36
	v_pk_max_f16 v119, v119, v119
	v_pk_min_f16 v2, v10, v2
	v_pk_add_f16 v10, v5, v51
	v_pk_min_f16 v119, v119, v122
	v_pk_min_f16 v129, v121, v10
	v_pk_add_f16 v10, v7, v51
	v_pk_max_f16 v115, v115, v115
	v_pk_min_f16 v128, v120, v10
	v_pk_add_f16 v10, v1, v51
	v_pk_min_f16 v115, v115, v118
	v_pk_min_f16 v127, v119, v10
	v_pk_add_f16 v10, v3, v51
	v_pk_max_f16 v103, v103, v103
	v_pk_min_f16 v126, v50, v10
	v_pk_add_f16 v10, v5, v53
	v_pk_min_f16 v103, v103, v114
	v_pk_min_f16 v125, v117, v10
	v_pk_add_f16 v10, v7, v53
	v_pk_max_f16 v97, v97, v97
	v_pk_min_f16 v124, v116, v10
	v_pk_add_f16 v10, v1, v53
	v_pk_min_f16 v97, v97, v101
	v_pk_min_f16 v123, v115, v10
	v_pk_add_f16 v10, v3, v53
	v_pk_max_f16 v93, v93, v93
	v_pk_min_f16 v122, v52, v10
	v_pk_add_f16 v10, v5, v137
	v_pk_min_f16 v93, v93, v96
	v_pk_min_f16 v121, v113, v10
	v_pk_add_f16 v10, v7, v137
	v_pk_max_f16 v89, v89, v89
	v_pk_min_f16 v120, v112, v10
	v_pk_add_f16 v10, v1, v137
	v_pk_min_f16 v89, v89, v92
	v_pk_min_f16 v119, v111, v10
	v_pk_add_f16 v10, v3, v137
	v_pk_max_f16 v83, v83, v83
	v_pk_min_f16 v118, v110, v10
	v_pk_add_f16 v10, v5, v139
	v_pk_min_f16 v83, v83, v87
	v_pk_min_f16 v117, v109, v10
	v_pk_add_f16 v10, v7, v139
	v_pk_max_f16 v78, v78, v78
	v_pk_min_f16 v116, v108, v10
	v_pk_add_f16 v10, v1, v139
	v_pk_min_f16 v78, v78, v81
	v_pk_min_f16 v115, v107, v10
	v_pk_add_f16 v10, v3, v139
	v_pk_max_f16 v72, v72, v72
	v_pk_min_f16 v114, v106, v10
	v_pk_add_f16 v10, v5, v29
	v_pk_min_f16 v72, v72, v75
	v_pk_min_f16 v113, v105, v10
	v_pk_add_f16 v10, v7, v29
	v_pk_max_f16 v68, v68, v68
	v_pk_min_f16 v112, v104, v10
	v_pk_add_f16 v10, v1, v29
	v_pk_min_f16 v68, v68, v71
	v_pk_min_f16 v111, v103, v10
	v_pk_add_f16 v10, v3, v29
	v_pk_max_f16 v64, v64, v64
	v_pk_min_f16 v110, v28, v10
	v_pk_add_f16 v10, v5, v31
	v_pk_min_f16 v64, v64, v67
	v_pk_min_f16 v109, v99, v10
	v_pk_add_f16 v10, v7, v31
	v_pk_max_f16 v60, v60, v60
	v_pk_min_f16 v108, v98, v10
	v_pk_add_f16 v10, v1, v31
	v_pk_min_f16 v60, v60, v63
	v_pk_min_f16 v107, v97, v10
	v_pk_add_f16 v10, v3, v31
	v_pk_max_f16 v37, v37, v37
	v_pk_min_f16 v106, v30, v10
	v_pk_add_f16 v10, v5, v25
	v_pk_max_f16 v34, v34, v34
	v_pk_min_f16 v105, v95, v10
	v_pk_add_f16 v10, v7, v25
	;; [unrolled: 3-line block ×4, first 2 shown]
	v_pk_min_f16 v4, v37, v4
	v_pk_min_f16 v101, v24, v10
	v_pk_add_f16 v10, v5, v27
	v_pk_max_f16 v35, v35, v35
	v_pk_min_f16 v99, v91, v10
	v_pk_add_f16 v10, v7, v27
	v_pk_min_f16 v0, v34, v0
	v_pk_min_f16 v98, v90, v10
	v_pk_add_f16 v10, v1, v27
	v_pk_min_f16 v39, v39, v59
	;; [unrolled: 3-line block ×4, first 2 shown]
	v_pk_min_f16 v95, v85, v10
	v_pk_add_f16 v10, v7, v21
	s_add_i32 s13, s13, 8
	v_pk_min_f16 v94, v84, v10
	v_pk_add_f16 v10, v1, v21
	v_lshl_add_u64 v[42:43], v[42:43], 0, 16
	v_pk_min_f16 v93, v83, v10
	v_pk_add_f16 v10, v3, v21
	v_lshl_add_u64 v[44:45], v[44:45], 0, 16
	;; [unrolled: 3-line block ×3, first 2 shown]
	v_pk_min_f16 v91, v80, v10
	v_pk_add_f16 v10, v7, v23
	s_cmp_ge_i32 s13, s12
	v_pk_min_f16 v90, v79, v10
	v_pk_add_f16 v10, v1, v23
	v_lshl_add_u64 v[48:49], v[48:49], 0, 16
	v_pk_min_f16 v89, v78, v10
	v_pk_add_f16 v10, v3, v23
	ds_write_b16 v131, v54
	ds_write_b16 v131, v55 offset:512
	ds_write_b16 v132, v32
	ds_write_b16 v132, v33 offset:512
	v_pk_min_f16 v87, v22, v10
	v_pk_add_f16 v10, v5, v17
	s_waitcnt lgkmcnt(0)
	v_pk_min_f16 v85, v74, v10
	v_pk_add_f16 v10, v7, v17
	s_barrier
	v_pk_min_f16 v84, v73, v10
	v_pk_add_f16 v10, v1, v17
	s_nop 0
	v_pk_min_f16 v83, v72, v10
	v_pk_add_f16 v10, v3, v17
	s_nop 0
	;; [unrolled: 3-line block ×14, first 2 shown]
	v_pk_min_f16 v67, v14, v10
	v_pk_add_f16 v10, v5, v9
	v_pk_add_f16 v5, v5, v11
	v_pk_min_f16 v66, v57, v10
	v_pk_add_f16 v10, v7, v9
	v_pk_min_f16 v61, v4, v5
	v_pk_min_f16 v65, v56, v10
	v_pk_add_f16 v10, v1, v9
	v_pk_add_f16 v1, v1, v11
	;; [unrolled: 1-line block ×4, first 2 shown]
	v_pk_min_f16 v60, v0, v1
	v_pk_add_f16 v0, v3, v11
	v_pk_min_f16 v63, v39, v10
	v_pk_min_f16 v62, v8, v9
	;; [unrolled: 1-line block ×4, first 2 shown]
	s_cbranch_scc1 .LBB213_31
.LBB213_21:                             ; =>This Inner Loop Header: Depth=1
	s_and_b64 vcc, exec, s[4:5]
	v_lshl_add_u64 v[56:57], v[48:49], 0, v[40:41]
	v_lshl_add_u64 v[54:55], v[46:47], 0, v[40:41]
	s_cbranch_vccnz .LBB213_24
; %bb.22:                               ;   in Loop: Header=BB213_21 Depth=1
	flat_load_ushort v0, v[56:57] offset:16
	flat_load_ushort v1, v[54:55] offset:16
	s_waitcnt vmcnt(0) lgkmcnt(0)
	v_mul_f16_e32 v135, v82, v0
	v_mul_f16_e32 v136, v82, v1
	s_and_b64 vcc, exec, s[4:5]
	v_lshl_add_u64 v[50:51], v[44:45], 0, v[40:41]
	v_lshl_add_u64 v[52:53], v[42:43], 0, v[40:41]
	s_cbranch_vccnz .LBB213_25
.LBB213_23:                             ;   in Loop: Header=BB213_21 Depth=1
	flat_load_ushort v0, v[50:51] offset:16
	flat_load_ushort v1, v[52:53] offset:16
	s_waitcnt vmcnt(0) lgkmcnt(0)
	v_mul_f16_e32 v137, v82, v0
	v_mul_f16_e32 v138, v82, v1
	s_branch .LBB213_26
.LBB213_24:                             ;   in Loop: Header=BB213_21 Depth=1
	v_mov_b32_e32 v135, 0
	v_mov_b32_e32 v136, 0
	s_and_b64 vcc, exec, s[4:5]
	v_lshl_add_u64 v[50:51], v[44:45], 0, v[40:41]
	v_lshl_add_u64 v[52:53], v[42:43], 0, v[40:41]
	s_cbranch_vccz .LBB213_23
.LBB213_25:                             ;   in Loop: Header=BB213_21 Depth=1
	v_mov_b32_e32 v137, 0
	v_mov_b32_e32 v138, 0
.LBB213_26:                             ;   in Loop: Header=BB213_21 Depth=1
	ds_read2_b64 v[4:7], v133 offset1:32
	ds_read2_b64 v[0:3], v133 offset0:64 offset1:96
	ds_read2_b64 v[36:39], v134 offset1:8
	ds_read2_b64 v[32:35], v134 offset0:16 offset1:24
	ds_read2_b64 v[28:31], v134 offset0:32 offset1:40
	;; [unrolled: 1-line block ×7, first 2 shown]
	s_mov_b64 vcc, s[6:7]
	ds_write_b16 v100, v135
	ds_write_b16 v100, v136 offset:512
	ds_write_b16 v130, v137
	ds_write_b16 v130, v138 offset:512
	s_waitcnt lgkmcnt(0)
	s_barrier
	s_cbranch_vccz .LBB213_28
; %bb.27:                               ;   in Loop: Header=BB213_21 Depth=1
	flat_load_ushort v56, v[56:57] offset:24
	s_nop 0
	flat_load_ushort v55, v[54:55] offset:24
	s_waitcnt vmcnt(0) lgkmcnt(0)
	v_mul_f16_e32 v54, v82, v56
	v_mul_f16_e32 v55, v82, v55
	s_branch .LBB213_29
.LBB213_28:                             ;   in Loop: Header=BB213_21 Depth=1
	v_mov_b32_e32 v54, 0
	v_mov_b32_e32 v55, 0
.LBB213_29:                             ;   in Loop: Header=BB213_21 Depth=1
	v_pk_add_f16 v56, v4, v36
	v_pk_max_f16 v57, v129, v129
	v_pk_max_f16 v128, v128, v128
	v_pk_min_f16 v56, v57, v56
	v_pk_add_f16 v57, v6, v36
	v_pk_max_f16 v126, v126, v126
	v_pk_min_f16 v57, v128, v57
	v_pk_add_f16 v128, v0, v36
	v_pk_add_f16 v36, v2, v36
	v_pk_max_f16 v125, v125, v125
	v_pk_min_f16 v36, v126, v36
	v_pk_add_f16 v126, v4, v38
	v_pk_max_f16 v124, v124, v124
	v_pk_min_f16 v125, v125, v126
	v_pk_add_f16 v126, v6, v38
	v_pk_max_f16 v122, v122, v122
	v_pk_min_f16 v124, v124, v126
	v_pk_add_f16 v126, v0, v38
	v_pk_add_f16 v38, v2, v38
	v_pk_max_f16 v121, v121, v121
	v_pk_min_f16 v38, v122, v38
	v_pk_add_f16 v122, v4, v32
	v_pk_max_f16 v123, v123, v123
	v_pk_min_f16 v122, v121, v122
	;; [unrolled: 3-line block ×3, first 2 shown]
	v_pk_min_f16 v126, v120, v121
	v_pk_add_f16 v120, v0, v32
	v_pk_add_f16 v32, v2, v32
	v_pk_max_f16 v118, v118, v118
	v_pk_max_f16 v117, v117, v117
	v_pk_min_f16 v32, v118, v32
	v_pk_add_f16 v118, v4, v34
	v_pk_max_f16 v116, v116, v116
	v_pk_min_f16 v129, v117, v118
	v_pk_add_f16 v117, v6, v34
	v_pk_max_f16 v114, v114, v114
	v_pk_min_f16 v135, v116, v117
	v_pk_add_f16 v116, v0, v34
	v_pk_add_f16 v34, v2, v34
	v_pk_max_f16 v113, v113, v113
	v_pk_min_f16 v34, v114, v34
	v_pk_add_f16 v114, v4, v28
	v_pk_max_f16 v112, v112, v112
	v_pk_min_f16 v137, v113, v114
	v_pk_add_f16 v113, v6, v28
	v_pk_max_f16 v110, v110, v110
	v_pk_min_f16 v138, v112, v113
	v_pk_add_f16 v112, v0, v28
	v_pk_add_f16 v28, v2, v28
	;; [unrolled: 10-line block ×11, first 2 shown]
	v_pk_max_f16 v66, v66, v66
	v_pk_min_f16 v14, v67, v14
	v_pk_add_f16 v67, v4, v8
	v_pk_max_f16 v65, v65, v65
	v_pk_min_f16 v167, v66, v67
	v_pk_add_f16 v66, v6, v8
	v_pk_add_f16 v4, v4, v10
	v_pk_min_f16 v168, v65, v66
	v_pk_add_f16 v65, v0, v8
	v_pk_add_f16 v8, v2, v8
	;; [unrolled: 1-line block ×5, first 2 shown]
	v_pk_max_f16 v10, v64, v64
	v_pk_max_f16 v127, v127, v127
	v_pk_min_f16 v2, v10, v2
	v_pk_add_f16 v10, v5, v37
	v_pk_max_f16 v119, v119, v119
	v_pk_min_f16 v121, v56, v10
	v_pk_add_f16 v10, v7, v37
	v_pk_min_f16 v127, v127, v128
	v_pk_min_f16 v128, v119, v120
	;; [unrolled: 1-line block ×3, first 2 shown]
	v_pk_add_f16 v10, v1, v37
	v_pk_max_f16 v115, v115, v115
	v_pk_min_f16 v119, v127, v10
	v_pk_add_f16 v10, v3, v37
	v_pk_min_f16 v136, v115, v116
	v_pk_min_f16 v118, v36, v10
	v_pk_add_f16 v10, v5, v39
	v_pk_max_f16 v111, v111, v111
	v_pk_min_f16 v117, v125, v10
	v_pk_add_f16 v10, v7, v39
	v_pk_min_f16 v139, v111, v112
	v_pk_min_f16 v116, v124, v10
	v_pk_add_f16 v10, v1, v39
	v_pk_max_f16 v107, v107, v107
	v_pk_min_f16 v115, v123, v10
	v_pk_add_f16 v10, v3, v39
	v_pk_min_f16 v142, v107, v108
	v_pk_min_f16 v114, v38, v10
	v_pk_add_f16 v10, v5, v33
	v_pk_max_f16 v103, v103, v103
	v_pk_min_f16 v113, v122, v10
	v_pk_add_f16 v10, v7, v33
	v_pk_min_f16 v145, v103, v104
	v_pk_min_f16 v112, v126, v10
	v_pk_add_f16 v10, v1, v33
	v_pk_max_f16 v97, v97, v97
	v_pk_min_f16 v111, v128, v10
	v_pk_add_f16 v10, v3, v33
	v_pk_min_f16 v148, v97, v98
	v_pk_min_f16 v110, v32, v10
	v_pk_add_f16 v10, v5, v35
	v_pk_max_f16 v93, v93, v93
	v_pk_min_f16 v109, v129, v10
	v_pk_add_f16 v10, v7, v35
	v_pk_min_f16 v151, v93, v94
	v_pk_min_f16 v108, v135, v10
	v_pk_add_f16 v10, v1, v35
	v_pk_max_f16 v89, v89, v89
	v_pk_min_f16 v107, v136, v10
	v_pk_add_f16 v10, v3, v35
	v_pk_min_f16 v154, v89, v90
	v_pk_min_f16 v106, v34, v10
	v_pk_add_f16 v10, v5, v29
	v_pk_max_f16 v83, v83, v83
	v_pk_min_f16 v105, v137, v10
	v_pk_add_f16 v10, v7, v29
	v_pk_min_f16 v157, v83, v84
	v_pk_min_f16 v104, v138, v10
	v_pk_add_f16 v10, v1, v29
	v_pk_max_f16 v78, v78, v78
	v_pk_min_f16 v103, v139, v10
	v_pk_add_f16 v10, v3, v29
	v_pk_min_f16 v160, v78, v79
	v_pk_min_f16 v101, v28, v10
	v_pk_add_f16 v10, v5, v31
	v_pk_max_f16 v72, v72, v72
	v_pk_min_f16 v99, v140, v10
	v_pk_add_f16 v10, v7, v31
	v_pk_min_f16 v163, v72, v73
	v_pk_min_f16 v98, v141, v10
	v_pk_add_f16 v10, v1, v31
	v_pk_max_f16 v68, v68, v68
	v_pk_min_f16 v97, v142, v10
	v_pk_add_f16 v10, v3, v31
	v_pk_min_f16 v166, v68, v69
	v_pk_min_f16 v96, v30, v10
	v_pk_add_f16 v10, v5, v25
	v_pk_max_f16 v63, v63, v63
	v_pk_min_f16 v95, v143, v10
	v_pk_add_f16 v10, v7, v25
	v_pk_min_f16 v169, v63, v65
	v_pk_min_f16 v94, v144, v10
	v_pk_add_f16 v10, v1, v25
	v_pk_max_f16 v62, v62, v62
	v_pk_min_f16 v93, v145, v10
	v_pk_add_f16 v10, v3, v25
	v_pk_min_f16 v8, v62, v8
	v_pk_min_f16 v92, v24, v10
	v_pk_add_f16 v10, v5, v27
	v_pk_max_f16 v61, v61, v61
	v_pk_min_f16 v91, v146, v10
	v_pk_add_f16 v10, v7, v27
	v_pk_min_f16 v4, v61, v4
	v_pk_min_f16 v90, v147, v10
	v_pk_add_f16 v10, v1, v27
	v_pk_max_f16 v59, v59, v59
	v_pk_min_f16 v89, v148, v10
	v_pk_add_f16 v10, v3, v27
	v_pk_min_f16 v6, v59, v6
	v_pk_min_f16 v87, v26, v10
	v_pk_add_f16 v10, v5, v21
	v_pk_max_f16 v59, v60, v60
	v_pk_min_f16 v85, v149, v10
	v_pk_add_f16 v10, v7, v21
	v_pk_min_f16 v0, v59, v0
	v_pk_min_f16 v84, v150, v10
	v_pk_add_f16 v10, v1, v21
	s_and_b64 vcc, exec, s[4:5]
	v_pk_min_f16 v83, v151, v10
	v_pk_add_f16 v10, v3, v21
	s_nop 0
	v_pk_min_f16 v81, v20, v10
	v_pk_add_f16 v10, v5, v23
	s_nop 0
	;; [unrolled: 3-line block ×21, first 2 shown]
	v_pk_min_f16 v59, v14, v10
	v_pk_add_f16 v10, v5, v9
	v_pk_add_f16 v5, v5, v11
	v_pk_min_f16 v57, v167, v10
	v_pk_add_f16 v10, v7, v9
	v_pk_min_f16 v37, v4, v5
	v_pk_min_f16 v56, v168, v10
	v_pk_add_f16 v10, v1, v9
	v_pk_add_f16 v1, v1, v11
	;; [unrolled: 1-line block ×4, first 2 shown]
	v_pk_min_f16 v34, v0, v1
	v_pk_add_f16 v0, v3, v11
	v_pk_min_f16 v39, v169, v10
	v_pk_min_f16 v38, v8, v9
	;; [unrolled: 1-line block ×4, first 2 shown]
	s_cbranch_vccz .LBB213_19
; %bb.30:                               ;   in Loop: Header=BB213_21 Depth=1
	v_mov_b32_e32 v32, 0
	v_mov_b32_e32 v33, 0
	s_branch .LBB213_20
.LBB213_31:
	s_load_dword s6, s[0:1], 0x58
	ds_read_b64 v[38:39], v88 offset:1024
	ds_read_b64 v[46:47], v86 offset:3072
	v_add_u32_e32 v52, s15, v77
	v_cmp_neq_f16_e64 s[4:5], 0, v58
	v_add_u32_e32 v36, s14, v76
	s_waitcnt lgkmcnt(0)
	v_mad_i64_i32 v[0:1], s[12:13], v52, s6, 0
	v_ashrrev_i32_e32 v37, 31, v36
	v_lshl_add_u64 v[48:49], v[0:1], 1, s[10:11]
	s_and_b64 vcc, exec, s[4:5]
	v_mov_b32_e32 v42, 0
	v_mov_b32_e32 v43, 0
	s_cbranch_vccz .LBB213_33
; %bb.32:
	v_lshl_add_u64 v[0:1], v[36:37], 1, v[48:49]
	flat_load_ushort v0, v[0:1]
	s_waitcnt vmcnt(0) lgkmcnt(0)
	v_mul_f16_e32 v43, v58, v0
.LBB213_33:
	v_add_u32_e32 v4, 0x800, v86
	ds_read2_b64 v[0:3], v88 offset0:160 offset1:192
	ds_read_b64 v[32:33], v88 offset:1792
	ds_read2_b64 v[28:31], v4 offset0:136 offset1:144
	ds_read2_b64 v[24:27], v4 offset0:152 offset1:160
	;; [unrolled: 1-line block ×4, first 2 shown]
	s_load_dword s7, s[0:1], 0x70
	s_load_dwordx2 s[12:13], s[0:1], 0x78
	ds_read2_b64 v[12:15], v4 offset0:200 offset1:208
	ds_read2_b64 v[8:11], v4 offset0:216 offset1:224
	;; [unrolled: 1-line block ×3, first 2 shown]
	ds_read_b64 v[34:35], v86 offset:4032
	v_pk_add_f16 v40, v38, v46
	v_pk_max_f16 v41, v129, v129
	s_waitcnt lgkmcnt(0)
	s_lshl_b64 s[0:1], s[12:13], 1
	s_add_u32 s2, s2, s0
	v_pk_min_f16 v40, v41, v40
	v_pk_add_f16 v41, v39, v47
	s_addc_u32 s3, s3, s1
	v_pk_min_f16 v53, v40, v41
	v_mad_i64_i32 v[44:45], s[0:1], v52, s7, 0
	v_lshl_add_u64 v[50:51], v[44:45], 1, s[2:3]
	v_lshrrev_b32_e32 v44, 16, v53
	v_add_u32_e32 v40, 32, v36
	v_min3_f16 v43, v43, v53, v44
	v_cndmask_b32_e64 v53, 0, 1, s[4:5]
	v_ashrrev_i32_e32 v41, 31, v40
	v_lshl_add_u64 v[44:45], v[36:37], 1, v[50:51]
	v_cmp_ne_u32_e64 s[0:1], 1, v53
	s_andn2_b64 vcc, exec, s[4:5]
	global_store_short v[44:45], v43, off
	s_cbranch_vccnz .LBB213_35
; %bb.34:
	v_lshl_add_u64 v[42:43], v[40:41], 1, v[48:49]
	flat_load_ushort v42, v[42:43]
	s_waitcnt vmcnt(0) lgkmcnt(0)
	v_mul_f16_e32 v42, v58, v42
.LBB213_35:
	v_pk_add_f16 v43, v0, v46
	v_pk_max_f16 v44, v128, v128
	s_and_b64 vcc, exec, s[0:1]
	v_pk_min_f16 v43, v44, v43
	v_pk_add_f16 v44, v1, v47
	v_mov_b32_e32 v54, 0
	v_pk_min_f16 v43, v43, v44
	v_add_u32_e32 v44, 64, v36
	v_lshrrev_b32_e32 v53, 16, v43
	v_min3_f16 v53, v42, v43, v53
	v_lshl_add_u64 v[42:43], v[40:41], 1, v[50:51]
	v_ashrrev_i32_e32 v45, 31, v44
	global_store_short v[42:43], v53, off
	v_mov_b32_e32 v53, 0
	s_cbranch_vccnz .LBB213_37
; %bb.36:
	v_lshl_add_u64 v[42:43], v[44:45], 1, v[48:49]
	flat_load_ushort v42, v[42:43]
	s_waitcnt vmcnt(0) lgkmcnt(0)
	v_mul_f16_e32 v54, v58, v42
.LBB213_37:
	v_pk_add_f16 v42, v2, v46
	v_pk_max_f16 v43, v127, v127
	s_and_b64 vcc, exec, s[0:1]
	v_pk_min_f16 v42, v43, v42
	v_pk_add_f16 v43, v3, v47
	s_nop 0
	v_pk_min_f16 v55, v42, v43
	v_add_u32_e32 v42, 0x60, v36
	v_lshrrev_b32_e32 v56, 16, v55
	v_ashrrev_i32_e32 v43, 31, v42
	v_min3_f16 v56, v54, v55, v56
	v_lshl_add_u64 v[54:55], v[44:45], 1, v[50:51]
	global_store_short v[54:55], v56, off
	s_cbranch_vccnz .LBB213_39
; %bb.38:
	v_lshl_add_u64 v[48:49], v[42:43], 1, v[48:49]
	flat_load_ushort v48, v[48:49]
	s_waitcnt vmcnt(0) lgkmcnt(0)
	v_mul_f16_e32 v53, v58, v48
.LBB213_39:
	v_pk_add_f16 v46, v32, v46
	v_pk_max_f16 v48, v126, v126
	v_pk_add_f16 v47, v33, v47
	v_pk_min_f16 v46, v48, v46
	s_and_b64 vcc, exec, s[0:1]
	v_pk_min_f16 v46, v46, v47
	s_nop 0
	v_lshrrev_b32_e32 v47, 16, v46
	v_min3_f16 v48, v53, v46, v47
	v_lshl_add_u64 v[46:47], v[42:43], 1, v[50:51]
	global_store_short v[46:47], v48, off
	v_add_u32_e32 v48, 8, v52
	v_mad_i64_i32 v[46:47], s[4:5], v48, s6, 0
	v_lshl_add_u64 v[46:47], v[46:47], 1, s[10:11]
	v_mov_b32_e32 v50, 0
	v_mov_b32_e32 v51, 0
	s_cbranch_vccnz .LBB213_41
; %bb.40:
	v_lshl_add_u64 v[54:55], v[36:37], 1, v[46:47]
	flat_load_ushort v49, v[54:55]
	s_waitcnt vmcnt(0) lgkmcnt(0)
	v_mul_f16_e32 v51, v58, v49
.LBB213_41:
	v_pk_add_f16 v49, v38, v28
	v_pk_max_f16 v53, v125, v125
	s_and_b64 vcc, exec, s[0:1]
	v_pk_min_f16 v49, v53, v49
	v_pk_add_f16 v53, v39, v29
	s_nop 0
	v_pk_min_f16 v53, v49, v53
	v_mad_i64_i32 v[48:49], s[4:5], v48, s7, 0
	v_lshl_add_u64 v[48:49], v[48:49], 1, s[2:3]
	v_lshrrev_b32_e32 v54, 16, v53
	v_min3_f16 v51, v51, v53, v54
	v_lshl_add_u64 v[54:55], v[36:37], 1, v[48:49]
	global_store_short v[54:55], v51, off
	s_cbranch_vccnz .LBB213_43
; %bb.42:
	v_lshl_add_u64 v[50:51], v[40:41], 1, v[46:47]
	flat_load_ushort v50, v[50:51]
	s_waitcnt vmcnt(0) lgkmcnt(0)
	v_mul_f16_e32 v50, v58, v50
.LBB213_43:
	v_pk_add_f16 v51, v0, v28
	v_pk_max_f16 v53, v124, v124
	s_and_b64 vcc, exec, s[0:1]
	v_pk_min_f16 v51, v53, v51
	v_pk_add_f16 v53, v1, v29
	s_nop 0
	v_pk_min_f16 v51, v51, v53
	s_nop 0
	v_lshrrev_b32_e32 v53, 16, v51
	v_min3_f16 v53, v50, v51, v53
	v_lshl_add_u64 v[50:51], v[40:41], 1, v[48:49]
	global_store_short v[50:51], v53, off
	v_mov_b32_e32 v50, 0
	v_mov_b32_e32 v51, 0
	s_cbranch_vccnz .LBB213_45
; %bb.44:
	v_lshl_add_u64 v[54:55], v[44:45], 1, v[46:47]
	flat_load_ushort v51, v[54:55]
	s_waitcnt vmcnt(0) lgkmcnt(0)
	v_mul_f16_e32 v51, v58, v51
.LBB213_45:
	v_pk_add_f16 v53, v2, v28
	v_pk_max_f16 v54, v123, v123
	s_and_b64 vcc, exec, s[0:1]
	v_pk_min_f16 v53, v54, v53
	v_pk_add_f16 v54, v3, v29
	s_nop 0
	v_pk_min_f16 v53, v53, v54
	s_nop 0
	v_lshrrev_b32_e32 v54, 16, v53
	v_min3_f16 v51, v51, v53, v54
	v_lshl_add_u64 v[54:55], v[44:45], 1, v[48:49]
	global_store_short v[54:55], v51, off
	s_cbranch_vccnz .LBB213_47
; %bb.46:
	v_lshl_add_u64 v[46:47], v[42:43], 1, v[46:47]
	flat_load_ushort v46, v[46:47]
	s_waitcnt vmcnt(0) lgkmcnt(0)
	v_mul_f16_e32 v50, v58, v46
.LBB213_47:
	v_pk_add_f16 v28, v32, v28
	v_pk_max_f16 v46, v122, v122
	v_pk_add_f16 v29, v33, v29
	v_pk_min_f16 v28, v46, v28
	s_and_b64 vcc, exec, s[0:1]
	v_pk_min_f16 v28, v28, v29
	s_nop 0
	v_lshrrev_b32_e32 v29, 16, v28
	v_min3_f16 v46, v50, v28, v29
	v_lshl_add_u64 v[28:29], v[42:43], 1, v[48:49]
	global_store_short v[28:29], v46, off
	v_add_u32_e32 v46, 16, v52
	v_mad_i64_i32 v[28:29], s[4:5], v46, s6, 0
	v_lshl_add_u64 v[28:29], v[28:29], 1, s[10:11]
	v_mov_b32_e32 v48, 0
	v_mov_b32_e32 v49, 0
	s_cbranch_vccnz .LBB213_49
; %bb.48:
	v_lshl_add_u64 v[50:51], v[36:37], 1, v[28:29]
	flat_load_ushort v47, v[50:51]
	s_waitcnt vmcnt(0) lgkmcnt(0)
	v_mul_f16_e32 v49, v58, v47
.LBB213_49:
	v_pk_add_f16 v47, v38, v30
	v_pk_max_f16 v50, v121, v121
	s_and_b64 vcc, exec, s[0:1]
	v_pk_min_f16 v47, v50, v47
	v_pk_add_f16 v50, v39, v31
	s_nop 0
	v_pk_min_f16 v50, v47, v50
	v_mad_i64_i32 v[46:47], s[4:5], v46, s7, 0
	v_lshl_add_u64 v[46:47], v[46:47], 1, s[2:3]
	v_lshrrev_b32_e32 v51, 16, v50
	v_min3_f16 v49, v49, v50, v51
	v_lshl_add_u64 v[50:51], v[36:37], 1, v[46:47]
	global_store_short v[50:51], v49, off
	s_cbranch_vccnz .LBB213_51
; %bb.50:
	v_lshl_add_u64 v[48:49], v[40:41], 1, v[28:29]
	flat_load_ushort v48, v[48:49]
	s_waitcnt vmcnt(0) lgkmcnt(0)
	v_mul_f16_e32 v48, v58, v48
.LBB213_51:
	v_pk_add_f16 v49, v0, v30
	v_pk_max_f16 v50, v120, v120
	s_and_b64 vcc, exec, s[0:1]
	v_pk_min_f16 v49, v50, v49
	v_pk_add_f16 v50, v1, v31
	s_nop 0
	v_pk_min_f16 v49, v49, v50
	s_nop 0
	v_lshrrev_b32_e32 v50, 16, v49
	v_min3_f16 v50, v48, v49, v50
	v_lshl_add_u64 v[48:49], v[40:41], 1, v[46:47]
	global_store_short v[48:49], v50, off
	v_mov_b32_e32 v48, 0
	v_mov_b32_e32 v49, 0
	s_cbranch_vccnz .LBB213_53
; %bb.52:
	v_lshl_add_u64 v[50:51], v[44:45], 1, v[28:29]
	flat_load_ushort v49, v[50:51]
	s_waitcnt vmcnt(0) lgkmcnt(0)
	v_mul_f16_e32 v49, v58, v49
.LBB213_53:
	v_pk_add_f16 v50, v2, v30
	v_pk_max_f16 v51, v119, v119
	s_and_b64 vcc, exec, s[0:1]
	v_pk_min_f16 v50, v51, v50
	v_pk_add_f16 v51, v3, v31
	s_nop 0
	v_pk_min_f16 v50, v50, v51
	s_nop 0
	v_lshrrev_b32_e32 v51, 16, v50
	v_min3_f16 v49, v49, v50, v51
	v_lshl_add_u64 v[50:51], v[44:45], 1, v[46:47]
	global_store_short v[50:51], v49, off
	s_cbranch_vccnz .LBB213_55
; %bb.54:
	v_lshl_add_u64 v[28:29], v[42:43], 1, v[28:29]
	flat_load_ushort v28, v[28:29]
	s_waitcnt vmcnt(0) lgkmcnt(0)
	v_mul_f16_e32 v48, v58, v28
.LBB213_55:
	v_pk_add_f16 v28, v32, v30
	v_pk_max_f16 v29, v118, v118
	s_and_b64 vcc, exec, s[0:1]
	v_pk_min_f16 v28, v29, v28
	v_pk_add_f16 v29, v33, v31
	s_nop 0
	v_pk_min_f16 v28, v28, v29
	s_nop 0
	v_lshrrev_b32_e32 v29, 16, v28
	v_min3_f16 v30, v48, v28, v29
	v_lshl_add_u64 v[28:29], v[42:43], 1, v[46:47]
	global_store_short v[28:29], v30, off
	v_add_u32_e32 v30, 24, v52
	v_mad_i64_i32 v[28:29], s[4:5], v30, s6, 0
	v_lshl_add_u64 v[28:29], v[28:29], 1, s[10:11]
	v_mov_b32_e32 v46, 0
	v_mov_b32_e32 v47, 0
	s_cbranch_vccnz .LBB213_57
; %bb.56:
	v_lshl_add_u64 v[48:49], v[36:37], 1, v[28:29]
	flat_load_ushort v31, v[48:49]
	s_waitcnt vmcnt(0) lgkmcnt(0)
	v_mul_f16_e32 v47, v58, v31
.LBB213_57:
	v_pk_add_f16 v31, v38, v24
	v_pk_max_f16 v48, v117, v117
	s_and_b64 vcc, exec, s[0:1]
	v_pk_min_f16 v31, v48, v31
	v_pk_add_f16 v48, v39, v25
	s_nop 0
	v_pk_min_f16 v48, v31, v48
	v_mad_i64_i32 v[30:31], s[4:5], v30, s7, 0
	v_lshl_add_u64 v[30:31], v[30:31], 1, s[2:3]
	v_lshrrev_b32_e32 v49, 16, v48
	v_min3_f16 v47, v47, v48, v49
	v_lshl_add_u64 v[48:49], v[36:37], 1, v[30:31]
	global_store_short v[48:49], v47, off
	s_cbranch_vccnz .LBB213_59
; %bb.58:
	v_lshl_add_u64 v[46:47], v[40:41], 1, v[28:29]
	flat_load_ushort v46, v[46:47]
	s_waitcnt vmcnt(0) lgkmcnt(0)
	v_mul_f16_e32 v46, v58, v46
.LBB213_59:
	v_pk_add_f16 v47, v0, v24
	v_pk_max_f16 v48, v116, v116
	s_and_b64 vcc, exec, s[0:1]
	v_pk_min_f16 v47, v48, v47
	v_pk_add_f16 v48, v1, v25
	s_nop 0
	v_pk_min_f16 v47, v47, v48
	s_nop 0
	v_lshrrev_b32_e32 v48, 16, v47
	v_min3_f16 v48, v46, v47, v48
	v_lshl_add_u64 v[46:47], v[40:41], 1, v[30:31]
	global_store_short v[46:47], v48, off
	v_mov_b32_e32 v46, 0
	v_mov_b32_e32 v47, 0
	s_cbranch_vccnz .LBB213_61
; %bb.60:
	v_lshl_add_u64 v[48:49], v[44:45], 1, v[28:29]
	flat_load_ushort v47, v[48:49]
	s_waitcnt vmcnt(0) lgkmcnt(0)
	v_mul_f16_e32 v47, v58, v47
.LBB213_61:
	v_pk_add_f16 v48, v2, v24
	v_pk_max_f16 v49, v115, v115
	s_and_b64 vcc, exec, s[0:1]
	v_pk_min_f16 v48, v49, v48
	v_pk_add_f16 v49, v3, v25
	s_nop 0
	v_pk_min_f16 v48, v48, v49
	s_nop 0
	v_lshrrev_b32_e32 v49, 16, v48
	v_min3_f16 v47, v47, v48, v49
	v_lshl_add_u64 v[48:49], v[44:45], 1, v[30:31]
	global_store_short v[48:49], v47, off
	s_cbranch_vccnz .LBB213_63
; %bb.62:
	v_lshl_add_u64 v[28:29], v[42:43], 1, v[28:29]
	flat_load_ushort v28, v[28:29]
	s_waitcnt vmcnt(0) lgkmcnt(0)
	v_mul_f16_e32 v46, v58, v28
.LBB213_63:
	v_pk_add_f16 v24, v32, v24
	v_pk_max_f16 v28, v114, v114
	v_pk_add_f16 v25, v33, v25
	v_pk_min_f16 v24, v28, v24
	s_and_b64 vcc, exec, s[0:1]
	v_pk_min_f16 v24, v24, v25
	s_nop 0
	v_lshrrev_b32_e32 v25, 16, v24
	v_min3_f16 v28, v46, v24, v25
	v_lshl_add_u64 v[24:25], v[42:43], 1, v[30:31]
	global_store_short v[24:25], v28, off
	v_add_u32_e32 v28, 32, v52
	v_mad_i64_i32 v[24:25], s[4:5], v28, s6, 0
	v_lshl_add_u64 v[24:25], v[24:25], 1, s[10:11]
	v_mov_b32_e32 v30, 0
	v_mov_b32_e32 v31, 0
	s_cbranch_vccnz .LBB213_65
; %bb.64:
	v_lshl_add_u64 v[46:47], v[36:37], 1, v[24:25]
	flat_load_ushort v29, v[46:47]
	s_waitcnt vmcnt(0) lgkmcnt(0)
	v_mul_f16_e32 v31, v58, v29
.LBB213_65:
	v_pk_add_f16 v29, v38, v26
	v_pk_max_f16 v46, v113, v113
	s_and_b64 vcc, exec, s[0:1]
	v_pk_min_f16 v29, v46, v29
	v_pk_add_f16 v46, v39, v27
	s_nop 0
	v_pk_min_f16 v46, v29, v46
	v_mad_i64_i32 v[28:29], s[4:5], v28, s7, 0
	v_lshl_add_u64 v[28:29], v[28:29], 1, s[2:3]
	v_lshrrev_b32_e32 v47, 16, v46
	v_min3_f16 v31, v31, v46, v47
	v_lshl_add_u64 v[46:47], v[36:37], 1, v[28:29]
	global_store_short v[46:47], v31, off
	s_cbranch_vccnz .LBB213_67
; %bb.66:
	v_lshl_add_u64 v[30:31], v[40:41], 1, v[24:25]
	flat_load_ushort v30, v[30:31]
	s_waitcnt vmcnt(0) lgkmcnt(0)
	v_mul_f16_e32 v30, v58, v30
.LBB213_67:
	v_pk_add_f16 v31, v0, v26
	v_pk_max_f16 v46, v112, v112
	s_and_b64 vcc, exec, s[0:1]
	v_pk_min_f16 v31, v46, v31
	v_pk_add_f16 v46, v1, v27
	s_nop 0
	v_pk_min_f16 v31, v31, v46
	s_nop 0
	v_lshrrev_b32_e32 v46, 16, v31
	v_min3_f16 v46, v30, v31, v46
	v_lshl_add_u64 v[30:31], v[40:41], 1, v[28:29]
	global_store_short v[30:31], v46, off
	v_mov_b32_e32 v30, 0
	v_mov_b32_e32 v31, 0
	s_cbranch_vccnz .LBB213_69
; %bb.68:
	v_lshl_add_u64 v[46:47], v[44:45], 1, v[24:25]
	flat_load_ushort v31, v[46:47]
	s_waitcnt vmcnt(0) lgkmcnt(0)
	v_mul_f16_e32 v31, v58, v31
.LBB213_69:
	v_pk_add_f16 v46, v2, v26
	v_pk_max_f16 v47, v111, v111
	s_and_b64 vcc, exec, s[0:1]
	v_pk_min_f16 v46, v47, v46
	v_pk_add_f16 v47, v3, v27
	s_nop 0
	v_pk_min_f16 v46, v46, v47
	s_nop 0
	v_lshrrev_b32_e32 v47, 16, v46
	v_min3_f16 v31, v31, v46, v47
	v_lshl_add_u64 v[46:47], v[44:45], 1, v[28:29]
	global_store_short v[46:47], v31, off
	s_cbranch_vccnz .LBB213_71
; %bb.70:
	v_lshl_add_u64 v[24:25], v[42:43], 1, v[24:25]
	flat_load_ushort v24, v[24:25]
	s_waitcnt vmcnt(0) lgkmcnt(0)
	v_mul_f16_e32 v30, v58, v24
.LBB213_71:
	v_pk_add_f16 v24, v32, v26
	v_pk_max_f16 v25, v110, v110
	s_and_b64 vcc, exec, s[0:1]
	v_pk_min_f16 v24, v25, v24
	v_pk_add_f16 v25, v33, v27
	s_nop 0
	v_pk_min_f16 v24, v24, v25
	s_nop 0
	v_lshrrev_b32_e32 v25, 16, v24
	v_min3_f16 v26, v30, v24, v25
	v_lshl_add_u64 v[24:25], v[42:43], 1, v[28:29]
	global_store_short v[24:25], v26, off
	v_add_u32_e32 v26, 40, v52
	v_mad_i64_i32 v[24:25], s[4:5], v26, s6, 0
	v_lshl_add_u64 v[24:25], v[24:25], 1, s[10:11]
	v_mov_b32_e32 v28, 0
	v_mov_b32_e32 v29, 0
	s_cbranch_vccnz .LBB213_73
; %bb.72:
	v_lshl_add_u64 v[30:31], v[36:37], 1, v[24:25]
	flat_load_ushort v27, v[30:31]
	s_waitcnt vmcnt(0) lgkmcnt(0)
	v_mul_f16_e32 v29, v58, v27
.LBB213_73:
	v_pk_add_f16 v27, v38, v20
	v_pk_max_f16 v30, v109, v109
	s_and_b64 vcc, exec, s[0:1]
	v_pk_min_f16 v27, v30, v27
	v_pk_add_f16 v30, v39, v21
	s_nop 0
	v_pk_min_f16 v30, v27, v30
	v_mad_i64_i32 v[26:27], s[4:5], v26, s7, 0
	v_lshl_add_u64 v[26:27], v[26:27], 1, s[2:3]
	v_lshrrev_b32_e32 v31, 16, v30
	v_min3_f16 v29, v29, v30, v31
	v_lshl_add_u64 v[30:31], v[36:37], 1, v[26:27]
	global_store_short v[30:31], v29, off
	s_cbranch_vccnz .LBB213_75
; %bb.74:
	v_lshl_add_u64 v[28:29], v[40:41], 1, v[24:25]
	flat_load_ushort v28, v[28:29]
	s_waitcnt vmcnt(0) lgkmcnt(0)
	v_mul_f16_e32 v28, v58, v28
.LBB213_75:
	v_pk_add_f16 v29, v0, v20
	v_pk_max_f16 v30, v108, v108
	s_and_b64 vcc, exec, s[0:1]
	v_pk_min_f16 v29, v30, v29
	v_pk_add_f16 v30, v1, v21
	s_nop 0
	v_pk_min_f16 v29, v29, v30
	s_nop 0
	v_lshrrev_b32_e32 v30, 16, v29
	v_min3_f16 v30, v28, v29, v30
	v_lshl_add_u64 v[28:29], v[40:41], 1, v[26:27]
	global_store_short v[28:29], v30, off
	v_mov_b32_e32 v28, 0
	v_mov_b32_e32 v29, 0
	s_cbranch_vccnz .LBB213_77
; %bb.76:
	v_lshl_add_u64 v[30:31], v[44:45], 1, v[24:25]
	flat_load_ushort v29, v[30:31]
	s_waitcnt vmcnt(0) lgkmcnt(0)
	v_mul_f16_e32 v29, v58, v29
.LBB213_77:
	v_pk_add_f16 v30, v2, v20
	v_pk_max_f16 v31, v107, v107
	s_and_b64 vcc, exec, s[0:1]
	v_pk_min_f16 v30, v31, v30
	v_pk_add_f16 v31, v3, v21
	s_nop 0
	v_pk_min_f16 v30, v30, v31
	s_nop 0
	v_lshrrev_b32_e32 v31, 16, v30
	v_min3_f16 v29, v29, v30, v31
	v_lshl_add_u64 v[30:31], v[44:45], 1, v[26:27]
	global_store_short v[30:31], v29, off
	s_cbranch_vccnz .LBB213_79
; %bb.78:
	v_lshl_add_u64 v[24:25], v[42:43], 1, v[24:25]
	flat_load_ushort v24, v[24:25]
	s_waitcnt vmcnt(0) lgkmcnt(0)
	v_mul_f16_e32 v28, v58, v24
.LBB213_79:
	v_pk_add_f16 v20, v32, v20
	v_pk_max_f16 v24, v106, v106
	v_pk_add_f16 v21, v33, v21
	v_pk_min_f16 v20, v24, v20
	s_and_b64 vcc, exec, s[0:1]
	v_pk_min_f16 v20, v20, v21
	s_nop 0
	v_lshrrev_b32_e32 v21, 16, v20
	v_min3_f16 v24, v28, v20, v21
	v_lshl_add_u64 v[20:21], v[42:43], 1, v[26:27]
	global_store_short v[20:21], v24, off
	v_add_u32_e32 v24, 48, v52
	v_mad_i64_i32 v[20:21], s[4:5], v24, s6, 0
	v_lshl_add_u64 v[20:21], v[20:21], 1, s[10:11]
	v_mov_b32_e32 v26, 0
	v_mov_b32_e32 v27, 0
	s_cbranch_vccnz .LBB213_81
; %bb.80:
	v_lshl_add_u64 v[28:29], v[36:37], 1, v[20:21]
	flat_load_ushort v25, v[28:29]
	s_waitcnt vmcnt(0) lgkmcnt(0)
	v_mul_f16_e32 v27, v58, v25
.LBB213_81:
	v_pk_add_f16 v25, v38, v22
	v_pk_max_f16 v28, v105, v105
	s_and_b64 vcc, exec, s[0:1]
	v_pk_min_f16 v25, v28, v25
	v_pk_add_f16 v28, v39, v23
	s_nop 0
	v_pk_min_f16 v28, v25, v28
	v_mad_i64_i32 v[24:25], s[4:5], v24, s7, 0
	v_lshl_add_u64 v[24:25], v[24:25], 1, s[2:3]
	v_lshrrev_b32_e32 v29, 16, v28
	v_min3_f16 v27, v27, v28, v29
	v_lshl_add_u64 v[28:29], v[36:37], 1, v[24:25]
	global_store_short v[28:29], v27, off
	s_cbranch_vccnz .LBB213_83
; %bb.82:
	v_lshl_add_u64 v[26:27], v[40:41], 1, v[20:21]
	flat_load_ushort v26, v[26:27]
	s_waitcnt vmcnt(0) lgkmcnt(0)
	v_mul_f16_e32 v26, v58, v26
.LBB213_83:
	v_pk_add_f16 v27, v0, v22
	v_pk_max_f16 v28, v104, v104
	s_and_b64 vcc, exec, s[0:1]
	v_pk_min_f16 v27, v28, v27
	v_pk_add_f16 v28, v1, v23
	s_nop 0
	v_pk_min_f16 v27, v27, v28
	s_nop 0
	v_lshrrev_b32_e32 v28, 16, v27
	v_min3_f16 v28, v26, v27, v28
	v_lshl_add_u64 v[26:27], v[40:41], 1, v[24:25]
	global_store_short v[26:27], v28, off
	v_mov_b32_e32 v26, 0
	v_mov_b32_e32 v27, 0
	s_cbranch_vccnz .LBB213_85
; %bb.84:
	v_lshl_add_u64 v[28:29], v[44:45], 1, v[20:21]
	flat_load_ushort v27, v[28:29]
	s_waitcnt vmcnt(0) lgkmcnt(0)
	v_mul_f16_e32 v27, v58, v27
.LBB213_85:
	v_pk_add_f16 v28, v2, v22
	v_pk_max_f16 v29, v103, v103
	s_and_b64 vcc, exec, s[0:1]
	v_pk_min_f16 v28, v29, v28
	v_pk_add_f16 v29, v3, v23
	s_nop 0
	v_pk_min_f16 v28, v28, v29
	s_nop 0
	v_lshrrev_b32_e32 v29, 16, v28
	v_min3_f16 v27, v27, v28, v29
	v_lshl_add_u64 v[28:29], v[44:45], 1, v[24:25]
	global_store_short v[28:29], v27, off
	s_cbranch_vccnz .LBB213_87
; %bb.86:
	v_lshl_add_u64 v[20:21], v[42:43], 1, v[20:21]
	flat_load_ushort v20, v[20:21]
	s_waitcnt vmcnt(0) lgkmcnt(0)
	v_mul_f16_e32 v26, v58, v20
.LBB213_87:
	v_pk_add_f16 v20, v32, v22
	v_pk_max_f16 v21, v101, v101
	s_and_b64 vcc, exec, s[0:1]
	v_pk_min_f16 v20, v21, v20
	v_pk_add_f16 v21, v33, v23
	s_nop 0
	v_pk_min_f16 v20, v20, v21
	s_nop 0
	v_lshrrev_b32_e32 v21, 16, v20
	v_min3_f16 v22, v26, v20, v21
	v_lshl_add_u64 v[20:21], v[42:43], 1, v[24:25]
	global_store_short v[20:21], v22, off
	v_add_u32_e32 v22, 56, v52
	v_mad_i64_i32 v[20:21], s[4:5], v22, s6, 0
	v_lshl_add_u64 v[20:21], v[20:21], 1, s[10:11]
	v_mov_b32_e32 v24, 0
	v_mov_b32_e32 v25, 0
	s_cbranch_vccnz .LBB213_89
; %bb.88:
	v_lshl_add_u64 v[26:27], v[36:37], 1, v[20:21]
	flat_load_ushort v23, v[26:27]
	s_waitcnt vmcnt(0) lgkmcnt(0)
	v_mul_f16_e32 v25, v58, v23
.LBB213_89:
	v_pk_add_f16 v23, v38, v16
	v_pk_max_f16 v26, v99, v99
	s_and_b64 vcc, exec, s[0:1]
	v_pk_min_f16 v23, v26, v23
	v_pk_add_f16 v26, v39, v17
	s_nop 0
	v_pk_min_f16 v26, v23, v26
	v_mad_i64_i32 v[22:23], s[4:5], v22, s7, 0
	v_lshl_add_u64 v[22:23], v[22:23], 1, s[2:3]
	v_lshrrev_b32_e32 v27, 16, v26
	v_min3_f16 v25, v25, v26, v27
	v_lshl_add_u64 v[26:27], v[36:37], 1, v[22:23]
	global_store_short v[26:27], v25, off
	s_cbranch_vccnz .LBB213_91
; %bb.90:
	v_lshl_add_u64 v[24:25], v[40:41], 1, v[20:21]
	flat_load_ushort v24, v[24:25]
	s_waitcnt vmcnt(0) lgkmcnt(0)
	v_mul_f16_e32 v24, v58, v24
.LBB213_91:
	v_pk_add_f16 v25, v0, v16
	v_pk_max_f16 v26, v98, v98
	s_and_b64 vcc, exec, s[0:1]
	v_pk_min_f16 v25, v26, v25
	v_pk_add_f16 v26, v1, v17
	s_nop 0
	v_pk_min_f16 v25, v25, v26
	s_nop 0
	v_lshrrev_b32_e32 v26, 16, v25
	v_min3_f16 v26, v24, v25, v26
	v_lshl_add_u64 v[24:25], v[40:41], 1, v[22:23]
	global_store_short v[24:25], v26, off
	v_mov_b32_e32 v24, 0
	v_mov_b32_e32 v25, 0
	s_cbranch_vccnz .LBB213_93
; %bb.92:
	v_lshl_add_u64 v[26:27], v[44:45], 1, v[20:21]
	flat_load_ushort v25, v[26:27]
	s_waitcnt vmcnt(0) lgkmcnt(0)
	v_mul_f16_e32 v25, v58, v25
.LBB213_93:
	v_pk_add_f16 v26, v2, v16
	v_pk_max_f16 v27, v97, v97
	s_and_b64 vcc, exec, s[0:1]
	v_pk_min_f16 v26, v27, v26
	v_pk_add_f16 v27, v3, v17
	s_nop 0
	v_pk_min_f16 v26, v26, v27
	s_nop 0
	v_lshrrev_b32_e32 v27, 16, v26
	v_min3_f16 v25, v25, v26, v27
	v_lshl_add_u64 v[26:27], v[44:45], 1, v[22:23]
	global_store_short v[26:27], v25, off
	s_cbranch_vccnz .LBB213_95
; %bb.94:
	v_lshl_add_u64 v[20:21], v[42:43], 1, v[20:21]
	flat_load_ushort v20, v[20:21]
	s_waitcnt vmcnt(0) lgkmcnt(0)
	v_mul_f16_e32 v24, v58, v20
.LBB213_95:
	v_pk_add_f16 v16, v32, v16
	v_pk_max_f16 v20, v96, v96
	v_pk_add_f16 v17, v33, v17
	v_pk_min_f16 v16, v20, v16
	s_and_b64 vcc, exec, s[0:1]
	v_pk_min_f16 v16, v16, v17
	s_nop 0
	v_lshrrev_b32_e32 v17, 16, v16
	v_min3_f16 v20, v24, v16, v17
	v_lshl_add_u64 v[16:17], v[42:43], 1, v[22:23]
	global_store_short v[16:17], v20, off
	v_add_u32_e32 v20, 64, v52
	v_mad_i64_i32 v[16:17], s[4:5], v20, s6, 0
	v_lshl_add_u64 v[16:17], v[16:17], 1, s[10:11]
	v_mov_b32_e32 v22, 0
	v_mov_b32_e32 v23, 0
	s_cbranch_vccnz .LBB213_97
; %bb.96:
	v_lshl_add_u64 v[24:25], v[36:37], 1, v[16:17]
	flat_load_ushort v21, v[24:25]
	s_waitcnt vmcnt(0) lgkmcnt(0)
	v_mul_f16_e32 v23, v58, v21
.LBB213_97:
	v_pk_add_f16 v21, v38, v18
	v_pk_max_f16 v24, v95, v95
	s_and_b64 vcc, exec, s[0:1]
	v_pk_min_f16 v21, v24, v21
	v_pk_add_f16 v24, v39, v19
	s_nop 0
	v_pk_min_f16 v24, v21, v24
	v_mad_i64_i32 v[20:21], s[4:5], v20, s7, 0
	v_lshl_add_u64 v[20:21], v[20:21], 1, s[2:3]
	v_lshrrev_b32_e32 v25, 16, v24
	v_min3_f16 v23, v23, v24, v25
	v_lshl_add_u64 v[24:25], v[36:37], 1, v[20:21]
	global_store_short v[24:25], v23, off
	s_cbranch_vccnz .LBB213_99
; %bb.98:
	v_lshl_add_u64 v[22:23], v[40:41], 1, v[16:17]
	flat_load_ushort v22, v[22:23]
	s_waitcnt vmcnt(0) lgkmcnt(0)
	v_mul_f16_e32 v22, v58, v22
.LBB213_99:
	v_pk_add_f16 v23, v0, v18
	v_pk_max_f16 v24, v94, v94
	s_and_b64 vcc, exec, s[0:1]
	v_pk_min_f16 v23, v24, v23
	v_pk_add_f16 v24, v1, v19
	s_nop 0
	v_pk_min_f16 v23, v23, v24
	s_nop 0
	v_lshrrev_b32_e32 v24, 16, v23
	v_min3_f16 v24, v22, v23, v24
	v_lshl_add_u64 v[22:23], v[40:41], 1, v[20:21]
	global_store_short v[22:23], v24, off
	v_mov_b32_e32 v22, 0
	v_mov_b32_e32 v23, 0
	s_cbranch_vccnz .LBB213_101
; %bb.100:
	v_lshl_add_u64 v[24:25], v[44:45], 1, v[16:17]
	flat_load_ushort v23, v[24:25]
	s_waitcnt vmcnt(0) lgkmcnt(0)
	v_mul_f16_e32 v23, v58, v23
.LBB213_101:
	v_pk_add_f16 v24, v2, v18
	v_pk_max_f16 v25, v93, v93
	s_and_b64 vcc, exec, s[0:1]
	v_pk_min_f16 v24, v25, v24
	v_pk_add_f16 v25, v3, v19
	s_nop 0
	v_pk_min_f16 v24, v24, v25
	s_nop 0
	v_lshrrev_b32_e32 v25, 16, v24
	v_min3_f16 v23, v23, v24, v25
	v_lshl_add_u64 v[24:25], v[44:45], 1, v[20:21]
	global_store_short v[24:25], v23, off
	s_cbranch_vccnz .LBB213_103
; %bb.102:
	v_lshl_add_u64 v[16:17], v[42:43], 1, v[16:17]
	flat_load_ushort v16, v[16:17]
	s_waitcnt vmcnt(0) lgkmcnt(0)
	v_mul_f16_e32 v22, v58, v16
.LBB213_103:
	v_pk_add_f16 v16, v32, v18
	v_pk_max_f16 v17, v92, v92
	s_and_b64 vcc, exec, s[0:1]
	v_pk_min_f16 v16, v17, v16
	v_pk_add_f16 v17, v33, v19
	s_nop 0
	v_pk_min_f16 v16, v16, v17
	s_nop 0
	v_lshrrev_b32_e32 v17, 16, v16
	v_min3_f16 v18, v22, v16, v17
	v_lshl_add_u64 v[16:17], v[42:43], 1, v[20:21]
	global_store_short v[16:17], v18, off
	v_add_u32_e32 v18, 0x48, v52
	v_mad_i64_i32 v[16:17], s[4:5], v18, s6, 0
	v_lshl_add_u64 v[16:17], v[16:17], 1, s[10:11]
	v_mov_b32_e32 v20, 0
	v_mov_b32_e32 v21, 0
	s_cbranch_vccnz .LBB213_105
; %bb.104:
	v_lshl_add_u64 v[22:23], v[36:37], 1, v[16:17]
	flat_load_ushort v19, v[22:23]
	s_waitcnt vmcnt(0) lgkmcnt(0)
	v_mul_f16_e32 v21, v58, v19
.LBB213_105:
	v_pk_add_f16 v19, v38, v12
	v_pk_max_f16 v22, v91, v91
	s_and_b64 vcc, exec, s[0:1]
	v_pk_min_f16 v19, v22, v19
	v_pk_add_f16 v22, v39, v13
	s_nop 0
	v_pk_min_f16 v22, v19, v22
	v_mad_i64_i32 v[18:19], s[4:5], v18, s7, 0
	v_lshl_add_u64 v[18:19], v[18:19], 1, s[2:3]
	v_lshrrev_b32_e32 v23, 16, v22
	v_min3_f16 v21, v21, v22, v23
	v_lshl_add_u64 v[22:23], v[36:37], 1, v[18:19]
	global_store_short v[22:23], v21, off
	s_cbranch_vccnz .LBB213_107
; %bb.106:
	v_lshl_add_u64 v[20:21], v[40:41], 1, v[16:17]
	flat_load_ushort v20, v[20:21]
	s_waitcnt vmcnt(0) lgkmcnt(0)
	v_mul_f16_e32 v20, v58, v20
.LBB213_107:
	v_pk_add_f16 v21, v0, v12
	v_pk_max_f16 v22, v90, v90
	s_and_b64 vcc, exec, s[0:1]
	v_pk_min_f16 v21, v22, v21
	v_pk_add_f16 v22, v1, v13
	s_nop 0
	v_pk_min_f16 v21, v21, v22
	s_nop 0
	v_lshrrev_b32_e32 v22, 16, v21
	v_min3_f16 v22, v20, v21, v22
	v_lshl_add_u64 v[20:21], v[40:41], 1, v[18:19]
	global_store_short v[20:21], v22, off
	v_mov_b32_e32 v20, 0
	v_mov_b32_e32 v21, 0
	s_cbranch_vccnz .LBB213_109
; %bb.108:
	v_lshl_add_u64 v[22:23], v[44:45], 1, v[16:17]
	flat_load_ushort v21, v[22:23]
	s_waitcnt vmcnt(0) lgkmcnt(0)
	v_mul_f16_e32 v21, v58, v21
.LBB213_109:
	v_pk_add_f16 v22, v2, v12
	v_pk_max_f16 v23, v89, v89
	s_and_b64 vcc, exec, s[0:1]
	v_pk_min_f16 v22, v23, v22
	v_pk_add_f16 v23, v3, v13
	s_nop 0
	v_pk_min_f16 v22, v22, v23
	s_nop 0
	v_lshrrev_b32_e32 v23, 16, v22
	v_min3_f16 v21, v21, v22, v23
	v_lshl_add_u64 v[22:23], v[44:45], 1, v[18:19]
	global_store_short v[22:23], v21, off
	s_cbranch_vccnz .LBB213_111
; %bb.110:
	v_lshl_add_u64 v[16:17], v[42:43], 1, v[16:17]
	flat_load_ushort v16, v[16:17]
	s_waitcnt vmcnt(0) lgkmcnt(0)
	v_mul_f16_e32 v20, v58, v16
.LBB213_111:
	v_pk_add_f16 v12, v32, v12
	v_pk_max_f16 v16, v87, v87
	v_pk_add_f16 v13, v33, v13
	v_pk_min_f16 v12, v16, v12
	s_and_b64 vcc, exec, s[0:1]
	v_pk_min_f16 v12, v12, v13
	s_nop 0
	v_lshrrev_b32_e32 v13, 16, v12
	v_min3_f16 v16, v20, v12, v13
	v_lshl_add_u64 v[12:13], v[42:43], 1, v[18:19]
	global_store_short v[12:13], v16, off
	v_add_u32_e32 v16, 0x50, v52
	v_mad_i64_i32 v[12:13], s[4:5], v16, s6, 0
	v_lshl_add_u64 v[12:13], v[12:13], 1, s[10:11]
	v_mov_b32_e32 v18, 0
	v_mov_b32_e32 v19, 0
	s_cbranch_vccnz .LBB213_113
; %bb.112:
	v_lshl_add_u64 v[20:21], v[36:37], 1, v[12:13]
	flat_load_ushort v17, v[20:21]
	s_waitcnt vmcnt(0) lgkmcnt(0)
	v_mul_f16_e32 v19, v58, v17
.LBB213_113:
	v_pk_add_f16 v17, v38, v14
	v_pk_max_f16 v20, v85, v85
	s_and_b64 vcc, exec, s[0:1]
	v_pk_min_f16 v17, v20, v17
	v_pk_add_f16 v20, v39, v15
	s_nop 0
	v_pk_min_f16 v20, v17, v20
	v_mad_i64_i32 v[16:17], s[4:5], v16, s7, 0
	v_lshl_add_u64 v[16:17], v[16:17], 1, s[2:3]
	v_lshrrev_b32_e32 v21, 16, v20
	v_min3_f16 v19, v19, v20, v21
	v_lshl_add_u64 v[20:21], v[36:37], 1, v[16:17]
	global_store_short v[20:21], v19, off
	s_cbranch_vccnz .LBB213_115
; %bb.114:
	v_lshl_add_u64 v[18:19], v[40:41], 1, v[12:13]
	flat_load_ushort v18, v[18:19]
	s_waitcnt vmcnt(0) lgkmcnt(0)
	v_mul_f16_e32 v18, v58, v18
.LBB213_115:
	v_pk_add_f16 v19, v0, v14
	v_pk_max_f16 v20, v84, v84
	s_and_b64 vcc, exec, s[0:1]
	v_pk_min_f16 v19, v20, v19
	v_pk_add_f16 v20, v1, v15
	s_nop 0
	v_pk_min_f16 v19, v19, v20
	s_nop 0
	v_lshrrev_b32_e32 v20, 16, v19
	v_min3_f16 v20, v18, v19, v20
	v_lshl_add_u64 v[18:19], v[40:41], 1, v[16:17]
	global_store_short v[18:19], v20, off
	v_mov_b32_e32 v18, 0
	v_mov_b32_e32 v19, 0
	s_cbranch_vccnz .LBB213_117
; %bb.116:
	v_lshl_add_u64 v[20:21], v[44:45], 1, v[12:13]
	flat_load_ushort v19, v[20:21]
	s_waitcnt vmcnt(0) lgkmcnt(0)
	v_mul_f16_e32 v19, v58, v19
.LBB213_117:
	v_pk_add_f16 v20, v2, v14
	v_pk_max_f16 v21, v83, v83
	s_and_b64 vcc, exec, s[0:1]
	v_pk_min_f16 v20, v21, v20
	v_pk_add_f16 v21, v3, v15
	s_nop 0
	v_pk_min_f16 v20, v20, v21
	s_nop 0
	v_lshrrev_b32_e32 v21, 16, v20
	v_min3_f16 v19, v19, v20, v21
	v_lshl_add_u64 v[20:21], v[44:45], 1, v[16:17]
	global_store_short v[20:21], v19, off
	s_cbranch_vccnz .LBB213_119
; %bb.118:
	v_lshl_add_u64 v[12:13], v[42:43], 1, v[12:13]
	flat_load_ushort v12, v[12:13]
	s_waitcnt vmcnt(0) lgkmcnt(0)
	v_mul_f16_e32 v18, v58, v12
.LBB213_119:
	v_pk_add_f16 v12, v32, v14
	v_pk_max_f16 v13, v81, v81
	s_and_b64 vcc, exec, s[0:1]
	v_pk_min_f16 v12, v13, v12
	v_pk_add_f16 v13, v33, v15
	s_nop 0
	v_pk_min_f16 v12, v12, v13
	s_nop 0
	v_lshrrev_b32_e32 v13, 16, v12
	v_min3_f16 v14, v18, v12, v13
	v_lshl_add_u64 v[12:13], v[42:43], 1, v[16:17]
	global_store_short v[12:13], v14, off
	v_add_u32_e32 v14, 0x58, v52
	v_mad_i64_i32 v[12:13], s[4:5], v14, s6, 0
	v_lshl_add_u64 v[12:13], v[12:13], 1, s[10:11]
	v_mov_b32_e32 v16, 0
	v_mov_b32_e32 v17, 0
	s_cbranch_vccnz .LBB213_121
; %bb.120:
	v_lshl_add_u64 v[18:19], v[36:37], 1, v[12:13]
	flat_load_ushort v15, v[18:19]
	s_waitcnt vmcnt(0) lgkmcnt(0)
	v_mul_f16_e32 v17, v58, v15
.LBB213_121:
	v_pk_add_f16 v15, v38, v8
	v_pk_max_f16 v18, v80, v80
	s_and_b64 vcc, exec, s[0:1]
	v_pk_min_f16 v15, v18, v15
	v_pk_add_f16 v18, v39, v9
	s_nop 0
	v_pk_min_f16 v18, v15, v18
	v_mad_i64_i32 v[14:15], s[4:5], v14, s7, 0
	v_lshl_add_u64 v[14:15], v[14:15], 1, s[2:3]
	v_lshrrev_b32_e32 v19, 16, v18
	v_min3_f16 v17, v17, v18, v19
	v_lshl_add_u64 v[18:19], v[36:37], 1, v[14:15]
	global_store_short v[18:19], v17, off
	s_cbranch_vccnz .LBB213_123
; %bb.122:
	v_lshl_add_u64 v[16:17], v[40:41], 1, v[12:13]
	flat_load_ushort v16, v[16:17]
	s_waitcnt vmcnt(0) lgkmcnt(0)
	v_mul_f16_e32 v16, v58, v16
.LBB213_123:
	v_pk_add_f16 v17, v0, v8
	v_pk_max_f16 v18, v79, v79
	s_and_b64 vcc, exec, s[0:1]
	v_pk_min_f16 v17, v18, v17
	v_pk_add_f16 v18, v1, v9
	s_nop 0
	v_pk_min_f16 v17, v17, v18
	s_nop 0
	v_lshrrev_b32_e32 v18, 16, v17
	v_min3_f16 v18, v16, v17, v18
	v_lshl_add_u64 v[16:17], v[40:41], 1, v[14:15]
	global_store_short v[16:17], v18, off
	v_mov_b32_e32 v16, 0
	v_mov_b32_e32 v17, 0
	s_cbranch_vccnz .LBB213_125
; %bb.124:
	v_lshl_add_u64 v[18:19], v[44:45], 1, v[12:13]
	flat_load_ushort v17, v[18:19]
	s_waitcnt vmcnt(0) lgkmcnt(0)
	v_mul_f16_e32 v17, v58, v17
.LBB213_125:
	v_pk_add_f16 v18, v2, v8
	v_pk_max_f16 v19, v78, v78
	s_and_b64 vcc, exec, s[0:1]
	v_pk_min_f16 v18, v19, v18
	v_pk_add_f16 v19, v3, v9
	s_nop 0
	v_pk_min_f16 v18, v18, v19
	s_nop 0
	v_lshrrev_b32_e32 v19, 16, v18
	v_min3_f16 v17, v17, v18, v19
	v_lshl_add_u64 v[18:19], v[44:45], 1, v[14:15]
	global_store_short v[18:19], v17, off
	s_cbranch_vccnz .LBB213_127
; %bb.126:
	v_lshl_add_u64 v[12:13], v[42:43], 1, v[12:13]
	flat_load_ushort v12, v[12:13]
	s_waitcnt vmcnt(0) lgkmcnt(0)
	v_mul_f16_e32 v16, v58, v12
.LBB213_127:
	v_pk_add_f16 v8, v32, v8
	v_pk_max_f16 v12, v75, v75
	v_pk_add_f16 v9, v33, v9
	v_pk_min_f16 v8, v12, v8
	s_and_b64 vcc, exec, s[0:1]
	v_pk_min_f16 v8, v8, v9
	s_nop 0
	v_lshrrev_b32_e32 v9, 16, v8
	v_min3_f16 v12, v16, v8, v9
	v_lshl_add_u64 v[8:9], v[42:43], 1, v[14:15]
	global_store_short v[8:9], v12, off
	v_add_u32_e32 v12, 0x60, v52
	v_mad_i64_i32 v[8:9], s[4:5], v12, s6, 0
	v_lshl_add_u64 v[8:9], v[8:9], 1, s[10:11]
	v_mov_b32_e32 v14, 0
	v_mov_b32_e32 v15, 0
	s_cbranch_vccnz .LBB213_129
; %bb.128:
	v_lshl_add_u64 v[16:17], v[36:37], 1, v[8:9]
	flat_load_ushort v13, v[16:17]
	s_waitcnt vmcnt(0) lgkmcnt(0)
	v_mul_f16_e32 v15, v58, v13
.LBB213_129:
	v_pk_add_f16 v13, v38, v10
	v_pk_max_f16 v16, v74, v74
	s_and_b64 vcc, exec, s[0:1]
	v_pk_min_f16 v13, v16, v13
	v_pk_add_f16 v16, v39, v11
	s_nop 0
	v_pk_min_f16 v16, v13, v16
	v_mad_i64_i32 v[12:13], s[4:5], v12, s7, 0
	v_lshl_add_u64 v[12:13], v[12:13], 1, s[2:3]
	v_lshrrev_b32_e32 v17, 16, v16
	v_min3_f16 v15, v15, v16, v17
	v_lshl_add_u64 v[16:17], v[36:37], 1, v[12:13]
	global_store_short v[16:17], v15, off
	s_cbranch_vccnz .LBB213_131
; %bb.130:
	v_lshl_add_u64 v[14:15], v[40:41], 1, v[8:9]
	flat_load_ushort v14, v[14:15]
	s_waitcnt vmcnt(0) lgkmcnt(0)
	v_mul_f16_e32 v14, v58, v14
.LBB213_131:
	v_pk_add_f16 v15, v0, v10
	v_pk_max_f16 v16, v73, v73
	s_and_b64 vcc, exec, s[0:1]
	v_pk_min_f16 v15, v16, v15
	v_pk_add_f16 v16, v1, v11
	s_nop 0
	v_pk_min_f16 v15, v15, v16
	s_nop 0
	v_lshrrev_b32_e32 v16, 16, v15
	v_min3_f16 v16, v14, v15, v16
	v_lshl_add_u64 v[14:15], v[40:41], 1, v[12:13]
	global_store_short v[14:15], v16, off
	v_mov_b32_e32 v14, 0
	v_mov_b32_e32 v15, 0
	s_cbranch_vccnz .LBB213_133
; %bb.132:
	v_lshl_add_u64 v[16:17], v[44:45], 1, v[8:9]
	flat_load_ushort v15, v[16:17]
	s_waitcnt vmcnt(0) lgkmcnt(0)
	v_mul_f16_e32 v15, v58, v15
.LBB213_133:
	v_pk_add_f16 v16, v2, v10
	v_pk_max_f16 v17, v72, v72
	s_and_b64 vcc, exec, s[0:1]
	v_pk_min_f16 v16, v17, v16
	v_pk_add_f16 v17, v3, v11
	s_nop 0
	v_pk_min_f16 v16, v16, v17
	s_nop 0
	v_lshrrev_b32_e32 v17, 16, v16
	v_min3_f16 v15, v15, v16, v17
	v_lshl_add_u64 v[16:17], v[44:45], 1, v[12:13]
	global_store_short v[16:17], v15, off
	s_cbranch_vccnz .LBB213_135
; %bb.134:
	v_lshl_add_u64 v[8:9], v[42:43], 1, v[8:9]
	flat_load_ushort v8, v[8:9]
	s_waitcnt vmcnt(0) lgkmcnt(0)
	v_mul_f16_e32 v14, v58, v8
.LBB213_135:
	v_pk_add_f16 v8, v32, v10
	v_pk_max_f16 v9, v71, v71
	s_and_b64 vcc, exec, s[0:1]
	v_pk_min_f16 v8, v9, v8
	v_pk_add_f16 v9, v33, v11
	s_nop 0
	v_pk_min_f16 v8, v8, v9
	s_nop 0
	v_lshrrev_b32_e32 v9, 16, v8
	v_min3_f16 v10, v14, v8, v9
	v_lshl_add_u64 v[8:9], v[42:43], 1, v[12:13]
	global_store_short v[8:9], v10, off
	v_add_u32_e32 v10, 0x68, v52
	v_mad_i64_i32 v[8:9], s[4:5], v10, s6, 0
	v_lshl_add_u64 v[8:9], v[8:9], 1, s[10:11]
	v_mov_b32_e32 v12, 0
	v_mov_b32_e32 v13, 0
	s_cbranch_vccnz .LBB213_137
; %bb.136:
	v_lshl_add_u64 v[14:15], v[36:37], 1, v[8:9]
	flat_load_ushort v11, v[14:15]
	s_waitcnt vmcnt(0) lgkmcnt(0)
	v_mul_f16_e32 v13, v58, v11
.LBB213_137:
	v_pk_add_f16 v11, v38, v4
	v_pk_max_f16 v14, v70, v70
	s_and_b64 vcc, exec, s[0:1]
	v_pk_min_f16 v11, v14, v11
	v_pk_add_f16 v14, v39, v5
	s_nop 0
	v_pk_min_f16 v14, v11, v14
	v_mad_i64_i32 v[10:11], s[4:5], v10, s7, 0
	v_lshl_add_u64 v[10:11], v[10:11], 1, s[2:3]
	v_lshrrev_b32_e32 v15, 16, v14
	v_min3_f16 v13, v13, v14, v15
	v_lshl_add_u64 v[14:15], v[36:37], 1, v[10:11]
	global_store_short v[14:15], v13, off
	s_cbranch_vccnz .LBB213_139
; %bb.138:
	v_lshl_add_u64 v[12:13], v[40:41], 1, v[8:9]
	flat_load_ushort v12, v[12:13]
	s_waitcnt vmcnt(0) lgkmcnt(0)
	v_mul_f16_e32 v12, v58, v12
.LBB213_139:
	v_pk_add_f16 v13, v0, v4
	v_pk_max_f16 v14, v69, v69
	s_and_b64 vcc, exec, s[0:1]
	v_pk_min_f16 v13, v14, v13
	v_pk_add_f16 v14, v1, v5
	s_nop 0
	v_pk_min_f16 v13, v13, v14
	s_nop 0
	v_lshrrev_b32_e32 v14, 16, v13
	v_min3_f16 v14, v12, v13, v14
	v_lshl_add_u64 v[12:13], v[40:41], 1, v[10:11]
	global_store_short v[12:13], v14, off
	v_mov_b32_e32 v12, 0
	v_mov_b32_e32 v13, 0
	s_cbranch_vccnz .LBB213_141
; %bb.140:
	v_lshl_add_u64 v[14:15], v[44:45], 1, v[8:9]
	flat_load_ushort v13, v[14:15]
	s_waitcnt vmcnt(0) lgkmcnt(0)
	v_mul_f16_e32 v13, v58, v13
.LBB213_141:
	v_pk_add_f16 v14, v2, v4
	v_pk_max_f16 v15, v68, v68
	s_and_b64 vcc, exec, s[0:1]
	v_pk_min_f16 v14, v15, v14
	v_pk_add_f16 v15, v3, v5
	s_nop 0
	v_pk_min_f16 v14, v14, v15
	s_nop 0
	v_lshrrev_b32_e32 v15, 16, v14
	v_min3_f16 v13, v13, v14, v15
	v_lshl_add_u64 v[14:15], v[44:45], 1, v[10:11]
	global_store_short v[14:15], v13, off
	s_cbranch_vccnz .LBB213_143
; %bb.142:
	v_lshl_add_u64 v[8:9], v[42:43], 1, v[8:9]
	flat_load_ushort v8, v[8:9]
	s_waitcnt vmcnt(0) lgkmcnt(0)
	v_mul_f16_e32 v12, v58, v8
.LBB213_143:
	v_pk_add_f16 v4, v32, v4
	v_pk_max_f16 v8, v67, v67
	v_pk_add_f16 v5, v33, v5
	v_pk_min_f16 v4, v8, v4
	s_and_b64 vcc, exec, s[0:1]
	v_pk_min_f16 v4, v4, v5
	s_nop 0
	v_lshrrev_b32_e32 v5, 16, v4
	v_min3_f16 v8, v12, v4, v5
	v_lshl_add_u64 v[4:5], v[42:43], 1, v[10:11]
	global_store_short v[4:5], v8, off
	v_add_u32_e32 v8, 0x70, v52
	v_mad_i64_i32 v[4:5], s[4:5], v8, s6, 0
	v_lshl_add_u64 v[4:5], v[4:5], 1, s[10:11]
	v_mov_b32_e32 v10, 0
	v_mov_b32_e32 v11, 0
	s_cbranch_vccnz .LBB213_145
; %bb.144:
	v_lshl_add_u64 v[12:13], v[36:37], 1, v[4:5]
	flat_load_ushort v9, v[12:13]
	s_waitcnt vmcnt(0) lgkmcnt(0)
	v_mul_f16_e32 v11, v58, v9
.LBB213_145:
	v_pk_add_f16 v9, v38, v6
	v_pk_max_f16 v12, v66, v66
	s_and_b64 vcc, exec, s[0:1]
	v_pk_min_f16 v9, v12, v9
	v_pk_add_f16 v12, v39, v7
	s_nop 0
	v_pk_min_f16 v12, v9, v12
	v_mad_i64_i32 v[8:9], s[4:5], v8, s7, 0
	v_lshl_add_u64 v[8:9], v[8:9], 1, s[2:3]
	v_lshrrev_b32_e32 v13, 16, v12
	v_min3_f16 v11, v11, v12, v13
	v_lshl_add_u64 v[12:13], v[36:37], 1, v[8:9]
	global_store_short v[12:13], v11, off
	s_cbranch_vccnz .LBB213_147
; %bb.146:
	v_lshl_add_u64 v[10:11], v[40:41], 1, v[4:5]
	flat_load_ushort v10, v[10:11]
	s_waitcnt vmcnt(0) lgkmcnt(0)
	v_mul_f16_e32 v10, v58, v10
.LBB213_147:
	v_pk_add_f16 v11, v0, v6
	v_pk_max_f16 v12, v65, v65
	s_and_b64 vcc, exec, s[0:1]
	v_pk_min_f16 v11, v12, v11
	v_pk_add_f16 v12, v1, v7
	s_nop 0
	v_pk_min_f16 v11, v11, v12
	s_nop 0
	v_lshrrev_b32_e32 v12, 16, v11
	v_min3_f16 v12, v10, v11, v12
	v_lshl_add_u64 v[10:11], v[40:41], 1, v[8:9]
	global_store_short v[10:11], v12, off
	v_mov_b32_e32 v10, 0
	v_mov_b32_e32 v11, 0
	s_cbranch_vccnz .LBB213_149
; %bb.148:
	v_lshl_add_u64 v[12:13], v[44:45], 1, v[4:5]
	flat_load_ushort v11, v[12:13]
	s_waitcnt vmcnt(0) lgkmcnt(0)
	v_mul_f16_e32 v11, v58, v11
.LBB213_149:
	v_pk_add_f16 v12, v2, v6
	v_pk_max_f16 v13, v63, v63
	s_and_b64 vcc, exec, s[0:1]
	v_pk_min_f16 v12, v13, v12
	v_pk_add_f16 v13, v3, v7
	s_nop 0
	v_pk_min_f16 v12, v12, v13
	s_nop 0
	v_lshrrev_b32_e32 v13, 16, v12
	v_min3_f16 v11, v11, v12, v13
	v_lshl_add_u64 v[12:13], v[44:45], 1, v[8:9]
	global_store_short v[12:13], v11, off
	s_cbranch_vccnz .LBB213_151
; %bb.150:
	v_lshl_add_u64 v[4:5], v[42:43], 1, v[4:5]
	flat_load_ushort v4, v[4:5]
	s_waitcnt vmcnt(0) lgkmcnt(0)
	v_mul_f16_e32 v10, v58, v4
.LBB213_151:
	v_pk_add_f16 v4, v32, v6
	v_pk_max_f16 v5, v62, v62
	s_and_b64 vcc, exec, s[0:1]
	v_pk_min_f16 v4, v5, v4
	v_pk_add_f16 v5, v33, v7
	s_nop 0
	v_pk_min_f16 v4, v4, v5
	s_nop 0
	v_lshrrev_b32_e32 v5, 16, v4
	v_min3_f16 v6, v10, v4, v5
	v_lshl_add_u64 v[4:5], v[42:43], 1, v[8:9]
	global_store_short v[4:5], v6, off
	v_add_u32_e32 v6, 0x78, v52
	v_mad_i64_i32 v[4:5], s[4:5], v6, s6, 0
	v_lshl_add_u64 v[4:5], v[4:5], 1, s[10:11]
	v_mov_b32_e32 v8, 0
	v_mov_b32_e32 v9, 0
	s_cbranch_vccnz .LBB213_153
; %bb.152:
	v_lshl_add_u64 v[10:11], v[36:37], 1, v[4:5]
	flat_load_ushort v7, v[10:11]
	s_waitcnt vmcnt(0) lgkmcnt(0)
	v_mul_f16_e32 v9, v58, v7
.LBB213_153:
	v_pk_add_f16 v7, v38, v34
	v_pk_max_f16 v10, v61, v61
	s_and_b64 vcc, exec, s[0:1]
	v_pk_min_f16 v7, v10, v7
	v_pk_add_f16 v10, v39, v35
	s_nop 0
	v_pk_min_f16 v10, v7, v10
	v_mad_i64_i32 v[6:7], s[4:5], v6, s7, 0
	v_lshl_add_u64 v[6:7], v[6:7], 1, s[2:3]
	v_lshrrev_b32_e32 v11, 16, v10
	v_min3_f16 v9, v9, v10, v11
	v_lshl_add_u64 v[10:11], v[36:37], 1, v[6:7]
	global_store_short v[10:11], v9, off
	s_cbranch_vccnz .LBB213_155
; %bb.154:
	v_lshl_add_u64 v[8:9], v[40:41], 1, v[4:5]
	flat_load_ushort v8, v[8:9]
	s_waitcnt vmcnt(0) lgkmcnt(0)
	v_mul_f16_e32 v8, v58, v8
.LBB213_155:
	v_pk_add_f16 v0, v0, v34
	v_pk_max_f16 v9, v59, v59
	v_pk_add_f16 v2, v2, v34
	v_pk_min_f16 v0, v9, v0
	v_pk_max_f16 v9, v60, v60
	v_pk_add_f16 v1, v1, v35
	v_pk_min_f16 v2, v9, v2
	v_pk_min_f16 v0, v0, v1
	v_pk_add_f16 v1, v3, v35
	s_mov_b64 vcc, s[8:9]
	v_pk_min_f16 v2, v2, v1
	v_lshrrev_b32_e32 v1, 16, v0
	v_min3_f16 v3, v8, v0, v1
	v_lshl_add_u64 v[0:1], v[40:41], 1, v[6:7]
	global_store_short v[0:1], v3, off
	v_min_f16_sdwa v0, v2, v2 dst_sel:DWORD dst_unused:UNUSED_PAD src0_sel:DWORD src1_sel:WORD_1
	v_max_f16_e32 v0, v0, v0
	s_cbranch_vccz .LBB213_158
; %bb.156:
	v_min_f16_e32 v1, 0, v0
	v_lshl_add_u64 v[2:3], v[44:45], 1, v[6:7]
	s_mov_b32 s2, 0
	global_store_short v[2:3], v1, off
	s_cbranch_execz .LBB213_159
; %bb.157:
	v_mov_b32_e32 v0, s2
	s_branch .LBB213_160
.LBB213_158:
                                        ; implicit-def: $sgpr2
.LBB213_159:
	v_lshlrev_b64 v[2:3], 1, v[44:45]
	v_lshl_add_u64 v[8:9], v[4:5], 0, v[2:3]
	flat_load_ushort v1, v[8:9]
	v_lshl_add_u64 v[2:3], v[6:7], 0, v[2:3]
	s_waitcnt vmcnt(0) lgkmcnt(0)
	v_mul_f16_e32 v1, v58, v1
	v_min_f16_e32 v0, v1, v0
	global_store_short v[2:3], v0, off
	v_lshl_add_u64 v[0:1], v[42:43], 1, v[4:5]
	flat_load_ushort v0, v[0:1]
	s_waitcnt vmcnt(0) lgkmcnt(0)
	v_mul_f16_e32 v0, v58, v0
.LBB213_160:
	v_pk_add_f16 v1, v32, v34
	v_pk_max_f16 v2, v64, v64
	s_nop 0
	v_pk_min_f16 v1, v2, v1
	v_pk_add_f16 v2, v33, v35
	s_nop 0
	v_pk_min_f16 v1, v1, v2
	s_nop 0
	v_lshrrev_b32_e32 v2, 16, v1
	v_min3_f16 v2, v0, v1, v2
	v_lshl_add_u64 v[0:1], v[42:43], 1, v[6:7]
	global_store_short v[0:1], v2, off
	s_endpgm
	.section	.rodata,"a",@progbits
	.p2align	6, 0x0
	.amdhsa_kernel _ZN12_GLOBAL__N_120geam_min_plus_kernelIDF16_Dv2_DF16_S1_Li32ELi8ELi128ELi128ELi4ELi4ELi64ELi4ELi64ELc84ELc78ELb0ELb0ELb1EPKDF16_KS3_KPDF16_EEviiiT16_PT17_ilS9_ilS7_S9_ilPT18_ili26rocblas_geam_ex_operation_
		.amdhsa_group_segment_fixed_size 4096
		.amdhsa_private_segment_fixed_size 0
		.amdhsa_kernarg_size 136
		.amdhsa_user_sgpr_count 2
		.amdhsa_user_sgpr_dispatch_ptr 0
		.amdhsa_user_sgpr_queue_ptr 0
		.amdhsa_user_sgpr_kernarg_segment_ptr 1
		.amdhsa_user_sgpr_dispatch_id 0
		.amdhsa_user_sgpr_kernarg_preload_length 0
		.amdhsa_user_sgpr_kernarg_preload_offset 0
		.amdhsa_user_sgpr_private_segment_size 0
		.amdhsa_uses_dynamic_stack 0
		.amdhsa_enable_private_segment 0
		.amdhsa_system_sgpr_workgroup_id_x 1
		.amdhsa_system_sgpr_workgroup_id_y 0
		.amdhsa_system_sgpr_workgroup_id_z 1
		.amdhsa_system_sgpr_workgroup_info 0
		.amdhsa_system_vgpr_workitem_id 1
		.amdhsa_next_free_vgpr 170
		.amdhsa_next_free_sgpr 26
		.amdhsa_accum_offset 172
		.amdhsa_reserve_vcc 1
		.amdhsa_float_round_mode_32 0
		.amdhsa_float_round_mode_16_64 0
		.amdhsa_float_denorm_mode_32 3
		.amdhsa_float_denorm_mode_16_64 3
		.amdhsa_dx10_clamp 1
		.amdhsa_ieee_mode 1
		.amdhsa_fp16_overflow 0
		.amdhsa_tg_split 0
		.amdhsa_exception_fp_ieee_invalid_op 0
		.amdhsa_exception_fp_denorm_src 0
		.amdhsa_exception_fp_ieee_div_zero 0
		.amdhsa_exception_fp_ieee_overflow 0
		.amdhsa_exception_fp_ieee_underflow 0
		.amdhsa_exception_fp_ieee_inexact 0
		.amdhsa_exception_int_div_zero 0
	.end_amdhsa_kernel
	.section	.text._ZN12_GLOBAL__N_120geam_min_plus_kernelIDF16_Dv2_DF16_S1_Li32ELi8ELi128ELi128ELi4ELi4ELi64ELi4ELi64ELc84ELc78ELb0ELb0ELb1EPKDF16_KS3_KPDF16_EEviiiT16_PT17_ilS9_ilS7_S9_ilPT18_ili26rocblas_geam_ex_operation_,"axG",@progbits,_ZN12_GLOBAL__N_120geam_min_plus_kernelIDF16_Dv2_DF16_S1_Li32ELi8ELi128ELi128ELi4ELi4ELi64ELi4ELi64ELc84ELc78ELb0ELb0ELb1EPKDF16_KS3_KPDF16_EEviiiT16_PT17_ilS9_ilS7_S9_ilPT18_ili26rocblas_geam_ex_operation_,comdat
.Lfunc_end213:
	.size	_ZN12_GLOBAL__N_120geam_min_plus_kernelIDF16_Dv2_DF16_S1_Li32ELi8ELi128ELi128ELi4ELi4ELi64ELi4ELi64ELc84ELc78ELb0ELb0ELb1EPKDF16_KS3_KPDF16_EEviiiT16_PT17_ilS9_ilS7_S9_ilPT18_ili26rocblas_geam_ex_operation_, .Lfunc_end213-_ZN12_GLOBAL__N_120geam_min_plus_kernelIDF16_Dv2_DF16_S1_Li32ELi8ELi128ELi128ELi4ELi4ELi64ELi4ELi64ELc84ELc78ELb0ELb0ELb1EPKDF16_KS3_KPDF16_EEviiiT16_PT17_ilS9_ilS7_S9_ilPT18_ili26rocblas_geam_ex_operation_
                                        ; -- End function
	.section	.AMDGPU.csdata,"",@progbits
; Kernel info:
; codeLenInByte = 17024
; NumSgprs: 32
; NumVgprs: 170
; NumAgprs: 0
; TotalNumVgprs: 170
; ScratchSize: 0
; MemoryBound: 0
; FloatMode: 240
; IeeeMode: 1
; LDSByteSize: 4096 bytes/workgroup (compile time only)
; SGPRBlocks: 3
; VGPRBlocks: 21
; NumSGPRsForWavesPerEU: 32
; NumVGPRsForWavesPerEU: 170
; AccumOffset: 172
; Occupancy: 2
; WaveLimiterHint : 1
; COMPUTE_PGM_RSRC2:SCRATCH_EN: 0
; COMPUTE_PGM_RSRC2:USER_SGPR: 2
; COMPUTE_PGM_RSRC2:TRAP_HANDLER: 0
; COMPUTE_PGM_RSRC2:TGID_X_EN: 1
; COMPUTE_PGM_RSRC2:TGID_Y_EN: 0
; COMPUTE_PGM_RSRC2:TGID_Z_EN: 1
; COMPUTE_PGM_RSRC2:TIDIG_COMP_CNT: 1
; COMPUTE_PGM_RSRC3_GFX90A:ACCUM_OFFSET: 42
; COMPUTE_PGM_RSRC3_GFX90A:TG_SPLIT: 0
	.section	.text._ZN12_GLOBAL__N_120geam_min_plus_kernelIDF16_Dv2_DF16_S1_Li32ELi8ELi128ELi128ELi4ELi4ELi64ELi4ELi64ELc84ELc78ELb1ELb0ELb1EDF16_KPKDF16_KPDF16_EEviiiT16_PT17_ilS9_ilS7_S9_ilPT18_ili26rocblas_geam_ex_operation_,"axG",@progbits,_ZN12_GLOBAL__N_120geam_min_plus_kernelIDF16_Dv2_DF16_S1_Li32ELi8ELi128ELi128ELi4ELi4ELi64ELi4ELi64ELc84ELc78ELb1ELb0ELb1EDF16_KPKDF16_KPDF16_EEviiiT16_PT17_ilS9_ilS7_S9_ilPT18_ili26rocblas_geam_ex_operation_,comdat
	.globl	_ZN12_GLOBAL__N_120geam_min_plus_kernelIDF16_Dv2_DF16_S1_Li32ELi8ELi128ELi128ELi4ELi4ELi64ELi4ELi64ELc84ELc78ELb1ELb0ELb1EDF16_KPKDF16_KPDF16_EEviiiT16_PT17_ilS9_ilS7_S9_ilPT18_ili26rocblas_geam_ex_operation_ ; -- Begin function _ZN12_GLOBAL__N_120geam_min_plus_kernelIDF16_Dv2_DF16_S1_Li32ELi8ELi128ELi128ELi4ELi4ELi64ELi4ELi64ELc84ELc78ELb1ELb0ELb1EDF16_KPKDF16_KPDF16_EEviiiT16_PT17_ilS9_ilS7_S9_ilPT18_ili26rocblas_geam_ex_operation_
	.p2align	8
	.type	_ZN12_GLOBAL__N_120geam_min_plus_kernelIDF16_Dv2_DF16_S1_Li32ELi8ELi128ELi128ELi4ELi4ELi64ELi4ELi64ELc84ELc78ELb1ELb0ELb1EDF16_KPKDF16_KPDF16_EEviiiT16_PT17_ilS9_ilS7_S9_ilPT18_ili26rocblas_geam_ex_operation_,@function
_ZN12_GLOBAL__N_120geam_min_plus_kernelIDF16_Dv2_DF16_S1_Li32ELi8ELi128ELi128ELi4ELi4ELi64ELi4ELi64ELc84ELc78ELb1ELb0ELb1EDF16_KPKDF16_KPDF16_EEviiiT16_PT17_ilS9_ilS7_S9_ilPT18_ili26rocblas_geam_ex_operation_: ; @_ZN12_GLOBAL__N_120geam_min_plus_kernelIDF16_Dv2_DF16_S1_Li32ELi8ELi128ELi128ELi4ELi4ELi64ELi4ELi64ELc84ELc78ELb1ELb0ELb1EDF16_KPKDF16_KPDF16_EEviiiT16_PT17_ilS9_ilS7_S9_ilPT18_ili26rocblas_geam_ex_operation_
; %bb.0:
	s_load_dwordx2 s[12:13], s[0:1], 0x8
	s_load_dwordx4 s[4:7], s[0:1], 0x20
	s_mov_b32 s18, s3
	s_mov_b32 s19, 0
	s_waitcnt lgkmcnt(0)
	v_cmp_eq_f16_e64 s[8:9], s13, 0
	s_and_b64 vcc, exec, s[8:9]
	s_cbranch_vccnz .LBB214_3
; %bb.1:
	s_load_dwordx2 s[10:11], s[0:1], 0x10
	s_lshl_b64 s[14:15], s[18:19], 3
	s_waitcnt lgkmcnt(0)
	s_add_u32 s10, s10, s14
	s_addc_u32 s11, s11, s15
	s_load_dwordx2 s[10:11], s[10:11], 0x0
	s_lshl_b64 s[4:5], s[4:5], 1
	s_waitcnt lgkmcnt(0)
	s_add_u32 s14, s10, s4
	s_addc_u32 s15, s11, s5
	s_andn2_b64 vcc, exec, s[8:9]
	s_cbranch_vccnz .LBB214_4
.LBB214_2:
	s_mov_b64 s[16:17], 0
	s_cbranch_execz .LBB214_5
	s_branch .LBB214_6
.LBB214_3:
	s_mov_b64 s[14:15], 0
	s_andn2_b64 vcc, exec, s[8:9]
	s_cbranch_vccz .LBB214_2
.LBB214_4:
                                        ; implicit-def: $sgpr16_sgpr17
.LBB214_5:
	s_lshl_b64 s[8:9], s[18:19], 3
	s_add_u32 s6, s6, s8
	s_load_dwordx2 s[4:5], s[0:1], 0x38
	s_addc_u32 s7, s7, s9
	s_load_dwordx2 s[6:7], s[6:7], 0x0
	s_waitcnt lgkmcnt(0)
	s_lshl_b64 s[4:5], s[4:5], 1
	s_add_u32 s16, s6, s4
	s_addc_u32 s17, s7, s5
.LBB214_6:
	s_load_dword s13, s[0:1], 0x40
	s_load_dwordx4 s[8:11], s[0:1], 0x58
	s_waitcnt lgkmcnt(0)
	v_cmp_eq_f16_e64 s[4:5], s13, 0
	s_and_b64 s[4:5], exec, s[4:5]
	s_mov_b64 vcc, s[4:5]
	s_cbranch_vccnz .LBB214_8
; %bb.7:
	s_load_dwordx2 s[6:7], s[0:1], 0x48
	s_lshl_b64 s[20:21], s[18:19], 3
	s_waitcnt lgkmcnt(0)
	s_add_u32 s6, s6, s20
	s_addc_u32 s7, s7, s21
	s_load_dwordx2 s[6:7], s[6:7], 0x0
	s_lshl_b64 s[8:9], s[8:9], 1
	s_waitcnt lgkmcnt(0)
	s_add_u32 s6, s6, s8
	s_addc_u32 s7, s7, s9
	s_branch .LBB214_9
.LBB214_8:
	s_mov_b64 s[6:7], 0
.LBB214_9:
	s_load_dword s3, s[0:1], 0x0
	s_load_dword s20, s[0:1], 0x18
	;; [unrolled: 1-line block ×3, first 2 shown]
	s_lshl_b64 s[8:9], s[18:19], 3
	s_add_u32 s8, s10, s8
	s_addc_u32 s9, s11, s9
	s_waitcnt lgkmcnt(0)
	s_add_i32 s3, s3, -1
	s_ashr_i32 s10, s3, 31
	s_lshr_b32 s10, s10, 25
	s_add_i32 s3, s3, s10
	s_ashr_i32 s3, s3, 7
	s_add_i32 s10, s3, 1
	v_cvt_f32_u32_e32 v1, s10
	s_not_b32 s3, s3
	v_and_b32_e32 v50, 0x3ff, v0
	v_bfe_u32 v51, v0, 10, 10
	v_rcp_iflag_f32_e32 v1, v1
	v_lshl_add_u32 v0, v51, 5, v50
	v_lshrrev_b32_e32 v8, 2, v0
	v_and_b32_e32 v2, 3, v50
	v_mul_f32_e32 v1, 0x4f7ffffe, v1
	v_cvt_u32_f32_e32 v1, v1
	v_lshlrev_b32_e32 v40, 1, v2
	v_mov_b32_e32 v41, 0
	v_lshlrev_b32_e32 v53, 3, v50
	v_readfirstlane_b32 s11, v1
	s_mul_i32 s3, s3, s11
	s_mul_hi_u32 s3, s11, s3
	s_add_i32 s11, s11, s3
	s_mul_hi_u32 s3, s2, s11
	s_mul_i32 s11, s3, s10
	s_sub_i32 s11, s2, s11
	s_add_i32 s18, s3, 1
	s_sub_i32 s19, s11, s10
	s_cmp_ge_u32 s11, s10
	s_cselect_b32 s3, s18, s3
	s_cselect_b32 s11, s19, s11
	s_add_i32 s18, s3, 1
	s_cmp_ge_u32 s11, s10
	s_cselect_b32 s3, s18, s3
	s_mul_i32 s10, s3, s10
	s_sub_i32 s2, s2, s10
	s_lshl_b32 s10, s2, 7
	s_lshl_b32 s11, s3, 7
	v_add_u32_e32 v4, s10, v8
	v_mad_i64_i32 v[48:49], s[2:3], v4, s20, 0
	v_add_u32_e32 v4, 64, v4
	v_add_u32_e32 v10, s11, v8
	v_mad_i64_i32 v[46:47], s[2:3], v4, s20, 0
	v_lshl_add_u64 v[4:5], s[16:17], 0, v[40:41]
	v_mad_i64_i32 v[44:45], s[2:3], v10, s21, 0
	v_add_u32_e32 v10, 64, v10
	v_lshl_add_u64 v[6:7], v[44:45], 1, v[4:5]
	v_mad_i64_i32 v[42:43], s[2:3], v10, s21, 0
	v_lshl_add_u64 v[0:1], s[14:15], 0, v[40:41]
	flat_load_ushort v11, v[6:7]
	v_lshl_add_u64 v[4:5], v[42:43], 1, v[4:5]
	flat_load_ushort v10, v[4:5]
	;; [unrolled: 2-line block ×4, first 2 shown]
	v_lshlrev_b32_e32 v52, 3, v51
	v_lshl_or_b32 v55, v8, 3, v40
	s_movk_i32 s18, 0x7c00
	v_add_u32_e32 v54, 0x800, v52
	s_load_dwordx2 s[2:3], s[8:9], 0x0
	flat_load_ushort v74, v[4:5] offset:8
	flat_load_ushort v76, v[6:7] offset:8
	;; [unrolled: 1-line block ×4, first 2 shown]
	s_cmp_lt_i32 s12, 9
	s_waitcnt vmcnt(0) lgkmcnt(0)
	ds_write_b16 v55, v11 offset:2048
	ds_write_b16 v55, v10 offset:2560
	ds_write_b16 v55, v9
	ds_write_b16 v55, v12 offset:512
	s_waitcnt lgkmcnt(0)
	s_barrier
	ds_read2_b64 v[8:11], v53 offset1:32
	ds_read2_b64 v[0:3], v53 offset0:64 offset1:96
	ds_read2_b64 v[36:39], v54 offset1:8
	ds_read2_b64 v[32:35], v54 offset0:16 offset1:24
	ds_read2_b64 v[28:31], v54 offset0:32 offset1:40
	;; [unrolled: 1-line block ×7, first 2 shown]
	s_waitcnt lgkmcnt(7)
	v_pk_add_f16 v59, v8, v38
	v_pk_add_f16 v56, v8, v36
	v_pk_min_f16 v71, v59, s18 op_sel_hi:[1,0]
	s_waitcnt lgkmcnt(5)
	v_pk_add_f16 v59, v8, v30
	v_pk_add_f16 v57, v10, v36
	v_pk_min_f16 v84, v59, s18 op_sel_hi:[1,0]
	v_pk_add_f16 v59, v10, v30
	v_pk_add_f16 v58, v0, v36
	v_pk_min_f16 v85, v59, s18 op_sel_hi:[1,0]
	v_pk_add_f16 v59, v0, v30
	v_pk_add_f16 v36, v2, v36
	v_pk_min_f16 v86, v59, s18 op_sel_hi:[1,0]
	s_waitcnt lgkmcnt(4)
	v_pk_add_f16 v59, v8, v24
	v_pk_add_f16 v60, v10, v38
	v_pk_min_f16 v87, v59, s18 op_sel_hi:[1,0]
	v_pk_add_f16 v59, v10, v24
	v_pk_add_f16 v61, v0, v38
	v_pk_min_f16 v88, v59, s18 op_sel_hi:[1,0]
	v_pk_add_f16 v59, v0, v24
	v_pk_add_f16 v38, v2, v38
	v_pk_min_f16 v90, v59, s18 op_sel_hi:[1,0]
	v_pk_add_f16 v59, v8, v26
	v_pk_add_f16 v62, v8, v32
	v_pk_min_f16 v93, v59, s18 op_sel_hi:[1,0]
	v_pk_add_f16 v59, v10, v26
	v_pk_add_f16 v63, v10, v32
	v_pk_min_f16 v94, v59, s18 op_sel_hi:[1,0]
	v_pk_add_f16 v59, v0, v26
	v_pk_add_f16 v64, v0, v32
	v_pk_min_f16 v95, v59, s18 op_sel_hi:[1,0]
	s_waitcnt lgkmcnt(3)
	v_pk_add_f16 v59, v8, v20
	v_pk_add_f16 v32, v2, v32
	v_pk_min_f16 v96, v59, s18 op_sel_hi:[1,0]
	v_pk_add_f16 v59, v10, v20
	v_pk_add_f16 v65, v8, v34
	v_pk_min_f16 v97, v59, s18 op_sel_hi:[1,0]
	v_pk_add_f16 v59, v0, v20
	v_pk_add_f16 v66, v10, v34
	v_pk_min_f16 v98, v59, s18 op_sel_hi:[1,0]
	;; [unrolled: 19-line block ×3, first 2 shown]
	v_pk_add_f16 v59, v8, v18
	v_pk_min_f16 v56, v56, s18 op_sel_hi:[1,0]
	v_pk_min_f16 v109, v59, s18 op_sel_hi:[1,0]
	v_pk_add_f16 v59, v10, v18
	v_pk_add_f16 v30, v2, v30
	v_pk_min_f16 v110, v59, s18 op_sel_hi:[1,0]
	v_pk_add_f16 v59, v0, v18
	v_pk_add_f16 v24, v2, v24
	v_pk_min_f16 v111, v59, s18 op_sel_hi:[1,0]
	s_waitcnt lgkmcnt(1)
	v_pk_add_f16 v59, v8, v12
	v_pk_add_f16 v26, v2, v26
	v_pk_min_f16 v112, v59, s18 op_sel_hi:[1,0]
	v_pk_add_f16 v59, v10, v12
	v_pk_add_f16 v20, v2, v20
	v_pk_min_f16 v113, v59, s18 op_sel_hi:[1,0]
	;; [unrolled: 3-line block ×6, first 2 shown]
	s_waitcnt lgkmcnt(0)
	v_pk_add_f16 v59, v8, v4
	v_pk_add_f16 v14, v2, v14
	v_pk_min_f16 v120, v59, s18 op_sel_hi:[1,0]
	v_pk_add_f16 v59, v10, v4
	v_pk_add_f16 v8, v8, v6
	v_pk_min_f16 v121, v59, s18 op_sel_hi:[1,0]
	v_pk_add_f16 v59, v0, v4
	v_pk_add_f16 v4, v2, v4
	;; [unrolled: 1-line block ×6, first 2 shown]
	v_pk_min_f16 v57, v57, s18 op_sel_hi:[1,0]
	v_pk_min_f16 v122, v59, s18 op_sel_hi:[1,0]
	v_pk_min_f16 v59, v56, v6
	v_pk_add_f16 v6, v11, v37
	v_pk_min_f16 v58, v58, s18 op_sel_hi:[1,0]
	v_pk_min_f16 v56, v57, v6
	v_pk_add_f16 v6, v1, v37
	;; [unrolled: 3-line block ×5, first 2 shown]
	v_pk_min_f16 v61, v61, s18 op_sel_hi:[1,0]
	v_pk_min_f16 v72, v62, s18 op_sel_hi:[1,0]
	v_pk_min_f16 v62, v60, v6
	v_pk_add_f16 v6, v1, v39
	v_pk_min_f16 v38, v38, s18 op_sel_hi:[1,0]
	v_pk_min_f16 v60, v61, v6
	v_pk_add_f16 v6, v3, v39
	v_pk_min_f16 v64, v64, s18 op_sel_hi:[1,0]
	v_pk_min_f16 v61, v38, v6
	v_pk_add_f16 v6, v9, v33
	v_pk_min_f16 v77, v68, s18 op_sel_hi:[1,0]
	v_pk_min_f16 v71, v72, v6
	v_pk_add_f16 v6, v11, v33
	v_pk_min_f16 v32, v32, s18 op_sel_hi:[1,0]
	v_pk_min_f16 v68, v73, v6
	v_pk_add_f16 v6, v1, v33
	v_pk_min_f16 v79, v69, s18 op_sel_hi:[1,0]
	v_pk_min_f16 v69, v64, v6
	v_pk_add_f16 v6, v3, v33
	v_pk_min_f16 v65, v65, s18 op_sel_hi:[1,0]
	v_pk_min_f16 v80, v70, s18 op_sel_hi:[1,0]
	v_pk_min_f16 v70, v32, v6
	v_pk_add_f16 v6, v9, v35
	v_pk_min_f16 v66, v66, s18 op_sel_hi:[1,0]
	v_pk_min_f16 v75, v67, s18 op_sel_hi:[1,0]
	v_pk_min_f16 v67, v65, v6
	v_pk_add_f16 v6, v11, v35
	v_pk_min_f16 v34, v34, s18 op_sel_hi:[1,0]
	v_pk_min_f16 v64, v66, v6
	v_pk_add_f16 v6, v1, v35
	;; [unrolled: 3-line block ×17, first 2 shown]
	ds_write_b16 v55, v81 offset:1024
	ds_write_b16 v55, v78 offset:1536
	;; [unrolled: 1-line block ×4, first 2 shown]
	v_pk_min_f16 v85, v94, v6
	v_pk_add_f16 v6, v1, v27
	s_waitcnt lgkmcnt(0)
	v_pk_min_f16 v86, v95, v6
	v_pk_add_f16 v6, v3, v27
	s_barrier
	v_pk_min_f16 v87, v26, v6
	v_pk_add_f16 v6, v9, v21
	s_nop 0
	v_pk_min_f16 v100, v96, v6
	v_pk_add_f16 v6, v11, v21
	s_nop 0
	;; [unrolled: 3-line block ×26, first 2 shown]
	v_pk_min_f16 v119, v121, v6
	v_pk_add_f16 v6, v1, v5
	v_pk_add_f16 v5, v3, v5
	;; [unrolled: 1-line block ×3, first 2 shown]
	v_pk_min_f16 v117, v4, v5
	v_pk_add_f16 v4, v9, v7
	v_pk_min_f16 v118, v122, v6
	v_pk_min_f16 v122, v8, v4
	v_pk_add_f16 v4, v11, v7
	v_pk_min_f16 v123, v0, v1
	v_pk_add_f16 v0, v3, v7
	v_pk_min_f16 v121, v10, v4
	v_pk_min_f16 v124, v2, v0
	s_cbranch_scc1 .LBB214_12
; %bb.10:
	v_mov_b32_e32 v0, 0x400
	v_lshl_add_u32 v81, v50, 3, v0
	v_mov_b32_e32 v0, 0xc00
	v_add_u32_e32 v74, 0x800, v55
	v_add_u32_e32 v76, 0x400, v55
	;; [unrolled: 1-line block ×3, first 2 shown]
	s_add_i32 s8, s12, -8
	v_lshl_add_u32 v84, v51, 3, v0
	v_lshl_add_u64 v[42:43], v[42:43], 1, s[16:17]
	v_lshl_add_u64 v[44:45], v[44:45], 1, s[16:17]
	;; [unrolled: 1-line block ×4, first 2 shown]
	s_mov_b32 s9, 0
.LBB214_11:                             ; =>This Inner Loop Header: Depth=1
	v_lshl_add_u64 v[132:133], v[48:49], 0, v[40:41]
	v_lshl_add_u64 v[130:131], v[46:47], 0, v[40:41]
	flat_load_ushort v136, v[132:133] offset:16
	v_lshl_add_u64 v[128:129], v[44:45], 0, v[40:41]
	flat_load_ushort v135, v[130:131] offset:16
	;; [unrolled: 2-line block ×3, first 2 shown]
	flat_load_ushort v125, v[126:127] offset:16
	ds_read2_b64 v[0:3], v81 offset1:32
	ds_read2_b64 v[8:11], v81 offset0:64 offset1:96
	ds_read2_b64 v[4:7], v84 offset1:8
	ds_read2_b64 v[12:15], v84 offset0:16 offset1:24
	ds_read2_b64 v[16:19], v84 offset0:32 offset1:40
	ds_read2_b64 v[20:23], v84 offset0:48 offset1:56
	ds_read2_b64 v[24:27], v84 offset0:64 offset1:72
	ds_read2_b64 v[28:31], v84 offset0:80 offset1:88
	ds_read2_b64 v[32:35], v84 offset0:96 offset1:104
	ds_read2_b64 v[36:39], v84 offset0:112 offset1:120
	v_pk_max_f16 v124, v124, v124
	v_pk_max_f16 v123, v123, v123
	;; [unrolled: 1-line block ×4, first 2 shown]
	s_add_i32 s9, s9, 8
	v_lshl_add_u64 v[42:43], v[42:43], 0, 16
	v_lshl_add_u64 v[44:45], v[44:45], 0, 16
	;; [unrolled: 1-line block ×4, first 2 shown]
	s_cmp_ge_i32 s9, s8
	s_waitcnt vmcnt(0) lgkmcnt(0)
	ds_write_b16 v55, v136
	ds_write_b16 v55, v135 offset:512
	ds_write_b16 v74, v134
	ds_write_b16 v74, v125 offset:512
	s_waitcnt lgkmcnt(0)
	s_barrier
	flat_load_ushort v125, v[126:127] offset:24
	s_nop 0
	flat_load_ushort v126, v[128:129] offset:24
	flat_load_ushort v127, v[130:131] offset:24
	s_nop 0
	flat_load_ushort v128, v[132:133] offset:24
	v_pk_add_f16 v129, v10, v38
	s_nop 0
	v_pk_min_f16 v124, v124, v129
	v_pk_add_f16 v129, v11, v39
	s_nop 0
	v_pk_min_f16 v124, v124, v129
	;; [unrolled: 3-line block ×4, first 2 shown]
	v_pk_add_f16 v129, v2, v38
	v_pk_add_f16 v38, v0, v38
	v_pk_min_f16 v121, v121, v129
	v_pk_add_f16 v129, v3, v39
	v_pk_min_f16 v38, v122, v38
	;; [unrolled: 2-line block ×3, first 2 shown]
	v_pk_min_f16 v122, v38, v39
	v_pk_add_f16 v38, v10, v36
	v_pk_max_f16 v39, v117, v117
	s_nop 0
	v_pk_min_f16 v38, v39, v38
	v_pk_add_f16 v39, v11, v37
	s_nop 0
	v_pk_min_f16 v117, v38, v39
	v_pk_add_f16 v38, v8, v36
	v_pk_max_f16 v39, v118, v118
	s_nop 0
	v_pk_min_f16 v38, v39, v38
	v_pk_add_f16 v39, v9, v37
	s_nop 0
	v_pk_min_f16 v118, v38, v39
	v_pk_add_f16 v38, v2, v36
	v_pk_max_f16 v39, v119, v119
	v_pk_add_f16 v36, v0, v36
	v_pk_min_f16 v38, v39, v38
	v_pk_add_f16 v39, v3, v37
	v_pk_add_f16 v37, v1, v37
	v_pk_min_f16 v119, v38, v39
	v_pk_max_f16 v38, v120, v120
	s_nop 0
	v_pk_min_f16 v36, v38, v36
	s_nop 0
	v_pk_min_f16 v120, v36, v37
	v_pk_add_f16 v36, v10, v34
	v_pk_max_f16 v37, v111, v111
	s_nop 0
	v_pk_min_f16 v36, v37, v36
	v_pk_add_f16 v37, v11, v35
	s_nop 0
	v_pk_min_f16 v111, v36, v37
	v_pk_add_f16 v36, v8, v34
	v_pk_max_f16 v37, v110, v110
	s_nop 0
	v_pk_min_f16 v36, v37, v36
	v_pk_add_f16 v37, v9, v35
	s_nop 0
	v_pk_min_f16 v110, v36, v37
	v_pk_add_f16 v36, v2, v34
	v_pk_max_f16 v37, v109, v109
	v_pk_add_f16 v34, v0, v34
	v_pk_min_f16 v36, v37, v36
	v_pk_add_f16 v37, v3, v35
	v_pk_add_f16 v35, v1, v35
	v_pk_min_f16 v109, v36, v37
	v_pk_max_f16 v36, v112, v112
	s_nop 0
	v_pk_min_f16 v34, v36, v34
	s_nop 0
	;; [unrolled: 26-line block ×13, first 2 shown]
	v_pk_min_f16 v71, v12, v13
	v_pk_add_f16 v12, v10, v6
	v_pk_max_f16 v13, v61, v61
	s_nop 0
	v_pk_min_f16 v12, v13, v12
	v_pk_add_f16 v13, v11, v7
	s_nop 0
	v_pk_min_f16 v61, v12, v13
	v_pk_add_f16 v12, v8, v6
	v_pk_max_f16 v13, v60, v60
	s_nop 0
	v_pk_min_f16 v12, v13, v12
	v_pk_add_f16 v13, v9, v7
	s_nop 0
	v_pk_min_f16 v60, v12, v13
	v_pk_add_f16 v12, v2, v6
	v_pk_max_f16 v13, v62, v62
	v_pk_add_f16 v6, v0, v6
	v_pk_min_f16 v12, v13, v12
	v_pk_add_f16 v13, v3, v7
	v_pk_add_f16 v7, v1, v7
	v_pk_min_f16 v62, v12, v13
	v_pk_max_f16 v12, v63, v63
	v_pk_add_f16 v2, v2, v4
	v_pk_min_f16 v6, v12, v6
	v_pk_add_f16 v3, v3, v5
	v_pk_min_f16 v63, v6, v7
	v_pk_add_f16 v6, v10, v4
	v_pk_max_f16 v7, v57, v57
	v_pk_add_f16 v0, v0, v4
	v_pk_min_f16 v6, v7, v6
	v_pk_add_f16 v7, v11, v5
	v_pk_add_f16 v1, v1, v5
	v_pk_min_f16 v57, v6, v7
	v_pk_add_f16 v6, v8, v4
	v_pk_max_f16 v7, v58, v58
	s_nop 0
	v_pk_min_f16 v6, v7, v6
	v_pk_add_f16 v7, v9, v5
	s_nop 0
	v_pk_min_f16 v58, v6, v7
	v_pk_max_f16 v6, v56, v56
	s_nop 0
	v_pk_min_f16 v2, v6, v2
	s_nop 0
	v_pk_min_f16 v56, v2, v3
	v_pk_max_f16 v2, v59, v59
	s_nop 0
	v_pk_min_f16 v0, v2, v0
	s_nop 0
	v_pk_min_f16 v59, v0, v1
	ds_read2_b64 v[8:11], v53 offset1:32
	ds_read2_b64 v[0:3], v53 offset0:64 offset1:96
	ds_read2_b64 v[36:39], v54 offset1:8
	ds_read2_b64 v[32:35], v54 offset0:16 offset1:24
	ds_read2_b64 v[28:31], v54 offset0:32 offset1:40
	;; [unrolled: 1-line block ×7, first 2 shown]
	s_waitcnt lgkmcnt(0)
	v_pk_add_f16 v129, v8, v36
	s_waitcnt vmcnt(0)
	ds_write_b16 v76, v128
	ds_write_b16 v76, v127 offset:512
	ds_write_b16 v78, v126
	ds_write_b16 v78, v125 offset:512
	v_pk_min_f16 v59, v59, v129
	v_pk_add_f16 v129, v10, v36
	s_waitcnt lgkmcnt(0)
	v_pk_min_f16 v56, v56, v129
	v_pk_add_f16 v129, v0, v36
	v_pk_add_f16 v36, v2, v36
	v_pk_min_f16 v58, v58, v129
	v_pk_min_f16 v57, v57, v36
	v_pk_add_f16 v36, v8, v38
	s_barrier
	v_pk_min_f16 v63, v63, v36
	v_pk_add_f16 v36, v10, v38
	s_nop 0
	v_pk_min_f16 v62, v62, v36
	v_pk_add_f16 v36, v0, v38
	s_nop 0
	v_pk_min_f16 v60, v60, v36
	v_pk_add_f16 v36, v2, v38
	s_nop 0
	v_pk_min_f16 v61, v61, v36
	v_pk_add_f16 v36, v8, v32
	s_nop 0
	v_pk_min_f16 v71, v71, v36
	v_pk_add_f16 v36, v10, v32
	s_nop 0
	v_pk_min_f16 v68, v68, v36
	v_pk_add_f16 v36, v0, v32
	v_pk_add_f16 v32, v2, v32
	v_pk_min_f16 v69, v69, v36
	v_pk_min_f16 v70, v70, v32
	v_pk_add_f16 v32, v8, v34
	s_nop 0
	v_pk_min_f16 v67, v67, v32
	v_pk_add_f16 v32, v10, v34
	s_nop 0
	v_pk_min_f16 v64, v64, v32
	v_pk_add_f16 v32, v0, v34
	s_nop 0
	v_pk_min_f16 v65, v65, v32
	v_pk_add_f16 v32, v2, v34
	s_nop 0
	v_pk_min_f16 v66, v66, v32
	v_pk_add_f16 v32, v8, v28
	s_nop 0
	v_pk_min_f16 v83, v83, v32
	v_pk_add_f16 v32, v10, v28
	s_nop 0
	v_pk_min_f16 v79, v79, v32
	v_pk_add_f16 v32, v0, v28
	v_pk_add_f16 v28, v2, v28
	v_pk_min_f16 v80, v80, v32
	v_pk_min_f16 v82, v82, v28
	v_pk_add_f16 v28, v8, v30
	s_nop 0
	v_pk_min_f16 v77, v77, v28
	v_pk_add_f16 v28, v10, v30
	s_nop 0
	v_pk_min_f16 v72, v72, v28
	v_pk_add_f16 v28, v0, v30
	s_nop 0
	v_pk_min_f16 v73, v73, v28
	v_pk_add_f16 v28, v2, v30
	s_nop 0
	v_pk_min_f16 v75, v75, v28
	v_pk_add_f16 v28, v8, v24
	s_nop 0
	v_pk_min_f16 v92, v92, v28
	v_pk_add_f16 v28, v10, v24
	s_nop 0
	v_pk_min_f16 v89, v89, v28
	v_pk_add_f16 v28, v0, v24
	v_pk_add_f16 v24, v2, v24
	v_pk_min_f16 v90, v90, v28
	v_pk_min_f16 v91, v91, v24
	v_pk_add_f16 v24, v8, v26
	s_nop 0
	v_pk_min_f16 v88, v88, v24
	v_pk_add_f16 v24, v10, v26
	s_nop 0
	v_pk_min_f16 v85, v85, v24
	v_pk_add_f16 v24, v0, v26
	s_nop 0
	v_pk_min_f16 v86, v86, v24
	v_pk_add_f16 v24, v2, v26
	s_nop 0
	v_pk_min_f16 v87, v87, v24
	v_pk_add_f16 v24, v8, v20
	s_nop 0
	v_pk_min_f16 v100, v100, v24
	v_pk_add_f16 v24, v10, v20
	s_nop 0
	v_pk_min_f16 v97, v97, v24
	v_pk_add_f16 v24, v0, v20
	v_pk_add_f16 v20, v2, v20
	v_pk_min_f16 v98, v98, v24
	v_pk_min_f16 v99, v99, v20
	v_pk_add_f16 v20, v8, v22
	s_nop 0
	v_pk_min_f16 v96, v96, v20
	v_pk_add_f16 v20, v10, v22
	s_nop 0
	v_pk_min_f16 v93, v93, v20
	v_pk_add_f16 v20, v0, v22
	s_nop 0
	v_pk_min_f16 v94, v94, v20
	v_pk_add_f16 v20, v2, v22
	s_nop 0
	v_pk_min_f16 v95, v95, v20
	v_pk_add_f16 v20, v8, v16
	s_nop 0
	v_pk_min_f16 v108, v108, v20
	v_pk_add_f16 v20, v10, v16
	s_nop 0
	v_pk_min_f16 v105, v105, v20
	v_pk_add_f16 v20, v0, v16
	v_pk_add_f16 v16, v2, v16
	v_pk_min_f16 v106, v106, v20
	v_pk_min_f16 v107, v107, v16
	v_pk_add_f16 v16, v8, v18
	s_nop 0
	v_pk_min_f16 v104, v104, v16
	v_pk_add_f16 v16, v10, v18
	s_nop 0
	v_pk_min_f16 v101, v101, v16
	v_pk_add_f16 v16, v0, v18
	s_nop 0
	v_pk_min_f16 v102, v102, v16
	v_pk_add_f16 v16, v2, v18
	s_nop 0
	v_pk_min_f16 v38, v103, v16
	v_pk_add_f16 v16, v8, v12
	s_nop 0
	v_pk_min_f16 v36, v116, v16
	v_pk_add_f16 v16, v10, v12
	s_nop 0
	v_pk_min_f16 v34, v113, v16
	v_pk_add_f16 v16, v0, v12
	v_pk_add_f16 v12, v2, v12
	v_pk_min_f16 v32, v114, v16
	v_pk_min_f16 v30, v115, v12
	v_pk_add_f16 v12, v8, v14
	s_nop 0
	v_pk_min_f16 v28, v112, v12
	v_pk_add_f16 v12, v10, v14
	s_nop 0
	v_pk_min_f16 v26, v109, v12
	v_pk_add_f16 v12, v0, v14
	s_nop 0
	;; [unrolled: 3-line block ×5, first 2 shown]
	v_pk_min_f16 v14, v119, v12
	v_pk_add_f16 v12, v0, v4
	v_pk_add_f16 v4, v2, v4
	v_pk_min_f16 v16, v118, v12
	v_pk_min_f16 v18, v117, v4
	v_pk_add_f16 v4, v8, v6
	v_pk_add_f16 v0, v0, v6
	v_pk_min_f16 v12, v122, v4
	v_pk_add_f16 v4, v10, v6
	s_nop 0
	v_pk_min_f16 v8, v121, v4
	v_pk_min_f16 v4, v123, v0
	v_pk_add_f16 v0, v2, v6
	v_pk_add_f16 v2, v9, v37
	v_pk_min_f16 v0, v124, v0
	v_pk_min_f16 v59, v59, v2
	v_pk_add_f16 v2, v11, v37
	s_nop 0
	v_pk_min_f16 v56, v56, v2
	v_pk_add_f16 v2, v1, v37
	s_nop 0
	;; [unrolled: 3-line block ×57, first 2 shown]
	v_pk_min_f16 v119, v14, v2
	v_pk_add_f16 v2, v1, v5
	v_pk_add_f16 v1, v1, v7
	v_pk_min_f16 v118, v16, v2
	v_pk_add_f16 v2, v3, v5
	v_pk_min_f16 v123, v4, v1
	v_pk_min_f16 v117, v18, v2
	v_pk_add_f16 v2, v9, v7
	v_pk_add_f16 v1, v3, v7
	v_pk_min_f16 v122, v12, v2
	v_pk_add_f16 v2, v11, v7
	v_pk_min_f16 v124, v0, v1
	v_pk_min_f16 v121, v8, v2
	s_cbranch_scc0 .LBB214_11
.LBB214_12:
	s_load_dword s12, s[0:1], 0x50
	ds_read_b64 v[38:39], v53 offset:1024
	ds_read_b64 v[46:47], v52 offset:3072
	v_add_u32_e32 v54, s11, v51
	v_cmp_neq_f16_e64 s[8:9], s13, 0
	v_add_u32_e32 v36, s10, v50
	s_waitcnt lgkmcnt(0)
	v_mad_i64_i32 v[0:1], s[10:11], v54, s12, 0
	v_ashrrev_i32_e32 v37, 31, v36
	v_lshl_add_u64 v[48:49], v[0:1], 1, s[6:7]
	s_and_b64 vcc, exec, s[8:9]
	v_mov_b32_e32 v42, 0
	v_mov_b32_e32 v43, 0
	s_cbranch_vccz .LBB214_14
; %bb.13:
	v_lshl_add_u64 v[0:1], v[36:37], 1, v[48:49]
	flat_load_ushort v0, v[0:1]
	s_waitcnt vmcnt(0) lgkmcnt(0)
	v_mul_f16_e32 v43, s13, v0
.LBB214_14:
	v_add_u32_e32 v4, 0x800, v52
	ds_read2_b64 v[0:3], v53 offset0:160 offset1:192
	ds_read_b64 v[32:33], v53 offset:1792
	ds_read2_b64 v[28:31], v4 offset0:136 offset1:144
	ds_read2_b64 v[24:27], v4 offset0:152 offset1:160
	;; [unrolled: 1-line block ×4, first 2 shown]
	s_load_dword s10, s[0:1], 0x68
	s_load_dwordx2 s[14:15], s[0:1], 0x70
	ds_read2_b64 v[12:15], v4 offset0:200 offset1:208
	ds_read2_b64 v[8:11], v4 offset0:216 offset1:224
	;; [unrolled: 1-line block ×3, first 2 shown]
	ds_read_b64 v[34:35], v52 offset:4032
	v_pk_add_f16 v40, v38, v46
	v_pk_max_f16 v41, v59, v59
	s_waitcnt lgkmcnt(0)
	s_lshl_b64 s[0:1], s[14:15], 1
	s_add_u32 s2, s2, s0
	v_pk_min_f16 v40, v41, v40
	v_pk_add_f16 v41, v39, v47
	s_addc_u32 s3, s3, s1
	v_pk_min_f16 v52, v40, v41
	v_mad_i64_i32 v[44:45], s[0:1], v54, s10, 0
	v_lshl_add_u64 v[50:51], v[44:45], 1, s[2:3]
	v_lshrrev_b32_e32 v44, 16, v52
	v_add_u32_e32 v40, 32, v36
	v_min3_f16 v43, v43, v52, v44
	v_cndmask_b32_e64 v52, 0, 1, s[8:9]
	v_ashrrev_i32_e32 v41, 31, v40
	v_lshl_add_u64 v[44:45], v[36:37], 1, v[50:51]
	v_cmp_ne_u32_e64 s[0:1], 1, v52
	s_andn2_b64 vcc, exec, s[8:9]
	global_store_short v[44:45], v43, off
	s_cbranch_vccnz .LBB214_16
; %bb.15:
	v_lshl_add_u64 v[42:43], v[40:41], 1, v[48:49]
	flat_load_ushort v42, v[42:43]
	s_waitcnt vmcnt(0) lgkmcnt(0)
	v_mul_f16_e32 v42, s13, v42
.LBB214_16:
	v_pk_add_f16 v43, v0, v46
	v_pk_max_f16 v44, v56, v56
	s_and_b64 vcc, exec, s[0:1]
	v_pk_min_f16 v43, v44, v43
	v_pk_add_f16 v44, v1, v47
	v_mov_b32_e32 v53, 0
	v_pk_min_f16 v43, v43, v44
	v_add_u32_e32 v44, 64, v36
	v_lshrrev_b32_e32 v52, 16, v43
	v_min3_f16 v52, v42, v43, v52
	v_lshl_add_u64 v[42:43], v[40:41], 1, v[50:51]
	v_ashrrev_i32_e32 v45, 31, v44
	global_store_short v[42:43], v52, off
	v_mov_b32_e32 v52, 0
	s_cbranch_vccnz .LBB214_18
; %bb.17:
	v_lshl_add_u64 v[42:43], v[44:45], 1, v[48:49]
	flat_load_ushort v42, v[42:43]
	s_waitcnt vmcnt(0) lgkmcnt(0)
	v_mul_f16_e32 v53, s13, v42
.LBB214_18:
	v_pk_add_f16 v42, v2, v46
	v_pk_max_f16 v43, v58, v58
	v_lshl_add_u64 v[58:59], v[44:45], 1, v[50:51]
	v_pk_min_f16 v42, v43, v42
	v_pk_add_f16 v43, v3, v47
	s_and_b64 vcc, exec, s[0:1]
	v_pk_min_f16 v55, v42, v43
	v_add_u32_e32 v42, 0x60, v36
	v_lshrrev_b32_e32 v56, 16, v55
	v_ashrrev_i32_e32 v43, 31, v42
	v_min3_f16 v53, v53, v55, v56
	global_store_short v[58:59], v53, off
	s_cbranch_vccnz .LBB214_20
; %bb.19:
	v_lshl_add_u64 v[48:49], v[42:43], 1, v[48:49]
	flat_load_ushort v48, v[48:49]
	s_waitcnt vmcnt(0) lgkmcnt(0)
	v_mul_f16_e32 v52, s13, v48
.LBB214_20:
	v_pk_add_f16 v46, v32, v46
	v_pk_max_f16 v48, v57, v57
	v_pk_add_f16 v47, v33, v47
	v_pk_min_f16 v46, v48, v46
	s_and_b64 vcc, exec, s[0:1]
	v_pk_min_f16 v46, v46, v47
	s_nop 0
	v_lshrrev_b32_e32 v47, 16, v46
	v_min3_f16 v48, v52, v46, v47
	v_lshl_add_u64 v[46:47], v[42:43], 1, v[50:51]
	global_store_short v[46:47], v48, off
	v_add_u32_e32 v48, 8, v54
	v_mad_i64_i32 v[46:47], s[8:9], v48, s12, 0
	v_lshl_add_u64 v[46:47], v[46:47], 1, s[6:7]
	v_mov_b32_e32 v50, 0
	v_mov_b32_e32 v51, 0
	s_cbranch_vccnz .LBB214_22
; %bb.21:
	v_lshl_add_u64 v[52:53], v[36:37], 1, v[46:47]
	flat_load_ushort v49, v[52:53]
	s_waitcnt vmcnt(0) lgkmcnt(0)
	v_mul_f16_e32 v51, s13, v49
.LBB214_22:
	v_pk_add_f16 v49, v38, v28
	v_pk_max_f16 v52, v63, v63
	s_and_b64 vcc, exec, s[0:1]
	v_pk_min_f16 v49, v52, v49
	v_pk_add_f16 v52, v39, v29
	s_nop 0
	v_pk_min_f16 v52, v49, v52
	v_mad_i64_i32 v[48:49], s[8:9], v48, s10, 0
	v_lshl_add_u64 v[48:49], v[48:49], 1, s[2:3]
	v_lshrrev_b32_e32 v53, 16, v52
	v_min3_f16 v51, v51, v52, v53
	v_lshl_add_u64 v[52:53], v[36:37], 1, v[48:49]
	global_store_short v[52:53], v51, off
	s_cbranch_vccnz .LBB214_24
; %bb.23:
	v_lshl_add_u64 v[50:51], v[40:41], 1, v[46:47]
	flat_load_ushort v50, v[50:51]
	s_waitcnt vmcnt(0) lgkmcnt(0)
	v_mul_f16_e32 v50, s13, v50
.LBB214_24:
	v_pk_add_f16 v51, v0, v28
	v_pk_max_f16 v52, v62, v62
	s_and_b64 vcc, exec, s[0:1]
	v_pk_min_f16 v51, v52, v51
	v_pk_add_f16 v52, v1, v29
	s_nop 0
	v_pk_min_f16 v51, v51, v52
	s_nop 0
	v_lshrrev_b32_e32 v52, 16, v51
	v_min3_f16 v52, v50, v51, v52
	v_lshl_add_u64 v[50:51], v[40:41], 1, v[48:49]
	global_store_short v[50:51], v52, off
	v_mov_b32_e32 v50, 0
	v_mov_b32_e32 v51, 0
	s_cbranch_vccnz .LBB214_26
; %bb.25:
	v_lshl_add_u64 v[52:53], v[44:45], 1, v[46:47]
	flat_load_ushort v51, v[52:53]
	s_waitcnt vmcnt(0) lgkmcnt(0)
	v_mul_f16_e32 v51, s13, v51
.LBB214_26:
	v_pk_add_f16 v52, v2, v28
	v_pk_max_f16 v53, v60, v60
	s_and_b64 vcc, exec, s[0:1]
	v_pk_min_f16 v52, v53, v52
	v_pk_add_f16 v53, v3, v29
	s_nop 0
	v_pk_min_f16 v52, v52, v53
	s_nop 0
	v_lshrrev_b32_e32 v53, 16, v52
	v_min3_f16 v51, v51, v52, v53
	v_lshl_add_u64 v[52:53], v[44:45], 1, v[48:49]
	global_store_short v[52:53], v51, off
	s_cbranch_vccnz .LBB214_28
; %bb.27:
	v_lshl_add_u64 v[46:47], v[42:43], 1, v[46:47]
	flat_load_ushort v46, v[46:47]
	s_waitcnt vmcnt(0) lgkmcnt(0)
	v_mul_f16_e32 v50, s13, v46
.LBB214_28:
	v_pk_add_f16 v28, v32, v28
	v_pk_max_f16 v46, v61, v61
	v_pk_add_f16 v29, v33, v29
	v_pk_min_f16 v28, v46, v28
	s_and_b64 vcc, exec, s[0:1]
	v_pk_min_f16 v28, v28, v29
	s_nop 0
	v_lshrrev_b32_e32 v29, 16, v28
	v_min3_f16 v46, v50, v28, v29
	v_lshl_add_u64 v[28:29], v[42:43], 1, v[48:49]
	global_store_short v[28:29], v46, off
	v_add_u32_e32 v46, 16, v54
	v_mad_i64_i32 v[28:29], s[8:9], v46, s12, 0
	v_lshl_add_u64 v[28:29], v[28:29], 1, s[6:7]
	v_mov_b32_e32 v48, 0
	v_mov_b32_e32 v49, 0
	s_cbranch_vccnz .LBB214_30
; %bb.29:
	v_lshl_add_u64 v[50:51], v[36:37], 1, v[28:29]
	flat_load_ushort v47, v[50:51]
	s_waitcnt vmcnt(0) lgkmcnt(0)
	v_mul_f16_e32 v49, s13, v47
.LBB214_30:
	v_pk_add_f16 v47, v38, v30
	v_pk_max_f16 v50, v71, v71
	s_and_b64 vcc, exec, s[0:1]
	v_pk_min_f16 v47, v50, v47
	v_pk_add_f16 v50, v39, v31
	s_nop 0
	v_pk_min_f16 v50, v47, v50
	v_mad_i64_i32 v[46:47], s[8:9], v46, s10, 0
	v_lshl_add_u64 v[46:47], v[46:47], 1, s[2:3]
	v_lshrrev_b32_e32 v51, 16, v50
	v_min3_f16 v49, v49, v50, v51
	v_lshl_add_u64 v[50:51], v[36:37], 1, v[46:47]
	global_store_short v[50:51], v49, off
	s_cbranch_vccnz .LBB214_32
; %bb.31:
	v_lshl_add_u64 v[48:49], v[40:41], 1, v[28:29]
	flat_load_ushort v48, v[48:49]
	s_waitcnt vmcnt(0) lgkmcnt(0)
	v_mul_f16_e32 v48, s13, v48
.LBB214_32:
	v_pk_add_f16 v49, v0, v30
	v_pk_max_f16 v50, v68, v68
	s_and_b64 vcc, exec, s[0:1]
	v_pk_min_f16 v49, v50, v49
	v_pk_add_f16 v50, v1, v31
	s_nop 0
	v_pk_min_f16 v49, v49, v50
	s_nop 0
	v_lshrrev_b32_e32 v50, 16, v49
	v_min3_f16 v50, v48, v49, v50
	v_lshl_add_u64 v[48:49], v[40:41], 1, v[46:47]
	global_store_short v[48:49], v50, off
	v_mov_b32_e32 v48, 0
	v_mov_b32_e32 v49, 0
	s_cbranch_vccnz .LBB214_34
; %bb.33:
	v_lshl_add_u64 v[50:51], v[44:45], 1, v[28:29]
	flat_load_ushort v49, v[50:51]
	s_waitcnt vmcnt(0) lgkmcnt(0)
	v_mul_f16_e32 v49, s13, v49
.LBB214_34:
	v_pk_add_f16 v50, v2, v30
	v_pk_max_f16 v51, v69, v69
	s_and_b64 vcc, exec, s[0:1]
	v_pk_min_f16 v50, v51, v50
	v_pk_add_f16 v51, v3, v31
	s_nop 0
	v_pk_min_f16 v50, v50, v51
	s_nop 0
	v_lshrrev_b32_e32 v51, 16, v50
	v_min3_f16 v49, v49, v50, v51
	v_lshl_add_u64 v[50:51], v[44:45], 1, v[46:47]
	global_store_short v[50:51], v49, off
	s_cbranch_vccnz .LBB214_36
; %bb.35:
	v_lshl_add_u64 v[28:29], v[42:43], 1, v[28:29]
	flat_load_ushort v28, v[28:29]
	s_waitcnt vmcnt(0) lgkmcnt(0)
	v_mul_f16_e32 v48, s13, v28
.LBB214_36:
	v_pk_add_f16 v28, v32, v30
	v_pk_max_f16 v29, v70, v70
	s_and_b64 vcc, exec, s[0:1]
	v_pk_min_f16 v28, v29, v28
	v_pk_add_f16 v29, v33, v31
	s_nop 0
	v_pk_min_f16 v28, v28, v29
	s_nop 0
	v_lshrrev_b32_e32 v29, 16, v28
	v_min3_f16 v30, v48, v28, v29
	v_lshl_add_u64 v[28:29], v[42:43], 1, v[46:47]
	global_store_short v[28:29], v30, off
	v_add_u32_e32 v30, 24, v54
	v_mad_i64_i32 v[28:29], s[8:9], v30, s12, 0
	v_lshl_add_u64 v[28:29], v[28:29], 1, s[6:7]
	v_mov_b32_e32 v46, 0
	v_mov_b32_e32 v47, 0
	s_cbranch_vccnz .LBB214_38
; %bb.37:
	v_lshl_add_u64 v[48:49], v[36:37], 1, v[28:29]
	flat_load_ushort v31, v[48:49]
	s_waitcnt vmcnt(0) lgkmcnt(0)
	v_mul_f16_e32 v47, s13, v31
.LBB214_38:
	v_pk_add_f16 v31, v38, v24
	v_pk_max_f16 v48, v67, v67
	s_and_b64 vcc, exec, s[0:1]
	v_pk_min_f16 v31, v48, v31
	v_pk_add_f16 v48, v39, v25
	s_nop 0
	v_pk_min_f16 v48, v31, v48
	v_mad_i64_i32 v[30:31], s[8:9], v30, s10, 0
	v_lshl_add_u64 v[30:31], v[30:31], 1, s[2:3]
	v_lshrrev_b32_e32 v49, 16, v48
	v_min3_f16 v47, v47, v48, v49
	v_lshl_add_u64 v[48:49], v[36:37], 1, v[30:31]
	global_store_short v[48:49], v47, off
	s_cbranch_vccnz .LBB214_40
; %bb.39:
	v_lshl_add_u64 v[46:47], v[40:41], 1, v[28:29]
	flat_load_ushort v46, v[46:47]
	s_waitcnt vmcnt(0) lgkmcnt(0)
	v_mul_f16_e32 v46, s13, v46
.LBB214_40:
	v_pk_add_f16 v47, v0, v24
	v_pk_max_f16 v48, v64, v64
	s_and_b64 vcc, exec, s[0:1]
	v_pk_min_f16 v47, v48, v47
	v_pk_add_f16 v48, v1, v25
	s_nop 0
	v_pk_min_f16 v47, v47, v48
	s_nop 0
	v_lshrrev_b32_e32 v48, 16, v47
	v_min3_f16 v48, v46, v47, v48
	v_lshl_add_u64 v[46:47], v[40:41], 1, v[30:31]
	global_store_short v[46:47], v48, off
	v_mov_b32_e32 v46, 0
	v_mov_b32_e32 v47, 0
	s_cbranch_vccnz .LBB214_42
; %bb.41:
	v_lshl_add_u64 v[48:49], v[44:45], 1, v[28:29]
	flat_load_ushort v47, v[48:49]
	s_waitcnt vmcnt(0) lgkmcnt(0)
	v_mul_f16_e32 v47, s13, v47
.LBB214_42:
	v_pk_add_f16 v48, v2, v24
	v_pk_max_f16 v49, v65, v65
	s_and_b64 vcc, exec, s[0:1]
	v_pk_min_f16 v48, v49, v48
	v_pk_add_f16 v49, v3, v25
	s_nop 0
	v_pk_min_f16 v48, v48, v49
	s_nop 0
	v_lshrrev_b32_e32 v49, 16, v48
	v_min3_f16 v47, v47, v48, v49
	v_lshl_add_u64 v[48:49], v[44:45], 1, v[30:31]
	global_store_short v[48:49], v47, off
	s_cbranch_vccnz .LBB214_44
; %bb.43:
	v_lshl_add_u64 v[28:29], v[42:43], 1, v[28:29]
	flat_load_ushort v28, v[28:29]
	s_waitcnt vmcnt(0) lgkmcnt(0)
	v_mul_f16_e32 v46, s13, v28
.LBB214_44:
	v_pk_add_f16 v24, v32, v24
	v_pk_max_f16 v28, v66, v66
	v_pk_add_f16 v25, v33, v25
	v_pk_min_f16 v24, v28, v24
	s_and_b64 vcc, exec, s[0:1]
	v_pk_min_f16 v24, v24, v25
	s_nop 0
	v_lshrrev_b32_e32 v25, 16, v24
	v_min3_f16 v28, v46, v24, v25
	v_lshl_add_u64 v[24:25], v[42:43], 1, v[30:31]
	global_store_short v[24:25], v28, off
	v_add_u32_e32 v28, 32, v54
	v_mad_i64_i32 v[24:25], s[8:9], v28, s12, 0
	v_lshl_add_u64 v[24:25], v[24:25], 1, s[6:7]
	v_mov_b32_e32 v30, 0
	v_mov_b32_e32 v31, 0
	s_cbranch_vccnz .LBB214_46
; %bb.45:
	v_lshl_add_u64 v[46:47], v[36:37], 1, v[24:25]
	flat_load_ushort v29, v[46:47]
	s_waitcnt vmcnt(0) lgkmcnt(0)
	v_mul_f16_e32 v31, s13, v29
.LBB214_46:
	v_pk_add_f16 v29, v38, v26
	v_pk_max_f16 v46, v83, v83
	s_and_b64 vcc, exec, s[0:1]
	v_pk_min_f16 v29, v46, v29
	v_pk_add_f16 v46, v39, v27
	s_nop 0
	v_pk_min_f16 v46, v29, v46
	v_mad_i64_i32 v[28:29], s[8:9], v28, s10, 0
	v_lshl_add_u64 v[28:29], v[28:29], 1, s[2:3]
	v_lshrrev_b32_e32 v47, 16, v46
	v_min3_f16 v31, v31, v46, v47
	v_lshl_add_u64 v[46:47], v[36:37], 1, v[28:29]
	global_store_short v[46:47], v31, off
	s_cbranch_vccnz .LBB214_48
; %bb.47:
	v_lshl_add_u64 v[30:31], v[40:41], 1, v[24:25]
	flat_load_ushort v30, v[30:31]
	s_waitcnt vmcnt(0) lgkmcnt(0)
	v_mul_f16_e32 v30, s13, v30
.LBB214_48:
	v_pk_add_f16 v31, v0, v26
	v_pk_max_f16 v46, v79, v79
	s_and_b64 vcc, exec, s[0:1]
	v_pk_min_f16 v31, v46, v31
	v_pk_add_f16 v46, v1, v27
	s_nop 0
	v_pk_min_f16 v31, v31, v46
	s_nop 0
	v_lshrrev_b32_e32 v46, 16, v31
	v_min3_f16 v46, v30, v31, v46
	v_lshl_add_u64 v[30:31], v[40:41], 1, v[28:29]
	global_store_short v[30:31], v46, off
	v_mov_b32_e32 v30, 0
	v_mov_b32_e32 v31, 0
	s_cbranch_vccnz .LBB214_50
; %bb.49:
	v_lshl_add_u64 v[46:47], v[44:45], 1, v[24:25]
	flat_load_ushort v31, v[46:47]
	s_waitcnt vmcnt(0) lgkmcnt(0)
	v_mul_f16_e32 v31, s13, v31
.LBB214_50:
	v_pk_add_f16 v46, v2, v26
	v_pk_max_f16 v47, v80, v80
	s_and_b64 vcc, exec, s[0:1]
	v_pk_min_f16 v46, v47, v46
	v_pk_add_f16 v47, v3, v27
	s_nop 0
	v_pk_min_f16 v46, v46, v47
	s_nop 0
	v_lshrrev_b32_e32 v47, 16, v46
	v_min3_f16 v31, v31, v46, v47
	v_lshl_add_u64 v[46:47], v[44:45], 1, v[28:29]
	global_store_short v[46:47], v31, off
	s_cbranch_vccnz .LBB214_52
; %bb.51:
	v_lshl_add_u64 v[24:25], v[42:43], 1, v[24:25]
	flat_load_ushort v24, v[24:25]
	s_waitcnt vmcnt(0) lgkmcnt(0)
	v_mul_f16_e32 v30, s13, v24
.LBB214_52:
	v_pk_add_f16 v24, v32, v26
	v_pk_max_f16 v25, v82, v82
	s_and_b64 vcc, exec, s[0:1]
	v_pk_min_f16 v24, v25, v24
	v_pk_add_f16 v25, v33, v27
	s_nop 0
	v_pk_min_f16 v24, v24, v25
	s_nop 0
	v_lshrrev_b32_e32 v25, 16, v24
	v_min3_f16 v26, v30, v24, v25
	v_lshl_add_u64 v[24:25], v[42:43], 1, v[28:29]
	global_store_short v[24:25], v26, off
	v_add_u32_e32 v26, 40, v54
	v_mad_i64_i32 v[24:25], s[8:9], v26, s12, 0
	v_lshl_add_u64 v[24:25], v[24:25], 1, s[6:7]
	v_mov_b32_e32 v28, 0
	v_mov_b32_e32 v29, 0
	s_cbranch_vccnz .LBB214_54
; %bb.53:
	v_lshl_add_u64 v[30:31], v[36:37], 1, v[24:25]
	flat_load_ushort v27, v[30:31]
	s_waitcnt vmcnt(0) lgkmcnt(0)
	v_mul_f16_e32 v29, s13, v27
.LBB214_54:
	v_pk_add_f16 v27, v38, v20
	v_pk_max_f16 v30, v77, v77
	s_and_b64 vcc, exec, s[0:1]
	v_pk_min_f16 v27, v30, v27
	v_pk_add_f16 v30, v39, v21
	s_nop 0
	v_pk_min_f16 v30, v27, v30
	v_mad_i64_i32 v[26:27], s[8:9], v26, s10, 0
	v_lshl_add_u64 v[26:27], v[26:27], 1, s[2:3]
	v_lshrrev_b32_e32 v31, 16, v30
	v_min3_f16 v29, v29, v30, v31
	v_lshl_add_u64 v[30:31], v[36:37], 1, v[26:27]
	global_store_short v[30:31], v29, off
	s_cbranch_vccnz .LBB214_56
; %bb.55:
	v_lshl_add_u64 v[28:29], v[40:41], 1, v[24:25]
	flat_load_ushort v28, v[28:29]
	s_waitcnt vmcnt(0) lgkmcnt(0)
	v_mul_f16_e32 v28, s13, v28
.LBB214_56:
	v_pk_add_f16 v29, v0, v20
	v_pk_max_f16 v30, v72, v72
	s_and_b64 vcc, exec, s[0:1]
	v_pk_min_f16 v29, v30, v29
	v_pk_add_f16 v30, v1, v21
	s_nop 0
	v_pk_min_f16 v29, v29, v30
	s_nop 0
	v_lshrrev_b32_e32 v30, 16, v29
	v_min3_f16 v30, v28, v29, v30
	v_lshl_add_u64 v[28:29], v[40:41], 1, v[26:27]
	global_store_short v[28:29], v30, off
	v_mov_b32_e32 v28, 0
	v_mov_b32_e32 v29, 0
	s_cbranch_vccnz .LBB214_58
; %bb.57:
	v_lshl_add_u64 v[30:31], v[44:45], 1, v[24:25]
	flat_load_ushort v29, v[30:31]
	s_waitcnt vmcnt(0) lgkmcnt(0)
	v_mul_f16_e32 v29, s13, v29
.LBB214_58:
	v_pk_add_f16 v30, v2, v20
	v_pk_max_f16 v31, v73, v73
	s_and_b64 vcc, exec, s[0:1]
	v_pk_min_f16 v30, v31, v30
	v_pk_add_f16 v31, v3, v21
	s_nop 0
	v_pk_min_f16 v30, v30, v31
	s_nop 0
	v_lshrrev_b32_e32 v31, 16, v30
	v_min3_f16 v29, v29, v30, v31
	v_lshl_add_u64 v[30:31], v[44:45], 1, v[26:27]
	global_store_short v[30:31], v29, off
	s_cbranch_vccnz .LBB214_60
; %bb.59:
	v_lshl_add_u64 v[24:25], v[42:43], 1, v[24:25]
	flat_load_ushort v24, v[24:25]
	s_waitcnt vmcnt(0) lgkmcnt(0)
	v_mul_f16_e32 v28, s13, v24
.LBB214_60:
	v_pk_add_f16 v20, v32, v20
	v_pk_max_f16 v24, v75, v75
	v_pk_add_f16 v21, v33, v21
	v_pk_min_f16 v20, v24, v20
	s_and_b64 vcc, exec, s[0:1]
	v_pk_min_f16 v20, v20, v21
	s_nop 0
	v_lshrrev_b32_e32 v21, 16, v20
	v_min3_f16 v24, v28, v20, v21
	v_lshl_add_u64 v[20:21], v[42:43], 1, v[26:27]
	global_store_short v[20:21], v24, off
	v_add_u32_e32 v24, 48, v54
	v_mad_i64_i32 v[20:21], s[8:9], v24, s12, 0
	v_lshl_add_u64 v[20:21], v[20:21], 1, s[6:7]
	v_mov_b32_e32 v26, 0
	v_mov_b32_e32 v27, 0
	s_cbranch_vccnz .LBB214_62
; %bb.61:
	v_lshl_add_u64 v[28:29], v[36:37], 1, v[20:21]
	flat_load_ushort v25, v[28:29]
	s_waitcnt vmcnt(0) lgkmcnt(0)
	v_mul_f16_e32 v27, s13, v25
.LBB214_62:
	v_pk_add_f16 v25, v38, v22
	v_pk_max_f16 v28, v92, v92
	s_and_b64 vcc, exec, s[0:1]
	v_pk_min_f16 v25, v28, v25
	v_pk_add_f16 v28, v39, v23
	s_nop 0
	v_pk_min_f16 v28, v25, v28
	v_mad_i64_i32 v[24:25], s[8:9], v24, s10, 0
	v_lshl_add_u64 v[24:25], v[24:25], 1, s[2:3]
	v_lshrrev_b32_e32 v29, 16, v28
	v_min3_f16 v27, v27, v28, v29
	v_lshl_add_u64 v[28:29], v[36:37], 1, v[24:25]
	global_store_short v[28:29], v27, off
	s_cbranch_vccnz .LBB214_64
; %bb.63:
	v_lshl_add_u64 v[26:27], v[40:41], 1, v[20:21]
	flat_load_ushort v26, v[26:27]
	s_waitcnt vmcnt(0) lgkmcnt(0)
	v_mul_f16_e32 v26, s13, v26
.LBB214_64:
	v_pk_add_f16 v27, v0, v22
	v_pk_max_f16 v28, v89, v89
	s_and_b64 vcc, exec, s[0:1]
	v_pk_min_f16 v27, v28, v27
	v_pk_add_f16 v28, v1, v23
	s_nop 0
	v_pk_min_f16 v27, v27, v28
	s_nop 0
	v_lshrrev_b32_e32 v28, 16, v27
	v_min3_f16 v28, v26, v27, v28
	v_lshl_add_u64 v[26:27], v[40:41], 1, v[24:25]
	global_store_short v[26:27], v28, off
	v_mov_b32_e32 v26, 0
	v_mov_b32_e32 v27, 0
	s_cbranch_vccnz .LBB214_66
; %bb.65:
	v_lshl_add_u64 v[28:29], v[44:45], 1, v[20:21]
	flat_load_ushort v27, v[28:29]
	s_waitcnt vmcnt(0) lgkmcnt(0)
	v_mul_f16_e32 v27, s13, v27
.LBB214_66:
	v_pk_add_f16 v28, v2, v22
	v_pk_max_f16 v29, v90, v90
	s_and_b64 vcc, exec, s[0:1]
	v_pk_min_f16 v28, v29, v28
	v_pk_add_f16 v29, v3, v23
	s_nop 0
	v_pk_min_f16 v28, v28, v29
	s_nop 0
	v_lshrrev_b32_e32 v29, 16, v28
	v_min3_f16 v27, v27, v28, v29
	v_lshl_add_u64 v[28:29], v[44:45], 1, v[24:25]
	global_store_short v[28:29], v27, off
	s_cbranch_vccnz .LBB214_68
; %bb.67:
	v_lshl_add_u64 v[20:21], v[42:43], 1, v[20:21]
	flat_load_ushort v20, v[20:21]
	s_waitcnt vmcnt(0) lgkmcnt(0)
	v_mul_f16_e32 v26, s13, v20
.LBB214_68:
	v_pk_add_f16 v20, v32, v22
	v_pk_max_f16 v21, v91, v91
	s_and_b64 vcc, exec, s[0:1]
	v_pk_min_f16 v20, v21, v20
	v_pk_add_f16 v21, v33, v23
	s_nop 0
	v_pk_min_f16 v20, v20, v21
	s_nop 0
	v_lshrrev_b32_e32 v21, 16, v20
	v_min3_f16 v22, v26, v20, v21
	v_lshl_add_u64 v[20:21], v[42:43], 1, v[24:25]
	global_store_short v[20:21], v22, off
	v_add_u32_e32 v22, 56, v54
	v_mad_i64_i32 v[20:21], s[8:9], v22, s12, 0
	v_lshl_add_u64 v[20:21], v[20:21], 1, s[6:7]
	v_mov_b32_e32 v24, 0
	v_mov_b32_e32 v25, 0
	s_cbranch_vccnz .LBB214_70
; %bb.69:
	v_lshl_add_u64 v[26:27], v[36:37], 1, v[20:21]
	flat_load_ushort v23, v[26:27]
	s_waitcnt vmcnt(0) lgkmcnt(0)
	v_mul_f16_e32 v25, s13, v23
.LBB214_70:
	v_pk_add_f16 v23, v38, v16
	v_pk_max_f16 v26, v88, v88
	s_and_b64 vcc, exec, s[0:1]
	v_pk_min_f16 v23, v26, v23
	v_pk_add_f16 v26, v39, v17
	s_nop 0
	v_pk_min_f16 v26, v23, v26
	v_mad_i64_i32 v[22:23], s[8:9], v22, s10, 0
	v_lshl_add_u64 v[22:23], v[22:23], 1, s[2:3]
	v_lshrrev_b32_e32 v27, 16, v26
	v_min3_f16 v25, v25, v26, v27
	v_lshl_add_u64 v[26:27], v[36:37], 1, v[22:23]
	global_store_short v[26:27], v25, off
	s_cbranch_vccnz .LBB214_72
; %bb.71:
	v_lshl_add_u64 v[24:25], v[40:41], 1, v[20:21]
	flat_load_ushort v24, v[24:25]
	s_waitcnt vmcnt(0) lgkmcnt(0)
	v_mul_f16_e32 v24, s13, v24
.LBB214_72:
	v_pk_add_f16 v25, v0, v16
	v_pk_max_f16 v26, v85, v85
	s_and_b64 vcc, exec, s[0:1]
	v_pk_min_f16 v25, v26, v25
	v_pk_add_f16 v26, v1, v17
	s_nop 0
	v_pk_min_f16 v25, v25, v26
	s_nop 0
	v_lshrrev_b32_e32 v26, 16, v25
	v_min3_f16 v26, v24, v25, v26
	v_lshl_add_u64 v[24:25], v[40:41], 1, v[22:23]
	global_store_short v[24:25], v26, off
	v_mov_b32_e32 v24, 0
	v_mov_b32_e32 v25, 0
	s_cbranch_vccnz .LBB214_74
; %bb.73:
	v_lshl_add_u64 v[26:27], v[44:45], 1, v[20:21]
	flat_load_ushort v25, v[26:27]
	s_waitcnt vmcnt(0) lgkmcnt(0)
	v_mul_f16_e32 v25, s13, v25
.LBB214_74:
	v_pk_add_f16 v26, v2, v16
	v_pk_max_f16 v27, v86, v86
	s_and_b64 vcc, exec, s[0:1]
	v_pk_min_f16 v26, v27, v26
	v_pk_add_f16 v27, v3, v17
	s_nop 0
	v_pk_min_f16 v26, v26, v27
	s_nop 0
	v_lshrrev_b32_e32 v27, 16, v26
	v_min3_f16 v25, v25, v26, v27
	v_lshl_add_u64 v[26:27], v[44:45], 1, v[22:23]
	global_store_short v[26:27], v25, off
	s_cbranch_vccnz .LBB214_76
; %bb.75:
	v_lshl_add_u64 v[20:21], v[42:43], 1, v[20:21]
	flat_load_ushort v20, v[20:21]
	s_waitcnt vmcnt(0) lgkmcnt(0)
	v_mul_f16_e32 v24, s13, v20
.LBB214_76:
	v_pk_add_f16 v16, v32, v16
	v_pk_max_f16 v20, v87, v87
	v_pk_add_f16 v17, v33, v17
	v_pk_min_f16 v16, v20, v16
	s_and_b64 vcc, exec, s[0:1]
	v_pk_min_f16 v16, v16, v17
	s_nop 0
	v_lshrrev_b32_e32 v17, 16, v16
	v_min3_f16 v20, v24, v16, v17
	v_lshl_add_u64 v[16:17], v[42:43], 1, v[22:23]
	global_store_short v[16:17], v20, off
	v_add_u32_e32 v20, 64, v54
	v_mad_i64_i32 v[16:17], s[8:9], v20, s12, 0
	v_lshl_add_u64 v[16:17], v[16:17], 1, s[6:7]
	v_mov_b32_e32 v22, 0
	v_mov_b32_e32 v23, 0
	s_cbranch_vccnz .LBB214_78
; %bb.77:
	v_lshl_add_u64 v[24:25], v[36:37], 1, v[16:17]
	flat_load_ushort v21, v[24:25]
	s_waitcnt vmcnt(0) lgkmcnt(0)
	v_mul_f16_e32 v23, s13, v21
.LBB214_78:
	v_pk_add_f16 v21, v38, v18
	v_pk_max_f16 v24, v100, v100
	s_and_b64 vcc, exec, s[0:1]
	v_pk_min_f16 v21, v24, v21
	v_pk_add_f16 v24, v39, v19
	s_nop 0
	v_pk_min_f16 v24, v21, v24
	v_mad_i64_i32 v[20:21], s[8:9], v20, s10, 0
	v_lshl_add_u64 v[20:21], v[20:21], 1, s[2:3]
	v_lshrrev_b32_e32 v25, 16, v24
	v_min3_f16 v23, v23, v24, v25
	v_lshl_add_u64 v[24:25], v[36:37], 1, v[20:21]
	global_store_short v[24:25], v23, off
	s_cbranch_vccnz .LBB214_80
; %bb.79:
	v_lshl_add_u64 v[22:23], v[40:41], 1, v[16:17]
	flat_load_ushort v22, v[22:23]
	s_waitcnt vmcnt(0) lgkmcnt(0)
	v_mul_f16_e32 v22, s13, v22
.LBB214_80:
	v_pk_add_f16 v23, v0, v18
	v_pk_max_f16 v24, v97, v97
	s_and_b64 vcc, exec, s[0:1]
	v_pk_min_f16 v23, v24, v23
	v_pk_add_f16 v24, v1, v19
	s_nop 0
	v_pk_min_f16 v23, v23, v24
	s_nop 0
	v_lshrrev_b32_e32 v24, 16, v23
	v_min3_f16 v24, v22, v23, v24
	v_lshl_add_u64 v[22:23], v[40:41], 1, v[20:21]
	global_store_short v[22:23], v24, off
	v_mov_b32_e32 v22, 0
	v_mov_b32_e32 v23, 0
	s_cbranch_vccnz .LBB214_82
; %bb.81:
	v_lshl_add_u64 v[24:25], v[44:45], 1, v[16:17]
	flat_load_ushort v23, v[24:25]
	s_waitcnt vmcnt(0) lgkmcnt(0)
	v_mul_f16_e32 v23, s13, v23
.LBB214_82:
	v_pk_add_f16 v24, v2, v18
	v_pk_max_f16 v25, v98, v98
	s_and_b64 vcc, exec, s[0:1]
	v_pk_min_f16 v24, v25, v24
	v_pk_add_f16 v25, v3, v19
	s_nop 0
	v_pk_min_f16 v24, v24, v25
	s_nop 0
	v_lshrrev_b32_e32 v25, 16, v24
	v_min3_f16 v23, v23, v24, v25
	v_lshl_add_u64 v[24:25], v[44:45], 1, v[20:21]
	global_store_short v[24:25], v23, off
	s_cbranch_vccnz .LBB214_84
; %bb.83:
	v_lshl_add_u64 v[16:17], v[42:43], 1, v[16:17]
	flat_load_ushort v16, v[16:17]
	s_waitcnt vmcnt(0) lgkmcnt(0)
	v_mul_f16_e32 v22, s13, v16
.LBB214_84:
	v_pk_add_f16 v16, v32, v18
	v_pk_max_f16 v17, v99, v99
	s_and_b64 vcc, exec, s[0:1]
	v_pk_min_f16 v16, v17, v16
	v_pk_add_f16 v17, v33, v19
	s_nop 0
	v_pk_min_f16 v16, v16, v17
	s_nop 0
	v_lshrrev_b32_e32 v17, 16, v16
	v_min3_f16 v18, v22, v16, v17
	v_lshl_add_u64 v[16:17], v[42:43], 1, v[20:21]
	global_store_short v[16:17], v18, off
	v_add_u32_e32 v18, 0x48, v54
	v_mad_i64_i32 v[16:17], s[8:9], v18, s12, 0
	v_lshl_add_u64 v[16:17], v[16:17], 1, s[6:7]
	v_mov_b32_e32 v20, 0
	v_mov_b32_e32 v21, 0
	s_cbranch_vccnz .LBB214_86
; %bb.85:
	v_lshl_add_u64 v[22:23], v[36:37], 1, v[16:17]
	flat_load_ushort v19, v[22:23]
	s_waitcnt vmcnt(0) lgkmcnt(0)
	v_mul_f16_e32 v21, s13, v19
.LBB214_86:
	v_pk_add_f16 v19, v38, v12
	v_pk_max_f16 v22, v96, v96
	s_and_b64 vcc, exec, s[0:1]
	v_pk_min_f16 v19, v22, v19
	v_pk_add_f16 v22, v39, v13
	s_nop 0
	v_pk_min_f16 v22, v19, v22
	v_mad_i64_i32 v[18:19], s[8:9], v18, s10, 0
	v_lshl_add_u64 v[18:19], v[18:19], 1, s[2:3]
	v_lshrrev_b32_e32 v23, 16, v22
	v_min3_f16 v21, v21, v22, v23
	v_lshl_add_u64 v[22:23], v[36:37], 1, v[18:19]
	global_store_short v[22:23], v21, off
	s_cbranch_vccnz .LBB214_88
; %bb.87:
	v_lshl_add_u64 v[20:21], v[40:41], 1, v[16:17]
	flat_load_ushort v20, v[20:21]
	s_waitcnt vmcnt(0) lgkmcnt(0)
	v_mul_f16_e32 v20, s13, v20
.LBB214_88:
	v_pk_add_f16 v21, v0, v12
	v_pk_max_f16 v22, v93, v93
	s_and_b64 vcc, exec, s[0:1]
	v_pk_min_f16 v21, v22, v21
	v_pk_add_f16 v22, v1, v13
	s_nop 0
	v_pk_min_f16 v21, v21, v22
	s_nop 0
	v_lshrrev_b32_e32 v22, 16, v21
	v_min3_f16 v22, v20, v21, v22
	v_lshl_add_u64 v[20:21], v[40:41], 1, v[18:19]
	global_store_short v[20:21], v22, off
	v_mov_b32_e32 v20, 0
	v_mov_b32_e32 v21, 0
	s_cbranch_vccnz .LBB214_90
; %bb.89:
	v_lshl_add_u64 v[22:23], v[44:45], 1, v[16:17]
	flat_load_ushort v21, v[22:23]
	s_waitcnt vmcnt(0) lgkmcnt(0)
	v_mul_f16_e32 v21, s13, v21
.LBB214_90:
	v_pk_add_f16 v22, v2, v12
	v_pk_max_f16 v23, v94, v94
	s_and_b64 vcc, exec, s[0:1]
	v_pk_min_f16 v22, v23, v22
	v_pk_add_f16 v23, v3, v13
	s_nop 0
	v_pk_min_f16 v22, v22, v23
	s_nop 0
	v_lshrrev_b32_e32 v23, 16, v22
	v_min3_f16 v21, v21, v22, v23
	v_lshl_add_u64 v[22:23], v[44:45], 1, v[18:19]
	global_store_short v[22:23], v21, off
	s_cbranch_vccnz .LBB214_92
; %bb.91:
	v_lshl_add_u64 v[16:17], v[42:43], 1, v[16:17]
	flat_load_ushort v16, v[16:17]
	s_waitcnt vmcnt(0) lgkmcnt(0)
	v_mul_f16_e32 v20, s13, v16
.LBB214_92:
	v_pk_add_f16 v12, v32, v12
	v_pk_max_f16 v16, v95, v95
	v_pk_add_f16 v13, v33, v13
	v_pk_min_f16 v12, v16, v12
	s_and_b64 vcc, exec, s[0:1]
	v_pk_min_f16 v12, v12, v13
	s_nop 0
	v_lshrrev_b32_e32 v13, 16, v12
	v_min3_f16 v16, v20, v12, v13
	v_lshl_add_u64 v[12:13], v[42:43], 1, v[18:19]
	global_store_short v[12:13], v16, off
	v_add_u32_e32 v16, 0x50, v54
	v_mad_i64_i32 v[12:13], s[8:9], v16, s12, 0
	v_lshl_add_u64 v[12:13], v[12:13], 1, s[6:7]
	v_mov_b32_e32 v18, 0
	v_mov_b32_e32 v19, 0
	s_cbranch_vccnz .LBB214_94
; %bb.93:
	v_lshl_add_u64 v[20:21], v[36:37], 1, v[12:13]
	flat_load_ushort v17, v[20:21]
	s_waitcnt vmcnt(0) lgkmcnt(0)
	v_mul_f16_e32 v19, s13, v17
.LBB214_94:
	v_pk_add_f16 v17, v38, v14
	v_pk_max_f16 v20, v108, v108
	s_and_b64 vcc, exec, s[0:1]
	v_pk_min_f16 v17, v20, v17
	v_pk_add_f16 v20, v39, v15
	s_nop 0
	v_pk_min_f16 v20, v17, v20
	v_mad_i64_i32 v[16:17], s[8:9], v16, s10, 0
	v_lshl_add_u64 v[16:17], v[16:17], 1, s[2:3]
	v_lshrrev_b32_e32 v21, 16, v20
	v_min3_f16 v19, v19, v20, v21
	v_lshl_add_u64 v[20:21], v[36:37], 1, v[16:17]
	global_store_short v[20:21], v19, off
	s_cbranch_vccnz .LBB214_96
; %bb.95:
	v_lshl_add_u64 v[18:19], v[40:41], 1, v[12:13]
	flat_load_ushort v18, v[18:19]
	s_waitcnt vmcnt(0) lgkmcnt(0)
	v_mul_f16_e32 v18, s13, v18
.LBB214_96:
	v_pk_add_f16 v19, v0, v14
	v_pk_max_f16 v20, v105, v105
	s_and_b64 vcc, exec, s[0:1]
	v_pk_min_f16 v19, v20, v19
	v_pk_add_f16 v20, v1, v15
	s_nop 0
	v_pk_min_f16 v19, v19, v20
	s_nop 0
	v_lshrrev_b32_e32 v20, 16, v19
	v_min3_f16 v20, v18, v19, v20
	v_lshl_add_u64 v[18:19], v[40:41], 1, v[16:17]
	global_store_short v[18:19], v20, off
	v_mov_b32_e32 v18, 0
	v_mov_b32_e32 v19, 0
	s_cbranch_vccnz .LBB214_98
; %bb.97:
	v_lshl_add_u64 v[20:21], v[44:45], 1, v[12:13]
	flat_load_ushort v19, v[20:21]
	s_waitcnt vmcnt(0) lgkmcnt(0)
	v_mul_f16_e32 v19, s13, v19
.LBB214_98:
	v_pk_add_f16 v20, v2, v14
	v_pk_max_f16 v21, v106, v106
	s_and_b64 vcc, exec, s[0:1]
	v_pk_min_f16 v20, v21, v20
	v_pk_add_f16 v21, v3, v15
	s_nop 0
	v_pk_min_f16 v20, v20, v21
	s_nop 0
	v_lshrrev_b32_e32 v21, 16, v20
	v_min3_f16 v19, v19, v20, v21
	v_lshl_add_u64 v[20:21], v[44:45], 1, v[16:17]
	global_store_short v[20:21], v19, off
	s_cbranch_vccnz .LBB214_100
; %bb.99:
	v_lshl_add_u64 v[12:13], v[42:43], 1, v[12:13]
	flat_load_ushort v12, v[12:13]
	s_waitcnt vmcnt(0) lgkmcnt(0)
	v_mul_f16_e32 v18, s13, v12
.LBB214_100:
	v_pk_add_f16 v12, v32, v14
	v_pk_max_f16 v13, v107, v107
	s_and_b64 vcc, exec, s[0:1]
	v_pk_min_f16 v12, v13, v12
	v_pk_add_f16 v13, v33, v15
	s_nop 0
	v_pk_min_f16 v12, v12, v13
	s_nop 0
	v_lshrrev_b32_e32 v13, 16, v12
	v_min3_f16 v14, v18, v12, v13
	v_lshl_add_u64 v[12:13], v[42:43], 1, v[16:17]
	global_store_short v[12:13], v14, off
	v_add_u32_e32 v14, 0x58, v54
	v_mad_i64_i32 v[12:13], s[8:9], v14, s12, 0
	v_lshl_add_u64 v[12:13], v[12:13], 1, s[6:7]
	v_mov_b32_e32 v16, 0
	v_mov_b32_e32 v17, 0
	s_cbranch_vccnz .LBB214_102
; %bb.101:
	v_lshl_add_u64 v[18:19], v[36:37], 1, v[12:13]
	flat_load_ushort v15, v[18:19]
	s_waitcnt vmcnt(0) lgkmcnt(0)
	v_mul_f16_e32 v17, s13, v15
.LBB214_102:
	v_pk_add_f16 v15, v38, v8
	v_pk_max_f16 v18, v104, v104
	s_and_b64 vcc, exec, s[0:1]
	v_pk_min_f16 v15, v18, v15
	v_pk_add_f16 v18, v39, v9
	s_nop 0
	v_pk_min_f16 v18, v15, v18
	v_mad_i64_i32 v[14:15], s[8:9], v14, s10, 0
	v_lshl_add_u64 v[14:15], v[14:15], 1, s[2:3]
	v_lshrrev_b32_e32 v19, 16, v18
	v_min3_f16 v17, v17, v18, v19
	v_lshl_add_u64 v[18:19], v[36:37], 1, v[14:15]
	global_store_short v[18:19], v17, off
	s_cbranch_vccnz .LBB214_104
; %bb.103:
	v_lshl_add_u64 v[16:17], v[40:41], 1, v[12:13]
	flat_load_ushort v16, v[16:17]
	s_waitcnt vmcnt(0) lgkmcnt(0)
	v_mul_f16_e32 v16, s13, v16
.LBB214_104:
	v_pk_add_f16 v17, v0, v8
	v_pk_max_f16 v18, v101, v101
	s_and_b64 vcc, exec, s[0:1]
	v_pk_min_f16 v17, v18, v17
	v_pk_add_f16 v18, v1, v9
	s_nop 0
	v_pk_min_f16 v17, v17, v18
	s_nop 0
	v_lshrrev_b32_e32 v18, 16, v17
	v_min3_f16 v18, v16, v17, v18
	v_lshl_add_u64 v[16:17], v[40:41], 1, v[14:15]
	global_store_short v[16:17], v18, off
	v_mov_b32_e32 v16, 0
	v_mov_b32_e32 v17, 0
	s_cbranch_vccnz .LBB214_106
; %bb.105:
	v_lshl_add_u64 v[18:19], v[44:45], 1, v[12:13]
	flat_load_ushort v17, v[18:19]
	s_waitcnt vmcnt(0) lgkmcnt(0)
	v_mul_f16_e32 v17, s13, v17
.LBB214_106:
	v_pk_add_f16 v18, v2, v8
	v_pk_max_f16 v19, v102, v102
	s_and_b64 vcc, exec, s[0:1]
	v_pk_min_f16 v18, v19, v18
	v_pk_add_f16 v19, v3, v9
	s_nop 0
	v_pk_min_f16 v18, v18, v19
	s_nop 0
	v_lshrrev_b32_e32 v19, 16, v18
	v_min3_f16 v17, v17, v18, v19
	v_lshl_add_u64 v[18:19], v[44:45], 1, v[14:15]
	global_store_short v[18:19], v17, off
	s_cbranch_vccnz .LBB214_108
; %bb.107:
	v_lshl_add_u64 v[12:13], v[42:43], 1, v[12:13]
	flat_load_ushort v12, v[12:13]
	s_waitcnt vmcnt(0) lgkmcnt(0)
	v_mul_f16_e32 v16, s13, v12
.LBB214_108:
	v_pk_add_f16 v8, v32, v8
	v_pk_max_f16 v12, v103, v103
	v_pk_add_f16 v9, v33, v9
	v_pk_min_f16 v8, v12, v8
	s_and_b64 vcc, exec, s[0:1]
	v_pk_min_f16 v8, v8, v9
	s_nop 0
	v_lshrrev_b32_e32 v9, 16, v8
	v_min3_f16 v12, v16, v8, v9
	v_lshl_add_u64 v[8:9], v[42:43], 1, v[14:15]
	global_store_short v[8:9], v12, off
	v_add_u32_e32 v12, 0x60, v54
	v_mad_i64_i32 v[8:9], s[8:9], v12, s12, 0
	v_lshl_add_u64 v[8:9], v[8:9], 1, s[6:7]
	v_mov_b32_e32 v14, 0
	v_mov_b32_e32 v15, 0
	s_cbranch_vccnz .LBB214_110
; %bb.109:
	v_lshl_add_u64 v[16:17], v[36:37], 1, v[8:9]
	flat_load_ushort v13, v[16:17]
	s_waitcnt vmcnt(0) lgkmcnt(0)
	v_mul_f16_e32 v15, s13, v13
.LBB214_110:
	v_pk_add_f16 v13, v38, v10
	v_pk_max_f16 v16, v116, v116
	s_and_b64 vcc, exec, s[0:1]
	v_pk_min_f16 v13, v16, v13
	v_pk_add_f16 v16, v39, v11
	s_nop 0
	v_pk_min_f16 v16, v13, v16
	v_mad_i64_i32 v[12:13], s[8:9], v12, s10, 0
	v_lshl_add_u64 v[12:13], v[12:13], 1, s[2:3]
	v_lshrrev_b32_e32 v17, 16, v16
	v_min3_f16 v15, v15, v16, v17
	v_lshl_add_u64 v[16:17], v[36:37], 1, v[12:13]
	global_store_short v[16:17], v15, off
	s_cbranch_vccnz .LBB214_112
; %bb.111:
	v_lshl_add_u64 v[14:15], v[40:41], 1, v[8:9]
	flat_load_ushort v14, v[14:15]
	s_waitcnt vmcnt(0) lgkmcnt(0)
	v_mul_f16_e32 v14, s13, v14
.LBB214_112:
	v_pk_add_f16 v15, v0, v10
	v_pk_max_f16 v16, v113, v113
	s_and_b64 vcc, exec, s[0:1]
	v_pk_min_f16 v15, v16, v15
	v_pk_add_f16 v16, v1, v11
	s_nop 0
	v_pk_min_f16 v15, v15, v16
	s_nop 0
	v_lshrrev_b32_e32 v16, 16, v15
	v_min3_f16 v16, v14, v15, v16
	v_lshl_add_u64 v[14:15], v[40:41], 1, v[12:13]
	global_store_short v[14:15], v16, off
	v_mov_b32_e32 v14, 0
	v_mov_b32_e32 v15, 0
	s_cbranch_vccnz .LBB214_114
; %bb.113:
	v_lshl_add_u64 v[16:17], v[44:45], 1, v[8:9]
	flat_load_ushort v15, v[16:17]
	s_waitcnt vmcnt(0) lgkmcnt(0)
	v_mul_f16_e32 v15, s13, v15
.LBB214_114:
	v_pk_add_f16 v16, v2, v10
	v_pk_max_f16 v17, v114, v114
	s_and_b64 vcc, exec, s[0:1]
	v_pk_min_f16 v16, v17, v16
	v_pk_add_f16 v17, v3, v11
	s_nop 0
	v_pk_min_f16 v16, v16, v17
	s_nop 0
	v_lshrrev_b32_e32 v17, 16, v16
	v_min3_f16 v15, v15, v16, v17
	v_lshl_add_u64 v[16:17], v[44:45], 1, v[12:13]
	global_store_short v[16:17], v15, off
	s_cbranch_vccnz .LBB214_116
; %bb.115:
	v_lshl_add_u64 v[8:9], v[42:43], 1, v[8:9]
	flat_load_ushort v8, v[8:9]
	s_waitcnt vmcnt(0) lgkmcnt(0)
	v_mul_f16_e32 v14, s13, v8
.LBB214_116:
	v_pk_add_f16 v8, v32, v10
	v_pk_max_f16 v9, v115, v115
	s_and_b64 vcc, exec, s[0:1]
	v_pk_min_f16 v8, v9, v8
	v_pk_add_f16 v9, v33, v11
	s_nop 0
	v_pk_min_f16 v8, v8, v9
	s_nop 0
	v_lshrrev_b32_e32 v9, 16, v8
	v_min3_f16 v10, v14, v8, v9
	v_lshl_add_u64 v[8:9], v[42:43], 1, v[12:13]
	global_store_short v[8:9], v10, off
	v_add_u32_e32 v10, 0x68, v54
	v_mad_i64_i32 v[8:9], s[8:9], v10, s12, 0
	v_lshl_add_u64 v[8:9], v[8:9], 1, s[6:7]
	v_mov_b32_e32 v12, 0
	v_mov_b32_e32 v13, 0
	s_cbranch_vccnz .LBB214_118
; %bb.117:
	v_lshl_add_u64 v[14:15], v[36:37], 1, v[8:9]
	flat_load_ushort v11, v[14:15]
	s_waitcnt vmcnt(0) lgkmcnt(0)
	v_mul_f16_e32 v13, s13, v11
.LBB214_118:
	v_pk_add_f16 v11, v38, v4
	v_pk_max_f16 v14, v112, v112
	s_and_b64 vcc, exec, s[0:1]
	v_pk_min_f16 v11, v14, v11
	v_pk_add_f16 v14, v39, v5
	s_nop 0
	v_pk_min_f16 v14, v11, v14
	v_mad_i64_i32 v[10:11], s[8:9], v10, s10, 0
	v_lshl_add_u64 v[10:11], v[10:11], 1, s[2:3]
	v_lshrrev_b32_e32 v15, 16, v14
	v_min3_f16 v13, v13, v14, v15
	v_lshl_add_u64 v[14:15], v[36:37], 1, v[10:11]
	global_store_short v[14:15], v13, off
	s_cbranch_vccnz .LBB214_120
; %bb.119:
	v_lshl_add_u64 v[12:13], v[40:41], 1, v[8:9]
	flat_load_ushort v12, v[12:13]
	s_waitcnt vmcnt(0) lgkmcnt(0)
	v_mul_f16_e32 v12, s13, v12
.LBB214_120:
	v_pk_add_f16 v13, v0, v4
	v_pk_max_f16 v14, v109, v109
	s_and_b64 vcc, exec, s[0:1]
	v_pk_min_f16 v13, v14, v13
	v_pk_add_f16 v14, v1, v5
	s_nop 0
	v_pk_min_f16 v13, v13, v14
	s_nop 0
	v_lshrrev_b32_e32 v14, 16, v13
	v_min3_f16 v14, v12, v13, v14
	v_lshl_add_u64 v[12:13], v[40:41], 1, v[10:11]
	global_store_short v[12:13], v14, off
	v_mov_b32_e32 v12, 0
	v_mov_b32_e32 v13, 0
	s_cbranch_vccnz .LBB214_122
; %bb.121:
	v_lshl_add_u64 v[14:15], v[44:45], 1, v[8:9]
	flat_load_ushort v13, v[14:15]
	s_waitcnt vmcnt(0) lgkmcnt(0)
	v_mul_f16_e32 v13, s13, v13
.LBB214_122:
	v_pk_add_f16 v14, v2, v4
	v_pk_max_f16 v15, v110, v110
	s_and_b64 vcc, exec, s[0:1]
	v_pk_min_f16 v14, v15, v14
	v_pk_add_f16 v15, v3, v5
	s_nop 0
	v_pk_min_f16 v14, v14, v15
	s_nop 0
	v_lshrrev_b32_e32 v15, 16, v14
	v_min3_f16 v13, v13, v14, v15
	v_lshl_add_u64 v[14:15], v[44:45], 1, v[10:11]
	global_store_short v[14:15], v13, off
	s_cbranch_vccnz .LBB214_124
; %bb.123:
	v_lshl_add_u64 v[8:9], v[42:43], 1, v[8:9]
	flat_load_ushort v8, v[8:9]
	s_waitcnt vmcnt(0) lgkmcnt(0)
	v_mul_f16_e32 v12, s13, v8
.LBB214_124:
	v_pk_add_f16 v4, v32, v4
	v_pk_max_f16 v8, v111, v111
	v_pk_add_f16 v5, v33, v5
	v_pk_min_f16 v4, v8, v4
	s_and_b64 vcc, exec, s[0:1]
	v_pk_min_f16 v4, v4, v5
	s_nop 0
	v_lshrrev_b32_e32 v5, 16, v4
	v_min3_f16 v8, v12, v4, v5
	v_lshl_add_u64 v[4:5], v[42:43], 1, v[10:11]
	global_store_short v[4:5], v8, off
	v_add_u32_e32 v8, 0x70, v54
	v_mad_i64_i32 v[4:5], s[8:9], v8, s12, 0
	v_lshl_add_u64 v[4:5], v[4:5], 1, s[6:7]
	v_mov_b32_e32 v10, 0
	v_mov_b32_e32 v11, 0
	s_cbranch_vccnz .LBB214_126
; %bb.125:
	v_lshl_add_u64 v[12:13], v[36:37], 1, v[4:5]
	flat_load_ushort v9, v[12:13]
	s_waitcnt vmcnt(0) lgkmcnt(0)
	v_mul_f16_e32 v11, s13, v9
.LBB214_126:
	v_pk_add_f16 v9, v38, v6
	v_pk_max_f16 v12, v120, v120
	s_and_b64 vcc, exec, s[0:1]
	v_pk_min_f16 v9, v12, v9
	v_pk_add_f16 v12, v39, v7
	s_nop 0
	v_pk_min_f16 v12, v9, v12
	v_mad_i64_i32 v[8:9], s[8:9], v8, s10, 0
	v_lshl_add_u64 v[8:9], v[8:9], 1, s[2:3]
	v_lshrrev_b32_e32 v13, 16, v12
	v_min3_f16 v11, v11, v12, v13
	v_lshl_add_u64 v[12:13], v[36:37], 1, v[8:9]
	global_store_short v[12:13], v11, off
	s_cbranch_vccnz .LBB214_128
; %bb.127:
	v_lshl_add_u64 v[10:11], v[40:41], 1, v[4:5]
	flat_load_ushort v10, v[10:11]
	s_waitcnt vmcnt(0) lgkmcnt(0)
	v_mul_f16_e32 v10, s13, v10
.LBB214_128:
	v_pk_add_f16 v11, v0, v6
	v_pk_max_f16 v12, v119, v119
	s_and_b64 vcc, exec, s[0:1]
	v_pk_min_f16 v11, v12, v11
	v_pk_add_f16 v12, v1, v7
	s_nop 0
	v_pk_min_f16 v11, v11, v12
	s_nop 0
	v_lshrrev_b32_e32 v12, 16, v11
	v_min3_f16 v12, v10, v11, v12
	v_lshl_add_u64 v[10:11], v[40:41], 1, v[8:9]
	global_store_short v[10:11], v12, off
	v_mov_b32_e32 v10, 0
	v_mov_b32_e32 v11, 0
	s_cbranch_vccnz .LBB214_130
; %bb.129:
	v_lshl_add_u64 v[12:13], v[44:45], 1, v[4:5]
	flat_load_ushort v11, v[12:13]
	s_waitcnt vmcnt(0) lgkmcnt(0)
	v_mul_f16_e32 v11, s13, v11
.LBB214_130:
	v_pk_add_f16 v12, v2, v6
	v_pk_max_f16 v13, v118, v118
	s_and_b64 vcc, exec, s[0:1]
	v_pk_min_f16 v12, v13, v12
	v_pk_add_f16 v13, v3, v7
	s_nop 0
	v_pk_min_f16 v12, v12, v13
	s_nop 0
	v_lshrrev_b32_e32 v13, 16, v12
	v_min3_f16 v11, v11, v12, v13
	v_lshl_add_u64 v[12:13], v[44:45], 1, v[8:9]
	global_store_short v[12:13], v11, off
	s_cbranch_vccnz .LBB214_132
; %bb.131:
	v_lshl_add_u64 v[4:5], v[42:43], 1, v[4:5]
	flat_load_ushort v4, v[4:5]
	s_waitcnt vmcnt(0) lgkmcnt(0)
	v_mul_f16_e32 v10, s13, v4
.LBB214_132:
	v_pk_add_f16 v4, v32, v6
	v_pk_max_f16 v5, v117, v117
	s_and_b64 vcc, exec, s[0:1]
	v_pk_min_f16 v4, v5, v4
	v_pk_add_f16 v5, v33, v7
	s_nop 0
	v_pk_min_f16 v4, v4, v5
	s_nop 0
	v_lshrrev_b32_e32 v5, 16, v4
	v_min3_f16 v6, v10, v4, v5
	v_lshl_add_u64 v[4:5], v[42:43], 1, v[8:9]
	global_store_short v[4:5], v6, off
	v_add_u32_e32 v6, 0x78, v54
	v_mad_i64_i32 v[4:5], s[8:9], v6, s12, 0
	v_lshl_add_u64 v[4:5], v[4:5], 1, s[6:7]
	v_mov_b32_e32 v8, 0
	v_mov_b32_e32 v9, 0
	s_cbranch_vccnz .LBB214_134
; %bb.133:
	v_lshl_add_u64 v[10:11], v[36:37], 1, v[4:5]
	flat_load_ushort v7, v[10:11]
	s_waitcnt vmcnt(0) lgkmcnt(0)
	v_mul_f16_e32 v9, s13, v7
.LBB214_134:
	v_pk_add_f16 v7, v38, v34
	v_pk_max_f16 v10, v122, v122
	s_and_b64 vcc, exec, s[0:1]
	v_pk_min_f16 v7, v10, v7
	v_pk_add_f16 v10, v39, v35
	s_nop 0
	v_pk_min_f16 v10, v7, v10
	v_mad_i64_i32 v[6:7], s[6:7], v6, s10, 0
	v_lshl_add_u64 v[6:7], v[6:7], 1, s[2:3]
	v_lshrrev_b32_e32 v11, 16, v10
	v_min3_f16 v9, v9, v10, v11
	v_lshl_add_u64 v[10:11], v[36:37], 1, v[6:7]
	global_store_short v[10:11], v9, off
	s_cbranch_vccnz .LBB214_136
; %bb.135:
	v_lshl_add_u64 v[8:9], v[40:41], 1, v[4:5]
	flat_load_ushort v8, v[8:9]
	s_waitcnt vmcnt(0) lgkmcnt(0)
	v_mul_f16_e32 v8, s13, v8
.LBB214_136:
	v_pk_add_f16 v0, v0, v34
	v_pk_max_f16 v9, v121, v121
	v_pk_add_f16 v2, v2, v34
	v_pk_min_f16 v0, v9, v0
	v_pk_max_f16 v9, v123, v123
	v_pk_add_f16 v1, v1, v35
	v_pk_min_f16 v2, v9, v2
	v_pk_min_f16 v0, v0, v1
	v_pk_add_f16 v1, v3, v35
	s_mov_b64 vcc, s[4:5]
	v_pk_min_f16 v2, v2, v1
	v_lshrrev_b32_e32 v1, 16, v0
	v_min3_f16 v3, v8, v0, v1
	v_lshl_add_u64 v[0:1], v[40:41], 1, v[6:7]
	global_store_short v[0:1], v3, off
	v_min_f16_sdwa v0, v2, v2 dst_sel:DWORD dst_unused:UNUSED_PAD src0_sel:DWORD src1_sel:WORD_1
	v_max_f16_e32 v0, v0, v0
	s_cbranch_vccz .LBB214_139
; %bb.137:
	v_min_f16_e32 v1, 0, v0
	v_lshl_add_u64 v[2:3], v[44:45], 1, v[6:7]
	s_mov_b32 s2, 0
	global_store_short v[2:3], v1, off
	s_cbranch_execz .LBB214_140
; %bb.138:
	v_mov_b32_e32 v0, s2
	s_branch .LBB214_141
.LBB214_139:
                                        ; implicit-def: $sgpr2
.LBB214_140:
	v_lshlrev_b64 v[2:3], 1, v[44:45]
	v_lshl_add_u64 v[8:9], v[4:5], 0, v[2:3]
	flat_load_ushort v1, v[8:9]
	v_lshl_add_u64 v[2:3], v[6:7], 0, v[2:3]
	s_waitcnt vmcnt(0) lgkmcnt(0)
	v_mul_f16_e32 v1, s13, v1
	v_min_f16_e32 v0, v1, v0
	global_store_short v[2:3], v0, off
	v_lshl_add_u64 v[0:1], v[42:43], 1, v[4:5]
	flat_load_ushort v0, v[0:1]
	s_waitcnt vmcnt(0) lgkmcnt(0)
	v_mul_f16_e32 v0, s13, v0
.LBB214_141:
	v_pk_add_f16 v1, v32, v34
	v_pk_max_f16 v2, v124, v124
	s_nop 0
	v_pk_min_f16 v1, v2, v1
	v_pk_add_f16 v2, v33, v35
	s_nop 0
	v_pk_min_f16 v1, v1, v2
	s_nop 0
	v_lshrrev_b32_e32 v2, 16, v1
	v_min3_f16 v2, v0, v1, v2
	v_lshl_add_u64 v[0:1], v[42:43], 1, v[6:7]
	global_store_short v[0:1], v2, off
	s_endpgm
	.section	.rodata,"a",@progbits
	.p2align	6, 0x0
	.amdhsa_kernel _ZN12_GLOBAL__N_120geam_min_plus_kernelIDF16_Dv2_DF16_S1_Li32ELi8ELi128ELi128ELi4ELi4ELi64ELi4ELi64ELc84ELc78ELb1ELb0ELb1EDF16_KPKDF16_KPDF16_EEviiiT16_PT17_ilS9_ilS7_S9_ilPT18_ili26rocblas_geam_ex_operation_
		.amdhsa_group_segment_fixed_size 4096
		.amdhsa_private_segment_fixed_size 0
		.amdhsa_kernarg_size 128
		.amdhsa_user_sgpr_count 2
		.amdhsa_user_sgpr_dispatch_ptr 0
		.amdhsa_user_sgpr_queue_ptr 0
		.amdhsa_user_sgpr_kernarg_segment_ptr 1
		.amdhsa_user_sgpr_dispatch_id 0
		.amdhsa_user_sgpr_kernarg_preload_length 0
		.amdhsa_user_sgpr_kernarg_preload_offset 0
		.amdhsa_user_sgpr_private_segment_size 0
		.amdhsa_uses_dynamic_stack 0
		.amdhsa_enable_private_segment 0
		.amdhsa_system_sgpr_workgroup_id_x 1
		.amdhsa_system_sgpr_workgroup_id_y 0
		.amdhsa_system_sgpr_workgroup_id_z 1
		.amdhsa_system_sgpr_workgroup_info 0
		.amdhsa_system_vgpr_workitem_id 1
		.amdhsa_next_free_vgpr 137
		.amdhsa_next_free_sgpr 22
		.amdhsa_accum_offset 140
		.amdhsa_reserve_vcc 1
		.amdhsa_float_round_mode_32 0
		.amdhsa_float_round_mode_16_64 0
		.amdhsa_float_denorm_mode_32 3
		.amdhsa_float_denorm_mode_16_64 3
		.amdhsa_dx10_clamp 1
		.amdhsa_ieee_mode 1
		.amdhsa_fp16_overflow 0
		.amdhsa_tg_split 0
		.amdhsa_exception_fp_ieee_invalid_op 0
		.amdhsa_exception_fp_denorm_src 0
		.amdhsa_exception_fp_ieee_div_zero 0
		.amdhsa_exception_fp_ieee_overflow 0
		.amdhsa_exception_fp_ieee_underflow 0
		.amdhsa_exception_fp_ieee_inexact 0
		.amdhsa_exception_int_div_zero 0
	.end_amdhsa_kernel
	.section	.text._ZN12_GLOBAL__N_120geam_min_plus_kernelIDF16_Dv2_DF16_S1_Li32ELi8ELi128ELi128ELi4ELi4ELi64ELi4ELi64ELc84ELc78ELb1ELb0ELb1EDF16_KPKDF16_KPDF16_EEviiiT16_PT17_ilS9_ilS7_S9_ilPT18_ili26rocblas_geam_ex_operation_,"axG",@progbits,_ZN12_GLOBAL__N_120geam_min_plus_kernelIDF16_Dv2_DF16_S1_Li32ELi8ELi128ELi128ELi4ELi4ELi64ELi4ELi64ELc84ELc78ELb1ELb0ELb1EDF16_KPKDF16_KPDF16_EEviiiT16_PT17_ilS9_ilS7_S9_ilPT18_ili26rocblas_geam_ex_operation_,comdat
.Lfunc_end214:
	.size	_ZN12_GLOBAL__N_120geam_min_plus_kernelIDF16_Dv2_DF16_S1_Li32ELi8ELi128ELi128ELi4ELi4ELi64ELi4ELi64ELc84ELc78ELb1ELb0ELb1EDF16_KPKDF16_KPDF16_EEviiiT16_PT17_ilS9_ilS7_S9_ilPT18_ili26rocblas_geam_ex_operation_, .Lfunc_end214-_ZN12_GLOBAL__N_120geam_min_plus_kernelIDF16_Dv2_DF16_S1_Li32ELi8ELi128ELi128ELi4ELi4ELi64ELi4ELi64ELc84ELc78ELb1ELb0ELb1EDF16_KPKDF16_KPDF16_EEviiiT16_PT17_ilS9_ilS7_S9_ilPT18_ili26rocblas_geam_ex_operation_
                                        ; -- End function
	.section	.AMDGPU.csdata,"",@progbits
; Kernel info:
; codeLenInByte = 16772
; NumSgprs: 28
; NumVgprs: 137
; NumAgprs: 0
; TotalNumVgprs: 137
; ScratchSize: 0
; MemoryBound: 0
; FloatMode: 240
; IeeeMode: 1
; LDSByteSize: 4096 bytes/workgroup (compile time only)
; SGPRBlocks: 3
; VGPRBlocks: 17
; NumSGPRsForWavesPerEU: 28
; NumVGPRsForWavesPerEU: 137
; AccumOffset: 140
; Occupancy: 3
; WaveLimiterHint : 1
; COMPUTE_PGM_RSRC2:SCRATCH_EN: 0
; COMPUTE_PGM_RSRC2:USER_SGPR: 2
; COMPUTE_PGM_RSRC2:TRAP_HANDLER: 0
; COMPUTE_PGM_RSRC2:TGID_X_EN: 1
; COMPUTE_PGM_RSRC2:TGID_Y_EN: 0
; COMPUTE_PGM_RSRC2:TGID_Z_EN: 1
; COMPUTE_PGM_RSRC2:TIDIG_COMP_CNT: 1
; COMPUTE_PGM_RSRC3_GFX90A:ACCUM_OFFSET: 34
; COMPUTE_PGM_RSRC3_GFX90A:TG_SPLIT: 0
	.section	.text._ZN12_GLOBAL__N_120geam_min_plus_kernelIDF16_Dv2_DF16_S1_Li32ELi8ELi128ELi128ELi4ELi4ELi64ELi4ELi64ELc84ELc78ELb0ELb0ELb1EDF16_KPKDF16_KPDF16_EEviiiT16_PT17_ilS9_ilS7_S9_ilPT18_ili26rocblas_geam_ex_operation_,"axG",@progbits,_ZN12_GLOBAL__N_120geam_min_plus_kernelIDF16_Dv2_DF16_S1_Li32ELi8ELi128ELi128ELi4ELi4ELi64ELi4ELi64ELc84ELc78ELb0ELb0ELb1EDF16_KPKDF16_KPDF16_EEviiiT16_PT17_ilS9_ilS7_S9_ilPT18_ili26rocblas_geam_ex_operation_,comdat
	.globl	_ZN12_GLOBAL__N_120geam_min_plus_kernelIDF16_Dv2_DF16_S1_Li32ELi8ELi128ELi128ELi4ELi4ELi64ELi4ELi64ELc84ELc78ELb0ELb0ELb1EDF16_KPKDF16_KPDF16_EEviiiT16_PT17_ilS9_ilS7_S9_ilPT18_ili26rocblas_geam_ex_operation_ ; -- Begin function _ZN12_GLOBAL__N_120geam_min_plus_kernelIDF16_Dv2_DF16_S1_Li32ELi8ELi128ELi128ELi4ELi4ELi64ELi4ELi64ELc84ELc78ELb0ELb0ELb1EDF16_KPKDF16_KPDF16_EEviiiT16_PT17_ilS9_ilS7_S9_ilPT18_ili26rocblas_geam_ex_operation_
	.p2align	8
	.type	_ZN12_GLOBAL__N_120geam_min_plus_kernelIDF16_Dv2_DF16_S1_Li32ELi8ELi128ELi128ELi4ELi4ELi64ELi4ELi64ELc84ELc78ELb0ELb0ELb1EDF16_KPKDF16_KPDF16_EEviiiT16_PT17_ilS9_ilS7_S9_ilPT18_ili26rocblas_geam_ex_operation_,@function
_ZN12_GLOBAL__N_120geam_min_plus_kernelIDF16_Dv2_DF16_S1_Li32ELi8ELi128ELi128ELi4ELi4ELi64ELi4ELi64ELc84ELc78ELb0ELb0ELb1EDF16_KPKDF16_KPDF16_EEviiiT16_PT17_ilS9_ilS7_S9_ilPT18_ili26rocblas_geam_ex_operation_: ; @_ZN12_GLOBAL__N_120geam_min_plus_kernelIDF16_Dv2_DF16_S1_Li32ELi8ELi128ELi128ELi4ELi4ELi64ELi4ELi64ELc84ELc78ELb0ELb0ELb1EDF16_KPKDF16_KPDF16_EEviiiT16_PT17_ilS9_ilS7_S9_ilPT18_ili26rocblas_geam_ex_operation_
; %bb.0:
	s_load_dwordx2 s[12:13], s[0:1], 0x8
	s_load_dwordx4 s[4:7], s[0:1], 0x20
	s_mov_b32 s20, s3
	s_mov_b32 s21, 0
	s_waitcnt lgkmcnt(0)
	v_cmp_eq_f16_e64 s[8:9], s13, 0
	s_and_b64 vcc, exec, s[8:9]
	s_cbranch_vccnz .LBB215_3
; %bb.1:
	s_load_dwordx2 s[10:11], s[0:1], 0x10
	s_lshl_b64 s[14:15], s[20:21], 3
	s_waitcnt lgkmcnt(0)
	s_add_u32 s10, s10, s14
	s_addc_u32 s11, s11, s15
	s_load_dwordx2 s[10:11], s[10:11], 0x0
	s_lshl_b64 s[4:5], s[4:5], 1
	s_waitcnt lgkmcnt(0)
	s_add_u32 s14, s10, s4
	s_addc_u32 s15, s11, s5
	s_andn2_b64 vcc, exec, s[8:9]
	s_cbranch_vccnz .LBB215_4
.LBB215_2:
	s_mov_b64 s[16:17], 0
	s_cbranch_execz .LBB215_5
	s_branch .LBB215_6
.LBB215_3:
	s_mov_b64 s[14:15], 0
	s_andn2_b64 vcc, exec, s[8:9]
	s_cbranch_vccz .LBB215_2
.LBB215_4:
                                        ; implicit-def: $sgpr16_sgpr17
.LBB215_5:
	s_lshl_b64 s[8:9], s[20:21], 3
	s_add_u32 s6, s6, s8
	s_load_dwordx2 s[4:5], s[0:1], 0x38
	s_addc_u32 s7, s7, s9
	s_load_dwordx2 s[6:7], s[6:7], 0x0
	s_waitcnt lgkmcnt(0)
	s_lshl_b64 s[4:5], s[4:5], 1
	s_add_u32 s16, s6, s4
	s_addc_u32 s17, s7, s5
.LBB215_6:
	s_load_dword s22, s[0:1], 0x40
	s_load_dwordx4 s[4:7], s[0:1], 0x58
	v_cmp_neq_f16_e64 s[18:19], s13, 0
	s_waitcnt lgkmcnt(0)
	v_cmp_eq_f16_e64 s[8:9], s22, 0
	s_and_b64 s[8:9], exec, s[8:9]
	s_mov_b64 vcc, s[8:9]
	s_cbranch_vccnz .LBB215_8
; %bb.7:
	s_load_dwordx2 s[10:11], s[0:1], 0x48
	s_lshl_b64 s[24:25], s[20:21], 3
	s_waitcnt lgkmcnt(0)
	s_add_u32 s10, s10, s24
	s_addc_u32 s11, s11, s25
	s_load_dwordx2 s[10:11], s[10:11], 0x0
	s_lshl_b64 s[4:5], s[4:5], 1
	s_waitcnt lgkmcnt(0)
	s_add_u32 s10, s10, s4
	s_addc_u32 s11, s11, s5
	s_branch .LBB215_9
.LBB215_8:
	s_mov_b64 s[10:11], 0
.LBB215_9:
	s_load_dword s3, s[0:1], 0x0
	s_load_dword s23, s[0:1], 0x18
	s_lshl_b64 s[4:5], s[20:21], 3
	s_add_u32 s6, s6, s4
	s_addc_u32 s7, s7, s5
	s_waitcnt lgkmcnt(0)
	s_add_i32 s3, s3, -1
	s_ashr_i32 s4, s3, 31
	s_lshr_b32 s4, s4, 25
	s_add_i32 s3, s3, s4
	s_ashr_i32 s3, s3, 7
	s_add_i32 s4, s3, 1
	v_cvt_f32_u32_e32 v1, s4
	s_not_b32 s3, s3
	v_and_b32_e32 v75, 0x3ff, v0
	v_bfe_u32 v76, v0, 10, 10
	v_rcp_iflag_f32_e32 v1, v1
	v_lshl_add_u32 v0, v76, 5, v75
	v_lshrrev_b32_e32 v0, 2, v0
	v_cndmask_b32_e64 v2, 0, 1, s[18:19]
	v_mul_f32_e32 v1, 0x4f7ffffe, v1
	v_cvt_u32_f32_e32 v1, v1
	v_and_b32_e32 v3, 3, v75
	v_lshlrev_b32_e32 v40, 1, v3
	v_readfirstlane_b32 s5, v1
	s_mul_i32 s3, s3, s5
	s_mul_hi_u32 s3, s5, s3
	s_add_i32 s5, s5, s3
	s_mul_hi_u32 s3, s2, s5
	s_mul_i32 s5, s3, s4
	s_sub_i32 s5, s2, s5
	s_add_i32 s20, s3, 1
	s_sub_i32 s21, s5, s4
	s_cmp_ge_u32 s5, s4
	s_cselect_b32 s3, s20, s3
	s_cselect_b32 s5, s21, s5
	s_add_i32 s20, s3, 1
	s_cmp_ge_u32 s5, s4
	s_cselect_b32 s3, s20, s3
	s_mul_i32 s4, s3, s4
	s_sub_i32 s2, s2, s4
	s_lshl_b32 s20, s2, 7
	v_add_u32_e32 v48, s20, v0
	v_cmp_ne_u32_e64 s[4:5], 1, v2
	s_andn2_b64 vcc, exec, s[18:19]
	v_add_u32_e32 v46, 64, v48
	s_cbranch_vccnz .LBB215_11
; %bb.10:
	v_mov_b32_e32 v41, 0
	v_lshl_add_u64 v[2:3], s[14:15], 0, v[40:41]
	v_mad_i64_i32 v[4:5], s[24:25], v48, s23, 0
	v_lshl_add_u64 v[4:5], v[4:5], 1, v[2:3]
	v_mad_i64_i32 v[6:7], s[24:25], v46, s23, 0
	v_lshl_add_u64 v[2:3], v[6:7], 1, v[2:3]
	flat_load_ushort v1, v[4:5]
	flat_load_ushort v6, v[2:3]
	s_waitcnt vmcnt(0) lgkmcnt(0)
	v_mul_f16_e32 v1, s13, v1
	v_mul_f16_e32 v2, s13, v6
	s_branch .LBB215_12
.LBB215_11:
	v_mov_b32_e32 v1, 0
	v_mov_b32_e32 v2, 0
.LBB215_12:
	s_load_dword s24, s[0:1], 0x30
	s_lshl_b32 s21, s3, 7
	v_add_u32_e32 v44, s21, v0
	s_and_b64 vcc, exec, s[4:5]
	v_add_u32_e32 v42, 64, v44
	s_cbranch_vccnz .LBB215_16
; %bb.13:
	v_mov_b32_e32 v41, 0
	v_lshl_add_u64 v[4:5], s[16:17], 0, v[40:41]
	s_waitcnt lgkmcnt(0)
	v_mad_i64_i32 v[6:7], s[2:3], v44, s24, 0
	v_lshl_add_u64 v[6:7], v[6:7], 1, v[4:5]
	v_mad_i64_i32 v[8:9], s[2:3], v42, s24, 0
	v_lshl_add_u64 v[4:5], v[8:9], 1, v[4:5]
	flat_load_ushort v3, v[6:7]
	flat_load_ushort v8, v[4:5]
	s_waitcnt vmcnt(0) lgkmcnt(0)
	v_mul_f16_e32 v3, s13, v3
	v_mul_f16_e32 v4, s13, v8
	s_and_b64 vcc, exec, s[4:5]
	s_cbranch_vccnz .LBB215_17
.LBB215_14:
	v_mov_b32_e32 v41, 0
	v_lshl_add_u64 v[6:7], s[14:15], 0, v[40:41]
	v_mad_i64_i32 v[8:9], s[2:3], v48, s23, 0
	v_lshl_add_u64 v[8:9], v[8:9], 1, v[6:7]
	v_mad_i64_i32 v[10:11], s[2:3], v46, s23, 0
	v_lshl_add_u64 v[6:7], v[10:11], 1, v[6:7]
	flat_load_ushort v5, v[8:9] offset:8
	flat_load_ushort v10, v[6:7] offset:8
	s_waitcnt vmcnt(0) lgkmcnt(0)
	v_mul_f16_e32 v43, s13, v5
	v_mul_f16_e32 v45, s13, v10
	v_mov_b32_e32 v41, 0
	s_and_b64 vcc, exec, s[4:5]
	s_cbranch_vccnz .LBB215_18
.LBB215_15:
	v_lshl_add_u64 v[6:7], s[16:17], 0, v[40:41]
	s_waitcnt lgkmcnt(0)
	v_mad_i64_i32 v[8:9], s[2:3], v44, s24, 0
	v_lshl_add_u64 v[8:9], v[8:9], 1, v[6:7]
	v_mad_i64_i32 v[10:11], s[2:3], v42, s24, 0
	v_lshl_add_u64 v[6:7], v[10:11], 1, v[6:7]
	flat_load_ushort v5, v[8:9] offset:8
	flat_load_ushort v10, v[6:7] offset:8
	s_waitcnt vmcnt(0) lgkmcnt(0)
	v_mul_f16_e32 v41, s13, v5
	v_mul_f16_e32 v47, s13, v10
	s_branch .LBB215_19
.LBB215_16:
	v_mov_b32_e32 v3, 0
	v_mov_b32_e32 v4, 0
	s_and_b64 vcc, exec, s[4:5]
	s_cbranch_vccz .LBB215_14
.LBB215_17:
	v_mov_b32_e32 v43, 0
	v_mov_b32_e32 v45, 0
	v_mov_b32_e32 v41, 0
	s_and_b64 vcc, exec, s[4:5]
	s_cbranch_vccz .LBB215_15
.LBB215_18:
	v_mov_b32_e32 v47, 0
.LBB215_19:
	v_lshl_or_b32 v98, v0, 3, v40
	v_lshlrev_b32_e32 v86, 3, v75
	s_load_dwordx2 s[2:3], s[6:7], 0x0
	ds_write_b16 v98, v1
	ds_write_b16 v98, v2 offset:512
	ds_write_b16 v98, v3 offset:2048
	;; [unrolled: 1-line block ×3, first 2 shown]
	s_waitcnt lgkmcnt(0)
	s_barrier
	ds_read2_b64 v[4:7], v86 offset1:32
	ds_read2_b64 v[0:3], v86 offset0:64 offset1:96
	v_lshlrev_b32_e32 v84, 3, v76
	v_add_u32_e32 v100, 0x800, v84
	ds_read2_b64 v[36:39], v100 offset1:8
	ds_read2_b64 v[32:35], v100 offset0:16 offset1:24
	ds_read2_b64 v[28:31], v100 offset0:32 offset1:40
	;; [unrolled: 1-line block ×7, first 2 shown]
	s_movk_i32 s6, 0x7c00
	s_waitcnt lgkmcnt(7)
	v_pk_add_f16 v49, v4, v36
	s_waitcnt lgkmcnt(2)
	v_pk_add_f16 v83, v0, v16
	v_pk_min_f16 v49, v49, s6 op_sel_hi:[1,0]
	v_pk_min_f16 v128, v83, s6 op_sel_hi:[1,0]
	v_pk_add_f16 v83, v4, v18
	v_pk_add_f16 v50, v6, v36
	v_pk_min_f16 v129, v83, s6 op_sel_hi:[1,0]
	v_pk_add_f16 v83, v6, v18
	v_pk_add_f16 v51, v0, v36
	;; [unrolled: 3-line block ×3, first 2 shown]
	v_pk_min_f16 v131, v83, s6 op_sel_hi:[1,0]
	s_waitcnt lgkmcnt(1)
	v_pk_add_f16 v83, v4, v12
	v_pk_add_f16 v52, v4, v38
	v_pk_min_f16 v132, v83, s6 op_sel_hi:[1,0]
	v_pk_add_f16 v83, v6, v12
	v_pk_add_f16 v53, v6, v38
	v_pk_min_f16 v133, v83, s6 op_sel_hi:[1,0]
	v_pk_add_f16 v83, v0, v12
	v_pk_add_f16 v54, v0, v38
	v_pk_min_f16 v134, v83, s6 op_sel_hi:[1,0]
	v_pk_add_f16 v83, v4, v14
	v_pk_add_f16 v38, v2, v38
	v_pk_min_f16 v135, v83, s6 op_sel_hi:[1,0]
	v_pk_add_f16 v83, v6, v14
	v_pk_add_f16 v55, v4, v32
	v_pk_min_f16 v136, v83, s6 op_sel_hi:[1,0]
	v_pk_add_f16 v83, v0, v14
	v_pk_add_f16 v56, v6, v32
	v_pk_min_f16 v137, v83, s6 op_sel_hi:[1,0]
	s_waitcnt lgkmcnt(0)
	v_pk_add_f16 v83, v4, v8
	v_pk_add_f16 v57, v0, v32
	v_pk_min_f16 v138, v83, s6 op_sel_hi:[1,0]
	v_pk_add_f16 v83, v6, v8
	v_pk_add_f16 v32, v2, v32
	;; [unrolled: 1-line block ×36, first 2 shown]
	v_pk_min_f16 v139, v83, s6 op_sel_hi:[1,0]
	v_pk_add_f16 v83, v0, v8
	v_pk_add_f16 v8, v2, v8
	;; [unrolled: 1-line block ×7, first 2 shown]
	v_pk_min_f16 v50, v50, s6 op_sel_hi:[1,0]
	v_pk_min_f16 v127, v49, v10
	v_pk_add_f16 v10, v7, v37
	v_pk_min_f16 v51, v51, s6 op_sel_hi:[1,0]
	v_pk_min_f16 v126, v50, v10
	v_pk_add_f16 v10, v1, v37
	;; [unrolled: 3-line block ×40, first 2 shown]
	v_pk_min_f16 v82, v82, s6 op_sel_hi:[1,0]
	v_pk_min_f16 v140, v83, s6 op_sel_hi:[1,0]
	v_pk_min_f16 v83, v81, v10
	v_pk_add_f16 v10, v7, v17
	v_pk_min_f16 v16, v16, s6 op_sel_hi:[1,0]
	v_pk_min_f16 v82, v82, v10
	v_pk_add_f16 v10, v1, v17
	;; [unrolled: 3-line block ×10, first 2 shown]
	s_cmp_lt_i32 s12, 9
	v_pk_min_f16 v71, v134, v10
	v_pk_add_f16 v10, v3, v13
	ds_write_b16 v98, v43 offset:1024
	ds_write_b16 v98, v45 offset:1536
	;; [unrolled: 1-line block ×4, first 2 shown]
	v_pk_min_f16 v70, v12, v10
	v_pk_add_f16 v10, v5, v15
	s_waitcnt lgkmcnt(0)
	v_pk_min_f16 v69, v135, v10
	v_pk_add_f16 v10, v7, v15
	s_barrier
	v_pk_min_f16 v68, v136, v10
	v_pk_add_f16 v10, v1, v15
	s_nop 0
	v_pk_min_f16 v67, v137, v10
	v_pk_add_f16 v10, v3, v15
	s_nop 0
	v_pk_min_f16 v66, v14, v10
	v_pk_add_f16 v10, v5, v9
	v_pk_add_f16 v5, v5, v11
	v_pk_min_f16 v65, v138, v10
	v_pk_add_f16 v10, v7, v9
	v_pk_min_f16 v60, v4, v5
	v_pk_min_f16 v64, v139, v10
	v_pk_add_f16 v10, v1, v9
	v_pk_add_f16 v1, v1, v11
	;; [unrolled: 1-line block ×4, first 2 shown]
	v_pk_min_f16 v59, v0, v1
	v_pk_add_f16 v0, v3, v11
	v_pk_min_f16 v62, v140, v10
	v_pk_min_f16 v61, v8, v9
	;; [unrolled: 1-line block ×4, first 2 shown]
	s_cbranch_scc1 .LBB215_33
; %bb.20:
	v_mov_b32_e32 v0, 0x400
	v_lshl_add_u32 v131, v75, 3, v0
	v_mov_b32_e32 v0, 0xc00
	v_lshl_add_u32 v132, v76, 3, v0
	v_mad_i64_i32 v[0:1], s[6:7], s24, v42, 0
	v_lshl_add_u64 v[42:43], v[0:1], 1, s[16:17]
	v_mad_i64_i32 v[0:1], s[6:7], s24, v44, 0
	v_lshl_add_u64 v[44:45], v[0:1], 1, s[16:17]
	v_mad_i64_i32 v[0:1], s[6:7], s23, v46, 0
	v_lshl_add_u64 v[46:47], v[0:1], 1, s[14:15]
	v_mad_i64_i32 v[0:1], s[6:7], s23, v48, 0
	v_add_u32_e32 v128, 0x800, v98
	v_add_u32_e32 v129, 0x400, v98
	;; [unrolled: 1-line block ×3, first 2 shown]
	s_add_i32 s12, s12, -8
	v_mov_b32_e32 v41, 0
	v_lshl_add_u64 v[48:49], v[0:1], 1, s[14:15]
	s_mov_b32 s14, 0
	s_and_b64 s[6:7], exec, s[18:19]
	s_branch .LBB215_23
.LBB215_21:                             ;   in Loop: Header=BB215_23 Depth=1
	flat_load_ushort v0, v[50:51] offset:24
	flat_load_ushort v1, v[52:53] offset:24
	s_waitcnt vmcnt(0) lgkmcnt(0)
	v_mul_f16_e32 v32, s13, v0
	v_mul_f16_e32 v33, s13, v1
.LBB215_22:                             ;   in Loop: Header=BB215_23 Depth=1
	ds_read2_b64 v[4:7], v86 offset1:32
	ds_read2_b64 v[0:3], v86 offset0:64 offset1:96
	ds_read2_b64 v[50:53], v100 offset1:8
	ds_read2_b64 v[134:137], v100 offset0:16 offset1:24
	ds_read2_b64 v[28:31], v100 offset0:32 offset1:40
	;; [unrolled: 1-line block ×7, first 2 shown]
	s_waitcnt lgkmcnt(7)
	v_pk_add_f16 v120, v4, v50
	v_pk_max_f16 v119, v119, v119
	v_pk_max_f16 v118, v118, v118
	v_pk_min_f16 v119, v119, v120
	v_pk_add_f16 v120, v6, v50
	v_pk_max_f16 v116, v116, v116
	v_pk_min_f16 v118, v118, v120
	v_pk_add_f16 v120, v0, v50
	v_pk_add_f16 v50, v2, v50
	v_pk_max_f16 v115, v115, v115
	v_pk_min_f16 v50, v116, v50
	v_pk_add_f16 v116, v4, v52
	v_pk_max_f16 v114, v114, v114
	v_pk_min_f16 v115, v115, v116
	;; [unrolled: 3-line block ×3, first 2 shown]
	v_pk_add_f16 v116, v0, v52
	v_pk_add_f16 v52, v2, v52
	v_pk_max_f16 v111, v111, v111
	v_pk_min_f16 v52, v112, v52
	s_waitcnt lgkmcnt(6)
	v_pk_add_f16 v112, v4, v134
	v_pk_max_f16 v110, v110, v110
	v_pk_min_f16 v111, v111, v112
	v_pk_add_f16 v112, v6, v134
	v_pk_max_f16 v109, v109, v109
	v_pk_min_f16 v110, v110, v112
	;; [unrolled: 3-line block ×8, first 2 shown]
	s_waitcnt lgkmcnt(5)
	v_pk_add_f16 v112, v4, v28
	v_pk_max_f16 v102, v102, v102
	v_pk_min_f16 v103, v103, v112
	v_pk_add_f16 v112, v6, v28
	v_pk_max_f16 v99, v99, v99
	v_pk_min_f16 v102, v102, v112
	v_pk_add_f16 v112, v0, v28
	v_pk_add_f16 v28, v2, v28
	v_pk_max_f16 v97, v97, v97
	v_pk_min_f16 v28, v99, v28
	v_pk_add_f16 v99, v4, v30
	v_pk_max_f16 v96, v96, v96
	v_pk_min_f16 v97, v97, v99
	v_pk_add_f16 v99, v6, v30
	v_pk_max_f16 v94, v94, v94
	v_pk_min_f16 v96, v96, v99
	v_pk_add_f16 v99, v0, v30
	v_pk_add_f16 v30, v2, v30
	v_pk_max_f16 v93, v93, v93
	v_pk_min_f16 v30, v94, v30
	s_waitcnt lgkmcnt(4)
	v_pk_add_f16 v94, v4, v24
	v_pk_max_f16 v92, v92, v92
	v_pk_min_f16 v93, v93, v94
	v_pk_add_f16 v94, v6, v24
	v_pk_max_f16 v90, v90, v90
	v_pk_min_f16 v92, v92, v94
	v_pk_add_f16 v94, v0, v24
	v_pk_add_f16 v24, v2, v24
	v_pk_max_f16 v89, v89, v89
	v_pk_min_f16 v24, v90, v24
	v_pk_add_f16 v90, v4, v26
	v_pk_max_f16 v88, v88, v88
	v_pk_min_f16 v89, v89, v90
	v_pk_add_f16 v90, v6, v26
	v_pk_max_f16 v85, v85, v85
	v_pk_min_f16 v88, v88, v90
	v_pk_add_f16 v90, v0, v26
	v_pk_add_f16 v26, v2, v26
	v_pk_max_f16 v83, v83, v83
	v_pk_min_f16 v26, v85, v26
	s_waitcnt lgkmcnt(3)
	v_pk_add_f16 v85, v4, v20
	v_pk_max_f16 v82, v82, v82
	v_pk_min_f16 v83, v83, v85
	v_pk_add_f16 v85, v6, v20
	v_pk_max_f16 v80, v80, v80
	v_pk_min_f16 v82, v82, v85
	v_pk_add_f16 v85, v0, v20
	v_pk_add_f16 v20, v2, v20
	v_pk_max_f16 v79, v79, v79
	v_pk_min_f16 v20, v80, v20
	v_pk_add_f16 v80, v4, v22
	v_pk_max_f16 v78, v78, v78
	v_pk_min_f16 v79, v79, v80
	v_pk_add_f16 v80, v6, v22
	v_pk_max_f16 v74, v74, v74
	v_pk_min_f16 v78, v78, v80
	v_pk_add_f16 v80, v0, v22
	v_pk_add_f16 v22, v2, v22
	v_pk_max_f16 v73, v73, v73
	v_pk_min_f16 v22, v74, v22
	s_waitcnt lgkmcnt(2)
	v_pk_add_f16 v74, v4, v16
	v_pk_max_f16 v72, v72, v72
	v_pk_min_f16 v73, v73, v74
	v_pk_add_f16 v74, v6, v16
	v_pk_max_f16 v70, v70, v70
	v_pk_min_f16 v72, v72, v74
	v_pk_add_f16 v74, v0, v16
	v_pk_add_f16 v16, v2, v16
	v_pk_max_f16 v69, v69, v69
	v_pk_min_f16 v16, v70, v16
	v_pk_add_f16 v70, v4, v18
	v_pk_max_f16 v68, v68, v68
	v_pk_min_f16 v69, v69, v70
	v_pk_add_f16 v70, v6, v18
	v_pk_max_f16 v66, v66, v66
	v_pk_min_f16 v68, v68, v70
	v_pk_add_f16 v70, v0, v18
	v_pk_add_f16 v18, v2, v18
	v_pk_max_f16 v65, v65, v65
	v_pk_min_f16 v18, v66, v18
	s_waitcnt lgkmcnt(1)
	v_pk_add_f16 v66, v4, v12
	v_pk_max_f16 v64, v64, v64
	v_pk_min_f16 v65, v65, v66
	v_pk_add_f16 v66, v6, v12
	v_pk_max_f16 v62, v62, v62
	v_pk_min_f16 v64, v64, v66
	v_pk_add_f16 v66, v0, v12
	v_pk_add_f16 v12, v2, v12
	v_pk_max_f16 v61, v61, v61
	v_pk_min_f16 v12, v62, v12
	v_pk_add_f16 v62, v4, v14
	v_pk_max_f16 v60, v60, v60
	v_pk_min_f16 v61, v61, v62
	v_pk_add_f16 v62, v6, v14
	v_pk_max_f16 v58, v58, v58
	v_pk_min_f16 v60, v60, v62
	v_pk_add_f16 v62, v0, v14
	v_pk_add_f16 v14, v2, v14
	v_pk_max_f16 v57, v57, v57
	v_pk_min_f16 v14, v58, v14
	s_waitcnt lgkmcnt(0)
	v_pk_add_f16 v58, v4, v8
	v_pk_max_f16 v56, v56, v56
	v_pk_min_f16 v57, v57, v58
	v_pk_add_f16 v58, v6, v8
	v_pk_add_f16 v4, v4, v10
	v_pk_min_f16 v56, v56, v58
	v_pk_add_f16 v58, v0, v8
	v_pk_add_f16 v8, v2, v8
	;; [unrolled: 1-line block ×5, first 2 shown]
	v_pk_max_f16 v10, v36, v36
	v_pk_max_f16 v117, v117, v117
	v_pk_min_f16 v2, v10, v2
	v_pk_add_f16 v10, v5, v51
	v_pk_min_f16 v117, v117, v120
	v_pk_min_f16 v127, v119, v10
	v_pk_add_f16 v10, v7, v51
	v_pk_max_f16 v113, v113, v113
	v_pk_min_f16 v126, v118, v10
	v_pk_add_f16 v10, v1, v51
	v_pk_min_f16 v113, v113, v116
	v_pk_min_f16 v125, v117, v10
	v_pk_add_f16 v10, v3, v51
	;; [unrolled: 6-line block ×12, first 2 shown]
	v_pk_max_f16 v37, v37, v37
	v_pk_min_f16 v104, v30, v10
	v_pk_add_f16 v10, v5, v25
	v_pk_max_f16 v34, v34, v34
	v_pk_min_f16 v103, v93, v10
	v_pk_add_f16 v10, v7, v25
	v_pk_max_f16 v39, v39, v39
	v_pk_min_f16 v102, v92, v10
	v_pk_add_f16 v10, v1, v25
	v_pk_max_f16 v38, v38, v38
	v_pk_min_f16 v101, v91, v10
	v_pk_add_f16 v10, v3, v25
	v_pk_min_f16 v4, v37, v4
	v_pk_min_f16 v99, v24, v10
	v_pk_add_f16 v10, v5, v27
	v_pk_max_f16 v35, v35, v35
	v_pk_min_f16 v97, v89, v10
	v_pk_add_f16 v10, v7, v27
	v_pk_min_f16 v0, v34, v0
	v_pk_min_f16 v96, v88, v10
	v_pk_add_f16 v10, v1, v27
	v_pk_min_f16 v39, v39, v58
	;; [unrolled: 3-line block ×4, first 2 shown]
	v_pk_min_f16 v93, v83, v10
	v_pk_add_f16 v10, v7, v21
	s_add_i32 s14, s14, 8
	v_pk_min_f16 v92, v82, v10
	v_pk_add_f16 v10, v1, v21
	v_lshl_add_u64 v[42:43], v[42:43], 0, 16
	v_pk_min_f16 v91, v81, v10
	v_pk_add_f16 v10, v3, v21
	v_lshl_add_u64 v[44:45], v[44:45], 0, 16
	v_pk_min_f16 v90, v20, v10
	v_pk_add_f16 v10, v5, v23
	v_lshl_add_u64 v[46:47], v[46:47], 0, 16
	v_pk_min_f16 v89, v79, v10
	v_pk_add_f16 v10, v7, v23
	s_cmp_ge_i32 s14, s12
	v_pk_min_f16 v88, v78, v10
	v_pk_add_f16 v10, v1, v23
	v_lshl_add_u64 v[48:49], v[48:49], 0, 16
	v_pk_min_f16 v87, v77, v10
	v_pk_add_f16 v10, v3, v23
	ds_write_b16 v129, v54
	ds_write_b16 v129, v55 offset:512
	ds_write_b16 v130, v32
	ds_write_b16 v130, v33 offset:512
	v_pk_min_f16 v85, v22, v10
	v_pk_add_f16 v10, v5, v17
	s_waitcnt lgkmcnt(0)
	v_pk_min_f16 v83, v73, v10
	v_pk_add_f16 v10, v7, v17
	s_barrier
	v_pk_min_f16 v82, v72, v10
	v_pk_add_f16 v10, v1, v17
	s_nop 0
	v_pk_min_f16 v81, v71, v10
	v_pk_add_f16 v10, v3, v17
	s_nop 0
	;; [unrolled: 3-line block ×14, first 2 shown]
	v_pk_min_f16 v66, v14, v10
	v_pk_add_f16 v10, v5, v9
	v_pk_add_f16 v5, v5, v11
	v_pk_min_f16 v65, v57, v10
	v_pk_add_f16 v10, v7, v9
	v_pk_min_f16 v60, v4, v5
	v_pk_min_f16 v64, v56, v10
	v_pk_add_f16 v10, v1, v9
	v_pk_add_f16 v1, v1, v11
	v_pk_add_f16 v9, v3, v9
	v_pk_add_f16 v4, v7, v11
	v_pk_min_f16 v59, v0, v1
	v_pk_add_f16 v0, v3, v11
	v_pk_min_f16 v62, v39, v10
	v_pk_min_f16 v61, v8, v9
	v_pk_min_f16 v58, v6, v4
	v_pk_min_f16 v63, v2, v0
	s_cbranch_scc1 .LBB215_33
.LBB215_23:                             ; =>This Inner Loop Header: Depth=1
	s_and_b64 vcc, exec, s[4:5]
	v_lshl_add_u64 v[56:57], v[48:49], 0, v[40:41]
	v_lshl_add_u64 v[54:55], v[46:47], 0, v[40:41]
	s_cbranch_vccnz .LBB215_26
; %bb.24:                               ;   in Loop: Header=BB215_23 Depth=1
	flat_load_ushort v0, v[56:57] offset:16
	flat_load_ushort v1, v[54:55] offset:16
	s_waitcnt vmcnt(0) lgkmcnt(0)
	v_mul_f16_e32 v133, s13, v0
	v_mul_f16_e32 v134, s13, v1
	s_and_b64 vcc, exec, s[4:5]
	v_lshl_add_u64 v[50:51], v[44:45], 0, v[40:41]
	v_lshl_add_u64 v[52:53], v[42:43], 0, v[40:41]
	s_cbranch_vccnz .LBB215_27
.LBB215_25:                             ;   in Loop: Header=BB215_23 Depth=1
	flat_load_ushort v0, v[50:51] offset:16
	flat_load_ushort v1, v[52:53] offset:16
	s_waitcnt vmcnt(0) lgkmcnt(0)
	v_mul_f16_e32 v135, s13, v0
	v_mul_f16_e32 v136, s13, v1
	s_branch .LBB215_28
.LBB215_26:                             ;   in Loop: Header=BB215_23 Depth=1
	v_mov_b32_e32 v133, 0
	v_mov_b32_e32 v134, 0
	s_and_b64 vcc, exec, s[4:5]
	v_lshl_add_u64 v[50:51], v[44:45], 0, v[40:41]
	v_lshl_add_u64 v[52:53], v[42:43], 0, v[40:41]
	s_cbranch_vccz .LBB215_25
.LBB215_27:                             ;   in Loop: Header=BB215_23 Depth=1
	v_mov_b32_e32 v135, 0
	v_mov_b32_e32 v136, 0
.LBB215_28:                             ;   in Loop: Header=BB215_23 Depth=1
	ds_read2_b64 v[4:7], v131 offset1:32
	ds_read2_b64 v[0:3], v131 offset0:64 offset1:96
	ds_read2_b64 v[36:39], v132 offset1:8
	ds_read2_b64 v[32:35], v132 offset0:16 offset1:24
	ds_read2_b64 v[28:31], v132 offset0:32 offset1:40
	;; [unrolled: 1-line block ×7, first 2 shown]
	s_mov_b64 vcc, s[6:7]
	ds_write_b16 v98, v133
	ds_write_b16 v98, v134 offset:512
	ds_write_b16 v128, v135
	ds_write_b16 v128, v136 offset:512
	s_waitcnt lgkmcnt(0)
	s_barrier
	s_cbranch_vccz .LBB215_30
; %bb.29:                               ;   in Loop: Header=BB215_23 Depth=1
	flat_load_ushort v56, v[56:57] offset:24
	s_nop 0
	flat_load_ushort v55, v[54:55] offset:24
	s_waitcnt vmcnt(0) lgkmcnt(0)
	v_mul_f16_e32 v54, s13, v56
	v_mul_f16_e32 v55, s13, v55
	s_branch .LBB215_31
.LBB215_30:                             ;   in Loop: Header=BB215_23 Depth=1
	v_mov_b32_e32 v54, 0
	v_mov_b32_e32 v55, 0
.LBB215_31:                             ;   in Loop: Header=BB215_23 Depth=1
	v_pk_add_f16 v56, v4, v36
	v_pk_max_f16 v57, v127, v127
	v_pk_max_f16 v126, v126, v126
	v_pk_min_f16 v56, v57, v56
	v_pk_add_f16 v57, v6, v36
	v_pk_max_f16 v124, v124, v124
	v_pk_min_f16 v57, v126, v57
	v_pk_add_f16 v126, v0, v36
	v_pk_add_f16 v36, v2, v36
	v_pk_max_f16 v123, v123, v123
	v_pk_min_f16 v36, v124, v36
	v_pk_add_f16 v124, v4, v38
	v_pk_max_f16 v122, v122, v122
	v_pk_min_f16 v123, v123, v124
	;; [unrolled: 3-line block ×3, first 2 shown]
	v_pk_add_f16 v124, v0, v38
	v_pk_add_f16 v38, v2, v38
	v_pk_max_f16 v119, v119, v119
	v_pk_min_f16 v38, v120, v38
	v_pk_add_f16 v120, v4, v32
	v_pk_max_f16 v121, v121, v121
	v_pk_min_f16 v120, v119, v120
	;; [unrolled: 3-line block ×3, first 2 shown]
	v_pk_min_f16 v124, v118, v119
	v_pk_add_f16 v118, v0, v32
	v_pk_add_f16 v32, v2, v32
	v_pk_max_f16 v116, v116, v116
	v_pk_max_f16 v115, v115, v115
	v_pk_min_f16 v32, v116, v32
	v_pk_add_f16 v116, v4, v34
	v_pk_max_f16 v114, v114, v114
	v_pk_min_f16 v127, v115, v116
	v_pk_add_f16 v115, v6, v34
	v_pk_max_f16 v112, v112, v112
	v_pk_min_f16 v133, v114, v115
	v_pk_add_f16 v114, v0, v34
	v_pk_add_f16 v34, v2, v34
	v_pk_max_f16 v111, v111, v111
	v_pk_min_f16 v34, v112, v34
	v_pk_add_f16 v112, v4, v28
	v_pk_max_f16 v110, v110, v110
	v_pk_min_f16 v135, v111, v112
	v_pk_add_f16 v111, v6, v28
	v_pk_max_f16 v108, v108, v108
	v_pk_min_f16 v136, v110, v111
	v_pk_add_f16 v110, v0, v28
	v_pk_add_f16 v28, v2, v28
	;; [unrolled: 10-line block ×11, first 2 shown]
	v_pk_max_f16 v65, v65, v65
	v_pk_min_f16 v14, v66, v14
	v_pk_add_f16 v66, v4, v8
	v_pk_max_f16 v64, v64, v64
	v_pk_min_f16 v165, v65, v66
	v_pk_add_f16 v65, v6, v8
	v_pk_add_f16 v4, v4, v10
	v_pk_min_f16 v166, v64, v65
	v_pk_add_f16 v64, v0, v8
	v_pk_add_f16 v8, v2, v8
	;; [unrolled: 1-line block ×5, first 2 shown]
	v_pk_max_f16 v10, v63, v63
	v_pk_max_f16 v125, v125, v125
	v_pk_min_f16 v2, v10, v2
	v_pk_add_f16 v10, v5, v37
	v_pk_max_f16 v117, v117, v117
	v_pk_min_f16 v119, v56, v10
	v_pk_add_f16 v10, v7, v37
	v_pk_min_f16 v125, v125, v126
	v_pk_min_f16 v126, v117, v118
	;; [unrolled: 1-line block ×3, first 2 shown]
	v_pk_add_f16 v10, v1, v37
	v_pk_max_f16 v113, v113, v113
	v_pk_min_f16 v117, v125, v10
	v_pk_add_f16 v10, v3, v37
	v_pk_min_f16 v134, v113, v114
	v_pk_min_f16 v116, v36, v10
	v_pk_add_f16 v10, v5, v39
	v_pk_max_f16 v109, v109, v109
	v_pk_min_f16 v115, v123, v10
	v_pk_add_f16 v10, v7, v39
	v_pk_min_f16 v137, v109, v110
	v_pk_min_f16 v114, v122, v10
	;; [unrolled: 6-line block ×16, first 2 shown]
	v_pk_add_f16 v10, v1, v21
	s_and_b64 vcc, exec, s[4:5]
	v_pk_min_f16 v81, v149, v10
	v_pk_add_f16 v10, v3, v21
	s_nop 0
	v_pk_min_f16 v80, v20, v10
	v_pk_add_f16 v10, v5, v23
	s_nop 0
	;; [unrolled: 3-line block ×21, first 2 shown]
	v_pk_min_f16 v58, v14, v10
	v_pk_add_f16 v10, v5, v9
	v_pk_add_f16 v5, v5, v11
	v_pk_min_f16 v57, v165, v10
	v_pk_add_f16 v10, v7, v9
	v_pk_min_f16 v37, v4, v5
	v_pk_min_f16 v56, v166, v10
	v_pk_add_f16 v10, v1, v9
	v_pk_add_f16 v1, v1, v11
	;; [unrolled: 1-line block ×4, first 2 shown]
	v_pk_min_f16 v34, v0, v1
	v_pk_add_f16 v0, v3, v11
	v_pk_min_f16 v39, v167, v10
	v_pk_min_f16 v38, v8, v9
	;; [unrolled: 1-line block ×4, first 2 shown]
	s_cbranch_vccz .LBB215_21
; %bb.32:                               ;   in Loop: Header=BB215_23 Depth=1
	v_mov_b32_e32 v32, 0
	v_mov_b32_e32 v33, 0
	s_branch .LBB215_22
.LBB215_33:
	s_load_dword s6, s[0:1], 0x50
	ds_read_b64 v[38:39], v86 offset:1024
	ds_read_b64 v[46:47], v84 offset:3072
	v_add_u32_e32 v52, s21, v76
	v_cmp_neq_f16_e64 s[4:5], s22, 0
	v_add_u32_e32 v36, s20, v75
	s_waitcnt lgkmcnt(0)
	v_mad_i64_i32 v[0:1], s[12:13], v52, s6, 0
	v_ashrrev_i32_e32 v37, 31, v36
	v_lshl_add_u64 v[48:49], v[0:1], 1, s[10:11]
	s_and_b64 vcc, exec, s[4:5]
	v_mov_b32_e32 v42, 0
	v_mov_b32_e32 v43, 0
	s_cbranch_vccz .LBB215_35
; %bb.34:
	v_lshl_add_u64 v[0:1], v[36:37], 1, v[48:49]
	flat_load_ushort v0, v[0:1]
	s_waitcnt vmcnt(0) lgkmcnt(0)
	v_mul_f16_e32 v43, s22, v0
.LBB215_35:
	v_add_u32_e32 v4, 0x800, v84
	ds_read2_b64 v[0:3], v86 offset0:160 offset1:192
	ds_read_b64 v[32:33], v86 offset:1792
	ds_read2_b64 v[28:31], v4 offset0:136 offset1:144
	ds_read2_b64 v[24:27], v4 offset0:152 offset1:160
	;; [unrolled: 1-line block ×4, first 2 shown]
	s_load_dword s7, s[0:1], 0x68
	s_load_dwordx2 s[12:13], s[0:1], 0x70
	ds_read2_b64 v[12:15], v4 offset0:200 offset1:208
	ds_read2_b64 v[8:11], v4 offset0:216 offset1:224
	ds_read2_b64 v[4:7], v4 offset0:232 offset1:240
	ds_read_b64 v[34:35], v84 offset:4032
	v_pk_add_f16 v40, v38, v46
	v_pk_max_f16 v41, v127, v127
	s_waitcnt lgkmcnt(0)
	s_lshl_b64 s[0:1], s[12:13], 1
	s_add_u32 s2, s2, s0
	v_pk_min_f16 v40, v41, v40
	v_pk_add_f16 v41, v39, v47
	s_addc_u32 s3, s3, s1
	v_pk_min_f16 v53, v40, v41
	v_mad_i64_i32 v[44:45], s[0:1], v52, s7, 0
	v_lshl_add_u64 v[50:51], v[44:45], 1, s[2:3]
	v_lshrrev_b32_e32 v44, 16, v53
	v_add_u32_e32 v40, 32, v36
	v_min3_f16 v43, v43, v53, v44
	v_cndmask_b32_e64 v53, 0, 1, s[4:5]
	v_ashrrev_i32_e32 v41, 31, v40
	v_lshl_add_u64 v[44:45], v[36:37], 1, v[50:51]
	v_cmp_ne_u32_e64 s[0:1], 1, v53
	s_andn2_b64 vcc, exec, s[4:5]
	global_store_short v[44:45], v43, off
	s_cbranch_vccnz .LBB215_37
; %bb.36:
	v_lshl_add_u64 v[42:43], v[40:41], 1, v[48:49]
	flat_load_ushort v42, v[42:43]
	s_waitcnt vmcnt(0) lgkmcnt(0)
	v_mul_f16_e32 v42, s22, v42
.LBB215_37:
	v_pk_add_f16 v43, v0, v46
	v_pk_max_f16 v44, v126, v126
	s_and_b64 vcc, exec, s[0:1]
	v_pk_min_f16 v43, v44, v43
	v_pk_add_f16 v44, v1, v47
	v_mov_b32_e32 v54, 0
	v_pk_min_f16 v43, v43, v44
	v_add_u32_e32 v44, 64, v36
	v_lshrrev_b32_e32 v53, 16, v43
	v_min3_f16 v53, v42, v43, v53
	v_lshl_add_u64 v[42:43], v[40:41], 1, v[50:51]
	v_ashrrev_i32_e32 v45, 31, v44
	global_store_short v[42:43], v53, off
	v_mov_b32_e32 v53, 0
	s_cbranch_vccnz .LBB215_39
; %bb.38:
	v_lshl_add_u64 v[42:43], v[44:45], 1, v[48:49]
	flat_load_ushort v42, v[42:43]
	s_waitcnt vmcnt(0) lgkmcnt(0)
	v_mul_f16_e32 v54, s22, v42
.LBB215_39:
	v_pk_add_f16 v42, v2, v46
	v_pk_max_f16 v43, v125, v125
	s_and_b64 vcc, exec, s[0:1]
	v_pk_min_f16 v42, v43, v42
	v_pk_add_f16 v43, v3, v47
	s_nop 0
	v_pk_min_f16 v55, v42, v43
	v_add_u32_e32 v42, 0x60, v36
	v_lshrrev_b32_e32 v56, 16, v55
	v_ashrrev_i32_e32 v43, 31, v42
	v_min3_f16 v56, v54, v55, v56
	v_lshl_add_u64 v[54:55], v[44:45], 1, v[50:51]
	global_store_short v[54:55], v56, off
	s_cbranch_vccnz .LBB215_41
; %bb.40:
	v_lshl_add_u64 v[48:49], v[42:43], 1, v[48:49]
	flat_load_ushort v48, v[48:49]
	s_waitcnt vmcnt(0) lgkmcnt(0)
	v_mul_f16_e32 v53, s22, v48
.LBB215_41:
	v_pk_add_f16 v46, v32, v46
	v_pk_max_f16 v48, v124, v124
	v_pk_add_f16 v47, v33, v47
	v_pk_min_f16 v46, v48, v46
	s_and_b64 vcc, exec, s[0:1]
	v_pk_min_f16 v46, v46, v47
	s_nop 0
	v_lshrrev_b32_e32 v47, 16, v46
	v_min3_f16 v48, v53, v46, v47
	v_lshl_add_u64 v[46:47], v[42:43], 1, v[50:51]
	global_store_short v[46:47], v48, off
	v_add_u32_e32 v48, 8, v52
	v_mad_i64_i32 v[46:47], s[4:5], v48, s6, 0
	v_lshl_add_u64 v[46:47], v[46:47], 1, s[10:11]
	v_mov_b32_e32 v50, 0
	v_mov_b32_e32 v51, 0
	s_cbranch_vccnz .LBB215_43
; %bb.42:
	v_lshl_add_u64 v[54:55], v[36:37], 1, v[46:47]
	flat_load_ushort v49, v[54:55]
	s_waitcnt vmcnt(0) lgkmcnt(0)
	v_mul_f16_e32 v51, s22, v49
.LBB215_43:
	v_pk_add_f16 v49, v38, v28
	v_pk_max_f16 v53, v123, v123
	s_and_b64 vcc, exec, s[0:1]
	v_pk_min_f16 v49, v53, v49
	v_pk_add_f16 v53, v39, v29
	s_nop 0
	v_pk_min_f16 v53, v49, v53
	v_mad_i64_i32 v[48:49], s[4:5], v48, s7, 0
	v_lshl_add_u64 v[48:49], v[48:49], 1, s[2:3]
	v_lshrrev_b32_e32 v54, 16, v53
	v_min3_f16 v51, v51, v53, v54
	v_lshl_add_u64 v[54:55], v[36:37], 1, v[48:49]
	global_store_short v[54:55], v51, off
	s_cbranch_vccnz .LBB215_45
; %bb.44:
	v_lshl_add_u64 v[50:51], v[40:41], 1, v[46:47]
	flat_load_ushort v50, v[50:51]
	s_waitcnt vmcnt(0) lgkmcnt(0)
	v_mul_f16_e32 v50, s22, v50
.LBB215_45:
	v_pk_add_f16 v51, v0, v28
	v_pk_max_f16 v53, v122, v122
	s_and_b64 vcc, exec, s[0:1]
	v_pk_min_f16 v51, v53, v51
	v_pk_add_f16 v53, v1, v29
	s_nop 0
	v_pk_min_f16 v51, v51, v53
	s_nop 0
	v_lshrrev_b32_e32 v53, 16, v51
	v_min3_f16 v53, v50, v51, v53
	v_lshl_add_u64 v[50:51], v[40:41], 1, v[48:49]
	global_store_short v[50:51], v53, off
	v_mov_b32_e32 v50, 0
	v_mov_b32_e32 v51, 0
	s_cbranch_vccnz .LBB215_47
; %bb.46:
	v_lshl_add_u64 v[54:55], v[44:45], 1, v[46:47]
	flat_load_ushort v51, v[54:55]
	s_waitcnt vmcnt(0) lgkmcnt(0)
	v_mul_f16_e32 v51, s22, v51
.LBB215_47:
	v_pk_add_f16 v53, v2, v28
	v_pk_max_f16 v54, v121, v121
	s_and_b64 vcc, exec, s[0:1]
	v_pk_min_f16 v53, v54, v53
	v_pk_add_f16 v54, v3, v29
	s_nop 0
	v_pk_min_f16 v53, v53, v54
	s_nop 0
	v_lshrrev_b32_e32 v54, 16, v53
	v_min3_f16 v51, v51, v53, v54
	v_lshl_add_u64 v[54:55], v[44:45], 1, v[48:49]
	global_store_short v[54:55], v51, off
	s_cbranch_vccnz .LBB215_49
; %bb.48:
	v_lshl_add_u64 v[46:47], v[42:43], 1, v[46:47]
	flat_load_ushort v46, v[46:47]
	s_waitcnt vmcnt(0) lgkmcnt(0)
	v_mul_f16_e32 v50, s22, v46
.LBB215_49:
	v_pk_add_f16 v28, v32, v28
	v_pk_max_f16 v46, v120, v120
	v_pk_add_f16 v29, v33, v29
	v_pk_min_f16 v28, v46, v28
	s_and_b64 vcc, exec, s[0:1]
	v_pk_min_f16 v28, v28, v29
	s_nop 0
	v_lshrrev_b32_e32 v29, 16, v28
	v_min3_f16 v46, v50, v28, v29
	v_lshl_add_u64 v[28:29], v[42:43], 1, v[48:49]
	global_store_short v[28:29], v46, off
	v_add_u32_e32 v46, 16, v52
	v_mad_i64_i32 v[28:29], s[4:5], v46, s6, 0
	v_lshl_add_u64 v[28:29], v[28:29], 1, s[10:11]
	v_mov_b32_e32 v48, 0
	v_mov_b32_e32 v49, 0
	s_cbranch_vccnz .LBB215_51
; %bb.50:
	v_lshl_add_u64 v[50:51], v[36:37], 1, v[28:29]
	flat_load_ushort v47, v[50:51]
	s_waitcnt vmcnt(0) lgkmcnt(0)
	v_mul_f16_e32 v49, s22, v47
.LBB215_51:
	v_pk_add_f16 v47, v38, v30
	v_pk_max_f16 v50, v119, v119
	s_and_b64 vcc, exec, s[0:1]
	v_pk_min_f16 v47, v50, v47
	v_pk_add_f16 v50, v39, v31
	s_nop 0
	v_pk_min_f16 v50, v47, v50
	v_mad_i64_i32 v[46:47], s[4:5], v46, s7, 0
	v_lshl_add_u64 v[46:47], v[46:47], 1, s[2:3]
	v_lshrrev_b32_e32 v51, 16, v50
	v_min3_f16 v49, v49, v50, v51
	v_lshl_add_u64 v[50:51], v[36:37], 1, v[46:47]
	global_store_short v[50:51], v49, off
	s_cbranch_vccnz .LBB215_53
; %bb.52:
	v_lshl_add_u64 v[48:49], v[40:41], 1, v[28:29]
	flat_load_ushort v48, v[48:49]
	s_waitcnt vmcnt(0) lgkmcnt(0)
	v_mul_f16_e32 v48, s22, v48
.LBB215_53:
	v_pk_add_f16 v49, v0, v30
	v_pk_max_f16 v50, v118, v118
	s_and_b64 vcc, exec, s[0:1]
	v_pk_min_f16 v49, v50, v49
	v_pk_add_f16 v50, v1, v31
	s_nop 0
	v_pk_min_f16 v49, v49, v50
	s_nop 0
	v_lshrrev_b32_e32 v50, 16, v49
	v_min3_f16 v50, v48, v49, v50
	v_lshl_add_u64 v[48:49], v[40:41], 1, v[46:47]
	global_store_short v[48:49], v50, off
	v_mov_b32_e32 v48, 0
	v_mov_b32_e32 v49, 0
	s_cbranch_vccnz .LBB215_55
; %bb.54:
	v_lshl_add_u64 v[50:51], v[44:45], 1, v[28:29]
	flat_load_ushort v49, v[50:51]
	s_waitcnt vmcnt(0) lgkmcnt(0)
	v_mul_f16_e32 v49, s22, v49
.LBB215_55:
	v_pk_add_f16 v50, v2, v30
	v_pk_max_f16 v51, v117, v117
	s_and_b64 vcc, exec, s[0:1]
	v_pk_min_f16 v50, v51, v50
	v_pk_add_f16 v51, v3, v31
	s_nop 0
	v_pk_min_f16 v50, v50, v51
	s_nop 0
	v_lshrrev_b32_e32 v51, 16, v50
	v_min3_f16 v49, v49, v50, v51
	v_lshl_add_u64 v[50:51], v[44:45], 1, v[46:47]
	global_store_short v[50:51], v49, off
	s_cbranch_vccnz .LBB215_57
; %bb.56:
	v_lshl_add_u64 v[28:29], v[42:43], 1, v[28:29]
	flat_load_ushort v28, v[28:29]
	s_waitcnt vmcnt(0) lgkmcnt(0)
	v_mul_f16_e32 v48, s22, v28
.LBB215_57:
	v_pk_add_f16 v28, v32, v30
	v_pk_max_f16 v29, v116, v116
	s_and_b64 vcc, exec, s[0:1]
	v_pk_min_f16 v28, v29, v28
	v_pk_add_f16 v29, v33, v31
	s_nop 0
	v_pk_min_f16 v28, v28, v29
	s_nop 0
	v_lshrrev_b32_e32 v29, 16, v28
	v_min3_f16 v30, v48, v28, v29
	v_lshl_add_u64 v[28:29], v[42:43], 1, v[46:47]
	global_store_short v[28:29], v30, off
	v_add_u32_e32 v30, 24, v52
	v_mad_i64_i32 v[28:29], s[4:5], v30, s6, 0
	v_lshl_add_u64 v[28:29], v[28:29], 1, s[10:11]
	v_mov_b32_e32 v46, 0
	v_mov_b32_e32 v47, 0
	s_cbranch_vccnz .LBB215_59
; %bb.58:
	v_lshl_add_u64 v[48:49], v[36:37], 1, v[28:29]
	flat_load_ushort v31, v[48:49]
	s_waitcnt vmcnt(0) lgkmcnt(0)
	v_mul_f16_e32 v47, s22, v31
.LBB215_59:
	v_pk_add_f16 v31, v38, v24
	v_pk_max_f16 v48, v115, v115
	s_and_b64 vcc, exec, s[0:1]
	v_pk_min_f16 v31, v48, v31
	v_pk_add_f16 v48, v39, v25
	s_nop 0
	v_pk_min_f16 v48, v31, v48
	v_mad_i64_i32 v[30:31], s[4:5], v30, s7, 0
	v_lshl_add_u64 v[30:31], v[30:31], 1, s[2:3]
	v_lshrrev_b32_e32 v49, 16, v48
	v_min3_f16 v47, v47, v48, v49
	v_lshl_add_u64 v[48:49], v[36:37], 1, v[30:31]
	global_store_short v[48:49], v47, off
	s_cbranch_vccnz .LBB215_61
; %bb.60:
	v_lshl_add_u64 v[46:47], v[40:41], 1, v[28:29]
	flat_load_ushort v46, v[46:47]
	s_waitcnt vmcnt(0) lgkmcnt(0)
	v_mul_f16_e32 v46, s22, v46
.LBB215_61:
	v_pk_add_f16 v47, v0, v24
	v_pk_max_f16 v48, v114, v114
	s_and_b64 vcc, exec, s[0:1]
	v_pk_min_f16 v47, v48, v47
	v_pk_add_f16 v48, v1, v25
	s_nop 0
	v_pk_min_f16 v47, v47, v48
	s_nop 0
	v_lshrrev_b32_e32 v48, 16, v47
	v_min3_f16 v48, v46, v47, v48
	v_lshl_add_u64 v[46:47], v[40:41], 1, v[30:31]
	global_store_short v[46:47], v48, off
	v_mov_b32_e32 v46, 0
	v_mov_b32_e32 v47, 0
	s_cbranch_vccnz .LBB215_63
; %bb.62:
	v_lshl_add_u64 v[48:49], v[44:45], 1, v[28:29]
	flat_load_ushort v47, v[48:49]
	s_waitcnt vmcnt(0) lgkmcnt(0)
	v_mul_f16_e32 v47, s22, v47
.LBB215_63:
	v_pk_add_f16 v48, v2, v24
	v_pk_max_f16 v49, v113, v113
	s_and_b64 vcc, exec, s[0:1]
	v_pk_min_f16 v48, v49, v48
	v_pk_add_f16 v49, v3, v25
	s_nop 0
	v_pk_min_f16 v48, v48, v49
	s_nop 0
	v_lshrrev_b32_e32 v49, 16, v48
	v_min3_f16 v47, v47, v48, v49
	v_lshl_add_u64 v[48:49], v[44:45], 1, v[30:31]
	global_store_short v[48:49], v47, off
	s_cbranch_vccnz .LBB215_65
; %bb.64:
	v_lshl_add_u64 v[28:29], v[42:43], 1, v[28:29]
	flat_load_ushort v28, v[28:29]
	s_waitcnt vmcnt(0) lgkmcnt(0)
	v_mul_f16_e32 v46, s22, v28
.LBB215_65:
	v_pk_add_f16 v24, v32, v24
	v_pk_max_f16 v28, v112, v112
	v_pk_add_f16 v25, v33, v25
	v_pk_min_f16 v24, v28, v24
	s_and_b64 vcc, exec, s[0:1]
	v_pk_min_f16 v24, v24, v25
	s_nop 0
	v_lshrrev_b32_e32 v25, 16, v24
	v_min3_f16 v28, v46, v24, v25
	v_lshl_add_u64 v[24:25], v[42:43], 1, v[30:31]
	global_store_short v[24:25], v28, off
	v_add_u32_e32 v28, 32, v52
	v_mad_i64_i32 v[24:25], s[4:5], v28, s6, 0
	v_lshl_add_u64 v[24:25], v[24:25], 1, s[10:11]
	v_mov_b32_e32 v30, 0
	v_mov_b32_e32 v31, 0
	s_cbranch_vccnz .LBB215_67
; %bb.66:
	v_lshl_add_u64 v[46:47], v[36:37], 1, v[24:25]
	flat_load_ushort v29, v[46:47]
	s_waitcnt vmcnt(0) lgkmcnt(0)
	v_mul_f16_e32 v31, s22, v29
.LBB215_67:
	v_pk_add_f16 v29, v38, v26
	v_pk_max_f16 v46, v111, v111
	s_and_b64 vcc, exec, s[0:1]
	v_pk_min_f16 v29, v46, v29
	v_pk_add_f16 v46, v39, v27
	s_nop 0
	v_pk_min_f16 v46, v29, v46
	v_mad_i64_i32 v[28:29], s[4:5], v28, s7, 0
	v_lshl_add_u64 v[28:29], v[28:29], 1, s[2:3]
	v_lshrrev_b32_e32 v47, 16, v46
	v_min3_f16 v31, v31, v46, v47
	v_lshl_add_u64 v[46:47], v[36:37], 1, v[28:29]
	global_store_short v[46:47], v31, off
	s_cbranch_vccnz .LBB215_69
; %bb.68:
	v_lshl_add_u64 v[30:31], v[40:41], 1, v[24:25]
	flat_load_ushort v30, v[30:31]
	s_waitcnt vmcnt(0) lgkmcnt(0)
	v_mul_f16_e32 v30, s22, v30
.LBB215_69:
	v_pk_add_f16 v31, v0, v26
	v_pk_max_f16 v46, v110, v110
	s_and_b64 vcc, exec, s[0:1]
	v_pk_min_f16 v31, v46, v31
	v_pk_add_f16 v46, v1, v27
	s_nop 0
	v_pk_min_f16 v31, v31, v46
	s_nop 0
	v_lshrrev_b32_e32 v46, 16, v31
	v_min3_f16 v46, v30, v31, v46
	v_lshl_add_u64 v[30:31], v[40:41], 1, v[28:29]
	global_store_short v[30:31], v46, off
	v_mov_b32_e32 v30, 0
	v_mov_b32_e32 v31, 0
	s_cbranch_vccnz .LBB215_71
; %bb.70:
	v_lshl_add_u64 v[46:47], v[44:45], 1, v[24:25]
	flat_load_ushort v31, v[46:47]
	s_waitcnt vmcnt(0) lgkmcnt(0)
	v_mul_f16_e32 v31, s22, v31
.LBB215_71:
	v_pk_add_f16 v46, v2, v26
	v_pk_max_f16 v47, v109, v109
	s_and_b64 vcc, exec, s[0:1]
	v_pk_min_f16 v46, v47, v46
	v_pk_add_f16 v47, v3, v27
	s_nop 0
	v_pk_min_f16 v46, v46, v47
	s_nop 0
	v_lshrrev_b32_e32 v47, 16, v46
	v_min3_f16 v31, v31, v46, v47
	v_lshl_add_u64 v[46:47], v[44:45], 1, v[28:29]
	global_store_short v[46:47], v31, off
	s_cbranch_vccnz .LBB215_73
; %bb.72:
	v_lshl_add_u64 v[24:25], v[42:43], 1, v[24:25]
	flat_load_ushort v24, v[24:25]
	s_waitcnt vmcnt(0) lgkmcnt(0)
	v_mul_f16_e32 v30, s22, v24
.LBB215_73:
	v_pk_add_f16 v24, v32, v26
	v_pk_max_f16 v25, v108, v108
	s_and_b64 vcc, exec, s[0:1]
	v_pk_min_f16 v24, v25, v24
	v_pk_add_f16 v25, v33, v27
	s_nop 0
	v_pk_min_f16 v24, v24, v25
	s_nop 0
	v_lshrrev_b32_e32 v25, 16, v24
	v_min3_f16 v26, v30, v24, v25
	v_lshl_add_u64 v[24:25], v[42:43], 1, v[28:29]
	global_store_short v[24:25], v26, off
	v_add_u32_e32 v26, 40, v52
	v_mad_i64_i32 v[24:25], s[4:5], v26, s6, 0
	v_lshl_add_u64 v[24:25], v[24:25], 1, s[10:11]
	v_mov_b32_e32 v28, 0
	v_mov_b32_e32 v29, 0
	s_cbranch_vccnz .LBB215_75
; %bb.74:
	v_lshl_add_u64 v[30:31], v[36:37], 1, v[24:25]
	flat_load_ushort v27, v[30:31]
	s_waitcnt vmcnt(0) lgkmcnt(0)
	v_mul_f16_e32 v29, s22, v27
.LBB215_75:
	v_pk_add_f16 v27, v38, v20
	v_pk_max_f16 v30, v107, v107
	s_and_b64 vcc, exec, s[0:1]
	v_pk_min_f16 v27, v30, v27
	v_pk_add_f16 v30, v39, v21
	s_nop 0
	v_pk_min_f16 v30, v27, v30
	v_mad_i64_i32 v[26:27], s[4:5], v26, s7, 0
	v_lshl_add_u64 v[26:27], v[26:27], 1, s[2:3]
	v_lshrrev_b32_e32 v31, 16, v30
	v_min3_f16 v29, v29, v30, v31
	v_lshl_add_u64 v[30:31], v[36:37], 1, v[26:27]
	global_store_short v[30:31], v29, off
	s_cbranch_vccnz .LBB215_77
; %bb.76:
	v_lshl_add_u64 v[28:29], v[40:41], 1, v[24:25]
	flat_load_ushort v28, v[28:29]
	s_waitcnt vmcnt(0) lgkmcnt(0)
	v_mul_f16_e32 v28, s22, v28
.LBB215_77:
	v_pk_add_f16 v29, v0, v20
	v_pk_max_f16 v30, v106, v106
	s_and_b64 vcc, exec, s[0:1]
	v_pk_min_f16 v29, v30, v29
	v_pk_add_f16 v30, v1, v21
	s_nop 0
	v_pk_min_f16 v29, v29, v30
	s_nop 0
	v_lshrrev_b32_e32 v30, 16, v29
	v_min3_f16 v30, v28, v29, v30
	v_lshl_add_u64 v[28:29], v[40:41], 1, v[26:27]
	global_store_short v[28:29], v30, off
	v_mov_b32_e32 v28, 0
	v_mov_b32_e32 v29, 0
	s_cbranch_vccnz .LBB215_79
; %bb.78:
	v_lshl_add_u64 v[30:31], v[44:45], 1, v[24:25]
	flat_load_ushort v29, v[30:31]
	s_waitcnt vmcnt(0) lgkmcnt(0)
	v_mul_f16_e32 v29, s22, v29
.LBB215_79:
	v_pk_add_f16 v30, v2, v20
	v_pk_max_f16 v31, v105, v105
	s_and_b64 vcc, exec, s[0:1]
	v_pk_min_f16 v30, v31, v30
	v_pk_add_f16 v31, v3, v21
	s_nop 0
	v_pk_min_f16 v30, v30, v31
	s_nop 0
	v_lshrrev_b32_e32 v31, 16, v30
	v_min3_f16 v29, v29, v30, v31
	v_lshl_add_u64 v[30:31], v[44:45], 1, v[26:27]
	global_store_short v[30:31], v29, off
	s_cbranch_vccnz .LBB215_81
; %bb.80:
	v_lshl_add_u64 v[24:25], v[42:43], 1, v[24:25]
	flat_load_ushort v24, v[24:25]
	s_waitcnt vmcnt(0) lgkmcnt(0)
	v_mul_f16_e32 v28, s22, v24
.LBB215_81:
	v_pk_add_f16 v20, v32, v20
	v_pk_max_f16 v24, v104, v104
	v_pk_add_f16 v21, v33, v21
	v_pk_min_f16 v20, v24, v20
	s_and_b64 vcc, exec, s[0:1]
	v_pk_min_f16 v20, v20, v21
	s_nop 0
	v_lshrrev_b32_e32 v21, 16, v20
	v_min3_f16 v24, v28, v20, v21
	v_lshl_add_u64 v[20:21], v[42:43], 1, v[26:27]
	global_store_short v[20:21], v24, off
	v_add_u32_e32 v24, 48, v52
	v_mad_i64_i32 v[20:21], s[4:5], v24, s6, 0
	v_lshl_add_u64 v[20:21], v[20:21], 1, s[10:11]
	v_mov_b32_e32 v26, 0
	v_mov_b32_e32 v27, 0
	s_cbranch_vccnz .LBB215_83
; %bb.82:
	v_lshl_add_u64 v[28:29], v[36:37], 1, v[20:21]
	flat_load_ushort v25, v[28:29]
	s_waitcnt vmcnt(0) lgkmcnt(0)
	v_mul_f16_e32 v27, s22, v25
.LBB215_83:
	v_pk_add_f16 v25, v38, v22
	v_pk_max_f16 v28, v103, v103
	s_and_b64 vcc, exec, s[0:1]
	v_pk_min_f16 v25, v28, v25
	v_pk_add_f16 v28, v39, v23
	s_nop 0
	v_pk_min_f16 v28, v25, v28
	v_mad_i64_i32 v[24:25], s[4:5], v24, s7, 0
	v_lshl_add_u64 v[24:25], v[24:25], 1, s[2:3]
	v_lshrrev_b32_e32 v29, 16, v28
	v_min3_f16 v27, v27, v28, v29
	v_lshl_add_u64 v[28:29], v[36:37], 1, v[24:25]
	global_store_short v[28:29], v27, off
	s_cbranch_vccnz .LBB215_85
; %bb.84:
	v_lshl_add_u64 v[26:27], v[40:41], 1, v[20:21]
	flat_load_ushort v26, v[26:27]
	s_waitcnt vmcnt(0) lgkmcnt(0)
	v_mul_f16_e32 v26, s22, v26
.LBB215_85:
	v_pk_add_f16 v27, v0, v22
	v_pk_max_f16 v28, v102, v102
	s_and_b64 vcc, exec, s[0:1]
	v_pk_min_f16 v27, v28, v27
	v_pk_add_f16 v28, v1, v23
	s_nop 0
	v_pk_min_f16 v27, v27, v28
	s_nop 0
	v_lshrrev_b32_e32 v28, 16, v27
	v_min3_f16 v28, v26, v27, v28
	v_lshl_add_u64 v[26:27], v[40:41], 1, v[24:25]
	global_store_short v[26:27], v28, off
	v_mov_b32_e32 v26, 0
	v_mov_b32_e32 v27, 0
	s_cbranch_vccnz .LBB215_87
; %bb.86:
	v_lshl_add_u64 v[28:29], v[44:45], 1, v[20:21]
	flat_load_ushort v27, v[28:29]
	s_waitcnt vmcnt(0) lgkmcnt(0)
	v_mul_f16_e32 v27, s22, v27
.LBB215_87:
	v_pk_add_f16 v28, v2, v22
	v_pk_max_f16 v29, v101, v101
	s_and_b64 vcc, exec, s[0:1]
	v_pk_min_f16 v28, v29, v28
	v_pk_add_f16 v29, v3, v23
	s_nop 0
	v_pk_min_f16 v28, v28, v29
	s_nop 0
	v_lshrrev_b32_e32 v29, 16, v28
	v_min3_f16 v27, v27, v28, v29
	v_lshl_add_u64 v[28:29], v[44:45], 1, v[24:25]
	global_store_short v[28:29], v27, off
	s_cbranch_vccnz .LBB215_89
; %bb.88:
	v_lshl_add_u64 v[20:21], v[42:43], 1, v[20:21]
	flat_load_ushort v20, v[20:21]
	s_waitcnt vmcnt(0) lgkmcnt(0)
	v_mul_f16_e32 v26, s22, v20
.LBB215_89:
	v_pk_add_f16 v20, v32, v22
	v_pk_max_f16 v21, v99, v99
	s_and_b64 vcc, exec, s[0:1]
	v_pk_min_f16 v20, v21, v20
	v_pk_add_f16 v21, v33, v23
	s_nop 0
	v_pk_min_f16 v20, v20, v21
	s_nop 0
	v_lshrrev_b32_e32 v21, 16, v20
	v_min3_f16 v22, v26, v20, v21
	v_lshl_add_u64 v[20:21], v[42:43], 1, v[24:25]
	global_store_short v[20:21], v22, off
	v_add_u32_e32 v22, 56, v52
	v_mad_i64_i32 v[20:21], s[4:5], v22, s6, 0
	v_lshl_add_u64 v[20:21], v[20:21], 1, s[10:11]
	v_mov_b32_e32 v24, 0
	v_mov_b32_e32 v25, 0
	s_cbranch_vccnz .LBB215_91
; %bb.90:
	v_lshl_add_u64 v[26:27], v[36:37], 1, v[20:21]
	flat_load_ushort v23, v[26:27]
	s_waitcnt vmcnt(0) lgkmcnt(0)
	v_mul_f16_e32 v25, s22, v23
.LBB215_91:
	v_pk_add_f16 v23, v38, v16
	v_pk_max_f16 v26, v97, v97
	s_and_b64 vcc, exec, s[0:1]
	v_pk_min_f16 v23, v26, v23
	v_pk_add_f16 v26, v39, v17
	s_nop 0
	v_pk_min_f16 v26, v23, v26
	v_mad_i64_i32 v[22:23], s[4:5], v22, s7, 0
	v_lshl_add_u64 v[22:23], v[22:23], 1, s[2:3]
	v_lshrrev_b32_e32 v27, 16, v26
	v_min3_f16 v25, v25, v26, v27
	v_lshl_add_u64 v[26:27], v[36:37], 1, v[22:23]
	global_store_short v[26:27], v25, off
	s_cbranch_vccnz .LBB215_93
; %bb.92:
	v_lshl_add_u64 v[24:25], v[40:41], 1, v[20:21]
	flat_load_ushort v24, v[24:25]
	s_waitcnt vmcnt(0) lgkmcnt(0)
	v_mul_f16_e32 v24, s22, v24
.LBB215_93:
	v_pk_add_f16 v25, v0, v16
	v_pk_max_f16 v26, v96, v96
	s_and_b64 vcc, exec, s[0:1]
	v_pk_min_f16 v25, v26, v25
	v_pk_add_f16 v26, v1, v17
	s_nop 0
	v_pk_min_f16 v25, v25, v26
	s_nop 0
	v_lshrrev_b32_e32 v26, 16, v25
	v_min3_f16 v26, v24, v25, v26
	v_lshl_add_u64 v[24:25], v[40:41], 1, v[22:23]
	global_store_short v[24:25], v26, off
	v_mov_b32_e32 v24, 0
	v_mov_b32_e32 v25, 0
	s_cbranch_vccnz .LBB215_95
; %bb.94:
	v_lshl_add_u64 v[26:27], v[44:45], 1, v[20:21]
	flat_load_ushort v25, v[26:27]
	s_waitcnt vmcnt(0) lgkmcnt(0)
	v_mul_f16_e32 v25, s22, v25
.LBB215_95:
	v_pk_add_f16 v26, v2, v16
	v_pk_max_f16 v27, v95, v95
	s_and_b64 vcc, exec, s[0:1]
	v_pk_min_f16 v26, v27, v26
	v_pk_add_f16 v27, v3, v17
	s_nop 0
	v_pk_min_f16 v26, v26, v27
	s_nop 0
	v_lshrrev_b32_e32 v27, 16, v26
	v_min3_f16 v25, v25, v26, v27
	v_lshl_add_u64 v[26:27], v[44:45], 1, v[22:23]
	global_store_short v[26:27], v25, off
	s_cbranch_vccnz .LBB215_97
; %bb.96:
	v_lshl_add_u64 v[20:21], v[42:43], 1, v[20:21]
	flat_load_ushort v20, v[20:21]
	s_waitcnt vmcnt(0) lgkmcnt(0)
	v_mul_f16_e32 v24, s22, v20
.LBB215_97:
	v_pk_add_f16 v16, v32, v16
	v_pk_max_f16 v20, v94, v94
	v_pk_add_f16 v17, v33, v17
	v_pk_min_f16 v16, v20, v16
	s_and_b64 vcc, exec, s[0:1]
	v_pk_min_f16 v16, v16, v17
	s_nop 0
	v_lshrrev_b32_e32 v17, 16, v16
	v_min3_f16 v20, v24, v16, v17
	v_lshl_add_u64 v[16:17], v[42:43], 1, v[22:23]
	global_store_short v[16:17], v20, off
	v_add_u32_e32 v20, 64, v52
	v_mad_i64_i32 v[16:17], s[4:5], v20, s6, 0
	v_lshl_add_u64 v[16:17], v[16:17], 1, s[10:11]
	v_mov_b32_e32 v22, 0
	v_mov_b32_e32 v23, 0
	s_cbranch_vccnz .LBB215_99
; %bb.98:
	v_lshl_add_u64 v[24:25], v[36:37], 1, v[16:17]
	flat_load_ushort v21, v[24:25]
	s_waitcnt vmcnt(0) lgkmcnt(0)
	v_mul_f16_e32 v23, s22, v21
.LBB215_99:
	v_pk_add_f16 v21, v38, v18
	v_pk_max_f16 v24, v93, v93
	s_and_b64 vcc, exec, s[0:1]
	v_pk_min_f16 v21, v24, v21
	v_pk_add_f16 v24, v39, v19
	s_nop 0
	v_pk_min_f16 v24, v21, v24
	v_mad_i64_i32 v[20:21], s[4:5], v20, s7, 0
	v_lshl_add_u64 v[20:21], v[20:21], 1, s[2:3]
	v_lshrrev_b32_e32 v25, 16, v24
	v_min3_f16 v23, v23, v24, v25
	v_lshl_add_u64 v[24:25], v[36:37], 1, v[20:21]
	global_store_short v[24:25], v23, off
	s_cbranch_vccnz .LBB215_101
; %bb.100:
	v_lshl_add_u64 v[22:23], v[40:41], 1, v[16:17]
	flat_load_ushort v22, v[22:23]
	s_waitcnt vmcnt(0) lgkmcnt(0)
	v_mul_f16_e32 v22, s22, v22
.LBB215_101:
	v_pk_add_f16 v23, v0, v18
	v_pk_max_f16 v24, v92, v92
	s_and_b64 vcc, exec, s[0:1]
	v_pk_min_f16 v23, v24, v23
	v_pk_add_f16 v24, v1, v19
	s_nop 0
	v_pk_min_f16 v23, v23, v24
	s_nop 0
	v_lshrrev_b32_e32 v24, 16, v23
	v_min3_f16 v24, v22, v23, v24
	v_lshl_add_u64 v[22:23], v[40:41], 1, v[20:21]
	global_store_short v[22:23], v24, off
	v_mov_b32_e32 v22, 0
	v_mov_b32_e32 v23, 0
	s_cbranch_vccnz .LBB215_103
; %bb.102:
	v_lshl_add_u64 v[24:25], v[44:45], 1, v[16:17]
	flat_load_ushort v23, v[24:25]
	s_waitcnt vmcnt(0) lgkmcnt(0)
	v_mul_f16_e32 v23, s22, v23
.LBB215_103:
	v_pk_add_f16 v24, v2, v18
	v_pk_max_f16 v25, v91, v91
	s_and_b64 vcc, exec, s[0:1]
	v_pk_min_f16 v24, v25, v24
	v_pk_add_f16 v25, v3, v19
	s_nop 0
	v_pk_min_f16 v24, v24, v25
	s_nop 0
	v_lshrrev_b32_e32 v25, 16, v24
	v_min3_f16 v23, v23, v24, v25
	v_lshl_add_u64 v[24:25], v[44:45], 1, v[20:21]
	global_store_short v[24:25], v23, off
	s_cbranch_vccnz .LBB215_105
; %bb.104:
	v_lshl_add_u64 v[16:17], v[42:43], 1, v[16:17]
	flat_load_ushort v16, v[16:17]
	s_waitcnt vmcnt(0) lgkmcnt(0)
	v_mul_f16_e32 v22, s22, v16
.LBB215_105:
	v_pk_add_f16 v16, v32, v18
	v_pk_max_f16 v17, v90, v90
	s_and_b64 vcc, exec, s[0:1]
	v_pk_min_f16 v16, v17, v16
	v_pk_add_f16 v17, v33, v19
	s_nop 0
	v_pk_min_f16 v16, v16, v17
	s_nop 0
	v_lshrrev_b32_e32 v17, 16, v16
	v_min3_f16 v18, v22, v16, v17
	v_lshl_add_u64 v[16:17], v[42:43], 1, v[20:21]
	global_store_short v[16:17], v18, off
	v_add_u32_e32 v18, 0x48, v52
	v_mad_i64_i32 v[16:17], s[4:5], v18, s6, 0
	v_lshl_add_u64 v[16:17], v[16:17], 1, s[10:11]
	v_mov_b32_e32 v20, 0
	v_mov_b32_e32 v21, 0
	s_cbranch_vccnz .LBB215_107
; %bb.106:
	v_lshl_add_u64 v[22:23], v[36:37], 1, v[16:17]
	flat_load_ushort v19, v[22:23]
	s_waitcnt vmcnt(0) lgkmcnt(0)
	v_mul_f16_e32 v21, s22, v19
.LBB215_107:
	v_pk_add_f16 v19, v38, v12
	v_pk_max_f16 v22, v89, v89
	s_and_b64 vcc, exec, s[0:1]
	v_pk_min_f16 v19, v22, v19
	v_pk_add_f16 v22, v39, v13
	s_nop 0
	v_pk_min_f16 v22, v19, v22
	v_mad_i64_i32 v[18:19], s[4:5], v18, s7, 0
	v_lshl_add_u64 v[18:19], v[18:19], 1, s[2:3]
	v_lshrrev_b32_e32 v23, 16, v22
	v_min3_f16 v21, v21, v22, v23
	v_lshl_add_u64 v[22:23], v[36:37], 1, v[18:19]
	global_store_short v[22:23], v21, off
	s_cbranch_vccnz .LBB215_109
; %bb.108:
	v_lshl_add_u64 v[20:21], v[40:41], 1, v[16:17]
	flat_load_ushort v20, v[20:21]
	s_waitcnt vmcnt(0) lgkmcnt(0)
	v_mul_f16_e32 v20, s22, v20
.LBB215_109:
	v_pk_add_f16 v21, v0, v12
	v_pk_max_f16 v22, v88, v88
	s_and_b64 vcc, exec, s[0:1]
	v_pk_min_f16 v21, v22, v21
	v_pk_add_f16 v22, v1, v13
	s_nop 0
	v_pk_min_f16 v21, v21, v22
	s_nop 0
	v_lshrrev_b32_e32 v22, 16, v21
	v_min3_f16 v22, v20, v21, v22
	v_lshl_add_u64 v[20:21], v[40:41], 1, v[18:19]
	global_store_short v[20:21], v22, off
	v_mov_b32_e32 v20, 0
	v_mov_b32_e32 v21, 0
	s_cbranch_vccnz .LBB215_111
; %bb.110:
	v_lshl_add_u64 v[22:23], v[44:45], 1, v[16:17]
	flat_load_ushort v21, v[22:23]
	s_waitcnt vmcnt(0) lgkmcnt(0)
	v_mul_f16_e32 v21, s22, v21
.LBB215_111:
	v_pk_add_f16 v22, v2, v12
	v_pk_max_f16 v23, v87, v87
	s_and_b64 vcc, exec, s[0:1]
	v_pk_min_f16 v22, v23, v22
	v_pk_add_f16 v23, v3, v13
	s_nop 0
	v_pk_min_f16 v22, v22, v23
	s_nop 0
	v_lshrrev_b32_e32 v23, 16, v22
	v_min3_f16 v21, v21, v22, v23
	v_lshl_add_u64 v[22:23], v[44:45], 1, v[18:19]
	global_store_short v[22:23], v21, off
	s_cbranch_vccnz .LBB215_113
; %bb.112:
	v_lshl_add_u64 v[16:17], v[42:43], 1, v[16:17]
	flat_load_ushort v16, v[16:17]
	s_waitcnt vmcnt(0) lgkmcnt(0)
	v_mul_f16_e32 v20, s22, v16
.LBB215_113:
	v_pk_add_f16 v12, v32, v12
	v_pk_max_f16 v16, v85, v85
	v_pk_add_f16 v13, v33, v13
	v_pk_min_f16 v12, v16, v12
	s_and_b64 vcc, exec, s[0:1]
	v_pk_min_f16 v12, v12, v13
	s_nop 0
	v_lshrrev_b32_e32 v13, 16, v12
	v_min3_f16 v16, v20, v12, v13
	v_lshl_add_u64 v[12:13], v[42:43], 1, v[18:19]
	global_store_short v[12:13], v16, off
	v_add_u32_e32 v16, 0x50, v52
	v_mad_i64_i32 v[12:13], s[4:5], v16, s6, 0
	v_lshl_add_u64 v[12:13], v[12:13], 1, s[10:11]
	v_mov_b32_e32 v18, 0
	v_mov_b32_e32 v19, 0
	s_cbranch_vccnz .LBB215_115
; %bb.114:
	v_lshl_add_u64 v[20:21], v[36:37], 1, v[12:13]
	flat_load_ushort v17, v[20:21]
	s_waitcnt vmcnt(0) lgkmcnt(0)
	v_mul_f16_e32 v19, s22, v17
.LBB215_115:
	v_pk_add_f16 v17, v38, v14
	v_pk_max_f16 v20, v83, v83
	s_and_b64 vcc, exec, s[0:1]
	v_pk_min_f16 v17, v20, v17
	v_pk_add_f16 v20, v39, v15
	s_nop 0
	v_pk_min_f16 v20, v17, v20
	v_mad_i64_i32 v[16:17], s[4:5], v16, s7, 0
	v_lshl_add_u64 v[16:17], v[16:17], 1, s[2:3]
	v_lshrrev_b32_e32 v21, 16, v20
	v_min3_f16 v19, v19, v20, v21
	v_lshl_add_u64 v[20:21], v[36:37], 1, v[16:17]
	global_store_short v[20:21], v19, off
	s_cbranch_vccnz .LBB215_117
; %bb.116:
	v_lshl_add_u64 v[18:19], v[40:41], 1, v[12:13]
	flat_load_ushort v18, v[18:19]
	s_waitcnt vmcnt(0) lgkmcnt(0)
	v_mul_f16_e32 v18, s22, v18
.LBB215_117:
	v_pk_add_f16 v19, v0, v14
	v_pk_max_f16 v20, v82, v82
	s_and_b64 vcc, exec, s[0:1]
	v_pk_min_f16 v19, v20, v19
	v_pk_add_f16 v20, v1, v15
	s_nop 0
	v_pk_min_f16 v19, v19, v20
	s_nop 0
	v_lshrrev_b32_e32 v20, 16, v19
	v_min3_f16 v20, v18, v19, v20
	v_lshl_add_u64 v[18:19], v[40:41], 1, v[16:17]
	global_store_short v[18:19], v20, off
	v_mov_b32_e32 v18, 0
	v_mov_b32_e32 v19, 0
	s_cbranch_vccnz .LBB215_119
; %bb.118:
	v_lshl_add_u64 v[20:21], v[44:45], 1, v[12:13]
	flat_load_ushort v19, v[20:21]
	s_waitcnt vmcnt(0) lgkmcnt(0)
	v_mul_f16_e32 v19, s22, v19
.LBB215_119:
	v_pk_add_f16 v20, v2, v14
	v_pk_max_f16 v21, v81, v81
	s_and_b64 vcc, exec, s[0:1]
	v_pk_min_f16 v20, v21, v20
	v_pk_add_f16 v21, v3, v15
	s_nop 0
	v_pk_min_f16 v20, v20, v21
	s_nop 0
	v_lshrrev_b32_e32 v21, 16, v20
	v_min3_f16 v19, v19, v20, v21
	v_lshl_add_u64 v[20:21], v[44:45], 1, v[16:17]
	global_store_short v[20:21], v19, off
	s_cbranch_vccnz .LBB215_121
; %bb.120:
	v_lshl_add_u64 v[12:13], v[42:43], 1, v[12:13]
	flat_load_ushort v12, v[12:13]
	s_waitcnt vmcnt(0) lgkmcnt(0)
	v_mul_f16_e32 v18, s22, v12
.LBB215_121:
	v_pk_add_f16 v12, v32, v14
	v_pk_max_f16 v13, v80, v80
	s_and_b64 vcc, exec, s[0:1]
	v_pk_min_f16 v12, v13, v12
	v_pk_add_f16 v13, v33, v15
	s_nop 0
	v_pk_min_f16 v12, v12, v13
	s_nop 0
	v_lshrrev_b32_e32 v13, 16, v12
	v_min3_f16 v14, v18, v12, v13
	v_lshl_add_u64 v[12:13], v[42:43], 1, v[16:17]
	global_store_short v[12:13], v14, off
	v_add_u32_e32 v14, 0x58, v52
	v_mad_i64_i32 v[12:13], s[4:5], v14, s6, 0
	v_lshl_add_u64 v[12:13], v[12:13], 1, s[10:11]
	v_mov_b32_e32 v16, 0
	v_mov_b32_e32 v17, 0
	s_cbranch_vccnz .LBB215_123
; %bb.122:
	v_lshl_add_u64 v[18:19], v[36:37], 1, v[12:13]
	flat_load_ushort v15, v[18:19]
	s_waitcnt vmcnt(0) lgkmcnt(0)
	v_mul_f16_e32 v17, s22, v15
.LBB215_123:
	v_pk_add_f16 v15, v38, v8
	v_pk_max_f16 v18, v79, v79
	s_and_b64 vcc, exec, s[0:1]
	v_pk_min_f16 v15, v18, v15
	v_pk_add_f16 v18, v39, v9
	s_nop 0
	v_pk_min_f16 v18, v15, v18
	v_mad_i64_i32 v[14:15], s[4:5], v14, s7, 0
	v_lshl_add_u64 v[14:15], v[14:15], 1, s[2:3]
	v_lshrrev_b32_e32 v19, 16, v18
	v_min3_f16 v17, v17, v18, v19
	v_lshl_add_u64 v[18:19], v[36:37], 1, v[14:15]
	global_store_short v[18:19], v17, off
	s_cbranch_vccnz .LBB215_125
; %bb.124:
	v_lshl_add_u64 v[16:17], v[40:41], 1, v[12:13]
	flat_load_ushort v16, v[16:17]
	s_waitcnt vmcnt(0) lgkmcnt(0)
	v_mul_f16_e32 v16, s22, v16
.LBB215_125:
	v_pk_add_f16 v17, v0, v8
	v_pk_max_f16 v18, v78, v78
	s_and_b64 vcc, exec, s[0:1]
	v_pk_min_f16 v17, v18, v17
	v_pk_add_f16 v18, v1, v9
	s_nop 0
	v_pk_min_f16 v17, v17, v18
	s_nop 0
	v_lshrrev_b32_e32 v18, 16, v17
	v_min3_f16 v18, v16, v17, v18
	v_lshl_add_u64 v[16:17], v[40:41], 1, v[14:15]
	global_store_short v[16:17], v18, off
	v_mov_b32_e32 v16, 0
	v_mov_b32_e32 v17, 0
	s_cbranch_vccnz .LBB215_127
; %bb.126:
	v_lshl_add_u64 v[18:19], v[44:45], 1, v[12:13]
	flat_load_ushort v17, v[18:19]
	s_waitcnt vmcnt(0) lgkmcnt(0)
	v_mul_f16_e32 v17, s22, v17
.LBB215_127:
	v_pk_add_f16 v18, v2, v8
	v_pk_max_f16 v19, v77, v77
	s_and_b64 vcc, exec, s[0:1]
	v_pk_min_f16 v18, v19, v18
	v_pk_add_f16 v19, v3, v9
	s_nop 0
	v_pk_min_f16 v18, v18, v19
	s_nop 0
	v_lshrrev_b32_e32 v19, 16, v18
	v_min3_f16 v17, v17, v18, v19
	v_lshl_add_u64 v[18:19], v[44:45], 1, v[14:15]
	global_store_short v[18:19], v17, off
	s_cbranch_vccnz .LBB215_129
; %bb.128:
	v_lshl_add_u64 v[12:13], v[42:43], 1, v[12:13]
	flat_load_ushort v12, v[12:13]
	s_waitcnt vmcnt(0) lgkmcnt(0)
	v_mul_f16_e32 v16, s22, v12
.LBB215_129:
	v_pk_add_f16 v8, v32, v8
	v_pk_max_f16 v12, v74, v74
	v_pk_add_f16 v9, v33, v9
	v_pk_min_f16 v8, v12, v8
	s_and_b64 vcc, exec, s[0:1]
	v_pk_min_f16 v8, v8, v9
	s_nop 0
	v_lshrrev_b32_e32 v9, 16, v8
	v_min3_f16 v12, v16, v8, v9
	v_lshl_add_u64 v[8:9], v[42:43], 1, v[14:15]
	global_store_short v[8:9], v12, off
	v_add_u32_e32 v12, 0x60, v52
	v_mad_i64_i32 v[8:9], s[4:5], v12, s6, 0
	v_lshl_add_u64 v[8:9], v[8:9], 1, s[10:11]
	v_mov_b32_e32 v14, 0
	v_mov_b32_e32 v15, 0
	s_cbranch_vccnz .LBB215_131
; %bb.130:
	v_lshl_add_u64 v[16:17], v[36:37], 1, v[8:9]
	flat_load_ushort v13, v[16:17]
	s_waitcnt vmcnt(0) lgkmcnt(0)
	v_mul_f16_e32 v15, s22, v13
.LBB215_131:
	v_pk_add_f16 v13, v38, v10
	v_pk_max_f16 v16, v73, v73
	s_and_b64 vcc, exec, s[0:1]
	v_pk_min_f16 v13, v16, v13
	v_pk_add_f16 v16, v39, v11
	s_nop 0
	v_pk_min_f16 v16, v13, v16
	v_mad_i64_i32 v[12:13], s[4:5], v12, s7, 0
	v_lshl_add_u64 v[12:13], v[12:13], 1, s[2:3]
	v_lshrrev_b32_e32 v17, 16, v16
	v_min3_f16 v15, v15, v16, v17
	v_lshl_add_u64 v[16:17], v[36:37], 1, v[12:13]
	global_store_short v[16:17], v15, off
	s_cbranch_vccnz .LBB215_133
; %bb.132:
	v_lshl_add_u64 v[14:15], v[40:41], 1, v[8:9]
	flat_load_ushort v14, v[14:15]
	s_waitcnt vmcnt(0) lgkmcnt(0)
	v_mul_f16_e32 v14, s22, v14
.LBB215_133:
	v_pk_add_f16 v15, v0, v10
	v_pk_max_f16 v16, v72, v72
	s_and_b64 vcc, exec, s[0:1]
	v_pk_min_f16 v15, v16, v15
	v_pk_add_f16 v16, v1, v11
	s_nop 0
	v_pk_min_f16 v15, v15, v16
	s_nop 0
	v_lshrrev_b32_e32 v16, 16, v15
	v_min3_f16 v16, v14, v15, v16
	v_lshl_add_u64 v[14:15], v[40:41], 1, v[12:13]
	global_store_short v[14:15], v16, off
	v_mov_b32_e32 v14, 0
	v_mov_b32_e32 v15, 0
	s_cbranch_vccnz .LBB215_135
; %bb.134:
	v_lshl_add_u64 v[16:17], v[44:45], 1, v[8:9]
	flat_load_ushort v15, v[16:17]
	s_waitcnt vmcnt(0) lgkmcnt(0)
	v_mul_f16_e32 v15, s22, v15
.LBB215_135:
	v_pk_add_f16 v16, v2, v10
	v_pk_max_f16 v17, v71, v71
	s_and_b64 vcc, exec, s[0:1]
	v_pk_min_f16 v16, v17, v16
	v_pk_add_f16 v17, v3, v11
	s_nop 0
	v_pk_min_f16 v16, v16, v17
	s_nop 0
	v_lshrrev_b32_e32 v17, 16, v16
	v_min3_f16 v15, v15, v16, v17
	v_lshl_add_u64 v[16:17], v[44:45], 1, v[12:13]
	global_store_short v[16:17], v15, off
	s_cbranch_vccnz .LBB215_137
; %bb.136:
	v_lshl_add_u64 v[8:9], v[42:43], 1, v[8:9]
	flat_load_ushort v8, v[8:9]
	s_waitcnt vmcnt(0) lgkmcnt(0)
	v_mul_f16_e32 v14, s22, v8
.LBB215_137:
	v_pk_add_f16 v8, v32, v10
	v_pk_max_f16 v9, v70, v70
	s_and_b64 vcc, exec, s[0:1]
	v_pk_min_f16 v8, v9, v8
	v_pk_add_f16 v9, v33, v11
	s_nop 0
	v_pk_min_f16 v8, v8, v9
	s_nop 0
	v_lshrrev_b32_e32 v9, 16, v8
	v_min3_f16 v10, v14, v8, v9
	v_lshl_add_u64 v[8:9], v[42:43], 1, v[12:13]
	global_store_short v[8:9], v10, off
	v_add_u32_e32 v10, 0x68, v52
	v_mad_i64_i32 v[8:9], s[4:5], v10, s6, 0
	v_lshl_add_u64 v[8:9], v[8:9], 1, s[10:11]
	v_mov_b32_e32 v12, 0
	v_mov_b32_e32 v13, 0
	s_cbranch_vccnz .LBB215_139
; %bb.138:
	v_lshl_add_u64 v[14:15], v[36:37], 1, v[8:9]
	flat_load_ushort v11, v[14:15]
	s_waitcnt vmcnt(0) lgkmcnt(0)
	v_mul_f16_e32 v13, s22, v11
.LBB215_139:
	v_pk_add_f16 v11, v38, v4
	v_pk_max_f16 v14, v69, v69
	s_and_b64 vcc, exec, s[0:1]
	v_pk_min_f16 v11, v14, v11
	v_pk_add_f16 v14, v39, v5
	s_nop 0
	v_pk_min_f16 v14, v11, v14
	v_mad_i64_i32 v[10:11], s[4:5], v10, s7, 0
	v_lshl_add_u64 v[10:11], v[10:11], 1, s[2:3]
	v_lshrrev_b32_e32 v15, 16, v14
	v_min3_f16 v13, v13, v14, v15
	v_lshl_add_u64 v[14:15], v[36:37], 1, v[10:11]
	global_store_short v[14:15], v13, off
	s_cbranch_vccnz .LBB215_141
; %bb.140:
	v_lshl_add_u64 v[12:13], v[40:41], 1, v[8:9]
	flat_load_ushort v12, v[12:13]
	s_waitcnt vmcnt(0) lgkmcnt(0)
	v_mul_f16_e32 v12, s22, v12
.LBB215_141:
	v_pk_add_f16 v13, v0, v4
	v_pk_max_f16 v14, v68, v68
	s_and_b64 vcc, exec, s[0:1]
	v_pk_min_f16 v13, v14, v13
	v_pk_add_f16 v14, v1, v5
	s_nop 0
	v_pk_min_f16 v13, v13, v14
	s_nop 0
	v_lshrrev_b32_e32 v14, 16, v13
	v_min3_f16 v14, v12, v13, v14
	v_lshl_add_u64 v[12:13], v[40:41], 1, v[10:11]
	global_store_short v[12:13], v14, off
	v_mov_b32_e32 v12, 0
	v_mov_b32_e32 v13, 0
	s_cbranch_vccnz .LBB215_143
; %bb.142:
	v_lshl_add_u64 v[14:15], v[44:45], 1, v[8:9]
	flat_load_ushort v13, v[14:15]
	s_waitcnt vmcnt(0) lgkmcnt(0)
	v_mul_f16_e32 v13, s22, v13
.LBB215_143:
	v_pk_add_f16 v14, v2, v4
	v_pk_max_f16 v15, v67, v67
	s_and_b64 vcc, exec, s[0:1]
	v_pk_min_f16 v14, v15, v14
	v_pk_add_f16 v15, v3, v5
	s_nop 0
	v_pk_min_f16 v14, v14, v15
	s_nop 0
	v_lshrrev_b32_e32 v15, 16, v14
	v_min3_f16 v13, v13, v14, v15
	v_lshl_add_u64 v[14:15], v[44:45], 1, v[10:11]
	global_store_short v[14:15], v13, off
	s_cbranch_vccnz .LBB215_145
; %bb.144:
	v_lshl_add_u64 v[8:9], v[42:43], 1, v[8:9]
	flat_load_ushort v8, v[8:9]
	s_waitcnt vmcnt(0) lgkmcnt(0)
	v_mul_f16_e32 v12, s22, v8
.LBB215_145:
	v_pk_add_f16 v4, v32, v4
	v_pk_max_f16 v8, v66, v66
	v_pk_add_f16 v5, v33, v5
	v_pk_min_f16 v4, v8, v4
	s_and_b64 vcc, exec, s[0:1]
	v_pk_min_f16 v4, v4, v5
	s_nop 0
	v_lshrrev_b32_e32 v5, 16, v4
	v_min3_f16 v8, v12, v4, v5
	v_lshl_add_u64 v[4:5], v[42:43], 1, v[10:11]
	global_store_short v[4:5], v8, off
	v_add_u32_e32 v8, 0x70, v52
	v_mad_i64_i32 v[4:5], s[4:5], v8, s6, 0
	v_lshl_add_u64 v[4:5], v[4:5], 1, s[10:11]
	v_mov_b32_e32 v10, 0
	v_mov_b32_e32 v11, 0
	s_cbranch_vccnz .LBB215_147
; %bb.146:
	v_lshl_add_u64 v[12:13], v[36:37], 1, v[4:5]
	flat_load_ushort v9, v[12:13]
	s_waitcnt vmcnt(0) lgkmcnt(0)
	v_mul_f16_e32 v11, s22, v9
.LBB215_147:
	v_pk_add_f16 v9, v38, v6
	v_pk_max_f16 v12, v65, v65
	s_and_b64 vcc, exec, s[0:1]
	v_pk_min_f16 v9, v12, v9
	v_pk_add_f16 v12, v39, v7
	s_nop 0
	v_pk_min_f16 v12, v9, v12
	v_mad_i64_i32 v[8:9], s[4:5], v8, s7, 0
	v_lshl_add_u64 v[8:9], v[8:9], 1, s[2:3]
	v_lshrrev_b32_e32 v13, 16, v12
	v_min3_f16 v11, v11, v12, v13
	v_lshl_add_u64 v[12:13], v[36:37], 1, v[8:9]
	global_store_short v[12:13], v11, off
	s_cbranch_vccnz .LBB215_149
; %bb.148:
	v_lshl_add_u64 v[10:11], v[40:41], 1, v[4:5]
	flat_load_ushort v10, v[10:11]
	s_waitcnt vmcnt(0) lgkmcnt(0)
	v_mul_f16_e32 v10, s22, v10
.LBB215_149:
	v_pk_add_f16 v11, v0, v6
	v_pk_max_f16 v12, v64, v64
	s_and_b64 vcc, exec, s[0:1]
	v_pk_min_f16 v11, v12, v11
	v_pk_add_f16 v12, v1, v7
	s_nop 0
	v_pk_min_f16 v11, v11, v12
	s_nop 0
	v_lshrrev_b32_e32 v12, 16, v11
	v_min3_f16 v12, v10, v11, v12
	v_lshl_add_u64 v[10:11], v[40:41], 1, v[8:9]
	global_store_short v[10:11], v12, off
	v_mov_b32_e32 v10, 0
	v_mov_b32_e32 v11, 0
	s_cbranch_vccnz .LBB215_151
; %bb.150:
	v_lshl_add_u64 v[12:13], v[44:45], 1, v[4:5]
	flat_load_ushort v11, v[12:13]
	s_waitcnt vmcnt(0) lgkmcnt(0)
	v_mul_f16_e32 v11, s22, v11
.LBB215_151:
	v_pk_add_f16 v12, v2, v6
	v_pk_max_f16 v13, v62, v62
	s_and_b64 vcc, exec, s[0:1]
	v_pk_min_f16 v12, v13, v12
	v_pk_add_f16 v13, v3, v7
	s_nop 0
	v_pk_min_f16 v12, v12, v13
	s_nop 0
	v_lshrrev_b32_e32 v13, 16, v12
	v_min3_f16 v11, v11, v12, v13
	v_lshl_add_u64 v[12:13], v[44:45], 1, v[8:9]
	global_store_short v[12:13], v11, off
	s_cbranch_vccnz .LBB215_153
; %bb.152:
	v_lshl_add_u64 v[4:5], v[42:43], 1, v[4:5]
	flat_load_ushort v4, v[4:5]
	s_waitcnt vmcnt(0) lgkmcnt(0)
	v_mul_f16_e32 v10, s22, v4
.LBB215_153:
	v_pk_add_f16 v4, v32, v6
	v_pk_max_f16 v5, v61, v61
	s_and_b64 vcc, exec, s[0:1]
	v_pk_min_f16 v4, v5, v4
	v_pk_add_f16 v5, v33, v7
	s_nop 0
	v_pk_min_f16 v4, v4, v5
	s_nop 0
	v_lshrrev_b32_e32 v5, 16, v4
	v_min3_f16 v6, v10, v4, v5
	v_lshl_add_u64 v[4:5], v[42:43], 1, v[8:9]
	global_store_short v[4:5], v6, off
	v_add_u32_e32 v6, 0x78, v52
	v_mad_i64_i32 v[4:5], s[4:5], v6, s6, 0
	v_lshl_add_u64 v[4:5], v[4:5], 1, s[10:11]
	v_mov_b32_e32 v8, 0
	v_mov_b32_e32 v9, 0
	s_cbranch_vccnz .LBB215_155
; %bb.154:
	v_lshl_add_u64 v[10:11], v[36:37], 1, v[4:5]
	flat_load_ushort v7, v[10:11]
	s_waitcnt vmcnt(0) lgkmcnt(0)
	v_mul_f16_e32 v9, s22, v7
.LBB215_155:
	v_pk_add_f16 v7, v38, v34
	v_pk_max_f16 v10, v60, v60
	s_and_b64 vcc, exec, s[0:1]
	v_pk_min_f16 v7, v10, v7
	v_pk_add_f16 v10, v39, v35
	s_nop 0
	v_pk_min_f16 v10, v7, v10
	v_mad_i64_i32 v[6:7], s[4:5], v6, s7, 0
	v_lshl_add_u64 v[6:7], v[6:7], 1, s[2:3]
	v_lshrrev_b32_e32 v11, 16, v10
	v_min3_f16 v9, v9, v10, v11
	v_lshl_add_u64 v[10:11], v[36:37], 1, v[6:7]
	global_store_short v[10:11], v9, off
	s_cbranch_vccnz .LBB215_157
; %bb.156:
	v_lshl_add_u64 v[8:9], v[40:41], 1, v[4:5]
	flat_load_ushort v8, v[8:9]
	s_waitcnt vmcnt(0) lgkmcnt(0)
	v_mul_f16_e32 v8, s22, v8
.LBB215_157:
	v_pk_add_f16 v0, v0, v34
	v_pk_max_f16 v9, v58, v58
	v_pk_add_f16 v2, v2, v34
	v_pk_min_f16 v0, v9, v0
	v_pk_max_f16 v9, v59, v59
	v_pk_add_f16 v1, v1, v35
	v_pk_min_f16 v2, v9, v2
	v_pk_min_f16 v0, v0, v1
	v_pk_add_f16 v1, v3, v35
	s_mov_b64 vcc, s[8:9]
	v_pk_min_f16 v2, v2, v1
	v_lshrrev_b32_e32 v1, 16, v0
	v_min3_f16 v3, v8, v0, v1
	v_lshl_add_u64 v[0:1], v[40:41], 1, v[6:7]
	global_store_short v[0:1], v3, off
	v_min_f16_sdwa v0, v2, v2 dst_sel:DWORD dst_unused:UNUSED_PAD src0_sel:DWORD src1_sel:WORD_1
	v_max_f16_e32 v0, v0, v0
	s_cbranch_vccz .LBB215_160
; %bb.158:
	v_min_f16_e32 v1, 0, v0
	v_lshl_add_u64 v[2:3], v[44:45], 1, v[6:7]
	s_mov_b32 s2, 0
	global_store_short v[2:3], v1, off
	s_cbranch_execz .LBB215_161
; %bb.159:
	v_mov_b32_e32 v0, s2
	s_branch .LBB215_162
.LBB215_160:
                                        ; implicit-def: $sgpr2
.LBB215_161:
	v_lshlrev_b64 v[2:3], 1, v[44:45]
	v_lshl_add_u64 v[8:9], v[4:5], 0, v[2:3]
	flat_load_ushort v1, v[8:9]
	v_lshl_add_u64 v[2:3], v[6:7], 0, v[2:3]
	s_waitcnt vmcnt(0) lgkmcnt(0)
	v_mul_f16_e32 v1, s22, v1
	v_min_f16_e32 v0, v1, v0
	global_store_short v[2:3], v0, off
	v_lshl_add_u64 v[0:1], v[42:43], 1, v[4:5]
	flat_load_ushort v0, v[0:1]
	s_waitcnt vmcnt(0) lgkmcnt(0)
	v_mul_f16_e32 v0, s22, v0
.LBB215_162:
	v_pk_add_f16 v1, v32, v34
	v_pk_max_f16 v2, v63, v63
	s_nop 0
	v_pk_min_f16 v1, v2, v1
	v_pk_add_f16 v2, v33, v35
	s_nop 0
	v_pk_min_f16 v1, v1, v2
	s_nop 0
	v_lshrrev_b32_e32 v2, 16, v1
	v_min3_f16 v2, v0, v1, v2
	v_lshl_add_u64 v[0:1], v[42:43], 1, v[6:7]
	global_store_short v[0:1], v2, off
	s_endpgm
	.section	.rodata,"a",@progbits
	.p2align	6, 0x0
	.amdhsa_kernel _ZN12_GLOBAL__N_120geam_min_plus_kernelIDF16_Dv2_DF16_S1_Li32ELi8ELi128ELi128ELi4ELi4ELi64ELi4ELi64ELc84ELc78ELb0ELb0ELb1EDF16_KPKDF16_KPDF16_EEviiiT16_PT17_ilS9_ilS7_S9_ilPT18_ili26rocblas_geam_ex_operation_
		.amdhsa_group_segment_fixed_size 4096
		.amdhsa_private_segment_fixed_size 0
		.amdhsa_kernarg_size 128
		.amdhsa_user_sgpr_count 2
		.amdhsa_user_sgpr_dispatch_ptr 0
		.amdhsa_user_sgpr_queue_ptr 0
		.amdhsa_user_sgpr_kernarg_segment_ptr 1
		.amdhsa_user_sgpr_dispatch_id 0
		.amdhsa_user_sgpr_kernarg_preload_length 0
		.amdhsa_user_sgpr_kernarg_preload_offset 0
		.amdhsa_user_sgpr_private_segment_size 0
		.amdhsa_uses_dynamic_stack 0
		.amdhsa_enable_private_segment 0
		.amdhsa_system_sgpr_workgroup_id_x 1
		.amdhsa_system_sgpr_workgroup_id_y 0
		.amdhsa_system_sgpr_workgroup_id_z 1
		.amdhsa_system_sgpr_workgroup_info 0
		.amdhsa_system_vgpr_workitem_id 1
		.amdhsa_next_free_vgpr 168
		.amdhsa_next_free_sgpr 26
		.amdhsa_accum_offset 168
		.amdhsa_reserve_vcc 1
		.amdhsa_float_round_mode_32 0
		.amdhsa_float_round_mode_16_64 0
		.amdhsa_float_denorm_mode_32 3
		.amdhsa_float_denorm_mode_16_64 3
		.amdhsa_dx10_clamp 1
		.amdhsa_ieee_mode 1
		.amdhsa_fp16_overflow 0
		.amdhsa_tg_split 0
		.amdhsa_exception_fp_ieee_invalid_op 0
		.amdhsa_exception_fp_denorm_src 0
		.amdhsa_exception_fp_ieee_div_zero 0
		.amdhsa_exception_fp_ieee_overflow 0
		.amdhsa_exception_fp_ieee_underflow 0
		.amdhsa_exception_fp_ieee_inexact 0
		.amdhsa_exception_int_div_zero 0
	.end_amdhsa_kernel
	.section	.text._ZN12_GLOBAL__N_120geam_min_plus_kernelIDF16_Dv2_DF16_S1_Li32ELi8ELi128ELi128ELi4ELi4ELi64ELi4ELi64ELc84ELc78ELb0ELb0ELb1EDF16_KPKDF16_KPDF16_EEviiiT16_PT17_ilS9_ilS7_S9_ilPT18_ili26rocblas_geam_ex_operation_,"axG",@progbits,_ZN12_GLOBAL__N_120geam_min_plus_kernelIDF16_Dv2_DF16_S1_Li32ELi8ELi128ELi128ELi4ELi4ELi64ELi4ELi64ELc84ELc78ELb0ELb0ELb1EDF16_KPKDF16_KPDF16_EEviiiT16_PT17_ilS9_ilS7_S9_ilPT18_ili26rocblas_geam_ex_operation_,comdat
.Lfunc_end215:
	.size	_ZN12_GLOBAL__N_120geam_min_plus_kernelIDF16_Dv2_DF16_S1_Li32ELi8ELi128ELi128ELi4ELi4ELi64ELi4ELi64ELc84ELc78ELb0ELb0ELb1EDF16_KPKDF16_KPDF16_EEviiiT16_PT17_ilS9_ilS7_S9_ilPT18_ili26rocblas_geam_ex_operation_, .Lfunc_end215-_ZN12_GLOBAL__N_120geam_min_plus_kernelIDF16_Dv2_DF16_S1_Li32ELi8ELi128ELi128ELi4ELi4ELi64ELi4ELi64ELc84ELc78ELb0ELb0ELb1EDF16_KPKDF16_KPDF16_EEviiiT16_PT17_ilS9_ilS7_S9_ilPT18_ili26rocblas_geam_ex_operation_
                                        ; -- End function
	.section	.AMDGPU.csdata,"",@progbits
; Kernel info:
; codeLenInByte = 17020
; NumSgprs: 32
; NumVgprs: 168
; NumAgprs: 0
; TotalNumVgprs: 168
; ScratchSize: 0
; MemoryBound: 0
; FloatMode: 240
; IeeeMode: 1
; LDSByteSize: 4096 bytes/workgroup (compile time only)
; SGPRBlocks: 3
; VGPRBlocks: 20
; NumSGPRsForWavesPerEU: 32
; NumVGPRsForWavesPerEU: 168
; AccumOffset: 168
; Occupancy: 3
; WaveLimiterHint : 1
; COMPUTE_PGM_RSRC2:SCRATCH_EN: 0
; COMPUTE_PGM_RSRC2:USER_SGPR: 2
; COMPUTE_PGM_RSRC2:TRAP_HANDLER: 0
; COMPUTE_PGM_RSRC2:TGID_X_EN: 1
; COMPUTE_PGM_RSRC2:TGID_Y_EN: 0
; COMPUTE_PGM_RSRC2:TGID_Z_EN: 1
; COMPUTE_PGM_RSRC2:TIDIG_COMP_CNT: 1
; COMPUTE_PGM_RSRC3_GFX90A:ACCUM_OFFSET: 41
; COMPUTE_PGM_RSRC3_GFX90A:TG_SPLIT: 0
	.section	.text._ZN12_GLOBAL__N_120geam_min_plus_kernelIDF16_Dv2_DF16_S1_Li32ELi8ELi128ELi128ELi4ELi4ELi64ELi4ELi64ELc84ELc78ELb0ELb1ELb1EPKDF16_KS3_KPDF16_EEviiiT16_PT17_ilS9_ilS7_S9_ilPT18_ili26rocblas_geam_ex_operation_,"axG",@progbits,_ZN12_GLOBAL__N_120geam_min_plus_kernelIDF16_Dv2_DF16_S1_Li32ELi8ELi128ELi128ELi4ELi4ELi64ELi4ELi64ELc84ELc78ELb0ELb1ELb1EPKDF16_KS3_KPDF16_EEviiiT16_PT17_ilS9_ilS7_S9_ilPT18_ili26rocblas_geam_ex_operation_,comdat
	.globl	_ZN12_GLOBAL__N_120geam_min_plus_kernelIDF16_Dv2_DF16_S1_Li32ELi8ELi128ELi128ELi4ELi4ELi64ELi4ELi64ELc84ELc78ELb0ELb1ELb1EPKDF16_KS3_KPDF16_EEviiiT16_PT17_ilS9_ilS7_S9_ilPT18_ili26rocblas_geam_ex_operation_ ; -- Begin function _ZN12_GLOBAL__N_120geam_min_plus_kernelIDF16_Dv2_DF16_S1_Li32ELi8ELi128ELi128ELi4ELi4ELi64ELi4ELi64ELc84ELc78ELb0ELb1ELb1EPKDF16_KS3_KPDF16_EEviiiT16_PT17_ilS9_ilS7_S9_ilPT18_ili26rocblas_geam_ex_operation_
	.p2align	8
	.type	_ZN12_GLOBAL__N_120geam_min_plus_kernelIDF16_Dv2_DF16_S1_Li32ELi8ELi128ELi128ELi4ELi4ELi64ELi4ELi64ELc84ELc78ELb0ELb1ELb1EPKDF16_KS3_KPDF16_EEviiiT16_PT17_ilS9_ilS7_S9_ilPT18_ili26rocblas_geam_ex_operation_,@function
_ZN12_GLOBAL__N_120geam_min_plus_kernelIDF16_Dv2_DF16_S1_Li32ELi8ELi128ELi128ELi4ELi4ELi64ELi4ELi64ELc84ELc78ELb0ELb1ELb1EPKDF16_KS3_KPDF16_EEviiiT16_PT17_ilS9_ilS7_S9_ilPT18_ili26rocblas_geam_ex_operation_: ; @_ZN12_GLOBAL__N_120geam_min_plus_kernelIDF16_Dv2_DF16_S1_Li32ELi8ELi128ELi128ELi4ELi4ELi64ELi4ELi64ELc84ELc78ELb0ELb1ELb1EPKDF16_KS3_KPDF16_EEviiiT16_PT17_ilS9_ilS7_S9_ilPT18_ili26rocblas_geam_ex_operation_
; %bb.0:
	s_load_dwordx4 s[4:7], s[0:1], 0x10
	s_load_dwordx4 s[8:11], s[0:1], 0x28
	s_load_dwordx4 s[12:15], s[0:1], 0x40
	s_load_dwordx2 s[16:17], s[0:1], 0x50
	s_mov_b32 s22, s3
	s_mov_b32 s23, 0
	s_lshl_b64 s[18:19], s[22:23], 1
	s_waitcnt lgkmcnt(0)
	s_add_u32 s4, s4, s18
	s_addc_u32 s5, s5, s19
	v_mov_b32_e32 v1, 0
	global_load_ushort v92, v1, s[4:5]
	s_add_u32 s4, s14, s18
	s_addc_u32 s5, s15, s19
	global_load_ushort v52, v1, s[4:5]
	s_mov_b64 s[24:25], 0
	s_mov_b64 s[26:27], 0
	s_waitcnt vmcnt(1)
	v_cmp_eq_f16_e32 vcc, 0, v92
	v_cmp_neq_f16_e64 s[4:5], 0, v92
	s_cbranch_vccnz .LBB216_2
; %bb.1:
	s_lshl_b64 s[14:15], s[22:23], 3
	s_add_u32 s6, s6, s14
	s_addc_u32 s7, s7, s15
	s_load_dwordx2 s[6:7], s[6:7], 0x0
	s_lshl_b64 s[8:9], s[8:9], 1
	s_waitcnt lgkmcnt(0)
	s_add_u32 s26, s6, s8
	s_addc_u32 s27, s7, s9
.LBB216_2:
	s_andn2_b64 vcc, exec, s[4:5]
	s_cbranch_vccnz .LBB216_4
; %bb.3:
	s_lshl_b64 s[4:5], s[22:23], 3
	s_add_u32 s4, s10, s4
	s_addc_u32 s5, s11, s5
	s_load_dwordx2 s[4:5], s[4:5], 0x0
	s_lshl_b64 s[6:7], s[12:13], 1
	s_waitcnt lgkmcnt(0)
	s_add_u32 s24, s4, s6
	s_addc_u32 s25, s5, s7
.LBB216_4:
	s_load_dwordx4 s[4:7], s[0:1], 0x60
	s_waitcnt vmcnt(0)
	v_cmp_eq_f16_e32 vcc, 0, v52
	v_cmp_neq_f16_e64 s[14:15], 0, v52
	s_cbranch_vccnz .LBB216_6
; %bb.5:
	s_lshl_b64 s[8:9], s[22:23], 3
	s_add_u32 s8, s16, s8
	s_addc_u32 s9, s17, s9
	s_load_dwordx2 s[8:9], s[8:9], 0x0
	s_waitcnt lgkmcnt(0)
	s_lshl_b64 s[4:5], s[4:5], 1
	s_add_u32 s20, s8, s4
	s_addc_u32 s21, s9, s5
	s_branch .LBB216_7
.LBB216_6:
	s_mov_b64 s[20:21], 0
.LBB216_7:
	s_load_dwordx4 s[16:19], s[0:1], 0x0
	s_load_dword s31, s[0:1], 0x20
	s_waitcnt lgkmcnt(0)
	s_lshl_b64 s[4:5], s[22:23], 3
	s_add_u32 s4, s6, s4
	s_addc_u32 s5, s7, s5
	s_add_i32 s8, s16, -1
	s_ashr_i32 s3, s8, 31
	s_lshr_b32 s3, s3, 25
	s_add_i32 s3, s8, s3
	s_ashr_i32 s3, s3, 7
	s_add_i32 s6, s3, 1
	v_cvt_f32_u32_e32 v1, s6
	s_load_dwordx2 s[22:23], s[4:5], 0x0
	s_not_b32 s3, s3
	v_and_b32_e32 v86, 0x3ff, v0
	v_rcp_iflag_f32_e32 v1, v1
	v_bfe_u32 v87, v0, 10, 10
	v_lshl_add_u32 v0, v87, 5, v86
	v_lshrrev_b32_e32 v4, 2, v0
	v_mul_f32_e32 v1, 0x4f7ffffe, v1
	v_cvt_u32_f32_e32 v1, v1
	v_and_b32_e32 v97, 3, v86
	v_cmp_le_i32_e64 s[12:13], s18, v97
	v_cmp_eq_f16_e32 vcc, 0, v92
	v_readfirstlane_b32 s4, v1
	s_mul_i32 s3, s3, s4
	s_mul_hi_u32 s3, s4, s3
	s_add_i32 s4, s4, s3
	s_mul_hi_u32 s3, s2, s4
	s_mul_i32 s4, s3, s6
	s_sub_i32 s4, s2, s4
	s_add_i32 s5, s3, 1
	s_sub_i32 s7, s4, s6
	s_cmp_ge_u32 s4, s6
	s_cselect_b32 s3, s5, s3
	s_cselect_b32 s4, s7, s4
	s_add_i32 s5, s3, 1
	s_cmp_ge_u32 s4, s6
	s_cselect_b32 s9, s5, s3
	s_mul_i32 s3, s9, s6
	s_sub_i32 s2, s2, s3
	s_lshl_b32 s28, s2, 7
	v_add_u32_e32 v40, s28, v4
	s_add_i32 s19, s18, -1
	v_cmp_le_i32_e64 s[4:5], s16, v40
	v_min_i32_e32 v0, s19, v97
	v_mov_b32_e32 v6, 0x7c00
	s_or_b64 s[2:3], s[12:13], s[4:5]
	v_ashrrev_i32_e32 v1, 31, v0
	v_cndmask_b32_e64 v5, 0, v6, s[2:3]
	s_or_b64 s[2:3], vcc, s[2:3]
	v_lshl_add_u64 v[2:3], v[0:1], 1, s[26:27]
	s_xor_b64 s[6:7], s[2:3], -1
	s_and_saveexec_b64 s[2:3], s[6:7]
	s_cbranch_execz .LBB216_9
; %bb.8:
	v_mad_i64_i32 v[8:9], s[6:7], v40, s31, 0
	v_lshl_add_u64 v[8:9], v[8:9], 1, v[2:3]
	flat_load_ushort v5, v[8:9]
	s_waitcnt vmcnt(0) lgkmcnt(0)
	v_mul_f16_e32 v5, v92, v5
.LBB216_9:
	s_or_b64 exec, exec, s[2:3]
	v_add_u32_e32 v7, 64, v40
	v_cmp_le_i32_e64 s[6:7], s16, v7
	s_or_b64 s[2:3], s[12:13], s[6:7]
	v_cndmask_b32_e64 v6, 0, v6, s[2:3]
	s_or_b64 s[2:3], vcc, s[2:3]
	v_min_i32_e32 v42, s8, v7
	s_xor_b64 s[10:11], s[2:3], -1
	s_and_saveexec_b64 s[2:3], s[10:11]
	s_cbranch_execz .LBB216_11
; %bb.10:
	v_mad_i64_i32 v[6:7], s[10:11], v42, s31, 0
	v_lshl_add_u64 v[2:3], v[6:7], 1, v[2:3]
	flat_load_ushort v2, v[2:3]
	s_waitcnt vmcnt(0) lgkmcnt(0)
	v_mul_f16_e32 v6, v92, v2
.LBB216_11:
	s_or_b64 exec, exec, s[2:3]
	s_lshl_b32 s29, s9, 7
	s_load_dword s33, s[0:1], 0x38
	v_add_u32_e32 v44, s29, v4
	v_cmp_le_i32_e64 s[8:9], s17, v44
	v_mov_b32_e32 v2, 0x7c00
	s_or_b64 s[2:3], s[12:13], s[8:9]
	v_cndmask_b32_e64 v7, 0, v2, s[2:3]
	s_or_b64 s[2:3], vcc, s[2:3]
	v_lshl_add_u64 v[0:1], v[0:1], 1, s[24:25]
	s_xor_b64 s[10:11], s[2:3], -1
	s_and_saveexec_b64 s[2:3], s[10:11]
	s_cbranch_execz .LBB216_13
; %bb.12:
	s_waitcnt lgkmcnt(0)
	v_mad_i64_i32 v[8:9], s[10:11], v44, s33, 0
	v_lshl_add_u64 v[8:9], v[8:9], 1, v[0:1]
	flat_load_ushort v3, v[8:9]
	s_waitcnt vmcnt(0) lgkmcnt(0)
	v_mul_f16_e32 v7, v92, v3
.LBB216_13:
	s_or_b64 exec, exec, s[2:3]
	v_add_u32_e32 v3, 64, v44
	s_add_i32 s2, s17, -1
	v_cmp_le_i32_e64 s[10:11], s17, v3
	v_min_i32_e32 v46, s2, v3
	s_or_b64 s[2:3], s[12:13], s[10:11]
	v_cndmask_b32_e64 v8, 0, v2, s[2:3]
	s_or_b64 s[2:3], vcc, s[2:3]
	s_xor_b64 s[12:13], s[2:3], -1
	s_and_saveexec_b64 s[2:3], s[12:13]
	s_cbranch_execz .LBB216_15
; %bb.14:
	s_waitcnt lgkmcnt(0)
	v_mad_i64_i32 v[2:3], s[12:13], v46, s33, 0
	v_lshl_add_u64 v[0:1], v[2:3], 1, v[0:1]
	flat_load_ushort v0, v[0:1]
	s_waitcnt vmcnt(0) lgkmcnt(0)
	v_mul_f16_e32 v8, v92, v0
.LBB216_15:
	s_or_b64 exec, exec, s[2:3]
	v_or_b32_e32 v0, 4, v97
	v_cmp_le_i32_e64 s[12:13], s18, v0
	v_min_i32_e32 v0, s19, v0
	v_mov_b32_e32 v9, 0x7c00
	s_or_b64 s[2:3], s[12:13], s[4:5]
	v_ashrrev_i32_e32 v1, 31, v0
	v_cndmask_b32_e64 v41, 0, v9, s[2:3]
	s_or_b64 s[2:3], vcc, s[2:3]
	v_lshl_add_u64 v[2:3], v[0:1], 1, s[26:27]
	s_xor_b64 s[34:35], s[2:3], -1
	s_and_saveexec_b64 s[2:3], s[34:35]
	s_cbranch_execz .LBB216_17
; %bb.16:
	v_mad_i64_i32 v[10:11], s[34:35], v40, s31, 0
	v_lshl_add_u64 v[10:11], v[10:11], 1, v[2:3]
	flat_load_ushort v10, v[10:11]
	s_waitcnt vmcnt(0) lgkmcnt(0)
	v_mul_f16_e32 v41, v92, v10
.LBB216_17:
	s_or_b64 exec, exec, s[2:3]
	s_or_b64 s[2:3], s[12:13], s[6:7]
	v_cndmask_b32_e64 v43, 0, v9, s[2:3]
	s_or_b64 s[2:3], vcc, s[2:3]
	s_xor_b64 s[34:35], s[2:3], -1
	s_and_saveexec_b64 s[2:3], s[34:35]
	s_cbranch_execz .LBB216_19
; %bb.18:
	v_mad_i64_i32 v[10:11], s[34:35], v42, s31, 0
	v_lshl_add_u64 v[2:3], v[10:11], 1, v[2:3]
	flat_load_ushort v2, v[2:3]
	s_waitcnt vmcnt(0) lgkmcnt(0)
	v_mul_f16_e32 v43, v92, v2
.LBB216_19:
	s_or_b64 exec, exec, s[2:3]
	v_mov_b32_e32 v2, 0x7c00
	s_or_b64 s[2:3], s[12:13], s[8:9]
	v_cndmask_b32_e64 v45, 0, v2, s[2:3]
	s_or_b64 s[2:3], vcc, s[2:3]
	v_lshl_add_u64 v[0:1], v[0:1], 1, s[24:25]
	s_xor_b64 s[34:35], s[2:3], -1
	s_and_saveexec_b64 s[2:3], s[34:35]
	s_cbranch_execz .LBB216_21
; %bb.20:
	s_waitcnt lgkmcnt(0)
	v_mad_i64_i32 v[10:11], s[34:35], v44, s33, 0
	v_lshl_add_u64 v[10:11], v[10:11], 1, v[0:1]
	flat_load_ushort v3, v[10:11]
	s_waitcnt vmcnt(0) lgkmcnt(0)
	v_mul_f16_e32 v45, v92, v3
.LBB216_21:
	s_or_b64 exec, exec, s[2:3]
	s_or_b64 s[2:3], s[12:13], s[10:11]
	v_cndmask_b32_e64 v47, 0, v2, s[2:3]
	s_or_b64 s[2:3], vcc, s[2:3]
	s_xor_b64 s[34:35], s[2:3], -1
	s_movk_i32 s12, 0x7c00
	s_and_saveexec_b64 s[2:3], s[34:35]
	s_cbranch_execz .LBB216_23
; %bb.22:
	s_waitcnt lgkmcnt(0)
	v_mad_i64_i32 v[2:3], s[34:35], v46, s33, 0
	v_lshl_add_u64 v[0:1], v[2:3], 1, v[0:1]
	flat_load_ushort v0, v[0:1]
	s_waitcnt vmcnt(0) lgkmcnt(0)
	v_mul_f16_e32 v47, v92, v0
.LBB216_23:
	s_or_b64 exec, exec, s[2:3]
	v_lshlrev_b32_e32 v0, 1, v97
	v_lshl_or_b32 v107, v4, 3, v0
	v_lshlrev_b32_e32 v99, 3, v86
	v_lshlrev_b32_e32 v100, 3, v87
	ds_write_b16 v107, v5
	ds_write_b16 v107, v6 offset:512
	ds_write_b16 v107, v7 offset:2048
	ds_write_b16 v107, v8 offset:2560
	s_waitcnt lgkmcnt(0)
	s_barrier
	ds_read2_b64 v[4:7], v99 offset1:32
	ds_read2_b64 v[0:3], v99 offset0:64 offset1:96
	v_add_u32_e32 v108, 0x800, v100
	ds_read2_b64 v[36:39], v108 offset1:8
	ds_read2_b64 v[32:35], v108 offset0:16 offset1:24
	ds_read2_b64 v[28:31], v108 offset0:32 offset1:40
	;; [unrolled: 1-line block ×7, first 2 shown]
	s_cmp_lt_i32 s18, 9
	s_waitcnt lgkmcnt(7)
	v_pk_add_f16 v48, v4, v36
	s_waitcnt lgkmcnt(2)
	v_pk_add_f16 v79, v4, v16
	v_pk_min_f16 v48, v48, s12 op_sel_hi:[1,0]
	v_pk_min_f16 v125, v79, s12 op_sel_hi:[1,0]
	v_pk_add_f16 v79, v6, v16
	v_pk_add_f16 v49, v6, v36
	v_pk_min_f16 v126, v79, s12 op_sel_hi:[1,0]
	v_pk_add_f16 v79, v0, v16
	v_pk_add_f16 v50, v0, v36
	;; [unrolled: 3-line block ×5, first 2 shown]
	v_pk_min_f16 v130, v79, s12 op_sel_hi:[1,0]
	s_waitcnt lgkmcnt(1)
	v_pk_add_f16 v79, v4, v12
	v_pk_add_f16 v54, v0, v38
	v_pk_min_f16 v131, v79, s12 op_sel_hi:[1,0]
	v_pk_add_f16 v79, v6, v12
	v_pk_add_f16 v38, v2, v38
	v_pk_min_f16 v132, v79, s12 op_sel_hi:[1,0]
	;; [unrolled: 3-line block ×6, first 2 shown]
	s_waitcnt lgkmcnt(0)
	v_pk_add_f16 v79, v4, v8
	v_pk_add_f16 v58, v4, v34
	v_pk_min_f16 v137, v79, s12 op_sel_hi:[1,0]
	v_pk_add_f16 v79, v6, v8
	v_pk_add_f16 v59, v6, v34
	;; [unrolled: 1-line block ×32, first 2 shown]
	v_pk_min_f16 v138, v79, s12 op_sel_hi:[1,0]
	v_pk_add_f16 v79, v0, v8
	v_pk_add_f16 v8, v2, v8
	;; [unrolled: 1-line block ×7, first 2 shown]
	v_pk_min_f16 v49, v49, s12 op_sel_hi:[1,0]
	v_pk_min_f16 v124, v48, v10
	v_pk_add_f16 v10, v7, v37
	v_pk_min_f16 v50, v50, s12 op_sel_hi:[1,0]
	v_pk_min_f16 v123, v49, v10
	v_pk_add_f16 v10, v1, v37
	;; [unrolled: 3-line block ×37, first 2 shown]
	v_pk_min_f16 v78, v78, s12 op_sel_hi:[1,0]
	v_pk_min_f16 v139, v79, s12 op_sel_hi:[1,0]
	v_pk_min_f16 v79, v77, v10
	v_pk_add_f16 v10, v1, v23
	v_pk_min_f16 v22, v22, s12 op_sel_hi:[1,0]
	v_pk_min_f16 v78, v78, v10
	v_pk_add_f16 v10, v3, v23
	;; [unrolled: 3-line block ×11, first 2 shown]
	ds_write_b16 v107, v41 offset:1024
	ds_write_b16 v107, v43 offset:1536
	;; [unrolled: 1-line block ×4, first 2 shown]
	v_pk_min_f16 v68, v131, v10
	v_pk_add_f16 v10, v7, v13
	s_waitcnt lgkmcnt(0)
	v_pk_min_f16 v67, v132, v10
	v_pk_add_f16 v10, v1, v13
	s_barrier
	v_pk_min_f16 v66, v133, v10
	v_pk_add_f16 v10, v3, v13
	s_nop 0
	v_pk_min_f16 v65, v12, v10
	v_pk_add_f16 v10, v5, v15
	s_nop 0
	;; [unrolled: 3-line block ×5, first 2 shown]
	v_pk_min_f16 v61, v14, v10
	v_pk_add_f16 v10, v5, v9
	v_pk_add_f16 v5, v5, v11
	v_pk_min_f16 v60, v137, v10
	v_pk_add_f16 v10, v7, v9
	v_pk_min_f16 v55, v4, v5
	v_pk_min_f16 v59, v138, v10
	v_pk_add_f16 v10, v1, v9
	v_pk_add_f16 v1, v1, v11
	;; [unrolled: 1-line block ×4, first 2 shown]
	v_pk_min_f16 v53, v0, v1
	v_pk_add_f16 v0, v3, v11
	v_pk_min_f16 v58, v139, v10
	v_pk_min_f16 v57, v8, v9
	;; [unrolled: 1-line block ×4, first 2 shown]
	s_cbranch_scc1 .LBB216_42
; %bb.24:
	v_mov_b32_e32 v0, 0x400
	v_lshl_add_u32 v128, v86, 3, v0
	v_mov_b32_e32 v0, 0xc00
	v_add_u32_e32 v125, 0x800, v107
	v_add_u32_e32 v126, 0x400, v107
	;; [unrolled: 1-line block ×3, first 2 shown]
	s_add_i32 s30, s18, -8
	v_mad_i64_i32 v[40:41], s[2:3], v40, s31, 0
	v_mad_i64_i32 v[42:43], s[2:3], v42, s31, 0
	;; [unrolled: 1-line block ×4, first 2 shown]
	v_lshl_add_u32 v129, v87, 3, v0
	s_mov_b32 s31, 0
	v_mov_b32_e32 v130, 0x7c00
	s_branch .LBB216_26
.LBB216_25:                             ;   in Loop: Header=BB216_26 Depth=1
	s_or_b64 exec, exec, s[2:3]
	ds_read2_b64 v[4:7], v99 offset1:32
	ds_read2_b64 v[0:3], v99 offset0:64 offset1:96
	ds_read2_b64 v[134:137], v108 offset1:8
	ds_read2_b64 v[138:141], v108 offset0:16 offset1:24
	ds_read2_b64 v[28:31], v108 offset0:32 offset1:40
	;; [unrolled: 1-line block ×7, first 2 shown]
	s_waitcnt lgkmcnt(7)
	v_pk_add_f16 v48, v4, v134
	v_pk_max_f16 v49, v116, v116
	v_pk_max_f16 v115, v115, v115
	v_pk_min_f16 v48, v49, v48
	v_pk_add_f16 v49, v6, v134
	v_pk_max_f16 v114, v114, v114
	v_pk_min_f16 v49, v115, v49
	v_pk_add_f16 v115, v0, v134
	v_pk_max_f16 v113, v113, v113
	v_pk_min_f16 v114, v114, v115
	v_pk_add_f16 v115, v2, v134
	v_pk_max_f16 v112, v112, v112
	v_pk_min_f16 v113, v113, v115
	v_pk_add_f16 v115, v4, v136
	v_pk_max_f16 v111, v111, v111
	v_pk_min_f16 v112, v112, v115
	v_pk_add_f16 v115, v6, v136
	v_pk_max_f16 v110, v110, v110
	v_pk_min_f16 v111, v111, v115
	v_pk_add_f16 v115, v0, v136
	v_pk_max_f16 v109, v109, v109
	v_pk_min_f16 v110, v110, v115
	v_pk_add_f16 v115, v2, v136
	v_pk_max_f16 v106, v106, v106
	v_pk_min_f16 v109, v109, v115
	s_waitcnt lgkmcnt(6)
	v_pk_add_f16 v115, v4, v138
	v_pk_max_f16 v105, v105, v105
	v_pk_min_f16 v106, v106, v115
	v_pk_add_f16 v115, v6, v138
	v_pk_max_f16 v104, v104, v104
	v_pk_min_f16 v105, v105, v115
	;; [unrolled: 3-line block ×8, first 2 shown]
	s_waitcnt lgkmcnt(5)
	v_pk_add_f16 v115, v4, v28
	v_pk_max_f16 v94, v94, v94
	v_pk_min_f16 v95, v95, v115
	v_pk_add_f16 v115, v6, v28
	v_pk_max_f16 v91, v91, v91
	v_pk_min_f16 v94, v94, v115
	v_pk_add_f16 v115, v0, v28
	v_pk_add_f16 v28, v2, v28
	v_pk_max_f16 v90, v90, v90
	v_pk_min_f16 v28, v91, v28
	v_pk_add_f16 v91, v4, v30
	v_pk_max_f16 v89, v89, v89
	v_pk_min_f16 v90, v90, v91
	v_pk_add_f16 v91, v6, v30
	v_pk_max_f16 v85, v85, v85
	v_pk_min_f16 v89, v89, v91
	v_pk_add_f16 v91, v0, v30
	v_pk_add_f16 v30, v2, v30
	v_pk_max_f16 v84, v84, v84
	v_pk_min_f16 v30, v85, v30
	s_waitcnt lgkmcnt(4)
	v_pk_add_f16 v85, v4, v24
	v_pk_max_f16 v83, v83, v83
	v_pk_min_f16 v84, v84, v85
	v_pk_add_f16 v85, v6, v24
	v_pk_max_f16 v81, v81, v81
	v_pk_min_f16 v83, v83, v85
	v_pk_add_f16 v85, v0, v24
	v_pk_add_f16 v24, v2, v24
	v_pk_max_f16 v80, v80, v80
	v_pk_min_f16 v24, v81, v24
	v_pk_add_f16 v81, v4, v26
	v_pk_max_f16 v79, v79, v79
	v_pk_min_f16 v80, v80, v81
	v_pk_add_f16 v81, v6, v26
	v_pk_max_f16 v77, v77, v77
	v_pk_min_f16 v79, v79, v81
	v_pk_add_f16 v81, v0, v26
	v_pk_add_f16 v26, v2, v26
	v_pk_max_f16 v76, v76, v76
	v_pk_min_f16 v26, v77, v26
	;; [unrolled: 21-line block ×5, first 2 shown]
	s_waitcnt lgkmcnt(0)
	v_pk_add_f16 v53, v4, v8
	v_pk_max_f16 v39, v39, v39
	v_pk_min_f16 v51, v51, v53
	v_pk_add_f16 v53, v6, v8
	v_pk_add_f16 v4, v4, v10
	v_pk_min_f16 v39, v39, v53
	v_pk_add_f16 v53, v0, v8
	v_pk_add_f16 v8, v2, v8
	v_pk_add_f16 v6, v6, v10
	v_pk_add_f16 v0, v0, v10
	v_pk_add_f16 v2, v2, v10
	v_pk_max_f16 v10, v33, v33
	v_pk_max_f16 v93, v93, v93
	v_pk_min_f16 v2, v10, v2
	v_pk_add_f16 v10, v5, v135
	v_pk_min_f16 v93, v93, v115
	v_pk_min_f16 v124, v48, v10
	v_pk_add_f16 v10, v7, v135
	v_pk_max_f16 v88, v88, v88
	v_pk_min_f16 v123, v49, v10
	v_pk_add_f16 v10, v1, v135
	v_pk_min_f16 v88, v88, v91
	v_pk_min_f16 v122, v114, v10
	v_pk_add_f16 v10, v3, v135
	;; [unrolled: 6-line block ×10, first 2 shown]
	v_pk_max_f16 v36, v36, v36
	v_pk_min_f16 v103, v28, v10
	v_pk_add_f16 v10, v5, v31
	v_pk_max_f16 v34, v34, v34
	v_pk_min_f16 v102, v90, v10
	v_pk_add_f16 v10, v7, v31
	;; [unrolled: 3-line block ×4, first 2 shown]
	v_pk_min_f16 v4, v36, v4
	v_pk_min_f16 v96, v30, v10
	v_pk_add_f16 v10, v5, v25
	v_pk_max_f16 v35, v35, v35
	v_pk_min_f16 v95, v84, v10
	v_pk_add_f16 v10, v7, v25
	v_pk_min_f16 v0, v34, v0
	v_pk_min_f16 v94, v83, v10
	v_pk_add_f16 v10, v1, v25
	v_pk_min_f16 v38, v38, v53
	;; [unrolled: 3-line block ×4, first 2 shown]
	v_pk_min_f16 v90, v80, v10
	v_pk_add_f16 v10, v7, v27
	s_add_i32 s31, s31, 8
	v_pk_min_f16 v89, v79, v10
	v_pk_add_f16 v10, v1, v27
	s_cmp_ge_i32 s31, s30
	v_pk_min_f16 v88, v78, v10
	v_pk_add_f16 v10, v3, v27
	ds_write_b16 v126, v131
	ds_write_b16 v126, v132 offset:512
	ds_write_b16 v127, v50
	ds_write_b16 v127, v32 offset:512
	v_pk_min_f16 v85, v26, v10
	v_pk_add_f16 v10, v5, v21
	s_waitcnt lgkmcnt(0)
	v_pk_min_f16 v84, v76, v10
	v_pk_add_f16 v10, v7, v21
	s_barrier
	v_pk_min_f16 v83, v75, v10
	v_pk_add_f16 v10, v1, v21
	s_nop 0
	v_pk_min_f16 v82, v74, v10
	v_pk_add_f16 v10, v3, v21
	s_nop 0
	;; [unrolled: 3-line block ×22, first 2 shown]
	v_pk_min_f16 v61, v14, v10
	v_pk_add_f16 v10, v5, v9
	v_pk_add_f16 v5, v5, v11
	v_pk_min_f16 v60, v51, v10
	v_pk_add_f16 v10, v7, v9
	v_pk_min_f16 v55, v4, v5
	v_pk_min_f16 v59, v39, v10
	v_pk_add_f16 v10, v1, v9
	v_pk_add_f16 v1, v1, v11
	v_pk_add_f16 v9, v3, v9
	v_pk_add_f16 v4, v7, v11
	v_pk_min_f16 v53, v0, v1
	v_pk_add_f16 v0, v3, v11
	v_pk_min_f16 v58, v38, v10
	v_pk_min_f16 v57, v8, v9
	v_pk_min_f16 v54, v6, v4
	v_pk_min_f16 v56, v2, v0
	s_cbranch_scc1 .LBB216_42
.LBB216_26:                             ; =>This Inner Loop Header: Depth=1
	v_add_u32_e32 v48, s31, v97
	v_add_u32_e32 v0, 8, v48
	v_cmp_le_i32_e64 s[12:13], s18, v0
	v_min_i32_e32 v0, s19, v0
	s_or_b64 s[2:3], s[4:5], s[12:13]
	v_ashrrev_i32_e32 v1, 31, v0
	v_cndmask_b32_e64 v49, 0, v130, s[2:3]
	s_or_b64 s[2:3], vcc, s[2:3]
	v_lshl_add_u64 v[2:3], v[0:1], 1, s[26:27]
	s_xor_b64 s[34:35], s[2:3], -1
	s_and_saveexec_b64 s[2:3], s[34:35]
	s_cbranch_execz .LBB216_28
; %bb.27:                               ;   in Loop: Header=BB216_26 Depth=1
	v_lshl_add_u64 v[4:5], v[40:41], 1, v[2:3]
	flat_load_ushort v4, v[4:5]
	s_waitcnt vmcnt(0) lgkmcnt(0)
	v_mul_f16_e32 v49, v92, v4
.LBB216_28:                             ;   in Loop: Header=BB216_26 Depth=1
	s_or_b64 exec, exec, s[2:3]
	s_or_b64 s[2:3], s[6:7], s[12:13]
	v_cndmask_b32_e64 v50, 0, v130, s[2:3]
	s_or_b64 s[2:3], vcc, s[2:3]
	s_xor_b64 s[34:35], s[2:3], -1
	s_and_saveexec_b64 s[2:3], s[34:35]
	s_cbranch_execz .LBB216_30
; %bb.29:                               ;   in Loop: Header=BB216_26 Depth=1
	v_lshl_add_u64 v[2:3], v[42:43], 1, v[2:3]
	flat_load_ushort v2, v[2:3]
	s_waitcnt vmcnt(0) lgkmcnt(0)
	v_mul_f16_e32 v50, v92, v2
.LBB216_30:                             ;   in Loop: Header=BB216_26 Depth=1
	s_or_b64 exec, exec, s[2:3]
	s_or_b64 s[2:3], s[8:9], s[12:13]
	v_cndmask_b32_e64 v51, 0, v130, s[2:3]
	s_or_b64 s[2:3], vcc, s[2:3]
	v_lshl_add_u64 v[0:1], v[0:1], 1, s[24:25]
	s_xor_b64 s[34:35], s[2:3], -1
	s_and_saveexec_b64 s[2:3], s[34:35]
	s_cbranch_execz .LBB216_32
; %bb.31:                               ;   in Loop: Header=BB216_26 Depth=1
	v_lshl_add_u64 v[2:3], v[44:45], 1, v[0:1]
	flat_load_ushort v2, v[2:3]
	s_waitcnt vmcnt(0) lgkmcnt(0)
	v_mul_f16_e32 v51, v92, v2
.LBB216_32:                             ;   in Loop: Header=BB216_26 Depth=1
	s_or_b64 exec, exec, s[2:3]
	s_or_b64 s[2:3], s[10:11], s[12:13]
	v_cndmask_b32_e64 v131, 0, v130, s[2:3]
	s_or_b64 s[2:3], vcc, s[2:3]
	s_xor_b64 s[12:13], s[2:3], -1
	s_and_saveexec_b64 s[2:3], s[12:13]
	s_cbranch_execz .LBB216_34
; %bb.33:                               ;   in Loop: Header=BB216_26 Depth=1
	v_lshl_add_u64 v[0:1], v[46:47], 1, v[0:1]
	flat_load_ushort v0, v[0:1]
	s_waitcnt vmcnt(0) lgkmcnt(0)
	v_mul_f16_e32 v131, v92, v0
.LBB216_34:                             ;   in Loop: Header=BB216_26 Depth=1
	s_or_b64 exec, exec, s[2:3]
	ds_read2_b64 v[4:7], v128 offset1:32
	ds_read2_b64 v[0:3], v128 offset0:64 offset1:96
	ds_read2_b64 v[36:39], v129 offset1:8
	ds_read2_b64 v[32:35], v129 offset0:16 offset1:24
	ds_read2_b64 v[28:31], v129 offset0:32 offset1:40
	;; [unrolled: 1-line block ×7, first 2 shown]
	v_add_u32_e32 v48, 12, v48
	v_cmp_le_i32_e64 s[12:13], s18, v48
	v_min_i32_e32 v48, s19, v48
	s_or_b64 s[2:3], s[4:5], s[12:13]
	ds_write_b16 v107, v49
	ds_write_b16 v107, v50 offset:512
	ds_write_b16 v125, v51
	ds_write_b16 v125, v131 offset:512
	v_ashrrev_i32_e32 v49, 31, v48
	v_cndmask_b32_e64 v131, 0, v130, s[2:3]
	s_or_b64 s[2:3], vcc, s[2:3]
	v_lshl_add_u64 v[50:51], v[48:49], 1, s[26:27]
	s_xor_b64 s[2:3], s[2:3], -1
	s_waitcnt lgkmcnt(0)
	s_barrier
	s_and_saveexec_b64 s[34:35], s[2:3]
	s_xor_b64 s[2:3], exec, s[34:35]
	s_cbranch_execz .LBB216_36
; %bb.35:                               ;   in Loop: Header=BB216_26 Depth=1
	v_lshl_add_u64 v[132:133], v[40:41], 1, v[50:51]
	flat_load_ushort v131, v[132:133]
	s_waitcnt vmcnt(0) lgkmcnt(0)
	v_mul_f16_e32 v131, v92, v131
.LBB216_36:                             ;   in Loop: Header=BB216_26 Depth=1
	s_or_b64 exec, exec, s[2:3]
	s_or_b64 s[2:3], s[6:7], s[12:13]
	v_cndmask_b32_e64 v132, 0, v130, s[2:3]
	s_or_b64 s[2:3], vcc, s[2:3]
	s_xor_b64 s[34:35], s[2:3], -1
	s_and_saveexec_b64 s[2:3], s[34:35]
	s_cbranch_execz .LBB216_38
; %bb.37:                               ;   in Loop: Header=BB216_26 Depth=1
	v_lshl_add_u64 v[50:51], v[42:43], 1, v[50:51]
	flat_load_ushort v50, v[50:51]
	s_waitcnt vmcnt(0) lgkmcnt(0)
	v_mul_f16_e32 v132, v92, v50
.LBB216_38:                             ;   in Loop: Header=BB216_26 Depth=1
	s_or_b64 exec, exec, s[2:3]
	s_or_b64 s[2:3], s[8:9], s[12:13]
	v_cndmask_b32_e64 v50, 0, v130, s[2:3]
	s_or_b64 s[2:3], vcc, s[2:3]
	v_lshl_add_u64 v[48:49], v[48:49], 1, s[24:25]
	s_xor_b64 s[34:35], s[2:3], -1
	s_and_saveexec_b64 s[2:3], s[34:35]
	s_cbranch_execz .LBB216_40
; %bb.39:                               ;   in Loop: Header=BB216_26 Depth=1
	v_lshl_add_u64 v[50:51], v[44:45], 1, v[48:49]
	flat_load_ushort v50, v[50:51]
	s_waitcnt vmcnt(0) lgkmcnt(0)
	v_mul_f16_e32 v50, v92, v50
.LBB216_40:                             ;   in Loop: Header=BB216_26 Depth=1
	s_or_b64 exec, exec, s[2:3]
	v_pk_add_f16 v51, v4, v36
	v_pk_max_f16 v124, v124, v124
	v_pk_max_f16 v123, v123, v123
	v_pk_min_f16 v51, v124, v51
	v_pk_add_f16 v124, v6, v36
	v_pk_max_f16 v121, v121, v121
	v_pk_min_f16 v123, v123, v124
	v_pk_add_f16 v124, v0, v36
	v_pk_add_f16 v36, v2, v36
	v_pk_max_f16 v120, v120, v120
	v_pk_min_f16 v36, v121, v36
	v_pk_add_f16 v121, v4, v38
	v_pk_max_f16 v119, v119, v119
	v_pk_min_f16 v120, v120, v121
	;; [unrolled: 3-line block ×3, first 2 shown]
	v_pk_add_f16 v121, v0, v38
	v_pk_add_f16 v38, v2, v38
	v_pk_max_f16 v116, v116, v116
	v_pk_min_f16 v38, v117, v38
	v_pk_add_f16 v117, v4, v32
	v_pk_max_f16 v118, v118, v118
	v_pk_min_f16 v117, v116, v117
	;; [unrolled: 3-line block ×3, first 2 shown]
	v_pk_min_f16 v121, v115, v116
	v_pk_add_f16 v115, v0, v32
	v_pk_add_f16 v32, v2, v32
	v_pk_max_f16 v113, v113, v113
	v_pk_max_f16 v112, v112, v112
	v_pk_min_f16 v32, v113, v32
	v_pk_add_f16 v113, v4, v34
	v_pk_max_f16 v111, v111, v111
	v_pk_min_f16 v133, v112, v113
	v_pk_add_f16 v112, v6, v34
	v_pk_max_f16 v109, v109, v109
	v_pk_min_f16 v134, v111, v112
	v_pk_add_f16 v111, v0, v34
	v_pk_add_f16 v34, v2, v34
	v_pk_max_f16 v106, v106, v106
	v_pk_min_f16 v34, v109, v34
	v_pk_add_f16 v109, v4, v28
	v_pk_max_f16 v105, v105, v105
	v_pk_min_f16 v136, v106, v109
	v_pk_add_f16 v106, v6, v28
	v_pk_max_f16 v103, v103, v103
	v_pk_min_f16 v137, v105, v106
	v_pk_add_f16 v105, v0, v28
	v_pk_add_f16 v28, v2, v28
	;; [unrolled: 10-line block ×11, first 2 shown]
	v_pk_max_f16 v60, v60, v60
	v_pk_min_f16 v14, v61, v14
	v_pk_add_f16 v61, v4, v8
	v_pk_max_f16 v59, v59, v59
	v_pk_min_f16 v166, v60, v61
	v_pk_add_f16 v60, v6, v8
	v_pk_add_f16 v4, v4, v10
	v_pk_min_f16 v167, v59, v60
	v_pk_add_f16 v59, v0, v8
	v_pk_add_f16 v8, v2, v8
	;; [unrolled: 1-line block ×5, first 2 shown]
	v_pk_max_f16 v10, v56, v56
	v_pk_max_f16 v122, v122, v122
	v_pk_min_f16 v2, v10, v2
	v_pk_add_f16 v10, v5, v37
	v_pk_max_f16 v114, v114, v114
	v_pk_min_f16 v116, v51, v10
	v_pk_add_f16 v10, v7, v37
	v_pk_min_f16 v122, v122, v124
	v_pk_min_f16 v124, v114, v115
	;; [unrolled: 1-line block ×3, first 2 shown]
	v_pk_add_f16 v10, v1, v37
	v_pk_max_f16 v110, v110, v110
	v_pk_min_f16 v114, v122, v10
	v_pk_add_f16 v10, v3, v37
	v_pk_min_f16 v135, v110, v111
	v_pk_min_f16 v113, v36, v10
	v_pk_add_f16 v10, v5, v39
	v_pk_max_f16 v104, v104, v104
	v_pk_min_f16 v112, v120, v10
	v_pk_add_f16 v10, v7, v39
	v_pk_min_f16 v138, v104, v105
	v_pk_min_f16 v111, v119, v10
	;; [unrolled: 6-line block ×16, first 2 shown]
	v_pk_add_f16 v10, v1, v21
	s_or_b64 s[2:3], s[10:11], s[12:13]
	v_pk_min_f16 v74, v150, v10
	v_pk_add_f16 v10, v3, v21
	v_cndmask_b32_e64 v32, 0, v130, s[2:3]
	v_pk_min_f16 v73, v20, v10
	v_pk_add_f16 v10, v5, v23
	s_or_b64 s[2:3], vcc, s[2:3]
	v_pk_min_f16 v72, v151, v10
	v_pk_add_f16 v10, v7, v23
	s_xor_b64 s[12:13], s[2:3], -1
	v_pk_min_f16 v71, v152, v10
	v_pk_add_f16 v10, v1, v23
	s_nop 0
	v_pk_min_f16 v70, v153, v10
	v_pk_add_f16 v10, v3, v23
	s_nop 0
	v_pk_min_f16 v69, v22, v10
	v_pk_add_f16 v10, v5, v17
	s_nop 0
	v_pk_min_f16 v68, v154, v10
	v_pk_add_f16 v10, v7, v17
	s_nop 0
	v_pk_min_f16 v67, v155, v10
	v_pk_add_f16 v10, v1, v17
	s_nop 0
	v_pk_min_f16 v66, v156, v10
	v_pk_add_f16 v10, v3, v17
	s_nop 0
	v_pk_min_f16 v65, v16, v10
	v_pk_add_f16 v10, v5, v19
	s_nop 0
	v_pk_min_f16 v64, v157, v10
	v_pk_add_f16 v10, v7, v19
	s_nop 0
	v_pk_min_f16 v63, v158, v10
	v_pk_add_f16 v10, v1, v19
	s_nop 0
	v_pk_min_f16 v62, v159, v10
	v_pk_add_f16 v10, v3, v19
	s_nop 0
	v_pk_min_f16 v61, v18, v10
	v_pk_add_f16 v10, v5, v13
	s_nop 0
	v_pk_min_f16 v60, v160, v10
	v_pk_add_f16 v10, v7, v13
	s_nop 0
	v_pk_min_f16 v59, v161, v10
	v_pk_add_f16 v10, v1, v13
	s_nop 0
	v_pk_min_f16 v58, v162, v10
	v_pk_add_f16 v10, v3, v13
	s_nop 0
	v_pk_min_f16 v57, v12, v10
	v_pk_add_f16 v10, v5, v15
	s_nop 0
	v_pk_min_f16 v56, v163, v10
	v_pk_add_f16 v10, v7, v15
	s_nop 0
	v_pk_min_f16 v55, v164, v10
	v_pk_add_f16 v10, v1, v15
	s_nop 0
	v_pk_min_f16 v54, v165, v10
	v_pk_add_f16 v10, v3, v15
	s_nop 0
	v_pk_min_f16 v53, v14, v10
	v_pk_add_f16 v10, v5, v9
	v_pk_add_f16 v5, v5, v11
	v_pk_min_f16 v51, v166, v10
	v_pk_add_f16 v10, v7, v9
	v_pk_min_f16 v36, v4, v5
	v_pk_min_f16 v39, v167, v10
	v_pk_add_f16 v10, v1, v9
	v_pk_add_f16 v1, v1, v11
	;; [unrolled: 1-line block ×4, first 2 shown]
	v_pk_min_f16 v34, v0, v1
	v_pk_add_f16 v0, v3, v11
	v_pk_min_f16 v38, v168, v10
	v_pk_min_f16 v37, v8, v9
	;; [unrolled: 1-line block ×4, first 2 shown]
	s_and_saveexec_b64 s[2:3], s[12:13]
	s_cbranch_execz .LBB216_25
; %bb.41:                               ;   in Loop: Header=BB216_26 Depth=1
	v_lshl_add_u64 v[0:1], v[46:47], 1, v[48:49]
	flat_load_ushort v0, v[0:1]
	s_waitcnt vmcnt(0) lgkmcnt(0)
	v_mul_f16_e32 v32, v92, v0
	s_branch .LBB216_25
.LBB216_42:
	v_add_u32_e32 v4, 0x800, v100
	s_load_dwordx2 s[2:3], s[0:1], 0x78
	s_load_dword s19, s[0:1], 0x58
	s_load_dword s18, s[0:1], 0x70
	ds_read2_b64 v[8:11], v99 offset0:128 offset1:160
	ds_read2_b64 v[0:3], v99 offset0:192 offset1:224
	;; [unrolled: 1-line block ×10, first 2 shown]
	s_waitcnt lgkmcnt(0)
	s_lshl_b64 s[0:1], s[2:3], 1
	s_add_u32 s12, s22, s0
	v_add_u32_e32 v40, s28, v86
	v_add_u32_e32 v86, s29, v87
	s_addc_u32 s13, s23, s1
	v_mad_i64_i32 v[42:43], s[0:1], v86, s19, 0
	v_lshl_add_u64 v[50:51], v[42:43], 1, s[20:21]
	v_mad_i64_i32 v[42:43], s[0:1], v86, s18, 0
	v_cmp_gt_i32_e64 s[4:5], s16, v40
	v_cmp_gt_i32_e64 s[10:11], s17, v86
	v_lshl_add_u64 v[48:49], v[42:43], 1, s[12:13]
	v_cndmask_b32_e64 v42, 0, 1, s[14:15]
	v_ashrrev_i32_e32 v41, 31, v40
	s_and_b64 s[2:3], s[4:5], s[10:11]
	v_cmp_ne_u32_e64 s[0:1], 1, v42
	s_and_saveexec_b64 s[6:7], s[2:3]
	s_xor_b64 s[2:3], exec, s[6:7]
	s_cbranch_execz .LBB216_47
; %bb.43:
	s_and_b64 vcc, exec, s[0:1]
	s_cbranch_vccnz .LBB216_45
; %bb.44:
	v_lshl_add_u64 v[42:43], v[40:41], 1, v[50:51]
	flat_load_ushort v42, v[42:43]
	s_waitcnt vmcnt(0) lgkmcnt(0)
	v_mul_f16_e32 v42, v52, v42
	s_branch .LBB216_46
.LBB216_45:
	v_mov_b32_e32 v42, 0
.LBB216_46:
	v_pk_add_f16 v43, v8, v36
	v_pk_max_f16 v44, v124, v124
	s_nop 0
	v_pk_min_f16 v43, v44, v43
	v_pk_add_f16 v44, v9, v37
	s_nop 0
	v_pk_min_f16 v43, v43, v44
	s_nop 0
	v_lshrrev_b32_e32 v44, 16, v43
	v_min3_f16 v44, v42, v43, v44
	v_lshl_add_u64 v[42:43], v[40:41], 1, v[48:49]
	global_store_short v[42:43], v44, off
.LBB216_47:
	s_or_b64 exec, exec, s[2:3]
	v_add_u32_e32 v42, 32, v40
	v_cmp_gt_i32_e64 s[2:3], s16, v42
	v_ashrrev_i32_e32 v43, 31, v42
	s_and_b64 s[8:9], s[2:3], s[10:11]
	s_and_saveexec_b64 s[6:7], s[8:9]
	s_cbranch_execz .LBB216_52
; %bb.48:
	s_and_b64 vcc, exec, s[0:1]
	s_cbranch_vccnz .LBB216_50
; %bb.49:
	v_lshl_add_u64 v[44:45], v[42:43], 1, v[50:51]
	flat_load_ushort v44, v[44:45]
	s_waitcnt vmcnt(0) lgkmcnt(0)
	v_mul_f16_e32 v44, v52, v44
	s_branch .LBB216_51
.LBB216_50:
	v_mov_b32_e32 v44, 0
.LBB216_51:
	v_pk_add_f16 v45, v10, v36
	v_pk_max_f16 v46, v123, v123
	s_nop 0
	v_pk_min_f16 v45, v46, v45
	v_pk_add_f16 v46, v11, v37
	s_nop 0
	v_pk_min_f16 v45, v45, v46
	s_nop 0
	v_lshrrev_b32_e32 v46, 16, v45
	v_min3_f16 v46, v44, v45, v46
	v_lshl_add_u64 v[44:45], v[42:43], 1, v[48:49]
	global_store_short v[44:45], v46, off
.LBB216_52:
	s_or_b64 exec, exec, s[6:7]
	v_add_u32_e32 v44, 64, v40
	v_cmp_gt_i32_e64 s[6:7], s16, v44
	v_ashrrev_i32_e32 v45, 31, v44
	s_and_b64 s[14:15], s[6:7], s[10:11]
	s_and_saveexec_b64 s[8:9], s[14:15]
	;; [unrolled: 32-line block ×3, first 2 shown]
	s_cbranch_execz .LBB216_62
; %bb.58:
	s_and_b64 vcc, exec, s[0:1]
	s_cbranch_vccnz .LBB216_60
; %bb.59:
	v_lshl_add_u64 v[50:51], v[46:47], 1, v[50:51]
	flat_load_ushort v50, v[50:51]
	s_waitcnt vmcnt(0) lgkmcnt(0)
	v_mul_f16_e32 v50, v52, v50
	s_branch .LBB216_61
.LBB216_60:
	v_mov_b32_e32 v50, 0
.LBB216_61:
	v_pk_add_f16 v36, v2, v36
	v_pk_max_f16 v51, v121, v121
	v_pk_add_f16 v37, v3, v37
	v_pk_min_f16 v36, v51, v36
	s_nop 0
	v_pk_min_f16 v36, v36, v37
	s_nop 0
	v_lshrrev_b32_e32 v37, 16, v36
	v_min3_f16 v50, v50, v36, v37
	v_lshl_add_u64 v[36:37], v[46:47], 1, v[48:49]
	global_store_short v[36:37], v50, off
.LBB216_62:
	s_or_b64 exec, exec, s[10:11]
	v_add_u32_e32 v50, 8, v86
	v_mad_i64_i32 v[36:37], s[14:15], v50, s19, 0
	v_cmp_gt_i32_e64 s[10:11], s17, v50
	v_lshl_add_u64 v[48:49], v[36:37], 1, s[20:21]
	v_mad_i64_i32 v[36:37], s[14:15], v50, s18, 0
	v_lshl_add_u64 v[36:37], v[36:37], 1, s[12:13]
	s_and_b64 s[22:23], s[4:5], s[10:11]
	s_and_saveexec_b64 s[14:15], s[22:23]
	s_cbranch_execnz .LBB216_66
; %bb.63:
	s_or_b64 exec, exec, s[14:15]
	s_and_b64 s[22:23], s[2:3], s[10:11]
	s_and_saveexec_b64 s[14:15], s[22:23]
	s_cbranch_execnz .LBB216_70
.LBB216_64:
	s_or_b64 exec, exec, s[14:15]
	s_and_b64 s[22:23], s[6:7], s[10:11]
	s_and_saveexec_b64 s[14:15], s[22:23]
	s_cbranch_execnz .LBB216_74
.LBB216_65:
	s_or_b64 exec, exec, s[14:15]
	s_and_b64 s[14:15], s[8:9], s[10:11]
	s_and_saveexec_b64 s[10:11], s[14:15]
	s_cbranch_execnz .LBB216_78
	s_branch .LBB216_82
.LBB216_66:
	s_and_b64 vcc, exec, s[0:1]
	s_cbranch_vccnz .LBB216_68
; %bb.67:
	v_lshl_add_u64 v[50:51], v[40:41], 1, v[48:49]
	flat_load_ushort v50, v[50:51]
	s_waitcnt vmcnt(0) lgkmcnt(0)
	v_mul_f16_e32 v50, v52, v50
	s_branch .LBB216_69
.LBB216_68:
	v_mov_b32_e32 v50, 0
.LBB216_69:
	v_pk_add_f16 v51, v8, v38
	v_pk_max_f16 v87, v120, v120
	s_nop 0
	v_pk_min_f16 v51, v87, v51
	v_pk_add_f16 v87, v9, v39
	s_nop 0
	v_pk_min_f16 v51, v51, v87
	s_nop 0
	v_lshrrev_b32_e32 v87, 16, v51
	v_min3_f16 v87, v50, v51, v87
	v_lshl_add_u64 v[50:51], v[40:41], 1, v[36:37]
	global_store_short v[50:51], v87, off
	s_or_b64 exec, exec, s[14:15]
	s_and_b64 s[22:23], s[2:3], s[10:11]
	s_and_saveexec_b64 s[14:15], s[22:23]
	s_cbranch_execz .LBB216_64
.LBB216_70:
	s_and_b64 vcc, exec, s[0:1]
	s_cbranch_vccnz .LBB216_72
; %bb.71:
	v_lshl_add_u64 v[50:51], v[42:43], 1, v[48:49]
	flat_load_ushort v50, v[50:51]
	s_waitcnt vmcnt(0) lgkmcnt(0)
	v_mul_f16_e32 v50, v52, v50
	s_branch .LBB216_73
.LBB216_72:
	v_mov_b32_e32 v50, 0
.LBB216_73:
	v_pk_add_f16 v51, v10, v38
	v_pk_max_f16 v87, v119, v119
	s_nop 0
	v_pk_min_f16 v51, v87, v51
	v_pk_add_f16 v87, v11, v39
	s_nop 0
	v_pk_min_f16 v51, v51, v87
	s_nop 0
	v_lshrrev_b32_e32 v87, 16, v51
	v_min3_f16 v87, v50, v51, v87
	v_lshl_add_u64 v[50:51], v[42:43], 1, v[36:37]
	global_store_short v[50:51], v87, off
	s_or_b64 exec, exec, s[14:15]
	s_and_b64 s[22:23], s[6:7], s[10:11]
	s_and_saveexec_b64 s[14:15], s[22:23]
	s_cbranch_execz .LBB216_65
.LBB216_74:
	s_and_b64 vcc, exec, s[0:1]
	s_cbranch_vccnz .LBB216_76
; %bb.75:
	v_lshl_add_u64 v[50:51], v[44:45], 1, v[48:49]
	flat_load_ushort v50, v[50:51]
	s_waitcnt vmcnt(0) lgkmcnt(0)
	v_mul_f16_e32 v50, v52, v50
	s_branch .LBB216_77
.LBB216_76:
	v_mov_b32_e32 v50, 0
.LBB216_77:
	v_pk_add_f16 v51, v0, v38
	v_pk_max_f16 v87, v118, v118
	s_nop 0
	v_pk_min_f16 v51, v87, v51
	v_pk_add_f16 v87, v1, v39
	s_nop 0
	v_pk_min_f16 v51, v51, v87
	s_nop 0
	v_lshrrev_b32_e32 v87, 16, v51
	v_min3_f16 v87, v50, v51, v87
	v_lshl_add_u64 v[50:51], v[44:45], 1, v[36:37]
	global_store_short v[50:51], v87, off
	s_or_b64 exec, exec, s[14:15]
	s_and_b64 s[14:15], s[8:9], s[10:11]
	s_and_saveexec_b64 s[10:11], s[14:15]
	s_cbranch_execz .LBB216_82
.LBB216_78:
	s_and_b64 vcc, exec, s[0:1]
	s_cbranch_vccnz .LBB216_80
; %bb.79:
	v_lshl_add_u64 v[48:49], v[46:47], 1, v[48:49]
	flat_load_ushort v48, v[48:49]
	s_waitcnt vmcnt(0) lgkmcnt(0)
	v_mul_f16_e32 v48, v52, v48
	s_branch .LBB216_81
.LBB216_80:
	v_mov_b32_e32 v48, 0
.LBB216_81:
	v_pk_add_f16 v38, v2, v38
	v_pk_max_f16 v49, v117, v117
	v_pk_add_f16 v39, v3, v39
	v_pk_min_f16 v38, v49, v38
	v_lshl_add_u64 v[36:37], v[46:47], 1, v[36:37]
	v_pk_min_f16 v38, v38, v39
	s_nop 0
	v_lshrrev_b32_e32 v39, 16, v38
	v_min3_f16 v38, v48, v38, v39
	global_store_short v[36:37], v38, off
.LBB216_82:
	s_or_b64 exec, exec, s[10:11]
	v_add_u32_e32 v48, 16, v86
	v_mad_i64_i32 v[36:37], s[14:15], v48, s19, 0
	v_cmp_gt_i32_e64 s[10:11], s17, v48
	v_lshl_add_u64 v[38:39], v[36:37], 1, s[20:21]
	v_mad_i64_i32 v[36:37], s[14:15], v48, s18, 0
	v_lshl_add_u64 v[36:37], v[36:37], 1, s[12:13]
	s_and_b64 s[22:23], s[4:5], s[10:11]
	s_and_saveexec_b64 s[14:15], s[22:23]
	s_cbranch_execnz .LBB216_86
; %bb.83:
	s_or_b64 exec, exec, s[14:15]
	s_and_b64 s[22:23], s[2:3], s[10:11]
	s_and_saveexec_b64 s[14:15], s[22:23]
	s_cbranch_execnz .LBB216_90
.LBB216_84:
	s_or_b64 exec, exec, s[14:15]
	s_and_b64 s[22:23], s[6:7], s[10:11]
	s_and_saveexec_b64 s[14:15], s[22:23]
	s_cbranch_execnz .LBB216_94
.LBB216_85:
	s_or_b64 exec, exec, s[14:15]
	s_and_b64 s[14:15], s[8:9], s[10:11]
	s_and_saveexec_b64 s[10:11], s[14:15]
	s_cbranch_execnz .LBB216_98
	s_branch .LBB216_102
.LBB216_86:
	s_and_b64 vcc, exec, s[0:1]
	s_cbranch_vccnz .LBB216_88
; %bb.87:
	v_lshl_add_u64 v[48:49], v[40:41], 1, v[38:39]
	flat_load_ushort v48, v[48:49]
	s_waitcnt vmcnt(0) lgkmcnt(0)
	v_mul_f16_e32 v48, v52, v48
	s_branch .LBB216_89
.LBB216_88:
	v_mov_b32_e32 v48, 0
.LBB216_89:
	v_pk_add_f16 v49, v8, v32
	v_pk_max_f16 v50, v116, v116
	s_nop 0
	v_pk_min_f16 v49, v50, v49
	v_pk_add_f16 v50, v9, v33
	s_nop 0
	v_pk_min_f16 v49, v49, v50
	s_nop 0
	v_lshrrev_b32_e32 v50, 16, v49
	v_min3_f16 v50, v48, v49, v50
	v_lshl_add_u64 v[48:49], v[40:41], 1, v[36:37]
	global_store_short v[48:49], v50, off
	s_or_b64 exec, exec, s[14:15]
	s_and_b64 s[22:23], s[2:3], s[10:11]
	s_and_saveexec_b64 s[14:15], s[22:23]
	s_cbranch_execz .LBB216_84
.LBB216_90:
	s_and_b64 vcc, exec, s[0:1]
	s_cbranch_vccnz .LBB216_92
; %bb.91:
	v_lshl_add_u64 v[48:49], v[42:43], 1, v[38:39]
	flat_load_ushort v48, v[48:49]
	s_waitcnt vmcnt(0) lgkmcnt(0)
	v_mul_f16_e32 v48, v52, v48
	s_branch .LBB216_93
.LBB216_92:
	v_mov_b32_e32 v48, 0
.LBB216_93:
	v_pk_add_f16 v49, v10, v32
	v_pk_max_f16 v50, v115, v115
	s_nop 0
	v_pk_min_f16 v49, v50, v49
	v_pk_add_f16 v50, v11, v33
	s_nop 0
	v_pk_min_f16 v49, v49, v50
	s_nop 0
	v_lshrrev_b32_e32 v50, 16, v49
	v_min3_f16 v50, v48, v49, v50
	v_lshl_add_u64 v[48:49], v[42:43], 1, v[36:37]
	global_store_short v[48:49], v50, off
	s_or_b64 exec, exec, s[14:15]
	s_and_b64 s[22:23], s[6:7], s[10:11]
	s_and_saveexec_b64 s[14:15], s[22:23]
	s_cbranch_execz .LBB216_85
.LBB216_94:
	s_and_b64 vcc, exec, s[0:1]
	s_cbranch_vccnz .LBB216_96
; %bb.95:
	v_lshl_add_u64 v[48:49], v[44:45], 1, v[38:39]
	flat_load_ushort v48, v[48:49]
	s_waitcnt vmcnt(0) lgkmcnt(0)
	v_mul_f16_e32 v48, v52, v48
	s_branch .LBB216_97
.LBB216_96:
	v_mov_b32_e32 v48, 0
.LBB216_97:
	v_pk_add_f16 v49, v0, v32
	v_pk_max_f16 v50, v114, v114
	s_nop 0
	v_pk_min_f16 v49, v50, v49
	v_pk_add_f16 v50, v1, v33
	s_nop 0
	v_pk_min_f16 v49, v49, v50
	s_nop 0
	v_lshrrev_b32_e32 v50, 16, v49
	v_min3_f16 v50, v48, v49, v50
	v_lshl_add_u64 v[48:49], v[44:45], 1, v[36:37]
	global_store_short v[48:49], v50, off
	s_or_b64 exec, exec, s[14:15]
	s_and_b64 s[14:15], s[8:9], s[10:11]
	s_and_saveexec_b64 s[10:11], s[14:15]
	s_cbranch_execz .LBB216_102
.LBB216_98:
	s_and_b64 vcc, exec, s[0:1]
	s_cbranch_vccnz .LBB216_100
; %bb.99:
	v_lshl_add_u64 v[38:39], v[46:47], 1, v[38:39]
	flat_load_ushort v38, v[38:39]
	s_waitcnt vmcnt(0) lgkmcnt(0)
	v_mul_f16_e32 v38, v52, v38
	s_branch .LBB216_101
.LBB216_100:
	v_mov_b32_e32 v38, 0
.LBB216_101:
	v_pk_add_f16 v32, v2, v32
	v_pk_max_f16 v39, v113, v113
	v_pk_add_f16 v33, v3, v33
	v_pk_min_f16 v32, v39, v32
	s_nop 0
	v_pk_min_f16 v32, v32, v33
	s_nop 0
	v_lshrrev_b32_e32 v33, 16, v32
	v_min3_f16 v38, v38, v32, v33
	v_lshl_add_u64 v[32:33], v[46:47], 1, v[36:37]
	global_store_short v[32:33], v38, off
.LBB216_102:
	s_or_b64 exec, exec, s[10:11]
	v_add_u32_e32 v38, 24, v86
	v_mad_i64_i32 v[32:33], s[14:15], v38, s19, 0
	v_cmp_gt_i32_e64 s[10:11], s17, v38
	v_lshl_add_u64 v[36:37], v[32:33], 1, s[20:21]
	v_mad_i64_i32 v[32:33], s[14:15], v38, s18, 0
	v_lshl_add_u64 v[32:33], v[32:33], 1, s[12:13]
	s_and_b64 s[22:23], s[4:5], s[10:11]
	s_and_saveexec_b64 s[14:15], s[22:23]
	s_cbranch_execnz .LBB216_106
; %bb.103:
	s_or_b64 exec, exec, s[14:15]
	s_and_b64 s[22:23], s[2:3], s[10:11]
	s_and_saveexec_b64 s[14:15], s[22:23]
	s_cbranch_execnz .LBB216_110
.LBB216_104:
	s_or_b64 exec, exec, s[14:15]
	s_and_b64 s[22:23], s[6:7], s[10:11]
	s_and_saveexec_b64 s[14:15], s[22:23]
	s_cbranch_execnz .LBB216_114
.LBB216_105:
	s_or_b64 exec, exec, s[14:15]
	s_and_b64 s[14:15], s[8:9], s[10:11]
	s_and_saveexec_b64 s[10:11], s[14:15]
	s_cbranch_execnz .LBB216_118
	s_branch .LBB216_122
.LBB216_106:
	s_and_b64 vcc, exec, s[0:1]
	s_cbranch_vccnz .LBB216_108
; %bb.107:
	v_lshl_add_u64 v[38:39], v[40:41], 1, v[36:37]
	flat_load_ushort v38, v[38:39]
	s_waitcnt vmcnt(0) lgkmcnt(0)
	v_mul_f16_e32 v38, v52, v38
	s_branch .LBB216_109
.LBB216_108:
	v_mov_b32_e32 v38, 0
.LBB216_109:
	v_pk_add_f16 v39, v8, v34
	v_pk_max_f16 v48, v112, v112
	s_nop 0
	v_pk_min_f16 v39, v48, v39
	v_pk_add_f16 v48, v9, v35
	s_nop 0
	v_pk_min_f16 v39, v39, v48
	s_nop 0
	v_lshrrev_b32_e32 v48, 16, v39
	v_min3_f16 v48, v38, v39, v48
	v_lshl_add_u64 v[38:39], v[40:41], 1, v[32:33]
	global_store_short v[38:39], v48, off
	s_or_b64 exec, exec, s[14:15]
	s_and_b64 s[22:23], s[2:3], s[10:11]
	s_and_saveexec_b64 s[14:15], s[22:23]
	s_cbranch_execz .LBB216_104
.LBB216_110:
	s_and_b64 vcc, exec, s[0:1]
	s_cbranch_vccnz .LBB216_112
; %bb.111:
	v_lshl_add_u64 v[38:39], v[42:43], 1, v[36:37]
	flat_load_ushort v38, v[38:39]
	s_waitcnt vmcnt(0) lgkmcnt(0)
	v_mul_f16_e32 v38, v52, v38
	s_branch .LBB216_113
.LBB216_112:
	v_mov_b32_e32 v38, 0
.LBB216_113:
	v_pk_add_f16 v39, v10, v34
	v_pk_max_f16 v48, v111, v111
	s_nop 0
	v_pk_min_f16 v39, v48, v39
	v_pk_add_f16 v48, v11, v35
	s_nop 0
	v_pk_min_f16 v39, v39, v48
	s_nop 0
	v_lshrrev_b32_e32 v48, 16, v39
	v_min3_f16 v48, v38, v39, v48
	v_lshl_add_u64 v[38:39], v[42:43], 1, v[32:33]
	global_store_short v[38:39], v48, off
	s_or_b64 exec, exec, s[14:15]
	s_and_b64 s[22:23], s[6:7], s[10:11]
	s_and_saveexec_b64 s[14:15], s[22:23]
	s_cbranch_execz .LBB216_105
.LBB216_114:
	s_and_b64 vcc, exec, s[0:1]
	s_cbranch_vccnz .LBB216_116
; %bb.115:
	v_lshl_add_u64 v[38:39], v[44:45], 1, v[36:37]
	flat_load_ushort v38, v[38:39]
	s_waitcnt vmcnt(0) lgkmcnt(0)
	v_mul_f16_e32 v38, v52, v38
	s_branch .LBB216_117
.LBB216_116:
	v_mov_b32_e32 v38, 0
.LBB216_117:
	v_pk_add_f16 v39, v0, v34
	v_pk_max_f16 v48, v110, v110
	s_nop 0
	v_pk_min_f16 v39, v48, v39
	v_pk_add_f16 v48, v1, v35
	s_nop 0
	v_pk_min_f16 v39, v39, v48
	s_nop 0
	v_lshrrev_b32_e32 v48, 16, v39
	v_min3_f16 v48, v38, v39, v48
	v_lshl_add_u64 v[38:39], v[44:45], 1, v[32:33]
	global_store_short v[38:39], v48, off
	s_or_b64 exec, exec, s[14:15]
	s_and_b64 s[14:15], s[8:9], s[10:11]
	s_and_saveexec_b64 s[10:11], s[14:15]
	s_cbranch_execz .LBB216_122
.LBB216_118:
	s_and_b64 vcc, exec, s[0:1]
	s_cbranch_vccnz .LBB216_120
; %bb.119:
	v_lshl_add_u64 v[36:37], v[46:47], 1, v[36:37]
	flat_load_ushort v36, v[36:37]
	s_waitcnt vmcnt(0) lgkmcnt(0)
	v_mul_f16_e32 v36, v52, v36
	s_branch .LBB216_121
.LBB216_120:
	v_mov_b32_e32 v36, 0
.LBB216_121:
	v_pk_add_f16 v34, v2, v34
	v_pk_max_f16 v37, v109, v109
	v_pk_add_f16 v35, v3, v35
	v_pk_min_f16 v34, v37, v34
	v_lshl_add_u64 v[32:33], v[46:47], 1, v[32:33]
	v_pk_min_f16 v34, v34, v35
	s_nop 0
	v_lshrrev_b32_e32 v35, 16, v34
	v_min3_f16 v34, v36, v34, v35
	global_store_short v[32:33], v34, off
.LBB216_122:
	s_or_b64 exec, exec, s[10:11]
	v_add_u32_e32 v36, 32, v86
	v_mad_i64_i32 v[32:33], s[14:15], v36, s19, 0
	v_cmp_gt_i32_e64 s[10:11], s17, v36
	v_lshl_add_u64 v[34:35], v[32:33], 1, s[20:21]
	v_mad_i64_i32 v[32:33], s[14:15], v36, s18, 0
	v_lshl_add_u64 v[32:33], v[32:33], 1, s[12:13]
	s_and_b64 s[22:23], s[4:5], s[10:11]
	s_and_saveexec_b64 s[14:15], s[22:23]
	s_cbranch_execnz .LBB216_126
; %bb.123:
	s_or_b64 exec, exec, s[14:15]
	s_and_b64 s[22:23], s[2:3], s[10:11]
	s_and_saveexec_b64 s[14:15], s[22:23]
	s_cbranch_execnz .LBB216_130
.LBB216_124:
	s_or_b64 exec, exec, s[14:15]
	s_and_b64 s[22:23], s[6:7], s[10:11]
	s_and_saveexec_b64 s[14:15], s[22:23]
	s_cbranch_execnz .LBB216_134
.LBB216_125:
	s_or_b64 exec, exec, s[14:15]
	s_and_b64 s[14:15], s[8:9], s[10:11]
	s_and_saveexec_b64 s[10:11], s[14:15]
	s_cbranch_execnz .LBB216_138
	s_branch .LBB216_142
.LBB216_126:
	s_and_b64 vcc, exec, s[0:1]
	s_cbranch_vccnz .LBB216_128
; %bb.127:
	v_lshl_add_u64 v[36:37], v[40:41], 1, v[34:35]
	flat_load_ushort v36, v[36:37]
	s_waitcnt vmcnt(0) lgkmcnt(0)
	v_mul_f16_e32 v36, v52, v36
	s_branch .LBB216_129
.LBB216_128:
	v_mov_b32_e32 v36, 0
.LBB216_129:
	v_pk_add_f16 v37, v8, v28
	v_pk_max_f16 v38, v106, v106
	s_nop 0
	v_pk_min_f16 v37, v38, v37
	v_pk_add_f16 v38, v9, v29
	s_nop 0
	v_pk_min_f16 v37, v37, v38
	s_nop 0
	v_lshrrev_b32_e32 v38, 16, v37
	v_min3_f16 v38, v36, v37, v38
	v_lshl_add_u64 v[36:37], v[40:41], 1, v[32:33]
	global_store_short v[36:37], v38, off
	s_or_b64 exec, exec, s[14:15]
	s_and_b64 s[22:23], s[2:3], s[10:11]
	s_and_saveexec_b64 s[14:15], s[22:23]
	s_cbranch_execz .LBB216_124
.LBB216_130:
	s_and_b64 vcc, exec, s[0:1]
	s_cbranch_vccnz .LBB216_132
; %bb.131:
	v_lshl_add_u64 v[36:37], v[42:43], 1, v[34:35]
	flat_load_ushort v36, v[36:37]
	s_waitcnt vmcnt(0) lgkmcnt(0)
	v_mul_f16_e32 v36, v52, v36
	s_branch .LBB216_133
.LBB216_132:
	v_mov_b32_e32 v36, 0
.LBB216_133:
	v_pk_add_f16 v37, v10, v28
	v_pk_max_f16 v38, v105, v105
	s_nop 0
	v_pk_min_f16 v37, v38, v37
	v_pk_add_f16 v38, v11, v29
	s_nop 0
	v_pk_min_f16 v37, v37, v38
	s_nop 0
	v_lshrrev_b32_e32 v38, 16, v37
	v_min3_f16 v38, v36, v37, v38
	v_lshl_add_u64 v[36:37], v[42:43], 1, v[32:33]
	global_store_short v[36:37], v38, off
	s_or_b64 exec, exec, s[14:15]
	s_and_b64 s[22:23], s[6:7], s[10:11]
	s_and_saveexec_b64 s[14:15], s[22:23]
	s_cbranch_execz .LBB216_125
.LBB216_134:
	s_and_b64 vcc, exec, s[0:1]
	s_cbranch_vccnz .LBB216_136
; %bb.135:
	v_lshl_add_u64 v[36:37], v[44:45], 1, v[34:35]
	flat_load_ushort v36, v[36:37]
	s_waitcnt vmcnt(0) lgkmcnt(0)
	v_mul_f16_e32 v36, v52, v36
	s_branch .LBB216_137
.LBB216_136:
	v_mov_b32_e32 v36, 0
.LBB216_137:
	v_pk_add_f16 v37, v0, v28
	v_pk_max_f16 v38, v104, v104
	s_nop 0
	v_pk_min_f16 v37, v38, v37
	v_pk_add_f16 v38, v1, v29
	s_nop 0
	v_pk_min_f16 v37, v37, v38
	s_nop 0
	v_lshrrev_b32_e32 v38, 16, v37
	v_min3_f16 v38, v36, v37, v38
	v_lshl_add_u64 v[36:37], v[44:45], 1, v[32:33]
	global_store_short v[36:37], v38, off
	s_or_b64 exec, exec, s[14:15]
	s_and_b64 s[14:15], s[8:9], s[10:11]
	s_and_saveexec_b64 s[10:11], s[14:15]
	s_cbranch_execz .LBB216_142
.LBB216_138:
	s_and_b64 vcc, exec, s[0:1]
	s_cbranch_vccnz .LBB216_140
; %bb.139:
	v_lshl_add_u64 v[34:35], v[46:47], 1, v[34:35]
	flat_load_ushort v34, v[34:35]
	s_waitcnt vmcnt(0) lgkmcnt(0)
	v_mul_f16_e32 v34, v52, v34
	s_branch .LBB216_141
.LBB216_140:
	v_mov_b32_e32 v34, 0
.LBB216_141:
	v_pk_add_f16 v28, v2, v28
	v_pk_max_f16 v35, v103, v103
	v_pk_add_f16 v29, v3, v29
	v_pk_min_f16 v28, v35, v28
	s_nop 0
	v_pk_min_f16 v28, v28, v29
	s_nop 0
	v_lshrrev_b32_e32 v29, 16, v28
	v_min3_f16 v34, v34, v28, v29
	v_lshl_add_u64 v[28:29], v[46:47], 1, v[32:33]
	global_store_short v[28:29], v34, off
.LBB216_142:
	s_or_b64 exec, exec, s[10:11]
	v_add_u32_e32 v34, 40, v86
	v_mad_i64_i32 v[28:29], s[14:15], v34, s19, 0
	v_cmp_gt_i32_e64 s[10:11], s17, v34
	v_lshl_add_u64 v[32:33], v[28:29], 1, s[20:21]
	v_mad_i64_i32 v[28:29], s[14:15], v34, s18, 0
	v_lshl_add_u64 v[28:29], v[28:29], 1, s[12:13]
	s_and_b64 s[22:23], s[4:5], s[10:11]
	s_and_saveexec_b64 s[14:15], s[22:23]
	s_cbranch_execnz .LBB216_146
; %bb.143:
	s_or_b64 exec, exec, s[14:15]
	s_and_b64 s[22:23], s[2:3], s[10:11]
	s_and_saveexec_b64 s[14:15], s[22:23]
	s_cbranch_execnz .LBB216_150
.LBB216_144:
	s_or_b64 exec, exec, s[14:15]
	s_and_b64 s[22:23], s[6:7], s[10:11]
	s_and_saveexec_b64 s[14:15], s[22:23]
	s_cbranch_execnz .LBB216_154
.LBB216_145:
	s_or_b64 exec, exec, s[14:15]
	s_and_b64 s[14:15], s[8:9], s[10:11]
	s_and_saveexec_b64 s[10:11], s[14:15]
	s_cbranch_execnz .LBB216_158
	s_branch .LBB216_162
.LBB216_146:
	s_and_b64 vcc, exec, s[0:1]
	s_cbranch_vccnz .LBB216_148
; %bb.147:
	v_lshl_add_u64 v[34:35], v[40:41], 1, v[32:33]
	flat_load_ushort v34, v[34:35]
	s_waitcnt vmcnt(0) lgkmcnt(0)
	v_mul_f16_e32 v34, v52, v34
	s_branch .LBB216_149
.LBB216_148:
	v_mov_b32_e32 v34, 0
.LBB216_149:
	v_pk_add_f16 v35, v8, v30
	v_pk_max_f16 v36, v102, v102
	s_nop 0
	v_pk_min_f16 v35, v36, v35
	v_pk_add_f16 v36, v9, v31
	s_nop 0
	v_pk_min_f16 v35, v35, v36
	s_nop 0
	v_lshrrev_b32_e32 v36, 16, v35
	v_min3_f16 v36, v34, v35, v36
	v_lshl_add_u64 v[34:35], v[40:41], 1, v[28:29]
	global_store_short v[34:35], v36, off
	s_or_b64 exec, exec, s[14:15]
	s_and_b64 s[22:23], s[2:3], s[10:11]
	s_and_saveexec_b64 s[14:15], s[22:23]
	s_cbranch_execz .LBB216_144
.LBB216_150:
	s_and_b64 vcc, exec, s[0:1]
	s_cbranch_vccnz .LBB216_152
; %bb.151:
	v_lshl_add_u64 v[34:35], v[42:43], 1, v[32:33]
	flat_load_ushort v34, v[34:35]
	s_waitcnt vmcnt(0) lgkmcnt(0)
	v_mul_f16_e32 v34, v52, v34
	s_branch .LBB216_153
.LBB216_152:
	v_mov_b32_e32 v34, 0
.LBB216_153:
	v_pk_add_f16 v35, v10, v30
	v_pk_max_f16 v36, v101, v101
	s_nop 0
	v_pk_min_f16 v35, v36, v35
	v_pk_add_f16 v36, v11, v31
	s_nop 0
	v_pk_min_f16 v35, v35, v36
	s_nop 0
	v_lshrrev_b32_e32 v36, 16, v35
	v_min3_f16 v36, v34, v35, v36
	v_lshl_add_u64 v[34:35], v[42:43], 1, v[28:29]
	global_store_short v[34:35], v36, off
	s_or_b64 exec, exec, s[14:15]
	s_and_b64 s[22:23], s[6:7], s[10:11]
	s_and_saveexec_b64 s[14:15], s[22:23]
	s_cbranch_execz .LBB216_145
.LBB216_154:
	s_and_b64 vcc, exec, s[0:1]
	s_cbranch_vccnz .LBB216_156
; %bb.155:
	v_lshl_add_u64 v[34:35], v[44:45], 1, v[32:33]
	flat_load_ushort v34, v[34:35]
	s_waitcnt vmcnt(0) lgkmcnt(0)
	v_mul_f16_e32 v34, v52, v34
	s_branch .LBB216_157
.LBB216_156:
	v_mov_b32_e32 v34, 0
.LBB216_157:
	v_pk_add_f16 v35, v0, v30
	v_pk_max_f16 v36, v98, v98
	s_nop 0
	v_pk_min_f16 v35, v36, v35
	v_pk_add_f16 v36, v1, v31
	s_nop 0
	v_pk_min_f16 v35, v35, v36
	s_nop 0
	v_lshrrev_b32_e32 v36, 16, v35
	v_min3_f16 v36, v34, v35, v36
	v_lshl_add_u64 v[34:35], v[44:45], 1, v[28:29]
	global_store_short v[34:35], v36, off
	s_or_b64 exec, exec, s[14:15]
	s_and_b64 s[14:15], s[8:9], s[10:11]
	s_and_saveexec_b64 s[10:11], s[14:15]
	s_cbranch_execz .LBB216_162
.LBB216_158:
	s_and_b64 vcc, exec, s[0:1]
	s_cbranch_vccnz .LBB216_160
; %bb.159:
	v_lshl_add_u64 v[32:33], v[46:47], 1, v[32:33]
	flat_load_ushort v32, v[32:33]
	s_waitcnt vmcnt(0) lgkmcnt(0)
	v_mul_f16_e32 v32, v52, v32
	s_branch .LBB216_161
.LBB216_160:
	v_mov_b32_e32 v32, 0
.LBB216_161:
	v_pk_add_f16 v30, v2, v30
	v_pk_max_f16 v33, v96, v96
	v_pk_add_f16 v31, v3, v31
	v_pk_min_f16 v30, v33, v30
	v_lshl_add_u64 v[28:29], v[46:47], 1, v[28:29]
	v_pk_min_f16 v30, v30, v31
	s_nop 0
	v_lshrrev_b32_e32 v31, 16, v30
	v_min3_f16 v30, v32, v30, v31
	global_store_short v[28:29], v30, off
.LBB216_162:
	s_or_b64 exec, exec, s[10:11]
	v_add_u32_e32 v32, 48, v86
	v_mad_i64_i32 v[28:29], s[14:15], v32, s19, 0
	v_cmp_gt_i32_e64 s[10:11], s17, v32
	v_lshl_add_u64 v[30:31], v[28:29], 1, s[20:21]
	v_mad_i64_i32 v[28:29], s[14:15], v32, s18, 0
	v_lshl_add_u64 v[28:29], v[28:29], 1, s[12:13]
	s_and_b64 s[22:23], s[4:5], s[10:11]
	s_and_saveexec_b64 s[14:15], s[22:23]
	s_cbranch_execnz .LBB216_166
; %bb.163:
	s_or_b64 exec, exec, s[14:15]
	s_and_b64 s[22:23], s[2:3], s[10:11]
	s_and_saveexec_b64 s[14:15], s[22:23]
	s_cbranch_execnz .LBB216_170
.LBB216_164:
	s_or_b64 exec, exec, s[14:15]
	s_and_b64 s[22:23], s[6:7], s[10:11]
	s_and_saveexec_b64 s[14:15], s[22:23]
	s_cbranch_execnz .LBB216_174
.LBB216_165:
	s_or_b64 exec, exec, s[14:15]
	s_and_b64 s[14:15], s[8:9], s[10:11]
	s_and_saveexec_b64 s[10:11], s[14:15]
	s_cbranch_execnz .LBB216_178
	s_branch .LBB216_182
.LBB216_166:
	s_and_b64 vcc, exec, s[0:1]
	s_cbranch_vccnz .LBB216_168
; %bb.167:
	v_lshl_add_u64 v[32:33], v[40:41], 1, v[30:31]
	flat_load_ushort v32, v[32:33]
	s_waitcnt vmcnt(0) lgkmcnt(0)
	v_mul_f16_e32 v32, v52, v32
	s_branch .LBB216_169
.LBB216_168:
	v_mov_b32_e32 v32, 0
.LBB216_169:
	v_pk_add_f16 v33, v8, v24
	v_pk_max_f16 v34, v95, v95
	s_nop 0
	v_pk_min_f16 v33, v34, v33
	v_pk_add_f16 v34, v9, v25
	s_nop 0
	v_pk_min_f16 v33, v33, v34
	s_nop 0
	v_lshrrev_b32_e32 v34, 16, v33
	v_min3_f16 v34, v32, v33, v34
	v_lshl_add_u64 v[32:33], v[40:41], 1, v[28:29]
	global_store_short v[32:33], v34, off
	s_or_b64 exec, exec, s[14:15]
	s_and_b64 s[22:23], s[2:3], s[10:11]
	s_and_saveexec_b64 s[14:15], s[22:23]
	s_cbranch_execz .LBB216_164
.LBB216_170:
	s_and_b64 vcc, exec, s[0:1]
	s_cbranch_vccnz .LBB216_172
; %bb.171:
	v_lshl_add_u64 v[32:33], v[42:43], 1, v[30:31]
	flat_load_ushort v32, v[32:33]
	s_waitcnt vmcnt(0) lgkmcnt(0)
	v_mul_f16_e32 v32, v52, v32
	s_branch .LBB216_173
.LBB216_172:
	v_mov_b32_e32 v32, 0
.LBB216_173:
	v_pk_add_f16 v33, v10, v24
	v_pk_max_f16 v34, v94, v94
	s_nop 0
	v_pk_min_f16 v33, v34, v33
	v_pk_add_f16 v34, v11, v25
	s_nop 0
	v_pk_min_f16 v33, v33, v34
	s_nop 0
	v_lshrrev_b32_e32 v34, 16, v33
	v_min3_f16 v34, v32, v33, v34
	v_lshl_add_u64 v[32:33], v[42:43], 1, v[28:29]
	global_store_short v[32:33], v34, off
	s_or_b64 exec, exec, s[14:15]
	s_and_b64 s[22:23], s[6:7], s[10:11]
	s_and_saveexec_b64 s[14:15], s[22:23]
	s_cbranch_execz .LBB216_165
.LBB216_174:
	s_and_b64 vcc, exec, s[0:1]
	s_cbranch_vccnz .LBB216_176
; %bb.175:
	v_lshl_add_u64 v[32:33], v[44:45], 1, v[30:31]
	flat_load_ushort v32, v[32:33]
	s_waitcnt vmcnt(0) lgkmcnt(0)
	v_mul_f16_e32 v32, v52, v32
	s_branch .LBB216_177
.LBB216_176:
	v_mov_b32_e32 v32, 0
.LBB216_177:
	v_pk_add_f16 v33, v0, v24
	v_pk_max_f16 v34, v93, v93
	s_nop 0
	v_pk_min_f16 v33, v34, v33
	v_pk_add_f16 v34, v1, v25
	s_nop 0
	v_pk_min_f16 v33, v33, v34
	s_nop 0
	v_lshrrev_b32_e32 v34, 16, v33
	v_min3_f16 v34, v32, v33, v34
	v_lshl_add_u64 v[32:33], v[44:45], 1, v[28:29]
	global_store_short v[32:33], v34, off
	s_or_b64 exec, exec, s[14:15]
	s_and_b64 s[14:15], s[8:9], s[10:11]
	s_and_saveexec_b64 s[10:11], s[14:15]
	s_cbranch_execz .LBB216_182
.LBB216_178:
	s_and_b64 vcc, exec, s[0:1]
	s_cbranch_vccnz .LBB216_180
; %bb.179:
	v_lshl_add_u64 v[30:31], v[46:47], 1, v[30:31]
	flat_load_ushort v30, v[30:31]
	s_waitcnt vmcnt(0) lgkmcnt(0)
	v_mul_f16_e32 v30, v52, v30
	s_branch .LBB216_181
.LBB216_180:
	v_mov_b32_e32 v30, 0
.LBB216_181:
	v_pk_add_f16 v24, v2, v24
	v_pk_max_f16 v31, v91, v91
	v_pk_add_f16 v25, v3, v25
	v_pk_min_f16 v24, v31, v24
	s_nop 0
	v_pk_min_f16 v24, v24, v25
	s_nop 0
	v_lshrrev_b32_e32 v25, 16, v24
	v_min3_f16 v30, v30, v24, v25
	v_lshl_add_u64 v[24:25], v[46:47], 1, v[28:29]
	global_store_short v[24:25], v30, off
.LBB216_182:
	s_or_b64 exec, exec, s[10:11]
	v_add_u32_e32 v30, 56, v86
	v_mad_i64_i32 v[24:25], s[14:15], v30, s19, 0
	v_cmp_gt_i32_e64 s[10:11], s17, v30
	v_lshl_add_u64 v[28:29], v[24:25], 1, s[20:21]
	v_mad_i64_i32 v[24:25], s[14:15], v30, s18, 0
	v_lshl_add_u64 v[24:25], v[24:25], 1, s[12:13]
	s_and_b64 s[22:23], s[4:5], s[10:11]
	s_and_saveexec_b64 s[14:15], s[22:23]
	s_cbranch_execnz .LBB216_186
; %bb.183:
	s_or_b64 exec, exec, s[14:15]
	s_and_b64 s[22:23], s[2:3], s[10:11]
	s_and_saveexec_b64 s[14:15], s[22:23]
	s_cbranch_execnz .LBB216_190
.LBB216_184:
	s_or_b64 exec, exec, s[14:15]
	s_and_b64 s[22:23], s[6:7], s[10:11]
	s_and_saveexec_b64 s[14:15], s[22:23]
	s_cbranch_execnz .LBB216_194
.LBB216_185:
	s_or_b64 exec, exec, s[14:15]
	s_and_b64 s[14:15], s[8:9], s[10:11]
	s_and_saveexec_b64 s[10:11], s[14:15]
	s_cbranch_execnz .LBB216_198
	s_branch .LBB216_202
.LBB216_186:
	s_and_b64 vcc, exec, s[0:1]
	s_cbranch_vccnz .LBB216_188
; %bb.187:
	v_lshl_add_u64 v[30:31], v[40:41], 1, v[28:29]
	flat_load_ushort v30, v[30:31]
	s_waitcnt vmcnt(0) lgkmcnt(0)
	v_mul_f16_e32 v30, v52, v30
	s_branch .LBB216_189
.LBB216_188:
	v_mov_b32_e32 v30, 0
.LBB216_189:
	v_pk_add_f16 v31, v8, v26
	v_pk_max_f16 v32, v90, v90
	s_nop 0
	v_pk_min_f16 v31, v32, v31
	v_pk_add_f16 v32, v9, v27
	s_nop 0
	v_pk_min_f16 v31, v31, v32
	s_nop 0
	v_lshrrev_b32_e32 v32, 16, v31
	v_min3_f16 v32, v30, v31, v32
	v_lshl_add_u64 v[30:31], v[40:41], 1, v[24:25]
	global_store_short v[30:31], v32, off
	s_or_b64 exec, exec, s[14:15]
	s_and_b64 s[22:23], s[2:3], s[10:11]
	s_and_saveexec_b64 s[14:15], s[22:23]
	s_cbranch_execz .LBB216_184
.LBB216_190:
	s_and_b64 vcc, exec, s[0:1]
	s_cbranch_vccnz .LBB216_192
; %bb.191:
	v_lshl_add_u64 v[30:31], v[42:43], 1, v[28:29]
	flat_load_ushort v30, v[30:31]
	s_waitcnt vmcnt(0) lgkmcnt(0)
	v_mul_f16_e32 v30, v52, v30
	s_branch .LBB216_193
.LBB216_192:
	v_mov_b32_e32 v30, 0
.LBB216_193:
	v_pk_add_f16 v31, v10, v26
	v_pk_max_f16 v32, v89, v89
	s_nop 0
	v_pk_min_f16 v31, v32, v31
	v_pk_add_f16 v32, v11, v27
	s_nop 0
	v_pk_min_f16 v31, v31, v32
	s_nop 0
	v_lshrrev_b32_e32 v32, 16, v31
	v_min3_f16 v32, v30, v31, v32
	v_lshl_add_u64 v[30:31], v[42:43], 1, v[24:25]
	global_store_short v[30:31], v32, off
	s_or_b64 exec, exec, s[14:15]
	s_and_b64 s[22:23], s[6:7], s[10:11]
	s_and_saveexec_b64 s[14:15], s[22:23]
	s_cbranch_execz .LBB216_185
.LBB216_194:
	s_and_b64 vcc, exec, s[0:1]
	s_cbranch_vccnz .LBB216_196
; %bb.195:
	v_lshl_add_u64 v[30:31], v[44:45], 1, v[28:29]
	flat_load_ushort v30, v[30:31]
	s_waitcnt vmcnt(0) lgkmcnt(0)
	v_mul_f16_e32 v30, v52, v30
	s_branch .LBB216_197
.LBB216_196:
	v_mov_b32_e32 v30, 0
.LBB216_197:
	v_pk_add_f16 v31, v0, v26
	v_pk_max_f16 v32, v88, v88
	s_nop 0
	v_pk_min_f16 v31, v32, v31
	v_pk_add_f16 v32, v1, v27
	s_nop 0
	v_pk_min_f16 v31, v31, v32
	s_nop 0
	v_lshrrev_b32_e32 v32, 16, v31
	v_min3_f16 v32, v30, v31, v32
	v_lshl_add_u64 v[30:31], v[44:45], 1, v[24:25]
	global_store_short v[30:31], v32, off
	s_or_b64 exec, exec, s[14:15]
	s_and_b64 s[14:15], s[8:9], s[10:11]
	s_and_saveexec_b64 s[10:11], s[14:15]
	s_cbranch_execz .LBB216_202
.LBB216_198:
	s_and_b64 vcc, exec, s[0:1]
	s_cbranch_vccnz .LBB216_200
; %bb.199:
	v_lshl_add_u64 v[28:29], v[46:47], 1, v[28:29]
	flat_load_ushort v28, v[28:29]
	s_waitcnt vmcnt(0) lgkmcnt(0)
	v_mul_f16_e32 v28, v52, v28
	s_branch .LBB216_201
.LBB216_200:
	v_mov_b32_e32 v28, 0
.LBB216_201:
	v_pk_add_f16 v26, v2, v26
	v_pk_max_f16 v29, v85, v85
	v_pk_add_f16 v27, v3, v27
	v_pk_min_f16 v26, v29, v26
	v_lshl_add_u64 v[24:25], v[46:47], 1, v[24:25]
	v_pk_min_f16 v26, v26, v27
	s_nop 0
	v_lshrrev_b32_e32 v27, 16, v26
	v_min3_f16 v26, v28, v26, v27
	global_store_short v[24:25], v26, off
.LBB216_202:
	s_or_b64 exec, exec, s[10:11]
	v_add_u32_e32 v28, 64, v86
	v_mad_i64_i32 v[24:25], s[14:15], v28, s19, 0
	v_cmp_gt_i32_e64 s[10:11], s17, v28
	v_lshl_add_u64 v[26:27], v[24:25], 1, s[20:21]
	v_mad_i64_i32 v[24:25], s[14:15], v28, s18, 0
	v_lshl_add_u64 v[24:25], v[24:25], 1, s[12:13]
	s_and_b64 s[22:23], s[4:5], s[10:11]
	s_and_saveexec_b64 s[14:15], s[22:23]
	s_cbranch_execnz .LBB216_206
; %bb.203:
	s_or_b64 exec, exec, s[14:15]
	s_and_b64 s[22:23], s[2:3], s[10:11]
	s_and_saveexec_b64 s[14:15], s[22:23]
	s_cbranch_execnz .LBB216_210
.LBB216_204:
	s_or_b64 exec, exec, s[14:15]
	s_and_b64 s[22:23], s[6:7], s[10:11]
	s_and_saveexec_b64 s[14:15], s[22:23]
	s_cbranch_execnz .LBB216_214
.LBB216_205:
	s_or_b64 exec, exec, s[14:15]
	s_and_b64 s[14:15], s[8:9], s[10:11]
	s_and_saveexec_b64 s[10:11], s[14:15]
	s_cbranch_execnz .LBB216_218
	s_branch .LBB216_222
.LBB216_206:
	s_and_b64 vcc, exec, s[0:1]
	s_cbranch_vccnz .LBB216_208
; %bb.207:
	v_lshl_add_u64 v[28:29], v[40:41], 1, v[26:27]
	flat_load_ushort v28, v[28:29]
	s_waitcnt vmcnt(0) lgkmcnt(0)
	v_mul_f16_e32 v28, v52, v28
	s_branch .LBB216_209
.LBB216_208:
	v_mov_b32_e32 v28, 0
.LBB216_209:
	v_pk_add_f16 v29, v8, v20
	v_pk_max_f16 v30, v84, v84
	s_nop 0
	v_pk_min_f16 v29, v30, v29
	v_pk_add_f16 v30, v9, v21
	s_nop 0
	v_pk_min_f16 v29, v29, v30
	s_nop 0
	v_lshrrev_b32_e32 v30, 16, v29
	v_min3_f16 v30, v28, v29, v30
	v_lshl_add_u64 v[28:29], v[40:41], 1, v[24:25]
	global_store_short v[28:29], v30, off
	s_or_b64 exec, exec, s[14:15]
	s_and_b64 s[22:23], s[2:3], s[10:11]
	s_and_saveexec_b64 s[14:15], s[22:23]
	s_cbranch_execz .LBB216_204
.LBB216_210:
	s_and_b64 vcc, exec, s[0:1]
	s_cbranch_vccnz .LBB216_212
; %bb.211:
	v_lshl_add_u64 v[28:29], v[42:43], 1, v[26:27]
	flat_load_ushort v28, v[28:29]
	s_waitcnt vmcnt(0) lgkmcnt(0)
	v_mul_f16_e32 v28, v52, v28
	s_branch .LBB216_213
.LBB216_212:
	v_mov_b32_e32 v28, 0
.LBB216_213:
	v_pk_add_f16 v29, v10, v20
	v_pk_max_f16 v30, v83, v83
	s_nop 0
	v_pk_min_f16 v29, v30, v29
	v_pk_add_f16 v30, v11, v21
	s_nop 0
	v_pk_min_f16 v29, v29, v30
	s_nop 0
	v_lshrrev_b32_e32 v30, 16, v29
	v_min3_f16 v30, v28, v29, v30
	v_lshl_add_u64 v[28:29], v[42:43], 1, v[24:25]
	global_store_short v[28:29], v30, off
	s_or_b64 exec, exec, s[14:15]
	s_and_b64 s[22:23], s[6:7], s[10:11]
	s_and_saveexec_b64 s[14:15], s[22:23]
	s_cbranch_execz .LBB216_205
.LBB216_214:
	s_and_b64 vcc, exec, s[0:1]
	s_cbranch_vccnz .LBB216_216
; %bb.215:
	v_lshl_add_u64 v[28:29], v[44:45], 1, v[26:27]
	flat_load_ushort v28, v[28:29]
	s_waitcnt vmcnt(0) lgkmcnt(0)
	v_mul_f16_e32 v28, v52, v28
	s_branch .LBB216_217
.LBB216_216:
	v_mov_b32_e32 v28, 0
.LBB216_217:
	v_pk_add_f16 v29, v0, v20
	v_pk_max_f16 v30, v82, v82
	s_nop 0
	v_pk_min_f16 v29, v30, v29
	v_pk_add_f16 v30, v1, v21
	s_nop 0
	v_pk_min_f16 v29, v29, v30
	s_nop 0
	v_lshrrev_b32_e32 v30, 16, v29
	v_min3_f16 v30, v28, v29, v30
	v_lshl_add_u64 v[28:29], v[44:45], 1, v[24:25]
	global_store_short v[28:29], v30, off
	s_or_b64 exec, exec, s[14:15]
	s_and_b64 s[14:15], s[8:9], s[10:11]
	s_and_saveexec_b64 s[10:11], s[14:15]
	s_cbranch_execz .LBB216_222
.LBB216_218:
	s_and_b64 vcc, exec, s[0:1]
	s_cbranch_vccnz .LBB216_220
; %bb.219:
	v_lshl_add_u64 v[26:27], v[46:47], 1, v[26:27]
	flat_load_ushort v26, v[26:27]
	s_waitcnt vmcnt(0) lgkmcnt(0)
	v_mul_f16_e32 v26, v52, v26
	s_branch .LBB216_221
.LBB216_220:
	v_mov_b32_e32 v26, 0
.LBB216_221:
	v_pk_add_f16 v20, v2, v20
	v_pk_max_f16 v27, v81, v81
	v_pk_add_f16 v21, v3, v21
	v_pk_min_f16 v20, v27, v20
	s_nop 0
	v_pk_min_f16 v20, v20, v21
	s_nop 0
	v_lshrrev_b32_e32 v21, 16, v20
	v_min3_f16 v26, v26, v20, v21
	v_lshl_add_u64 v[20:21], v[46:47], 1, v[24:25]
	global_store_short v[20:21], v26, off
.LBB216_222:
	s_or_b64 exec, exec, s[10:11]
	v_add_u32_e32 v26, 0x48, v86
	v_mad_i64_i32 v[20:21], s[14:15], v26, s19, 0
	v_cmp_gt_i32_e64 s[10:11], s17, v26
	v_lshl_add_u64 v[24:25], v[20:21], 1, s[20:21]
	v_mad_i64_i32 v[20:21], s[14:15], v26, s18, 0
	v_lshl_add_u64 v[20:21], v[20:21], 1, s[12:13]
	s_and_b64 s[22:23], s[4:5], s[10:11]
	s_and_saveexec_b64 s[14:15], s[22:23]
	s_cbranch_execnz .LBB216_226
; %bb.223:
	s_or_b64 exec, exec, s[14:15]
	s_and_b64 s[22:23], s[2:3], s[10:11]
	s_and_saveexec_b64 s[14:15], s[22:23]
	s_cbranch_execnz .LBB216_230
.LBB216_224:
	s_or_b64 exec, exec, s[14:15]
	s_and_b64 s[22:23], s[6:7], s[10:11]
	s_and_saveexec_b64 s[14:15], s[22:23]
	s_cbranch_execnz .LBB216_234
.LBB216_225:
	s_or_b64 exec, exec, s[14:15]
	s_and_b64 s[14:15], s[8:9], s[10:11]
	s_and_saveexec_b64 s[10:11], s[14:15]
	s_cbranch_execnz .LBB216_238
	s_branch .LBB216_242
.LBB216_226:
	s_and_b64 vcc, exec, s[0:1]
	s_cbranch_vccnz .LBB216_228
; %bb.227:
	v_lshl_add_u64 v[26:27], v[40:41], 1, v[24:25]
	flat_load_ushort v26, v[26:27]
	s_waitcnt vmcnt(0) lgkmcnt(0)
	v_mul_f16_e32 v26, v52, v26
	s_branch .LBB216_229
.LBB216_228:
	v_mov_b32_e32 v26, 0
.LBB216_229:
	v_pk_add_f16 v27, v8, v22
	v_pk_max_f16 v28, v80, v80
	s_nop 0
	v_pk_min_f16 v27, v28, v27
	v_pk_add_f16 v28, v9, v23
	s_nop 0
	v_pk_min_f16 v27, v27, v28
	s_nop 0
	v_lshrrev_b32_e32 v28, 16, v27
	v_min3_f16 v28, v26, v27, v28
	v_lshl_add_u64 v[26:27], v[40:41], 1, v[20:21]
	global_store_short v[26:27], v28, off
	s_or_b64 exec, exec, s[14:15]
	s_and_b64 s[22:23], s[2:3], s[10:11]
	s_and_saveexec_b64 s[14:15], s[22:23]
	s_cbranch_execz .LBB216_224
.LBB216_230:
	s_and_b64 vcc, exec, s[0:1]
	s_cbranch_vccnz .LBB216_232
; %bb.231:
	v_lshl_add_u64 v[26:27], v[42:43], 1, v[24:25]
	flat_load_ushort v26, v[26:27]
	s_waitcnt vmcnt(0) lgkmcnt(0)
	v_mul_f16_e32 v26, v52, v26
	s_branch .LBB216_233
.LBB216_232:
	v_mov_b32_e32 v26, 0
.LBB216_233:
	v_pk_add_f16 v27, v10, v22
	v_pk_max_f16 v28, v79, v79
	s_nop 0
	v_pk_min_f16 v27, v28, v27
	v_pk_add_f16 v28, v11, v23
	s_nop 0
	v_pk_min_f16 v27, v27, v28
	s_nop 0
	v_lshrrev_b32_e32 v28, 16, v27
	v_min3_f16 v28, v26, v27, v28
	v_lshl_add_u64 v[26:27], v[42:43], 1, v[20:21]
	global_store_short v[26:27], v28, off
	s_or_b64 exec, exec, s[14:15]
	s_and_b64 s[22:23], s[6:7], s[10:11]
	s_and_saveexec_b64 s[14:15], s[22:23]
	s_cbranch_execz .LBB216_225
.LBB216_234:
	s_and_b64 vcc, exec, s[0:1]
	s_cbranch_vccnz .LBB216_236
; %bb.235:
	v_lshl_add_u64 v[26:27], v[44:45], 1, v[24:25]
	flat_load_ushort v26, v[26:27]
	s_waitcnt vmcnt(0) lgkmcnt(0)
	v_mul_f16_e32 v26, v52, v26
	s_branch .LBB216_237
.LBB216_236:
	v_mov_b32_e32 v26, 0
.LBB216_237:
	v_pk_add_f16 v27, v0, v22
	v_pk_max_f16 v28, v78, v78
	s_nop 0
	v_pk_min_f16 v27, v28, v27
	v_pk_add_f16 v28, v1, v23
	s_nop 0
	v_pk_min_f16 v27, v27, v28
	s_nop 0
	v_lshrrev_b32_e32 v28, 16, v27
	v_min3_f16 v28, v26, v27, v28
	v_lshl_add_u64 v[26:27], v[44:45], 1, v[20:21]
	global_store_short v[26:27], v28, off
	s_or_b64 exec, exec, s[14:15]
	s_and_b64 s[14:15], s[8:9], s[10:11]
	s_and_saveexec_b64 s[10:11], s[14:15]
	s_cbranch_execz .LBB216_242
.LBB216_238:
	s_and_b64 vcc, exec, s[0:1]
	s_cbranch_vccnz .LBB216_240
; %bb.239:
	v_lshl_add_u64 v[24:25], v[46:47], 1, v[24:25]
	flat_load_ushort v24, v[24:25]
	s_waitcnt vmcnt(0) lgkmcnt(0)
	v_mul_f16_e32 v24, v52, v24
	s_branch .LBB216_241
.LBB216_240:
	v_mov_b32_e32 v24, 0
.LBB216_241:
	v_pk_add_f16 v22, v2, v22
	v_pk_max_f16 v25, v77, v77
	v_pk_add_f16 v23, v3, v23
	v_pk_min_f16 v22, v25, v22
	v_lshl_add_u64 v[20:21], v[46:47], 1, v[20:21]
	v_pk_min_f16 v22, v22, v23
	s_nop 0
	v_lshrrev_b32_e32 v23, 16, v22
	v_min3_f16 v22, v24, v22, v23
	global_store_short v[20:21], v22, off
.LBB216_242:
	s_or_b64 exec, exec, s[10:11]
	v_add_u32_e32 v24, 0x50, v86
	v_mad_i64_i32 v[20:21], s[14:15], v24, s19, 0
	v_cmp_gt_i32_e64 s[10:11], s17, v24
	v_lshl_add_u64 v[22:23], v[20:21], 1, s[20:21]
	v_mad_i64_i32 v[20:21], s[14:15], v24, s18, 0
	v_lshl_add_u64 v[20:21], v[20:21], 1, s[12:13]
	s_and_b64 s[22:23], s[4:5], s[10:11]
	s_and_saveexec_b64 s[14:15], s[22:23]
	s_cbranch_execnz .LBB216_246
; %bb.243:
	s_or_b64 exec, exec, s[14:15]
	s_and_b64 s[22:23], s[2:3], s[10:11]
	s_and_saveexec_b64 s[14:15], s[22:23]
	s_cbranch_execnz .LBB216_250
.LBB216_244:
	s_or_b64 exec, exec, s[14:15]
	s_and_b64 s[22:23], s[6:7], s[10:11]
	s_and_saveexec_b64 s[14:15], s[22:23]
	s_cbranch_execnz .LBB216_254
.LBB216_245:
	s_or_b64 exec, exec, s[14:15]
	s_and_b64 s[14:15], s[8:9], s[10:11]
	s_and_saveexec_b64 s[10:11], s[14:15]
	s_cbranch_execnz .LBB216_258
	s_branch .LBB216_262
.LBB216_246:
	s_and_b64 vcc, exec, s[0:1]
	s_cbranch_vccnz .LBB216_248
; %bb.247:
	v_lshl_add_u64 v[24:25], v[40:41], 1, v[22:23]
	flat_load_ushort v24, v[24:25]
	s_waitcnt vmcnt(0) lgkmcnt(0)
	v_mul_f16_e32 v24, v52, v24
	s_branch .LBB216_249
.LBB216_248:
	v_mov_b32_e32 v24, 0
.LBB216_249:
	v_pk_add_f16 v25, v8, v16
	v_pk_max_f16 v26, v76, v76
	s_nop 0
	v_pk_min_f16 v25, v26, v25
	v_pk_add_f16 v26, v9, v17
	s_nop 0
	v_pk_min_f16 v25, v25, v26
	s_nop 0
	v_lshrrev_b32_e32 v26, 16, v25
	v_min3_f16 v26, v24, v25, v26
	v_lshl_add_u64 v[24:25], v[40:41], 1, v[20:21]
	global_store_short v[24:25], v26, off
	s_or_b64 exec, exec, s[14:15]
	s_and_b64 s[22:23], s[2:3], s[10:11]
	s_and_saveexec_b64 s[14:15], s[22:23]
	s_cbranch_execz .LBB216_244
.LBB216_250:
	s_and_b64 vcc, exec, s[0:1]
	s_cbranch_vccnz .LBB216_252
; %bb.251:
	v_lshl_add_u64 v[24:25], v[42:43], 1, v[22:23]
	flat_load_ushort v24, v[24:25]
	s_waitcnt vmcnt(0) lgkmcnt(0)
	v_mul_f16_e32 v24, v52, v24
	s_branch .LBB216_253
.LBB216_252:
	v_mov_b32_e32 v24, 0
.LBB216_253:
	v_pk_add_f16 v25, v10, v16
	v_pk_max_f16 v26, v75, v75
	s_nop 0
	v_pk_min_f16 v25, v26, v25
	v_pk_add_f16 v26, v11, v17
	s_nop 0
	v_pk_min_f16 v25, v25, v26
	s_nop 0
	v_lshrrev_b32_e32 v26, 16, v25
	v_min3_f16 v26, v24, v25, v26
	v_lshl_add_u64 v[24:25], v[42:43], 1, v[20:21]
	global_store_short v[24:25], v26, off
	s_or_b64 exec, exec, s[14:15]
	s_and_b64 s[22:23], s[6:7], s[10:11]
	s_and_saveexec_b64 s[14:15], s[22:23]
	s_cbranch_execz .LBB216_245
.LBB216_254:
	s_and_b64 vcc, exec, s[0:1]
	s_cbranch_vccnz .LBB216_256
; %bb.255:
	v_lshl_add_u64 v[24:25], v[44:45], 1, v[22:23]
	flat_load_ushort v24, v[24:25]
	s_waitcnt vmcnt(0) lgkmcnt(0)
	v_mul_f16_e32 v24, v52, v24
	s_branch .LBB216_257
.LBB216_256:
	v_mov_b32_e32 v24, 0
.LBB216_257:
	v_pk_add_f16 v25, v0, v16
	v_pk_max_f16 v26, v74, v74
	s_nop 0
	v_pk_min_f16 v25, v26, v25
	v_pk_add_f16 v26, v1, v17
	s_nop 0
	v_pk_min_f16 v25, v25, v26
	s_nop 0
	v_lshrrev_b32_e32 v26, 16, v25
	v_min3_f16 v26, v24, v25, v26
	v_lshl_add_u64 v[24:25], v[44:45], 1, v[20:21]
	global_store_short v[24:25], v26, off
	s_or_b64 exec, exec, s[14:15]
	s_and_b64 s[14:15], s[8:9], s[10:11]
	s_and_saveexec_b64 s[10:11], s[14:15]
	s_cbranch_execz .LBB216_262
.LBB216_258:
	s_and_b64 vcc, exec, s[0:1]
	s_cbranch_vccnz .LBB216_260
; %bb.259:
	v_lshl_add_u64 v[22:23], v[46:47], 1, v[22:23]
	flat_load_ushort v22, v[22:23]
	s_waitcnt vmcnt(0) lgkmcnt(0)
	v_mul_f16_e32 v22, v52, v22
	s_branch .LBB216_261
.LBB216_260:
	v_mov_b32_e32 v22, 0
.LBB216_261:
	v_pk_add_f16 v16, v2, v16
	v_pk_max_f16 v23, v73, v73
	v_pk_add_f16 v17, v3, v17
	v_pk_min_f16 v16, v23, v16
	s_nop 0
	v_pk_min_f16 v16, v16, v17
	s_nop 0
	v_lshrrev_b32_e32 v17, 16, v16
	v_min3_f16 v22, v22, v16, v17
	v_lshl_add_u64 v[16:17], v[46:47], 1, v[20:21]
	global_store_short v[16:17], v22, off
.LBB216_262:
	s_or_b64 exec, exec, s[10:11]
	v_add_u32_e32 v22, 0x58, v86
	v_mad_i64_i32 v[16:17], s[14:15], v22, s19, 0
	v_cmp_gt_i32_e64 s[10:11], s17, v22
	v_lshl_add_u64 v[20:21], v[16:17], 1, s[20:21]
	v_mad_i64_i32 v[16:17], s[14:15], v22, s18, 0
	v_lshl_add_u64 v[16:17], v[16:17], 1, s[12:13]
	s_and_b64 s[22:23], s[4:5], s[10:11]
	s_and_saveexec_b64 s[14:15], s[22:23]
	s_cbranch_execnz .LBB216_266
; %bb.263:
	s_or_b64 exec, exec, s[14:15]
	s_and_b64 s[22:23], s[2:3], s[10:11]
	s_and_saveexec_b64 s[14:15], s[22:23]
	s_cbranch_execnz .LBB216_270
.LBB216_264:
	s_or_b64 exec, exec, s[14:15]
	s_and_b64 s[22:23], s[6:7], s[10:11]
	s_and_saveexec_b64 s[14:15], s[22:23]
	s_cbranch_execnz .LBB216_274
.LBB216_265:
	s_or_b64 exec, exec, s[14:15]
	s_and_b64 s[14:15], s[8:9], s[10:11]
	s_and_saveexec_b64 s[10:11], s[14:15]
	s_cbranch_execnz .LBB216_278
	s_branch .LBB216_282
.LBB216_266:
	s_and_b64 vcc, exec, s[0:1]
	s_cbranch_vccnz .LBB216_268
; %bb.267:
	v_lshl_add_u64 v[22:23], v[40:41], 1, v[20:21]
	flat_load_ushort v22, v[22:23]
	s_waitcnt vmcnt(0) lgkmcnt(0)
	v_mul_f16_e32 v22, v52, v22
	s_branch .LBB216_269
.LBB216_268:
	v_mov_b32_e32 v22, 0
.LBB216_269:
	v_pk_add_f16 v23, v8, v18
	v_pk_max_f16 v24, v72, v72
	s_nop 0
	v_pk_min_f16 v23, v24, v23
	v_pk_add_f16 v24, v9, v19
	s_nop 0
	v_pk_min_f16 v23, v23, v24
	s_nop 0
	v_lshrrev_b32_e32 v24, 16, v23
	v_min3_f16 v24, v22, v23, v24
	v_lshl_add_u64 v[22:23], v[40:41], 1, v[16:17]
	global_store_short v[22:23], v24, off
	s_or_b64 exec, exec, s[14:15]
	s_and_b64 s[22:23], s[2:3], s[10:11]
	s_and_saveexec_b64 s[14:15], s[22:23]
	s_cbranch_execz .LBB216_264
.LBB216_270:
	s_and_b64 vcc, exec, s[0:1]
	s_cbranch_vccnz .LBB216_272
; %bb.271:
	v_lshl_add_u64 v[22:23], v[42:43], 1, v[20:21]
	flat_load_ushort v22, v[22:23]
	s_waitcnt vmcnt(0) lgkmcnt(0)
	v_mul_f16_e32 v22, v52, v22
	s_branch .LBB216_273
.LBB216_272:
	v_mov_b32_e32 v22, 0
.LBB216_273:
	v_pk_add_f16 v23, v10, v18
	v_pk_max_f16 v24, v71, v71
	s_nop 0
	v_pk_min_f16 v23, v24, v23
	v_pk_add_f16 v24, v11, v19
	s_nop 0
	v_pk_min_f16 v23, v23, v24
	s_nop 0
	v_lshrrev_b32_e32 v24, 16, v23
	v_min3_f16 v24, v22, v23, v24
	v_lshl_add_u64 v[22:23], v[42:43], 1, v[16:17]
	global_store_short v[22:23], v24, off
	s_or_b64 exec, exec, s[14:15]
	s_and_b64 s[22:23], s[6:7], s[10:11]
	s_and_saveexec_b64 s[14:15], s[22:23]
	s_cbranch_execz .LBB216_265
.LBB216_274:
	s_and_b64 vcc, exec, s[0:1]
	s_cbranch_vccnz .LBB216_276
; %bb.275:
	v_lshl_add_u64 v[22:23], v[44:45], 1, v[20:21]
	flat_load_ushort v22, v[22:23]
	s_waitcnt vmcnt(0) lgkmcnt(0)
	v_mul_f16_e32 v22, v52, v22
	s_branch .LBB216_277
.LBB216_276:
	v_mov_b32_e32 v22, 0
.LBB216_277:
	v_pk_add_f16 v23, v0, v18
	v_pk_max_f16 v24, v70, v70
	s_nop 0
	v_pk_min_f16 v23, v24, v23
	v_pk_add_f16 v24, v1, v19
	s_nop 0
	v_pk_min_f16 v23, v23, v24
	s_nop 0
	v_lshrrev_b32_e32 v24, 16, v23
	v_min3_f16 v24, v22, v23, v24
	v_lshl_add_u64 v[22:23], v[44:45], 1, v[16:17]
	global_store_short v[22:23], v24, off
	s_or_b64 exec, exec, s[14:15]
	s_and_b64 s[14:15], s[8:9], s[10:11]
	s_and_saveexec_b64 s[10:11], s[14:15]
	s_cbranch_execz .LBB216_282
.LBB216_278:
	s_and_b64 vcc, exec, s[0:1]
	s_cbranch_vccnz .LBB216_280
; %bb.279:
	v_lshl_add_u64 v[20:21], v[46:47], 1, v[20:21]
	flat_load_ushort v20, v[20:21]
	s_waitcnt vmcnt(0) lgkmcnt(0)
	v_mul_f16_e32 v20, v52, v20
	s_branch .LBB216_281
.LBB216_280:
	v_mov_b32_e32 v20, 0
.LBB216_281:
	v_pk_add_f16 v18, v2, v18
	v_pk_max_f16 v21, v69, v69
	v_pk_add_f16 v19, v3, v19
	v_pk_min_f16 v18, v21, v18
	v_lshl_add_u64 v[16:17], v[46:47], 1, v[16:17]
	v_pk_min_f16 v18, v18, v19
	s_nop 0
	v_lshrrev_b32_e32 v19, 16, v18
	v_min3_f16 v18, v20, v18, v19
	global_store_short v[16:17], v18, off
.LBB216_282:
	s_or_b64 exec, exec, s[10:11]
	v_add_u32_e32 v20, 0x60, v86
	v_mad_i64_i32 v[16:17], s[14:15], v20, s19, 0
	v_cmp_gt_i32_e64 s[10:11], s17, v20
	v_lshl_add_u64 v[18:19], v[16:17], 1, s[20:21]
	v_mad_i64_i32 v[16:17], s[14:15], v20, s18, 0
	v_lshl_add_u64 v[16:17], v[16:17], 1, s[12:13]
	s_and_b64 s[22:23], s[4:5], s[10:11]
	s_and_saveexec_b64 s[14:15], s[22:23]
	s_cbranch_execnz .LBB216_286
; %bb.283:
	s_or_b64 exec, exec, s[14:15]
	s_and_b64 s[22:23], s[2:3], s[10:11]
	s_and_saveexec_b64 s[14:15], s[22:23]
	s_cbranch_execnz .LBB216_290
.LBB216_284:
	s_or_b64 exec, exec, s[14:15]
	s_and_b64 s[22:23], s[6:7], s[10:11]
	s_and_saveexec_b64 s[14:15], s[22:23]
	s_cbranch_execnz .LBB216_294
.LBB216_285:
	s_or_b64 exec, exec, s[14:15]
	s_and_b64 s[14:15], s[8:9], s[10:11]
	s_and_saveexec_b64 s[10:11], s[14:15]
	s_cbranch_execnz .LBB216_298
	s_branch .LBB216_302
.LBB216_286:
	s_and_b64 vcc, exec, s[0:1]
	s_cbranch_vccnz .LBB216_288
; %bb.287:
	v_lshl_add_u64 v[20:21], v[40:41], 1, v[18:19]
	flat_load_ushort v20, v[20:21]
	s_waitcnt vmcnt(0) lgkmcnt(0)
	v_mul_f16_e32 v20, v52, v20
	s_branch .LBB216_289
.LBB216_288:
	v_mov_b32_e32 v20, 0
.LBB216_289:
	v_pk_add_f16 v21, v8, v12
	v_pk_max_f16 v22, v68, v68
	s_nop 0
	v_pk_min_f16 v21, v22, v21
	v_pk_add_f16 v22, v9, v13
	s_nop 0
	v_pk_min_f16 v21, v21, v22
	s_nop 0
	v_lshrrev_b32_e32 v22, 16, v21
	v_min3_f16 v22, v20, v21, v22
	v_lshl_add_u64 v[20:21], v[40:41], 1, v[16:17]
	global_store_short v[20:21], v22, off
	s_or_b64 exec, exec, s[14:15]
	s_and_b64 s[22:23], s[2:3], s[10:11]
	s_and_saveexec_b64 s[14:15], s[22:23]
	s_cbranch_execz .LBB216_284
.LBB216_290:
	s_and_b64 vcc, exec, s[0:1]
	s_cbranch_vccnz .LBB216_292
; %bb.291:
	v_lshl_add_u64 v[20:21], v[42:43], 1, v[18:19]
	flat_load_ushort v20, v[20:21]
	s_waitcnt vmcnt(0) lgkmcnt(0)
	v_mul_f16_e32 v20, v52, v20
	s_branch .LBB216_293
.LBB216_292:
	v_mov_b32_e32 v20, 0
.LBB216_293:
	v_pk_add_f16 v21, v10, v12
	v_pk_max_f16 v22, v67, v67
	s_nop 0
	v_pk_min_f16 v21, v22, v21
	v_pk_add_f16 v22, v11, v13
	s_nop 0
	v_pk_min_f16 v21, v21, v22
	s_nop 0
	v_lshrrev_b32_e32 v22, 16, v21
	v_min3_f16 v22, v20, v21, v22
	v_lshl_add_u64 v[20:21], v[42:43], 1, v[16:17]
	global_store_short v[20:21], v22, off
	s_or_b64 exec, exec, s[14:15]
	s_and_b64 s[22:23], s[6:7], s[10:11]
	s_and_saveexec_b64 s[14:15], s[22:23]
	s_cbranch_execz .LBB216_285
.LBB216_294:
	s_and_b64 vcc, exec, s[0:1]
	s_cbranch_vccnz .LBB216_296
; %bb.295:
	v_lshl_add_u64 v[20:21], v[44:45], 1, v[18:19]
	flat_load_ushort v20, v[20:21]
	s_waitcnt vmcnt(0) lgkmcnt(0)
	v_mul_f16_e32 v20, v52, v20
	s_branch .LBB216_297
.LBB216_296:
	v_mov_b32_e32 v20, 0
.LBB216_297:
	v_pk_add_f16 v21, v0, v12
	v_pk_max_f16 v22, v66, v66
	s_nop 0
	v_pk_min_f16 v21, v22, v21
	v_pk_add_f16 v22, v1, v13
	s_nop 0
	v_pk_min_f16 v21, v21, v22
	s_nop 0
	v_lshrrev_b32_e32 v22, 16, v21
	v_min3_f16 v22, v20, v21, v22
	v_lshl_add_u64 v[20:21], v[44:45], 1, v[16:17]
	global_store_short v[20:21], v22, off
	s_or_b64 exec, exec, s[14:15]
	s_and_b64 s[14:15], s[8:9], s[10:11]
	s_and_saveexec_b64 s[10:11], s[14:15]
	s_cbranch_execz .LBB216_302
.LBB216_298:
	s_and_b64 vcc, exec, s[0:1]
	s_cbranch_vccnz .LBB216_300
; %bb.299:
	v_lshl_add_u64 v[18:19], v[46:47], 1, v[18:19]
	flat_load_ushort v18, v[18:19]
	s_waitcnt vmcnt(0) lgkmcnt(0)
	v_mul_f16_e32 v18, v52, v18
	s_branch .LBB216_301
.LBB216_300:
	v_mov_b32_e32 v18, 0
.LBB216_301:
	v_pk_add_f16 v12, v2, v12
	v_pk_max_f16 v19, v65, v65
	v_pk_add_f16 v13, v3, v13
	v_pk_min_f16 v12, v19, v12
	s_nop 0
	v_pk_min_f16 v12, v12, v13
	s_nop 0
	v_lshrrev_b32_e32 v13, 16, v12
	v_min3_f16 v18, v18, v12, v13
	v_lshl_add_u64 v[12:13], v[46:47], 1, v[16:17]
	global_store_short v[12:13], v18, off
.LBB216_302:
	s_or_b64 exec, exec, s[10:11]
	v_add_u32_e32 v18, 0x68, v86
	v_mad_i64_i32 v[12:13], s[14:15], v18, s19, 0
	v_cmp_gt_i32_e64 s[10:11], s17, v18
	v_lshl_add_u64 v[16:17], v[12:13], 1, s[20:21]
	v_mad_i64_i32 v[12:13], s[14:15], v18, s18, 0
	v_lshl_add_u64 v[12:13], v[12:13], 1, s[12:13]
	s_and_b64 s[22:23], s[4:5], s[10:11]
	s_and_saveexec_b64 s[14:15], s[22:23]
	s_cbranch_execnz .LBB216_306
; %bb.303:
	s_or_b64 exec, exec, s[14:15]
	s_and_b64 s[22:23], s[2:3], s[10:11]
	s_and_saveexec_b64 s[14:15], s[22:23]
	s_cbranch_execnz .LBB216_310
.LBB216_304:
	s_or_b64 exec, exec, s[14:15]
	s_and_b64 s[22:23], s[6:7], s[10:11]
	s_and_saveexec_b64 s[14:15], s[22:23]
	s_cbranch_execnz .LBB216_314
.LBB216_305:
	s_or_b64 exec, exec, s[14:15]
	s_and_b64 s[14:15], s[8:9], s[10:11]
	s_and_saveexec_b64 s[10:11], s[14:15]
	s_cbranch_execnz .LBB216_318
	s_branch .LBB216_322
.LBB216_306:
	s_and_b64 vcc, exec, s[0:1]
	s_cbranch_vccnz .LBB216_308
; %bb.307:
	v_lshl_add_u64 v[18:19], v[40:41], 1, v[16:17]
	flat_load_ushort v18, v[18:19]
	s_waitcnt vmcnt(0) lgkmcnt(0)
	v_mul_f16_e32 v18, v52, v18
	s_branch .LBB216_309
.LBB216_308:
	v_mov_b32_e32 v18, 0
.LBB216_309:
	v_pk_add_f16 v19, v8, v14
	v_pk_max_f16 v20, v64, v64
	s_nop 0
	v_pk_min_f16 v19, v20, v19
	v_pk_add_f16 v20, v9, v15
	s_nop 0
	v_pk_min_f16 v19, v19, v20
	s_nop 0
	v_lshrrev_b32_e32 v20, 16, v19
	v_min3_f16 v20, v18, v19, v20
	v_lshl_add_u64 v[18:19], v[40:41], 1, v[12:13]
	global_store_short v[18:19], v20, off
	s_or_b64 exec, exec, s[14:15]
	s_and_b64 s[22:23], s[2:3], s[10:11]
	s_and_saveexec_b64 s[14:15], s[22:23]
	s_cbranch_execz .LBB216_304
.LBB216_310:
	s_and_b64 vcc, exec, s[0:1]
	s_cbranch_vccnz .LBB216_312
; %bb.311:
	v_lshl_add_u64 v[18:19], v[42:43], 1, v[16:17]
	flat_load_ushort v18, v[18:19]
	s_waitcnt vmcnt(0) lgkmcnt(0)
	v_mul_f16_e32 v18, v52, v18
	s_branch .LBB216_313
.LBB216_312:
	v_mov_b32_e32 v18, 0
.LBB216_313:
	v_pk_add_f16 v19, v10, v14
	v_pk_max_f16 v20, v63, v63
	s_nop 0
	v_pk_min_f16 v19, v20, v19
	v_pk_add_f16 v20, v11, v15
	s_nop 0
	v_pk_min_f16 v19, v19, v20
	s_nop 0
	v_lshrrev_b32_e32 v20, 16, v19
	v_min3_f16 v20, v18, v19, v20
	v_lshl_add_u64 v[18:19], v[42:43], 1, v[12:13]
	global_store_short v[18:19], v20, off
	s_or_b64 exec, exec, s[14:15]
	s_and_b64 s[22:23], s[6:7], s[10:11]
	s_and_saveexec_b64 s[14:15], s[22:23]
	s_cbranch_execz .LBB216_305
.LBB216_314:
	s_and_b64 vcc, exec, s[0:1]
	s_cbranch_vccnz .LBB216_316
; %bb.315:
	v_lshl_add_u64 v[18:19], v[44:45], 1, v[16:17]
	flat_load_ushort v18, v[18:19]
	s_waitcnt vmcnt(0) lgkmcnt(0)
	v_mul_f16_e32 v18, v52, v18
	s_branch .LBB216_317
.LBB216_316:
	v_mov_b32_e32 v18, 0
.LBB216_317:
	v_pk_add_f16 v19, v0, v14
	v_pk_max_f16 v20, v62, v62
	s_nop 0
	v_pk_min_f16 v19, v20, v19
	v_pk_add_f16 v20, v1, v15
	s_nop 0
	v_pk_min_f16 v19, v19, v20
	s_nop 0
	v_lshrrev_b32_e32 v20, 16, v19
	v_min3_f16 v20, v18, v19, v20
	v_lshl_add_u64 v[18:19], v[44:45], 1, v[12:13]
	global_store_short v[18:19], v20, off
	s_or_b64 exec, exec, s[14:15]
	s_and_b64 s[14:15], s[8:9], s[10:11]
	s_and_saveexec_b64 s[10:11], s[14:15]
	s_cbranch_execz .LBB216_322
.LBB216_318:
	s_and_b64 vcc, exec, s[0:1]
	s_cbranch_vccnz .LBB216_320
; %bb.319:
	v_lshl_add_u64 v[16:17], v[46:47], 1, v[16:17]
	flat_load_ushort v16, v[16:17]
	s_waitcnt vmcnt(0) lgkmcnt(0)
	v_mul_f16_e32 v16, v52, v16
	s_branch .LBB216_321
.LBB216_320:
	v_mov_b32_e32 v16, 0
.LBB216_321:
	v_pk_add_f16 v14, v2, v14
	v_pk_max_f16 v17, v61, v61
	v_pk_add_f16 v15, v3, v15
	v_pk_min_f16 v14, v17, v14
	v_lshl_add_u64 v[12:13], v[46:47], 1, v[12:13]
	v_pk_min_f16 v14, v14, v15
	s_nop 0
	v_lshrrev_b32_e32 v15, 16, v14
	v_min3_f16 v14, v16, v14, v15
	global_store_short v[12:13], v14, off
.LBB216_322:
	s_or_b64 exec, exec, s[10:11]
	v_add_u32_e32 v16, 0x70, v86
	v_mad_i64_i32 v[12:13], s[14:15], v16, s19, 0
	v_cmp_gt_i32_e64 s[10:11], s17, v16
	v_lshl_add_u64 v[14:15], v[12:13], 1, s[20:21]
	v_mad_i64_i32 v[12:13], s[14:15], v16, s18, 0
	v_lshl_add_u64 v[12:13], v[12:13], 1, s[12:13]
	s_and_b64 s[22:23], s[4:5], s[10:11]
	s_and_saveexec_b64 s[14:15], s[22:23]
	s_cbranch_execnz .LBB216_326
; %bb.323:
	s_or_b64 exec, exec, s[14:15]
	s_and_b64 s[22:23], s[2:3], s[10:11]
	s_and_saveexec_b64 s[14:15], s[22:23]
	s_cbranch_execnz .LBB216_330
.LBB216_324:
	s_or_b64 exec, exec, s[14:15]
	s_and_b64 s[22:23], s[6:7], s[10:11]
	s_and_saveexec_b64 s[14:15], s[22:23]
	s_cbranch_execnz .LBB216_334
.LBB216_325:
	s_or_b64 exec, exec, s[14:15]
	s_and_b64 s[14:15], s[8:9], s[10:11]
	s_and_saveexec_b64 s[10:11], s[14:15]
	s_cbranch_execnz .LBB216_338
	s_branch .LBB216_342
.LBB216_326:
	s_and_b64 vcc, exec, s[0:1]
	s_cbranch_vccnz .LBB216_328
; %bb.327:
	v_lshl_add_u64 v[16:17], v[40:41], 1, v[14:15]
	flat_load_ushort v16, v[16:17]
	s_waitcnt vmcnt(0) lgkmcnt(0)
	v_mul_f16_e32 v16, v52, v16
	s_branch .LBB216_329
.LBB216_328:
	v_mov_b32_e32 v16, 0
.LBB216_329:
	v_pk_add_f16 v17, v8, v4
	v_pk_max_f16 v18, v60, v60
	s_nop 0
	v_pk_min_f16 v17, v18, v17
	v_pk_add_f16 v18, v9, v5
	s_nop 0
	v_pk_min_f16 v17, v17, v18
	s_nop 0
	v_lshrrev_b32_e32 v18, 16, v17
	v_min3_f16 v18, v16, v17, v18
	v_lshl_add_u64 v[16:17], v[40:41], 1, v[12:13]
	global_store_short v[16:17], v18, off
	s_or_b64 exec, exec, s[14:15]
	s_and_b64 s[22:23], s[2:3], s[10:11]
	s_and_saveexec_b64 s[14:15], s[22:23]
	s_cbranch_execz .LBB216_324
.LBB216_330:
	s_and_b64 vcc, exec, s[0:1]
	s_cbranch_vccnz .LBB216_332
; %bb.331:
	v_lshl_add_u64 v[16:17], v[42:43], 1, v[14:15]
	flat_load_ushort v16, v[16:17]
	s_waitcnt vmcnt(0) lgkmcnt(0)
	v_mul_f16_e32 v16, v52, v16
	s_branch .LBB216_333
.LBB216_332:
	v_mov_b32_e32 v16, 0
.LBB216_333:
	v_pk_add_f16 v17, v10, v4
	v_pk_max_f16 v18, v59, v59
	s_nop 0
	v_pk_min_f16 v17, v18, v17
	v_pk_add_f16 v18, v11, v5
	s_nop 0
	v_pk_min_f16 v17, v17, v18
	s_nop 0
	v_lshrrev_b32_e32 v18, 16, v17
	v_min3_f16 v18, v16, v17, v18
	v_lshl_add_u64 v[16:17], v[42:43], 1, v[12:13]
	global_store_short v[16:17], v18, off
	s_or_b64 exec, exec, s[14:15]
	s_and_b64 s[22:23], s[6:7], s[10:11]
	s_and_saveexec_b64 s[14:15], s[22:23]
	s_cbranch_execz .LBB216_325
.LBB216_334:
	s_and_b64 vcc, exec, s[0:1]
	s_cbranch_vccnz .LBB216_336
; %bb.335:
	v_lshl_add_u64 v[16:17], v[44:45], 1, v[14:15]
	flat_load_ushort v16, v[16:17]
	s_waitcnt vmcnt(0) lgkmcnt(0)
	v_mul_f16_e32 v16, v52, v16
	s_branch .LBB216_337
.LBB216_336:
	v_mov_b32_e32 v16, 0
.LBB216_337:
	v_pk_add_f16 v17, v0, v4
	v_pk_max_f16 v18, v58, v58
	s_nop 0
	v_pk_min_f16 v17, v18, v17
	v_pk_add_f16 v18, v1, v5
	s_nop 0
	v_pk_min_f16 v17, v17, v18
	s_nop 0
	v_lshrrev_b32_e32 v18, 16, v17
	v_min3_f16 v18, v16, v17, v18
	v_lshl_add_u64 v[16:17], v[44:45], 1, v[12:13]
	global_store_short v[16:17], v18, off
	s_or_b64 exec, exec, s[14:15]
	s_and_b64 s[14:15], s[8:9], s[10:11]
	s_and_saveexec_b64 s[10:11], s[14:15]
	s_cbranch_execz .LBB216_342
.LBB216_338:
	s_and_b64 vcc, exec, s[0:1]
	s_cbranch_vccnz .LBB216_340
; %bb.339:
	v_lshl_add_u64 v[14:15], v[46:47], 1, v[14:15]
	flat_load_ushort v14, v[14:15]
	s_waitcnt vmcnt(0) lgkmcnt(0)
	v_mul_f16_e32 v14, v52, v14
	s_branch .LBB216_341
.LBB216_340:
	v_mov_b32_e32 v14, 0
.LBB216_341:
	v_pk_add_f16 v4, v2, v4
	v_pk_max_f16 v15, v57, v57
	v_pk_add_f16 v5, v3, v5
	v_pk_min_f16 v4, v15, v4
	s_nop 0
	v_pk_min_f16 v4, v4, v5
	s_nop 0
	v_lshrrev_b32_e32 v5, 16, v4
	v_min3_f16 v14, v14, v4, v5
	v_lshl_add_u64 v[4:5], v[46:47], 1, v[12:13]
	global_store_short v[4:5], v14, off
.LBB216_342:
	s_or_b64 exec, exec, s[10:11]
	v_add_u32_e32 v14, 0x78, v86
	v_mad_i64_i32 v[4:5], s[14:15], v14, s19, 0
	v_cmp_gt_i32_e64 s[10:11], s17, v14
	v_lshl_add_u64 v[12:13], v[4:5], 1, s[20:21]
	v_mad_i64_i32 v[4:5], s[14:15], v14, s18, 0
	v_lshl_add_u64 v[4:5], v[4:5], 1, s[12:13]
	s_and_b64 s[12:13], s[4:5], s[10:11]
	s_and_saveexec_b64 s[4:5], s[12:13]
	s_cbranch_execnz .LBB216_347
; %bb.343:
	s_or_b64 exec, exec, s[4:5]
	s_and_b64 s[4:5], s[2:3], s[10:11]
	s_and_saveexec_b64 s[2:3], s[4:5]
	s_cbranch_execnz .LBB216_351
.LBB216_344:
	s_or_b64 exec, exec, s[2:3]
	s_and_b64 s[4:5], s[6:7], s[10:11]
	s_and_saveexec_b64 s[2:3], s[4:5]
	s_cbranch_execnz .LBB216_355
.LBB216_345:
	s_or_b64 exec, exec, s[2:3]
	s_and_b64 s[2:3], s[8:9], s[10:11]
	s_and_saveexec_b64 s[4:5], s[2:3]
	s_cbranch_execnz .LBB216_359
.LBB216_346:
	s_endpgm
.LBB216_347:
	s_and_b64 vcc, exec, s[0:1]
	s_cbranch_vccnz .LBB216_349
; %bb.348:
	v_lshl_add_u64 v[14:15], v[40:41], 1, v[12:13]
	flat_load_ushort v14, v[14:15]
	s_waitcnt vmcnt(0) lgkmcnt(0)
	v_mul_f16_e32 v14, v52, v14
	s_branch .LBB216_350
.LBB216_349:
	v_mov_b32_e32 v14, 0
.LBB216_350:
	v_pk_add_f16 v8, v8, v6
	v_pk_max_f16 v15, v55, v55
	v_pk_add_f16 v9, v9, v7
	v_pk_min_f16 v8, v15, v8
	s_nop 0
	v_pk_min_f16 v8, v8, v9
	s_nop 0
	v_lshrrev_b32_e32 v9, 16, v8
	v_min3_f16 v14, v14, v8, v9
	v_lshl_add_u64 v[8:9], v[40:41], 1, v[4:5]
	global_store_short v[8:9], v14, off
	s_or_b64 exec, exec, s[4:5]
	s_and_b64 s[4:5], s[2:3], s[10:11]
	s_and_saveexec_b64 s[2:3], s[4:5]
	s_cbranch_execz .LBB216_344
.LBB216_351:
	s_and_b64 vcc, exec, s[0:1]
	s_cbranch_vccnz .LBB216_353
; %bb.352:
	v_lshl_add_u64 v[8:9], v[42:43], 1, v[12:13]
	flat_load_ushort v8, v[8:9]
	s_waitcnt vmcnt(0) lgkmcnt(0)
	v_mul_f16_e32 v8, v52, v8
	s_branch .LBB216_354
.LBB216_353:
	v_mov_b32_e32 v8, 0
.LBB216_354:
	v_pk_add_f16 v9, v10, v6
	v_pk_max_f16 v10, v54, v54
	s_nop 0
	v_pk_min_f16 v9, v10, v9
	v_pk_add_f16 v10, v11, v7
	s_nop 0
	v_pk_min_f16 v9, v9, v10
	s_nop 0
	v_lshrrev_b32_e32 v10, 16, v9
	v_min3_f16 v10, v8, v9, v10
	v_lshl_add_u64 v[8:9], v[42:43], 1, v[4:5]
	global_store_short v[8:9], v10, off
	s_or_b64 exec, exec, s[2:3]
	s_and_b64 s[4:5], s[6:7], s[10:11]
	s_and_saveexec_b64 s[2:3], s[4:5]
	s_cbranch_execz .LBB216_345
.LBB216_355:
	s_and_b64 vcc, exec, s[0:1]
	s_cbranch_vccnz .LBB216_357
; %bb.356:
	v_lshl_add_u64 v[8:9], v[44:45], 1, v[12:13]
	flat_load_ushort v8, v[8:9]
	s_waitcnt vmcnt(0) lgkmcnt(0)
	v_mul_f16_e32 v8, v52, v8
	s_branch .LBB216_358
.LBB216_357:
	v_mov_b32_e32 v8, 0
.LBB216_358:
	v_pk_add_f16 v0, v0, v6
	v_pk_max_f16 v9, v53, v53
	v_pk_add_f16 v1, v1, v7
	v_pk_min_f16 v0, v9, v0
	s_nop 0
	v_pk_min_f16 v0, v0, v1
	s_nop 0
	v_lshrrev_b32_e32 v1, 16, v0
	v_min3_f16 v8, v8, v0, v1
	v_lshl_add_u64 v[0:1], v[44:45], 1, v[4:5]
	global_store_short v[0:1], v8, off
	s_or_b64 exec, exec, s[2:3]
	s_and_b64 s[2:3], s[8:9], s[10:11]
	s_and_saveexec_b64 s[4:5], s[2:3]
	s_cbranch_execz .LBB216_346
.LBB216_359:
	s_and_b64 vcc, exec, s[0:1]
	s_cbranch_vccnz .LBB216_361
; %bb.360:
	v_lshl_add_u64 v[0:1], v[46:47], 1, v[12:13]
	flat_load_ushort v0, v[0:1]
	s_waitcnt vmcnt(0) lgkmcnt(0)
	v_mul_f16_e32 v0, v52, v0
	s_branch .LBB216_362
.LBB216_361:
	v_mov_b32_e32 v0, 0
.LBB216_362:
	v_pk_add_f16 v1, v2, v6
	v_pk_max_f16 v2, v56, v56
	s_nop 0
	v_pk_min_f16 v1, v2, v1
	v_pk_add_f16 v2, v3, v7
	s_nop 0
	v_pk_min_f16 v1, v1, v2
	s_nop 0
	v_lshrrev_b32_e32 v2, 16, v1
	v_min3_f16 v2, v0, v1, v2
	v_lshl_add_u64 v[0:1], v[46:47], 1, v[4:5]
	global_store_short v[0:1], v2, off
	s_endpgm
	.section	.rodata,"a",@progbits
	.p2align	6, 0x0
	.amdhsa_kernel _ZN12_GLOBAL__N_120geam_min_plus_kernelIDF16_Dv2_DF16_S1_Li32ELi8ELi128ELi128ELi4ELi4ELi64ELi4ELi64ELc84ELc78ELb0ELb1ELb1EPKDF16_KS3_KPDF16_EEviiiT16_PT17_ilS9_ilS7_S9_ilPT18_ili26rocblas_geam_ex_operation_
		.amdhsa_group_segment_fixed_size 4096
		.amdhsa_private_segment_fixed_size 0
		.amdhsa_kernarg_size 136
		.amdhsa_user_sgpr_count 2
		.amdhsa_user_sgpr_dispatch_ptr 0
		.amdhsa_user_sgpr_queue_ptr 0
		.amdhsa_user_sgpr_kernarg_segment_ptr 1
		.amdhsa_user_sgpr_dispatch_id 0
		.amdhsa_user_sgpr_kernarg_preload_length 0
		.amdhsa_user_sgpr_kernarg_preload_offset 0
		.amdhsa_user_sgpr_private_segment_size 0
		.amdhsa_uses_dynamic_stack 0
		.amdhsa_enable_private_segment 0
		.amdhsa_system_sgpr_workgroup_id_x 1
		.amdhsa_system_sgpr_workgroup_id_y 0
		.amdhsa_system_sgpr_workgroup_id_z 1
		.amdhsa_system_sgpr_workgroup_info 0
		.amdhsa_system_vgpr_workitem_id 1
		.amdhsa_next_free_vgpr 169
		.amdhsa_next_free_sgpr 36
		.amdhsa_accum_offset 172
		.amdhsa_reserve_vcc 1
		.amdhsa_float_round_mode_32 0
		.amdhsa_float_round_mode_16_64 0
		.amdhsa_float_denorm_mode_32 3
		.amdhsa_float_denorm_mode_16_64 3
		.amdhsa_dx10_clamp 1
		.amdhsa_ieee_mode 1
		.amdhsa_fp16_overflow 0
		.amdhsa_tg_split 0
		.amdhsa_exception_fp_ieee_invalid_op 0
		.amdhsa_exception_fp_denorm_src 0
		.amdhsa_exception_fp_ieee_div_zero 0
		.amdhsa_exception_fp_ieee_overflow 0
		.amdhsa_exception_fp_ieee_underflow 0
		.amdhsa_exception_fp_ieee_inexact 0
		.amdhsa_exception_int_div_zero 0
	.end_amdhsa_kernel
	.section	.text._ZN12_GLOBAL__N_120geam_min_plus_kernelIDF16_Dv2_DF16_S1_Li32ELi8ELi128ELi128ELi4ELi4ELi64ELi4ELi64ELc84ELc78ELb0ELb1ELb1EPKDF16_KS3_KPDF16_EEviiiT16_PT17_ilS9_ilS7_S9_ilPT18_ili26rocblas_geam_ex_operation_,"axG",@progbits,_ZN12_GLOBAL__N_120geam_min_plus_kernelIDF16_Dv2_DF16_S1_Li32ELi8ELi128ELi128ELi4ELi4ELi64ELi4ELi64ELc84ELc78ELb0ELb1ELb1EPKDF16_KS3_KPDF16_EEviiiT16_PT17_ilS9_ilS7_S9_ilPT18_ili26rocblas_geam_ex_operation_,comdat
.Lfunc_end216:
	.size	_ZN12_GLOBAL__N_120geam_min_plus_kernelIDF16_Dv2_DF16_S1_Li32ELi8ELi128ELi128ELi4ELi4ELi64ELi4ELi64ELc84ELc78ELb0ELb1ELb1EPKDF16_KS3_KPDF16_EEviiiT16_PT17_ilS9_ilS7_S9_ilPT18_ili26rocblas_geam_ex_operation_, .Lfunc_end216-_ZN12_GLOBAL__N_120geam_min_plus_kernelIDF16_Dv2_DF16_S1_Li32ELi8ELi128ELi128ELi4ELi4ELi64ELi4ELi64ELc84ELc78ELb0ELb1ELb1EPKDF16_KS3_KPDF16_EEviiiT16_PT17_ilS9_ilS7_S9_ilPT18_ili26rocblas_geam_ex_operation_
                                        ; -- End function
	.section	.AMDGPU.csdata,"",@progbits
; Kernel info:
; codeLenInByte = 19988
; NumSgprs: 42
; NumVgprs: 169
; NumAgprs: 0
; TotalNumVgprs: 169
; ScratchSize: 0
; MemoryBound: 0
; FloatMode: 240
; IeeeMode: 1
; LDSByteSize: 4096 bytes/workgroup (compile time only)
; SGPRBlocks: 5
; VGPRBlocks: 21
; NumSGPRsForWavesPerEU: 42
; NumVGPRsForWavesPerEU: 169
; AccumOffset: 172
; Occupancy: 2
; WaveLimiterHint : 1
; COMPUTE_PGM_RSRC2:SCRATCH_EN: 0
; COMPUTE_PGM_RSRC2:USER_SGPR: 2
; COMPUTE_PGM_RSRC2:TRAP_HANDLER: 0
; COMPUTE_PGM_RSRC2:TGID_X_EN: 1
; COMPUTE_PGM_RSRC2:TGID_Y_EN: 0
; COMPUTE_PGM_RSRC2:TGID_Z_EN: 1
; COMPUTE_PGM_RSRC2:TIDIG_COMP_CNT: 1
; COMPUTE_PGM_RSRC3_GFX90A:ACCUM_OFFSET: 42
; COMPUTE_PGM_RSRC3_GFX90A:TG_SPLIT: 0
	.section	.text._ZN12_GLOBAL__N_120geam_min_plus_kernelIDF16_Dv2_DF16_S1_Li32ELi8ELi128ELi128ELi4ELi4ELi64ELi4ELi64ELc84ELc78ELb1ELb1ELb1EDF16_KPKDF16_KPDF16_EEviiiT16_PT17_ilS9_ilS7_S9_ilPT18_ili26rocblas_geam_ex_operation_,"axG",@progbits,_ZN12_GLOBAL__N_120geam_min_plus_kernelIDF16_Dv2_DF16_S1_Li32ELi8ELi128ELi128ELi4ELi4ELi64ELi4ELi64ELc84ELc78ELb1ELb1ELb1EDF16_KPKDF16_KPDF16_EEviiiT16_PT17_ilS9_ilS7_S9_ilPT18_ili26rocblas_geam_ex_operation_,comdat
	.globl	_ZN12_GLOBAL__N_120geam_min_plus_kernelIDF16_Dv2_DF16_S1_Li32ELi8ELi128ELi128ELi4ELi4ELi64ELi4ELi64ELc84ELc78ELb1ELb1ELb1EDF16_KPKDF16_KPDF16_EEviiiT16_PT17_ilS9_ilS7_S9_ilPT18_ili26rocblas_geam_ex_operation_ ; -- Begin function _ZN12_GLOBAL__N_120geam_min_plus_kernelIDF16_Dv2_DF16_S1_Li32ELi8ELi128ELi128ELi4ELi4ELi64ELi4ELi64ELc84ELc78ELb1ELb1ELb1EDF16_KPKDF16_KPDF16_EEviiiT16_PT17_ilS9_ilS7_S9_ilPT18_ili26rocblas_geam_ex_operation_
	.p2align	8
	.type	_ZN12_GLOBAL__N_120geam_min_plus_kernelIDF16_Dv2_DF16_S1_Li32ELi8ELi128ELi128ELi4ELi4ELi64ELi4ELi64ELc84ELc78ELb1ELb1ELb1EDF16_KPKDF16_KPDF16_EEviiiT16_PT17_ilS9_ilS7_S9_ilPT18_ili26rocblas_geam_ex_operation_,@function
_ZN12_GLOBAL__N_120geam_min_plus_kernelIDF16_Dv2_DF16_S1_Li32ELi8ELi128ELi128ELi4ELi4ELi64ELi4ELi64ELc84ELc78ELb1ELb1ELb1EDF16_KPKDF16_KPDF16_EEviiiT16_PT17_ilS9_ilS7_S9_ilPT18_ili26rocblas_geam_ex_operation_: ; @_ZN12_GLOBAL__N_120geam_min_plus_kernelIDF16_Dv2_DF16_S1_Li32ELi8ELi128ELi128ELi4ELi4ELi64ELi4ELi64ELc84ELc78ELb1ELb1ELb1EDF16_KPKDF16_KPDF16_EEviiiT16_PT17_ilS9_ilS7_S9_ilPT18_ili26rocblas_geam_ex_operation_
; %bb.0:
	s_load_dwordx4 s[12:15], s[0:1], 0x0
	s_load_dwordx4 s[4:7], s[0:1], 0x20
	s_mov_b32 s8, s3
	s_mov_b32 s9, 0
	s_waitcnt lgkmcnt(0)
	v_cmp_eq_f16_e64 s[10:11], s15, 0
	s_and_b64 vcc, exec, s[10:11]
	s_cbranch_vccnz .LBB217_3
; %bb.1:
	s_load_dwordx2 s[16:17], s[0:1], 0x10
	s_lshl_b64 s[18:19], s[8:9], 3
	s_waitcnt lgkmcnt(0)
	s_add_u32 s16, s16, s18
	s_addc_u32 s17, s17, s19
	s_load_dwordx2 s[16:17], s[16:17], 0x0
	s_lshl_b64 s[4:5], s[4:5], 1
	s_waitcnt lgkmcnt(0)
	s_add_u32 s20, s16, s4
	s_addc_u32 s21, s17, s5
	s_andn2_b64 vcc, exec, s[10:11]
	s_cbranch_vccnz .LBB217_4
.LBB217_2:
	s_mov_b64 s[22:23], 0
	s_cbranch_execz .LBB217_5
	s_branch .LBB217_6
.LBB217_3:
	s_mov_b64 s[20:21], 0
	s_andn2_b64 vcc, exec, s[10:11]
	s_cbranch_vccz .LBB217_2
.LBB217_4:
                                        ; implicit-def: $sgpr22_sgpr23
.LBB217_5:
	s_lshl_b64 s[10:11], s[8:9], 3
	s_add_u32 s6, s6, s10
	s_load_dwordx2 s[4:5], s[0:1], 0x38
	s_addc_u32 s7, s7, s11
	s_load_dwordx2 s[6:7], s[6:7], 0x0
	s_waitcnt lgkmcnt(0)
	s_lshl_b64 s[4:5], s[4:5], 1
	s_add_u32 s22, s6, s4
	s_addc_u32 s23, s7, s5
.LBB217_6:
	s_load_dword s26, s[0:1], 0x40
	s_load_dwordx4 s[4:7], s[0:1], 0x58
	s_waitcnt lgkmcnt(0)
	v_cmp_eq_f16_e64 s[10:11], s26, 0
	v_cmp_neq_f16_e64 s[18:19], s26, 0
	s_and_b64 vcc, exec, s[10:11]
	s_cbranch_vccnz .LBB217_8
; %bb.7:
	s_load_dwordx2 s[10:11], s[0:1], 0x48
	s_lshl_b64 s[16:17], s[8:9], 3
	s_waitcnt lgkmcnt(0)
	s_add_u32 s10, s10, s16
	s_addc_u32 s11, s11, s17
	s_load_dwordx2 s[10:11], s[10:11], 0x0
	s_lshl_b64 s[4:5], s[4:5], 1
	s_waitcnt lgkmcnt(0)
	s_add_u32 s16, s10, s4
	s_addc_u32 s17, s11, s5
	s_branch .LBB217_9
.LBB217_8:
	s_mov_b64 s[16:17], 0
.LBB217_9:
	s_lshl_b64 s[4:5], s[8:9], 3
	s_add_u32 s4, s6, s4
	s_addc_u32 s5, s7, s5
	s_add_i32 s3, s12, -1
	s_ashr_i32 s6, s3, 31
	s_lshr_b32 s6, s6, 25
	s_add_i32 s3, s3, s6
	s_ashr_i32 s3, s3, 7
	s_add_i32 s7, s3, 1
	v_cvt_f32_u32_e32 v1, s7
	v_and_b32_e32 v93, 0x3ff, v0
	v_bfe_u32 v94, v0, 10, 10
	s_load_dwordx2 s[10:11], s[4:5], 0x0
	v_rcp_iflag_f32_e32 v1, v1
	s_not_b32 s3, s3
	s_load_dword s29, s[0:1], 0x18
	v_and_b32_e32 v105, 3, v93
	v_mul_f32_e32 v0, 0x4f7ffffe, v1
	v_cvt_u32_f32_e32 v0, v0
	v_lshl_add_u32 v1, v94, 5, v93
	v_lshrrev_b32_e32 v4, 2, v1
	v_cmp_le_i32_e64 s[8:9], s14, v105
	v_readfirstlane_b32 s4, v0
	s_mul_i32 s3, s3, s4
	s_mul_hi_u32 s3, s4, s3
	s_add_i32 s4, s4, s3
	s_mul_hi_u32 s3, s2, s4
	s_mul_i32 s4, s3, s7
	s_sub_i32 s4, s2, s4
	s_add_i32 s5, s3, 1
	s_sub_i32 s6, s4, s7
	s_cmp_ge_u32 s4, s7
	s_cselect_b32 s3, s5, s3
	s_cselect_b32 s4, s6, s4
	s_add_i32 s5, s3, 1
	s_cmp_ge_u32 s4, s7
	s_cselect_b32 s6, s5, s3
	s_mul_i32 s3, s6, s7
	s_sub_i32 s2, s2, s3
	s_lshl_b32 s27, s2, 7
	v_add_u32_e32 v42, s27, v4
	v_cmp_le_i32_e32 vcc, s12, v42
	v_mov_b32_e32 v41, 0
	v_lshlrev_b32_e32 v40, 1, v105
	s_or_b64 s[2:3], s[8:9], vcc
	v_lshl_add_u64 v[0:1], s[20:21], 0, v[40:41]
	s_xor_b64 s[4:5], s[2:3], -1
	v_mov_b32_e32 v5, 0x7c00
	v_mov_b32_e32 v6, 0x7c00
	s_and_saveexec_b64 s[2:3], s[4:5]
	s_cbranch_execz .LBB217_11
; %bb.10:
	s_waitcnt lgkmcnt(0)
	v_mad_i64_i32 v[2:3], s[4:5], v42, s29, 0
	v_lshl_add_u64 v[2:3], v[2:3], 1, v[0:1]
	flat_load_ushort v6, v[2:3]
.LBB217_11:
	s_or_b64 exec, exec, s[2:3]
	v_add_u32_e32 v43, 64, v42
	v_cmp_le_i32_e64 s[2:3], s12, v43
	s_or_b64 s[4:5], s[8:9], s[2:3]
	s_xor_b64 s[24:25], s[4:5], -1
	s_and_saveexec_b64 s[4:5], s[24:25]
	s_cbranch_execz .LBB217_13
; %bb.12:
	s_waitcnt lgkmcnt(0)
	v_mad_i64_i32 v[2:3], s[24:25], v43, s29, 0
	v_lshl_add_u64 v[2:3], v[2:3], 1, v[0:1]
	flat_load_ushort v5, v[2:3]
.LBB217_13:
	s_or_b64 exec, exec, s[4:5]
	s_load_dword s30, s[0:1], 0x30
	s_lshl_b32 s28, s6, 7
	v_add_u32_e32 v46, s28, v4
	v_cmp_le_i32_e64 s[4:5], s13, v46
	v_mov_b32_e32 v41, 0
	s_or_b64 s[6:7], s[8:9], s[4:5]
	v_lshl_add_u64 v[2:3], s[22:23], 0, v[40:41]
	s_xor_b64 s[24:25], s[6:7], -1
	v_mov_b32_e32 v7, 0x7c00
	v_mov_b32_e32 v8, 0x7c00
	s_and_saveexec_b64 s[6:7], s[24:25]
	s_cbranch_execz .LBB217_15
; %bb.14:
	s_waitcnt lgkmcnt(0)
	v_mad_i64_i32 v[8:9], s[24:25], v46, s30, 0
	v_lshl_add_u64 v[8:9], v[8:9], 1, v[2:3]
	flat_load_ushort v8, v[8:9]
.LBB217_15:
	s_or_b64 exec, exec, s[6:7]
	v_add_u32_e32 v48, 64, v46
	v_cmp_le_i32_e64 s[6:7], s13, v48
	s_or_b64 s[8:9], s[8:9], s[6:7]
	s_xor_b64 s[24:25], s[8:9], -1
	s_and_saveexec_b64 s[8:9], s[24:25]
	s_cbranch_execz .LBB217_17
; %bb.16:
	s_waitcnt lgkmcnt(0)
	v_mad_i64_i32 v[10:11], s[24:25], v48, s30, 0
	v_lshl_add_u64 v[10:11], v[10:11], 1, v[2:3]
	flat_load_ushort v7, v[10:11]
.LBB217_17:
	s_or_b64 exec, exec, s[8:9]
	v_or_b32_e32 v9, 4, v105
	v_cmp_le_i32_e64 s[8:9], s14, v9
	s_or_b64 s[24:25], s[8:9], vcc
	s_xor_b64 s[34:35], s[24:25], -1
	v_mov_b32_e32 v41, 0x7c00
	v_mov_b32_e32 v44, 0x7c00
	s_and_saveexec_b64 s[24:25], s[34:35]
	s_cbranch_execz .LBB217_19
; %bb.18:
	s_waitcnt lgkmcnt(0)
	v_mad_i64_i32 v[10:11], s[34:35], v42, s29, 0
	v_lshl_add_u64 v[10:11], v[10:11], 1, v[0:1]
	flat_load_ushort v44, v[10:11] offset:8
.LBB217_19:
	s_or_b64 exec, exec, s[24:25]
	s_or_b64 s[24:25], s[8:9], s[2:3]
	s_xor_b64 s[34:35], s[24:25], -1
	s_and_saveexec_b64 s[24:25], s[34:35]
	s_cbranch_execz .LBB217_21
; %bb.20:
	s_waitcnt lgkmcnt(0)
	v_mad_i64_i32 v[10:11], s[34:35], v43, s29, 0
	v_lshl_add_u64 v[0:1], v[10:11], 1, v[0:1]
	flat_load_ushort v41, v[0:1] offset:8
.LBB217_21:
	s_or_b64 exec, exec, s[24:25]
	s_or_b64 s[24:25], s[8:9], s[4:5]
	s_xor_b64 s[34:35], s[24:25], -1
	v_mov_b32_e32 v45, 0x7c00
	v_mov_b32_e32 v47, 0x7c00
	s_and_saveexec_b64 s[24:25], s[34:35]
	s_cbranch_execz .LBB217_23
; %bb.22:
	s_waitcnt lgkmcnt(0)
	v_mad_i64_i32 v[0:1], s[34:35], v46, s30, 0
	v_lshl_add_u64 v[0:1], v[0:1], 1, v[2:3]
	flat_load_ushort v47, v[0:1] offset:8
.LBB217_23:
	s_or_b64 exec, exec, s[24:25]
	s_or_b64 s[8:9], s[8:9], s[6:7]
	s_xor_b64 s[24:25], s[8:9], -1
	s_and_saveexec_b64 s[8:9], s[24:25]
	s_cbranch_execz .LBB217_25
; %bb.24:
	s_waitcnt lgkmcnt(0)
	v_mad_i64_i32 v[0:1], s[24:25], v48, s30, 0
	v_lshl_add_u64 v[0:1], v[0:1], 1, v[2:3]
	flat_load_ushort v45, v[0:1] offset:8
.LBB217_25:
	s_or_b64 exec, exec, s[8:9]
	v_lshl_or_b32 v111, v4, 3, v40
	v_lshlrev_b32_e32 v102, 3, v93
	s_waitcnt vmcnt(0) lgkmcnt(0)
	ds_write_b16 v111, v6
	ds_write_b16 v111, v5 offset:512
	ds_write_b16 v111, v8 offset:2048
	;; [unrolled: 1-line block ×3, first 2 shown]
	s_waitcnt lgkmcnt(0)
	s_barrier
	ds_read2_b64 v[4:7], v102 offset1:32
	ds_read2_b64 v[0:3], v102 offset0:64 offset1:96
	v_lshlrev_b32_e32 v103, 3, v94
	v_add_u32_e32 v112, 0x800, v103
	ds_read2_b64 v[36:39], v112 offset1:8
	ds_read2_b64 v[32:35], v112 offset0:16 offset1:24
	ds_read2_b64 v[28:31], v112 offset0:32 offset1:40
	;; [unrolled: 1-line block ×7, first 2 shown]
	s_movk_i32 s8, 0x7c00
	s_waitcnt lgkmcnt(7)
	v_pk_add_f16 v49, v4, v36
	s_waitcnt lgkmcnt(2)
	v_pk_add_f16 v81, v0, v16
	v_pk_min_f16 v49, v49, s8 op_sel_hi:[1,0]
	v_pk_min_f16 v129, v81, s8 op_sel_hi:[1,0]
	v_pk_add_f16 v81, v4, v18
	v_pk_add_f16 v50, v6, v36
	v_pk_min_f16 v130, v81, s8 op_sel_hi:[1,0]
	v_pk_add_f16 v81, v6, v18
	v_pk_add_f16 v51, v0, v36
	;; [unrolled: 3-line block ×3, first 2 shown]
	v_pk_min_f16 v132, v81, s8 op_sel_hi:[1,0]
	s_waitcnt lgkmcnt(1)
	v_pk_add_f16 v81, v4, v12
	v_pk_add_f16 v52, v4, v38
	v_pk_min_f16 v133, v81, s8 op_sel_hi:[1,0]
	v_pk_add_f16 v81, v6, v12
	v_pk_add_f16 v53, v6, v38
	v_pk_min_f16 v134, v81, s8 op_sel_hi:[1,0]
	;; [unrolled: 3-line block ×6, first 2 shown]
	s_waitcnt lgkmcnt(0)
	v_pk_add_f16 v81, v4, v8
	v_pk_add_f16 v57, v0, v32
	v_pk_min_f16 v139, v81, s8 op_sel_hi:[1,0]
	v_pk_add_f16 v81, v6, v8
	v_pk_add_f16 v32, v2, v32
	;; [unrolled: 1-line block ×36, first 2 shown]
	v_pk_min_f16 v140, v81, s8 op_sel_hi:[1,0]
	v_pk_add_f16 v81, v0, v8
	v_pk_add_f16 v8, v2, v8
	;; [unrolled: 1-line block ×7, first 2 shown]
	v_pk_min_f16 v50, v50, s8 op_sel_hi:[1,0]
	v_pk_min_f16 v128, v49, v10
	v_pk_add_f16 v10, v7, v37
	v_pk_min_f16 v51, v51, s8 op_sel_hi:[1,0]
	v_pk_min_f16 v127, v50, v10
	v_pk_add_f16 v10, v1, v37
	;; [unrolled: 3-line block ×40, first 2 shown]
	v_pk_min_f16 v80, v80, s8 op_sel_hi:[1,0]
	v_pk_min_f16 v141, v81, s8 op_sel_hi:[1,0]
	v_pk_min_f16 v81, v79, v10
	v_pk_add_f16 v10, v7, v17
	v_pk_min_f16 v16, v16, s8 op_sel_hi:[1,0]
	v_pk_min_f16 v80, v80, v10
	v_pk_add_f16 v10, v1, v17
	v_pk_min_f16 v18, v18, s8 op_sel_hi:[1,0]
	v_pk_min_f16 v79, v129, v10
	v_pk_add_f16 v10, v3, v17
	v_pk_min_f16 v12, v12, s8 op_sel_hi:[1,0]
	v_pk_min_f16 v78, v16, v10
	v_pk_add_f16 v10, v5, v19
	v_pk_min_f16 v14, v14, s8 op_sel_hi:[1,0]
	v_pk_min_f16 v77, v130, v10
	v_pk_add_f16 v10, v7, v19
	v_pk_min_f16 v4, v4, s8 op_sel_hi:[1,0]
	v_pk_min_f16 v76, v131, v10
	v_pk_add_f16 v10, v1, v19
	v_pk_min_f16 v0, v0, s8 op_sel_hi:[1,0]
	v_pk_min_f16 v75, v132, v10
	v_pk_add_f16 v10, v3, v19
	v_pk_min_f16 v8, v8, s8 op_sel_hi:[1,0]
	v_pk_min_f16 v74, v18, v10
	v_pk_add_f16 v10, v5, v13
	v_pk_min_f16 v6, v6, s8 op_sel_hi:[1,0]
	v_pk_min_f16 v73, v133, v10
	v_pk_add_f16 v10, v7, v13
	v_pk_min_f16 v2, v2, s8 op_sel_hi:[1,0]
	v_pk_min_f16 v72, v134, v10
	v_pk_add_f16 v10, v1, v13
	s_cmp_lt_i32 s14, 9
	v_pk_min_f16 v71, v135, v10
	v_pk_add_f16 v10, v3, v13
	ds_write_b16 v111, v44 offset:1024
	ds_write_b16 v111, v41 offset:1536
	;; [unrolled: 1-line block ×4, first 2 shown]
	v_pk_min_f16 v70, v12, v10
	v_pk_add_f16 v10, v5, v15
	s_waitcnt lgkmcnt(0)
	v_pk_min_f16 v69, v136, v10
	v_pk_add_f16 v10, v7, v15
	s_barrier
	v_pk_min_f16 v68, v137, v10
	v_pk_add_f16 v10, v1, v15
	s_nop 0
	v_pk_min_f16 v67, v138, v10
	v_pk_add_f16 v10, v3, v15
	s_nop 0
	v_pk_min_f16 v66, v14, v10
	v_pk_add_f16 v10, v5, v9
	v_pk_add_f16 v5, v5, v11
	v_pk_min_f16 v65, v139, v10
	v_pk_add_f16 v10, v7, v9
	v_pk_min_f16 v60, v4, v5
	v_pk_min_f16 v64, v140, v10
	v_pk_add_f16 v10, v1, v9
	v_pk_add_f16 v1, v1, v11
	;; [unrolled: 1-line block ×4, first 2 shown]
	v_pk_min_f16 v58, v0, v1
	v_pk_add_f16 v0, v3, v11
	v_pk_min_f16 v63, v141, v10
	v_pk_min_f16 v62, v8, v9
	;; [unrolled: 1-line block ×4, first 2 shown]
	s_cbranch_scc1 .LBB217_44
; %bb.26:
	v_mad_i64_i32 v[0:1], s[8:9], v42, s29, 0
	v_mad_i64_i32 v[2:3], s[8:9], v43, s29, 0
	v_mov_b32_e32 v4, 0x400
	v_lshl_add_u64 v[42:43], v[0:1], 1, s[20:21]
	v_mad_i64_i32 v[0:1], s[8:9], s30, v46, 0
	v_lshl_add_u32 v132, v93, 3, v4
	v_mov_b32_e32 v4, 0xc00
	v_lshl_add_u64 v[46:47], v[0:1], 1, s[22:23]
	v_mad_i64_i32 v[0:1], s[8:9], s30, v48, 0
	v_add_u32_e32 v129, 0x800, v111
	v_add_u32_e32 v130, 0x400, v111
	;; [unrolled: 1-line block ×3, first 2 shown]
	s_add_i32 s15, s14, -8
	v_lshl_add_u32 v133, v94, 3, v4
	v_lshl_add_u64 v[44:45], v[2:3], 1, s[20:21]
	v_mov_b32_e32 v41, 0
	v_lshl_add_u64 v[48:49], v[0:1], 1, s[22:23]
	s_mov_b32 s22, 0
	s_branch .LBB217_28
.LBB217_27:                             ;   in Loop: Header=BB217_28 Depth=1
	s_or_b64 exec, exec, s[8:9]
	ds_read2_b64 v[4:7], v102 offset1:32
	ds_read2_b64 v[0:3], v102 offset0:64 offset1:96
	ds_read2_b64 v[118:121], v112 offset1:8
	ds_read2_b64 v[136:139], v112 offset0:16 offset1:24
	ds_read2_b64 v[28:31], v112 offset0:32 offset1:40
	;; [unrolled: 1-line block ×7, first 2 shown]
	s_waitcnt lgkmcnt(0)
	v_pk_add_f16 v50, v4, v118
	v_pk_max_f16 v51, v116, v116
	v_pk_max_f16 v115, v115, v115
	v_pk_min_f16 v50, v51, v50
	v_pk_add_f16 v51, v6, v118
	v_pk_max_f16 v114, v114, v114
	v_pk_min_f16 v51, v115, v51
	v_pk_add_f16 v115, v0, v118
	;; [unrolled: 3-line block ×18, first 2 shown]
	v_pk_add_f16 v28, v2, v28
	v_pk_max_f16 v89, v89, v89
	v_pk_min_f16 v28, v90, v28
	v_pk_add_f16 v90, v4, v30
	v_pk_max_f16 v88, v88, v88
	v_pk_min_f16 v89, v89, v90
	v_pk_add_f16 v90, v6, v30
	v_pk_max_f16 v86, v86, v86
	v_pk_min_f16 v88, v88, v90
	v_pk_add_f16 v90, v0, v30
	v_pk_add_f16 v30, v2, v30
	v_pk_max_f16 v85, v85, v85
	v_pk_min_f16 v30, v86, v30
	v_pk_add_f16 v86, v4, v24
	v_pk_max_f16 v84, v84, v84
	v_pk_min_f16 v85, v85, v86
	v_pk_add_f16 v86, v6, v24
	v_pk_max_f16 v82, v82, v82
	v_pk_min_f16 v84, v84, v86
	v_pk_add_f16 v86, v0, v24
	v_pk_add_f16 v24, v2, v24
	v_pk_max_f16 v81, v81, v81
	v_pk_min_f16 v24, v82, v24
	v_pk_add_f16 v82, v4, v26
	v_pk_max_f16 v80, v80, v80
	v_pk_min_f16 v81, v81, v82
	v_pk_add_f16 v82, v6, v26
	v_pk_max_f16 v78, v78, v78
	v_pk_min_f16 v80, v80, v82
	v_pk_add_f16 v82, v0, v26
	v_pk_add_f16 v26, v2, v26
	v_pk_max_f16 v77, v77, v77
	v_pk_min_f16 v26, v78, v26
	v_pk_add_f16 v78, v4, v20
	v_pk_max_f16 v76, v76, v76
	v_pk_min_f16 v77, v77, v78
	v_pk_add_f16 v78, v6, v20
	v_pk_max_f16 v74, v74, v74
	v_pk_min_f16 v76, v76, v78
	v_pk_add_f16 v78, v0, v20
	v_pk_add_f16 v20, v2, v20
	v_pk_max_f16 v73, v73, v73
	v_pk_min_f16 v20, v74, v20
	v_pk_add_f16 v74, v4, v22
	v_pk_max_f16 v72, v72, v72
	v_pk_min_f16 v73, v73, v74
	v_pk_add_f16 v74, v6, v22
	v_pk_max_f16 v70, v70, v70
	v_pk_min_f16 v72, v72, v74
	v_pk_add_f16 v74, v0, v22
	v_pk_add_f16 v22, v2, v22
	v_pk_max_f16 v69, v69, v69
	v_pk_min_f16 v22, v70, v22
	v_pk_add_f16 v70, v4, v16
	v_pk_max_f16 v68, v68, v68
	v_pk_min_f16 v69, v69, v70
	v_pk_add_f16 v70, v6, v16
	v_pk_max_f16 v66, v66, v66
	v_pk_min_f16 v68, v68, v70
	v_pk_add_f16 v70, v0, v16
	v_pk_add_f16 v16, v2, v16
	v_pk_max_f16 v65, v65, v65
	v_pk_min_f16 v16, v66, v16
	v_pk_add_f16 v66, v4, v18
	v_pk_max_f16 v64, v64, v64
	v_pk_min_f16 v65, v65, v66
	v_pk_add_f16 v66, v6, v18
	v_pk_max_f16 v62, v62, v62
	v_pk_min_f16 v64, v64, v66
	v_pk_add_f16 v66, v0, v18
	v_pk_add_f16 v18, v2, v18
	v_pk_max_f16 v61, v61, v61
	v_pk_min_f16 v18, v62, v18
	v_pk_add_f16 v62, v4, v12
	v_pk_max_f16 v60, v60, v60
	v_pk_min_f16 v61, v61, v62
	v_pk_add_f16 v62, v6, v12
	v_pk_max_f16 v58, v58, v58
	v_pk_min_f16 v60, v60, v62
	v_pk_add_f16 v62, v0, v12
	v_pk_add_f16 v12, v2, v12
	v_pk_max_f16 v57, v57, v57
	v_pk_min_f16 v12, v58, v12
	v_pk_add_f16 v58, v4, v14
	v_pk_max_f16 v56, v56, v56
	v_pk_min_f16 v57, v57, v58
	v_pk_add_f16 v58, v6, v14
	v_pk_max_f16 v54, v54, v54
	v_pk_min_f16 v56, v56, v58
	v_pk_add_f16 v58, v0, v14
	v_pk_add_f16 v14, v2, v14
	v_pk_max_f16 v39, v39, v39
	v_pk_min_f16 v14, v54, v14
	v_pk_add_f16 v54, v4, v8
	v_pk_max_f16 v38, v38, v38
	v_pk_min_f16 v39, v39, v54
	v_pk_add_f16 v54, v6, v8
	v_pk_add_f16 v4, v4, v10
	v_pk_min_f16 v38, v38, v54
	v_pk_add_f16 v54, v0, v8
	v_pk_add_f16 v8, v2, v8
	;; [unrolled: 1-line block ×5, first 2 shown]
	v_pk_max_f16 v10, v32, v32
	v_pk_max_f16 v91, v91, v91
	v_pk_min_f16 v2, v10, v2
	v_pk_add_f16 v10, v5, v119
	v_pk_min_f16 v91, v91, v115
	v_pk_min_f16 v128, v50, v10
	v_pk_add_f16 v10, v7, v119
	v_pk_max_f16 v87, v87, v87
	v_pk_min_f16 v127, v51, v10
	v_pk_add_f16 v10, v1, v119
	v_pk_min_f16 v87, v87, v90
	v_pk_min_f16 v126, v114, v10
	v_pk_add_f16 v10, v3, v119
	;; [unrolled: 6-line block ×10, first 2 shown]
	v_pk_max_f16 v35, v35, v35
	v_pk_min_f16 v107, v28, v10
	v_pk_add_f16 v10, v5, v31
	v_pk_max_f16 v33, v33, v33
	v_pk_min_f16 v106, v89, v10
	v_pk_add_f16 v10, v7, v31
	;; [unrolled: 3-line block ×4, first 2 shown]
	v_pk_min_f16 v4, v35, v4
	v_pk_min_f16 v100, v30, v10
	v_pk_add_f16 v10, v5, v25
	v_pk_max_f16 v34, v34, v34
	v_pk_min_f16 v99, v85, v10
	v_pk_add_f16 v10, v7, v25
	v_pk_min_f16 v0, v33, v0
	v_pk_min_f16 v98, v84, v10
	v_pk_add_f16 v10, v1, v25
	v_pk_min_f16 v37, v37, v54
	;; [unrolled: 3-line block ×4, first 2 shown]
	v_pk_min_f16 v95, v81, v10
	v_pk_add_f16 v10, v7, v27
	s_add_i32 s22, s22, 8
	v_pk_min_f16 v92, v80, v10
	v_pk_add_f16 v10, v1, v27
	v_lshl_add_u64 v[44:45], v[44:45], 0, 16
	v_pk_min_f16 v91, v79, v10
	v_pk_add_f16 v10, v3, v27
	v_lshl_add_u64 v[42:43], v[42:43], 0, 16
	;; [unrolled: 3-line block ×3, first 2 shown]
	v_pk_min_f16 v89, v77, v10
	v_pk_add_f16 v10, v7, v21
	s_cmp_ge_i32 s22, s15
	v_pk_min_f16 v88, v76, v10
	v_pk_add_f16 v10, v1, v21
	v_lshl_add_u64 v[48:49], v[48:49], 0, 16
	v_pk_min_f16 v87, v75, v10
	v_pk_add_f16 v10, v3, v21
	s_waitcnt vmcnt(0)
	ds_write_b16 v130, v135
	ds_write_b16 v130, v134 offset:512
	ds_write_b16 v131, v53
	ds_write_b16 v131, v52 offset:512
	v_pk_min_f16 v86, v20, v10
	v_pk_add_f16 v10, v5, v23
	s_waitcnt lgkmcnt(0)
	v_pk_min_f16 v85, v73, v10
	v_pk_add_f16 v10, v7, v23
	s_barrier
	v_pk_min_f16 v84, v72, v10
	v_pk_add_f16 v10, v1, v23
	s_nop 0
	v_pk_min_f16 v83, v71, v10
	v_pk_add_f16 v10, v3, v23
	s_nop 0
	;; [unrolled: 3-line block ×18, first 2 shown]
	v_pk_min_f16 v66, v14, v10
	v_pk_add_f16 v10, v5, v9
	v_pk_add_f16 v5, v5, v11
	v_pk_min_f16 v65, v39, v10
	v_pk_add_f16 v10, v7, v9
	v_pk_min_f16 v60, v4, v5
	v_pk_min_f16 v64, v38, v10
	v_pk_add_f16 v10, v1, v9
	v_pk_add_f16 v1, v1, v11
	;; [unrolled: 1-line block ×4, first 2 shown]
	v_pk_min_f16 v58, v0, v1
	v_pk_add_f16 v0, v3, v11
	v_pk_min_f16 v63, v37, v10
	v_pk_min_f16 v62, v8, v9
	v_pk_min_f16 v59, v6, v4
	v_pk_min_f16 v61, v2, v0
	s_cbranch_scc1 .LBB217_44
.LBB217_28:                             ; =>This Inner Loop Header: Depth=1
	v_add_u32_e32 v134, s22, v105
	v_add_u32_e32 v0, 8, v134
	v_cmp_le_i32_e64 s[8:9], s14, v0
	s_or_b64 s[20:21], vcc, s[8:9]
	s_xor_b64 s[24:25], s[20:21], -1
	v_mov_b32_e32 v135, 0x7c00
	v_lshl_add_u64 v[52:53], v[42:43], 0, v[40:41]
	v_mov_b32_e32 v136, 0x7c00
	s_and_saveexec_b64 s[20:21], s[24:25]
	s_cbranch_execz .LBB217_30
; %bb.29:                               ;   in Loop: Header=BB217_28 Depth=1
	flat_load_ushort v136, v[52:53] offset:16
.LBB217_30:                             ;   in Loop: Header=BB217_28 Depth=1
	s_or_b64 exec, exec, s[20:21]
	s_or_b64 s[20:21], s[2:3], s[8:9]
	s_xor_b64 s[24:25], s[20:21], -1
	v_lshl_add_u64 v[54:55], v[44:45], 0, v[40:41]
	s_and_saveexec_b64 s[20:21], s[24:25]
	s_cbranch_execz .LBB217_32
; %bb.31:                               ;   in Loop: Header=BB217_28 Depth=1
	flat_load_ushort v135, v[54:55] offset:16
.LBB217_32:                             ;   in Loop: Header=BB217_28 Depth=1
	s_or_b64 exec, exec, s[20:21]
	s_or_b64 s[20:21], s[4:5], s[8:9]
	s_xor_b64 s[24:25], s[20:21], -1
	v_mov_b32_e32 v137, 0x7c00
	v_lshl_add_u64 v[56:57], v[46:47], 0, v[40:41]
	v_mov_b32_e32 v138, 0x7c00
	s_and_saveexec_b64 s[20:21], s[24:25]
	s_cbranch_execz .LBB217_34
; %bb.33:                               ;   in Loop: Header=BB217_28 Depth=1
	flat_load_ushort v138, v[56:57] offset:16
.LBB217_34:                             ;   in Loop: Header=BB217_28 Depth=1
	s_or_b64 exec, exec, s[20:21]
	s_or_b64 s[8:9], s[6:7], s[8:9]
	s_xor_b64 s[20:21], s[8:9], -1
	v_lshl_add_u64 v[50:51], v[48:49], 0, v[40:41]
	s_and_saveexec_b64 s[8:9], s[20:21]
	s_cbranch_execz .LBB217_36
; %bb.35:                               ;   in Loop: Header=BB217_28 Depth=1
	flat_load_ushort v137, v[50:51] offset:16
.LBB217_36:                             ;   in Loop: Header=BB217_28 Depth=1
	s_or_b64 exec, exec, s[8:9]
	ds_read2_b64 v[4:7], v132 offset1:32
	ds_read2_b64 v[0:3], v132 offset0:64 offset1:96
	ds_read2_b64 v[36:39], v133 offset1:8
	ds_read2_b64 v[32:35], v133 offset0:16 offset1:24
	ds_read2_b64 v[28:31], v133 offset0:32 offset1:40
	;; [unrolled: 1-line block ×7, first 2 shown]
	v_add_u32_e32 v134, 12, v134
	v_cmp_le_i32_e64 s[8:9], s14, v134
	s_or_b64 s[20:21], vcc, s[8:9]
	s_waitcnt vmcnt(0) lgkmcnt(0)
	ds_write_b16 v111, v136
	ds_write_b16 v111, v135 offset:512
	ds_write_b16 v129, v138
	ds_write_b16 v129, v137 offset:512
	s_xor_b64 s[20:21], s[20:21], -1
	v_mov_b32_e32 v134, 0x7c00
	v_mov_b32_e32 v135, 0x7c00
	s_waitcnt lgkmcnt(0)
	s_barrier
	s_and_saveexec_b64 s[24:25], s[20:21]
	s_xor_b64 s[20:21], exec, s[24:25]
	s_cbranch_execz .LBB217_38
; %bb.37:                               ;   in Loop: Header=BB217_28 Depth=1
	flat_load_ushort v135, v[52:53] offset:24
.LBB217_38:                             ;   in Loop: Header=BB217_28 Depth=1
	s_or_b64 exec, exec, s[20:21]
	s_or_b64 s[20:21], s[2:3], s[8:9]
	s_xor_b64 s[24:25], s[20:21], -1
	s_and_saveexec_b64 s[20:21], s[24:25]
	s_cbranch_execz .LBB217_40
; %bb.39:                               ;   in Loop: Header=BB217_28 Depth=1
	flat_load_ushort v134, v[54:55] offset:24
.LBB217_40:                             ;   in Loop: Header=BB217_28 Depth=1
	s_or_b64 exec, exec, s[20:21]
	s_or_b64 s[20:21], s[4:5], s[8:9]
	s_xor_b64 s[24:25], s[20:21], -1
	v_mov_b32_e32 v52, 0x7c00
	v_mov_b32_e32 v53, 0x7c00
	s_and_saveexec_b64 s[20:21], s[24:25]
	s_cbranch_execz .LBB217_42
; %bb.41:                               ;   in Loop: Header=BB217_28 Depth=1
	flat_load_ushort v53, v[56:57] offset:24
.LBB217_42:                             ;   in Loop: Header=BB217_28 Depth=1
	s_or_b64 exec, exec, s[20:21]
	v_pk_add_f16 v54, v4, v36
	v_pk_max_f16 v55, v128, v128
	v_pk_max_f16 v56, v127, v127
	v_pk_min_f16 v54, v55, v54
	v_pk_add_f16 v55, v6, v36
	v_pk_max_f16 v57, v126, v126
	v_pk_min_f16 v55, v56, v55
	v_pk_add_f16 v56, v0, v36
	v_pk_add_f16 v36, v2, v36
	v_pk_min_f16 v56, v57, v56
	v_pk_max_f16 v57, v125, v125
	v_pk_max_f16 v124, v124, v124
	v_pk_min_f16 v36, v57, v36
	v_pk_add_f16 v57, v4, v38
	v_pk_max_f16 v123, v123, v123
	v_pk_min_f16 v57, v124, v57
	v_pk_add_f16 v124, v6, v38
	;; [unrolled: 3-line block ×3, first 2 shown]
	v_pk_add_f16 v38, v2, v38
	v_pk_max_f16 v120, v120, v120
	v_pk_min_f16 v38, v121, v38
	v_pk_add_f16 v121, v4, v32
	v_pk_max_f16 v119, v119, v119
	v_pk_min_f16 v120, v120, v121
	;; [unrolled: 3-line block ×3, first 2 shown]
	v_pk_add_f16 v121, v0, v32
	v_pk_add_f16 v32, v2, v32
	v_pk_max_f16 v116, v116, v116
	v_pk_min_f16 v32, v117, v32
	v_pk_add_f16 v117, v4, v34
	v_pk_max_f16 v118, v118, v118
	v_pk_min_f16 v117, v116, v117
	v_pk_add_f16 v116, v6, v34
	v_pk_max_f16 v115, v115, v115
	v_pk_min_f16 v118, v118, v121
	v_pk_min_f16 v121, v115, v116
	v_pk_add_f16 v115, v0, v34
	v_pk_add_f16 v34, v2, v34
	v_pk_max_f16 v113, v113, v113
	v_pk_max_f16 v110, v110, v110
	v_pk_min_f16 v34, v113, v34
	v_pk_add_f16 v113, v4, v28
	v_pk_max_f16 v109, v109, v109
	v_pk_min_f16 v125, v110, v113
	v_pk_add_f16 v110, v6, v28
	v_pk_max_f16 v107, v107, v107
	v_pk_min_f16 v126, v109, v110
	v_pk_add_f16 v109, v0, v28
	v_pk_add_f16 v28, v2, v28
	v_pk_max_f16 v106, v106, v106
	v_pk_min_f16 v28, v107, v28
	v_pk_add_f16 v107, v4, v30
	v_pk_max_f16 v104, v104, v104
	v_pk_min_f16 v128, v106, v107
	v_pk_add_f16 v106, v6, v30
	v_pk_max_f16 v100, v100, v100
	v_pk_min_f16 v136, v104, v106
	v_pk_add_f16 v104, v0, v30
	v_pk_add_f16 v30, v2, v30
	;; [unrolled: 10-line block ×10, first 2 shown]
	v_pk_max_f16 v65, v65, v65
	v_pk_min_f16 v14, v66, v14
	v_pk_add_f16 v66, v4, v8
	v_pk_max_f16 v64, v64, v64
	v_pk_min_f16 v162, v65, v66
	v_pk_add_f16 v65, v6, v8
	v_pk_add_f16 v4, v4, v10
	v_pk_min_f16 v163, v64, v65
	v_pk_add_f16 v64, v0, v8
	v_pk_add_f16 v8, v2, v8
	;; [unrolled: 1-line block ×5, first 2 shown]
	v_pk_max_f16 v10, v61, v61
	v_pk_max_f16 v122, v122, v122
	v_pk_min_f16 v2, v10, v2
	v_pk_add_f16 v10, v5, v37
	v_pk_max_f16 v114, v114, v114
	v_pk_min_f16 v116, v54, v10
	v_pk_add_f16 v10, v7, v37
	v_pk_min_f16 v122, v122, v124
	v_pk_min_f16 v124, v114, v115
	;; [unrolled: 1-line block ×3, first 2 shown]
	v_pk_add_f16 v10, v1, v37
	v_pk_max_f16 v108, v108, v108
	v_pk_min_f16 v114, v56, v10
	v_pk_add_f16 v10, v3, v37
	v_pk_min_f16 v127, v108, v109
	v_pk_min_f16 v113, v36, v10
	v_pk_add_f16 v10, v5, v39
	v_pk_max_f16 v101, v101, v101
	v_pk_min_f16 v110, v57, v10
	v_pk_add_f16 v10, v7, v39
	v_pk_min_f16 v137, v101, v104
	v_pk_min_f16 v109, v123, v10
	;; [unrolled: 6-line block ×15, first 2 shown]
	v_pk_add_f16 v10, v5, v21
	s_or_b64 s[8:9], s[6:7], s[8:9]
	v_pk_min_f16 v77, v144, v10
	v_pk_add_f16 v10, v7, v21
	s_xor_b64 s[20:21], s[8:9], -1
	v_pk_min_f16 v76, v145, v10
	v_pk_add_f16 v10, v1, v21
	s_nop 0
	v_pk_min_f16 v75, v146, v10
	v_pk_add_f16 v10, v3, v21
	s_nop 0
	;; [unrolled: 3-line block ×22, first 2 shown]
	v_pk_min_f16 v54, v14, v10
	v_pk_add_f16 v10, v5, v9
	v_pk_add_f16 v5, v5, v11
	v_pk_min_f16 v39, v162, v10
	v_pk_add_f16 v10, v7, v9
	v_pk_min_f16 v35, v4, v5
	v_pk_min_f16 v38, v163, v10
	v_pk_add_f16 v10, v1, v9
	v_pk_add_f16 v1, v1, v11
	;; [unrolled: 1-line block ×4, first 2 shown]
	v_pk_min_f16 v33, v0, v1
	v_pk_add_f16 v0, v3, v11
	v_pk_min_f16 v37, v164, v10
	v_pk_min_f16 v36, v8, v9
	;; [unrolled: 1-line block ×4, first 2 shown]
	s_and_saveexec_b64 s[8:9], s[20:21]
	s_cbranch_execz .LBB217_27
; %bb.43:                               ;   in Loop: Header=BB217_28 Depth=1
	flat_load_ushort v52, v[50:51] offset:24
	s_branch .LBB217_27
.LBB217_44:
	v_add_u32_e32 v4, 0x800, v103
	s_load_dwordx2 s[2:3], s[0:1], 0x70
	s_load_dword s21, s[0:1], 0x50
	s_load_dword s20, s[0:1], 0x68
	ds_read2_b64 v[8:11], v102 offset0:128 offset1:160
	ds_read2_b64 v[0:3], v102 offset0:192 offset1:224
	;; [unrolled: 1-line block ×10, first 2 shown]
	s_waitcnt lgkmcnt(0)
	s_lshl_b64 s[0:1], s[2:3], 1
	s_add_u32 s14, s10, s0
	v_add_u32_e32 v52, s28, v94
	s_addc_u32 s15, s11, s1
	v_mad_i64_i32 v[42:43], s[0:1], v52, s21, 0
	v_add_u32_e32 v40, s27, v93
	v_lshl_add_u64 v[50:51], v[42:43], 1, s[16:17]
	v_mad_i64_i32 v[42:43], s[0:1], v52, s20, 0
	v_cmp_gt_i32_e64 s[2:3], s12, v40
	v_cmp_gt_i32_e64 s[10:11], s13, v52
	v_lshl_add_u64 v[48:49], v[42:43], 1, s[14:15]
	v_cndmask_b32_e64 v42, 0, 1, s[18:19]
	v_ashrrev_i32_e32 v41, 31, v40
	s_and_b64 s[4:5], s[2:3], s[10:11]
	v_cmp_ne_u32_e64 s[0:1], 1, v42
	s_and_saveexec_b64 s[6:7], s[4:5]
	s_xor_b64 s[4:5], exec, s[6:7]
	s_cbranch_execz .LBB217_49
; %bb.45:
	s_and_b64 vcc, exec, s[0:1]
	s_cbranch_vccnz .LBB217_47
; %bb.46:
	v_lshl_add_u64 v[42:43], v[40:41], 1, v[50:51]
	flat_load_ushort v42, v[42:43]
	s_waitcnt vmcnt(0) lgkmcnt(0)
	v_mul_f16_e32 v42, s26, v42
	s_branch .LBB217_48
.LBB217_47:
	v_mov_b32_e32 v42, 0
.LBB217_48:
	v_pk_add_f16 v43, v8, v36
	v_pk_max_f16 v44, v128, v128
	s_nop 0
	v_pk_min_f16 v43, v44, v43
	v_pk_add_f16 v44, v9, v37
	s_nop 0
	v_pk_min_f16 v43, v43, v44
	s_nop 0
	v_lshrrev_b32_e32 v44, 16, v43
	v_min3_f16 v44, v42, v43, v44
	v_lshl_add_u64 v[42:43], v[40:41], 1, v[48:49]
	global_store_short v[42:43], v44, off
.LBB217_49:
	s_or_b64 exec, exec, s[4:5]
	v_add_u32_e32 v42, 32, v40
	v_cmp_gt_i32_e64 s[4:5], s12, v42
	v_ashrrev_i32_e32 v43, 31, v42
	s_and_b64 s[8:9], s[4:5], s[10:11]
	s_and_saveexec_b64 s[6:7], s[8:9]
	s_cbranch_execz .LBB217_54
; %bb.50:
	s_and_b64 vcc, exec, s[0:1]
	s_cbranch_vccnz .LBB217_52
; %bb.51:
	v_lshl_add_u64 v[44:45], v[42:43], 1, v[50:51]
	flat_load_ushort v44, v[44:45]
	s_waitcnt vmcnt(0) lgkmcnt(0)
	v_mul_f16_e32 v44, s26, v44
	s_branch .LBB217_53
.LBB217_52:
	v_mov_b32_e32 v44, 0
.LBB217_53:
	v_pk_add_f16 v45, v10, v36
	v_pk_max_f16 v46, v127, v127
	s_nop 0
	v_pk_min_f16 v45, v46, v45
	v_pk_add_f16 v46, v11, v37
	s_nop 0
	v_pk_min_f16 v45, v45, v46
	s_nop 0
	v_lshrrev_b32_e32 v46, 16, v45
	v_min3_f16 v46, v44, v45, v46
	v_lshl_add_u64 v[44:45], v[42:43], 1, v[48:49]
	global_store_short v[44:45], v46, off
.LBB217_54:
	s_or_b64 exec, exec, s[6:7]
	v_add_u32_e32 v44, 64, v40
	v_cmp_gt_i32_e64 s[6:7], s12, v44
	v_ashrrev_i32_e32 v45, 31, v44
	s_and_b64 s[18:19], s[6:7], s[10:11]
	s_and_saveexec_b64 s[8:9], s[18:19]
	;; [unrolled: 32-line block ×3, first 2 shown]
	s_cbranch_execz .LBB217_64
; %bb.60:
	s_and_b64 vcc, exec, s[0:1]
	s_cbranch_vccnz .LBB217_62
; %bb.61:
	v_lshl_add_u64 v[50:51], v[46:47], 1, v[50:51]
	flat_load_ushort v50, v[50:51]
	s_waitcnt vmcnt(0) lgkmcnt(0)
	v_mul_f16_e32 v50, s26, v50
	s_branch .LBB217_63
.LBB217_62:
	v_mov_b32_e32 v50, 0
.LBB217_63:
	v_pk_add_f16 v36, v2, v36
	v_pk_max_f16 v51, v125, v125
	v_pk_add_f16 v37, v3, v37
	v_pk_min_f16 v36, v51, v36
	s_nop 0
	v_pk_min_f16 v36, v36, v37
	s_nop 0
	v_lshrrev_b32_e32 v37, 16, v36
	v_min3_f16 v50, v50, v36, v37
	v_lshl_add_u64 v[36:37], v[46:47], 1, v[48:49]
	global_store_short v[36:37], v50, off
.LBB217_64:
	s_or_b64 exec, exec, s[10:11]
	v_add_u32_e32 v50, 8, v52
	v_mad_i64_i32 v[36:37], s[18:19], v50, s21, 0
	v_cmp_gt_i32_e64 s[10:11], s13, v50
	v_lshl_add_u64 v[48:49], v[36:37], 1, s[16:17]
	v_mad_i64_i32 v[36:37], s[18:19], v50, s20, 0
	v_lshl_add_u64 v[36:37], v[36:37], 1, s[14:15]
	s_and_b64 s[22:23], s[2:3], s[10:11]
	s_and_saveexec_b64 s[18:19], s[22:23]
	s_cbranch_execnz .LBB217_68
; %bb.65:
	s_or_b64 exec, exec, s[18:19]
	s_and_b64 s[22:23], s[4:5], s[10:11]
	s_and_saveexec_b64 s[18:19], s[22:23]
	s_cbranch_execnz .LBB217_72
.LBB217_66:
	s_or_b64 exec, exec, s[18:19]
	s_and_b64 s[22:23], s[6:7], s[10:11]
	s_and_saveexec_b64 s[18:19], s[22:23]
	s_cbranch_execnz .LBB217_76
.LBB217_67:
	s_or_b64 exec, exec, s[18:19]
	s_and_b64 s[18:19], s[8:9], s[10:11]
	s_and_saveexec_b64 s[10:11], s[18:19]
	s_cbranch_execnz .LBB217_80
	s_branch .LBB217_84
.LBB217_68:
	s_and_b64 vcc, exec, s[0:1]
	s_cbranch_vccnz .LBB217_70
; %bb.69:
	v_lshl_add_u64 v[50:51], v[40:41], 1, v[48:49]
	flat_load_ushort v50, v[50:51]
	s_waitcnt vmcnt(0) lgkmcnt(0)
	v_mul_f16_e32 v50, s26, v50
	s_branch .LBB217_71
.LBB217_70:
	v_mov_b32_e32 v50, 0
.LBB217_71:
	v_pk_add_f16 v51, v8, v38
	v_pk_max_f16 v53, v124, v124
	s_nop 0
	v_pk_min_f16 v51, v53, v51
	v_pk_add_f16 v53, v9, v39
	s_nop 0
	v_pk_min_f16 v51, v51, v53
	s_nop 0
	v_lshrrev_b32_e32 v53, 16, v51
	v_min3_f16 v53, v50, v51, v53
	v_lshl_add_u64 v[50:51], v[40:41], 1, v[36:37]
	global_store_short v[50:51], v53, off
	s_or_b64 exec, exec, s[18:19]
	s_and_b64 s[22:23], s[4:5], s[10:11]
	s_and_saveexec_b64 s[18:19], s[22:23]
	s_cbranch_execz .LBB217_66
.LBB217_72:
	s_and_b64 vcc, exec, s[0:1]
	s_cbranch_vccnz .LBB217_74
; %bb.73:
	v_lshl_add_u64 v[50:51], v[42:43], 1, v[48:49]
	flat_load_ushort v50, v[50:51]
	s_waitcnt vmcnt(0) lgkmcnt(0)
	v_mul_f16_e32 v50, s26, v50
	s_branch .LBB217_75
.LBB217_74:
	v_mov_b32_e32 v50, 0
.LBB217_75:
	v_pk_add_f16 v51, v10, v38
	v_pk_max_f16 v53, v123, v123
	s_nop 0
	v_pk_min_f16 v51, v53, v51
	v_pk_add_f16 v53, v11, v39
	s_nop 0
	v_pk_min_f16 v51, v51, v53
	s_nop 0
	v_lshrrev_b32_e32 v53, 16, v51
	v_min3_f16 v53, v50, v51, v53
	v_lshl_add_u64 v[50:51], v[42:43], 1, v[36:37]
	global_store_short v[50:51], v53, off
	s_or_b64 exec, exec, s[18:19]
	s_and_b64 s[22:23], s[6:7], s[10:11]
	s_and_saveexec_b64 s[18:19], s[22:23]
	s_cbranch_execz .LBB217_67
.LBB217_76:
	s_and_b64 vcc, exec, s[0:1]
	s_cbranch_vccnz .LBB217_78
; %bb.77:
	v_lshl_add_u64 v[50:51], v[44:45], 1, v[48:49]
	flat_load_ushort v50, v[50:51]
	s_waitcnt vmcnt(0) lgkmcnt(0)
	v_mul_f16_e32 v50, s26, v50
	s_branch .LBB217_79
.LBB217_78:
	v_mov_b32_e32 v50, 0
.LBB217_79:
	v_pk_add_f16 v51, v0, v38
	v_pk_max_f16 v53, v122, v122
	s_nop 0
	v_pk_min_f16 v51, v53, v51
	v_pk_add_f16 v53, v1, v39
	s_nop 0
	v_pk_min_f16 v51, v51, v53
	s_nop 0
	v_lshrrev_b32_e32 v53, 16, v51
	v_min3_f16 v53, v50, v51, v53
	v_lshl_add_u64 v[50:51], v[44:45], 1, v[36:37]
	global_store_short v[50:51], v53, off
	s_or_b64 exec, exec, s[18:19]
	s_and_b64 s[18:19], s[8:9], s[10:11]
	s_and_saveexec_b64 s[10:11], s[18:19]
	s_cbranch_execz .LBB217_84
.LBB217_80:
	s_and_b64 vcc, exec, s[0:1]
	s_cbranch_vccnz .LBB217_82
; %bb.81:
	v_lshl_add_u64 v[48:49], v[46:47], 1, v[48:49]
	flat_load_ushort v48, v[48:49]
	s_waitcnt vmcnt(0) lgkmcnt(0)
	v_mul_f16_e32 v48, s26, v48
	s_branch .LBB217_83
.LBB217_82:
	v_mov_b32_e32 v48, 0
.LBB217_83:
	v_pk_add_f16 v38, v2, v38
	v_pk_max_f16 v49, v121, v121
	v_pk_add_f16 v39, v3, v39
	v_pk_min_f16 v38, v49, v38
	v_lshl_add_u64 v[36:37], v[46:47], 1, v[36:37]
	v_pk_min_f16 v38, v38, v39
	s_nop 0
	v_lshrrev_b32_e32 v39, 16, v38
	v_min3_f16 v38, v48, v38, v39
	global_store_short v[36:37], v38, off
.LBB217_84:
	s_or_b64 exec, exec, s[10:11]
	v_add_u32_e32 v48, 16, v52
	v_mad_i64_i32 v[36:37], s[18:19], v48, s21, 0
	v_cmp_gt_i32_e64 s[10:11], s13, v48
	v_lshl_add_u64 v[38:39], v[36:37], 1, s[16:17]
	v_mad_i64_i32 v[36:37], s[18:19], v48, s20, 0
	v_lshl_add_u64 v[36:37], v[36:37], 1, s[14:15]
	s_and_b64 s[22:23], s[2:3], s[10:11]
	s_and_saveexec_b64 s[18:19], s[22:23]
	s_cbranch_execnz .LBB217_88
; %bb.85:
	s_or_b64 exec, exec, s[18:19]
	s_and_b64 s[22:23], s[4:5], s[10:11]
	s_and_saveexec_b64 s[18:19], s[22:23]
	s_cbranch_execnz .LBB217_92
.LBB217_86:
	s_or_b64 exec, exec, s[18:19]
	s_and_b64 s[22:23], s[6:7], s[10:11]
	s_and_saveexec_b64 s[18:19], s[22:23]
	s_cbranch_execnz .LBB217_96
.LBB217_87:
	s_or_b64 exec, exec, s[18:19]
	s_and_b64 s[18:19], s[8:9], s[10:11]
	s_and_saveexec_b64 s[10:11], s[18:19]
	s_cbranch_execnz .LBB217_100
	s_branch .LBB217_104
.LBB217_88:
	s_and_b64 vcc, exec, s[0:1]
	s_cbranch_vccnz .LBB217_90
; %bb.89:
	v_lshl_add_u64 v[48:49], v[40:41], 1, v[38:39]
	flat_load_ushort v48, v[48:49]
	s_waitcnt vmcnt(0) lgkmcnt(0)
	v_mul_f16_e32 v48, s26, v48
	s_branch .LBB217_91
.LBB217_90:
	v_mov_b32_e32 v48, 0
.LBB217_91:
	v_pk_add_f16 v49, v8, v32
	v_pk_max_f16 v50, v120, v120
	s_nop 0
	v_pk_min_f16 v49, v50, v49
	v_pk_add_f16 v50, v9, v33
	s_nop 0
	v_pk_min_f16 v49, v49, v50
	s_nop 0
	v_lshrrev_b32_e32 v50, 16, v49
	v_min3_f16 v50, v48, v49, v50
	v_lshl_add_u64 v[48:49], v[40:41], 1, v[36:37]
	global_store_short v[48:49], v50, off
	s_or_b64 exec, exec, s[18:19]
	s_and_b64 s[22:23], s[4:5], s[10:11]
	s_and_saveexec_b64 s[18:19], s[22:23]
	s_cbranch_execz .LBB217_86
.LBB217_92:
	s_and_b64 vcc, exec, s[0:1]
	s_cbranch_vccnz .LBB217_94
; %bb.93:
	v_lshl_add_u64 v[48:49], v[42:43], 1, v[38:39]
	flat_load_ushort v48, v[48:49]
	s_waitcnt vmcnt(0) lgkmcnt(0)
	v_mul_f16_e32 v48, s26, v48
	s_branch .LBB217_95
.LBB217_94:
	v_mov_b32_e32 v48, 0
.LBB217_95:
	v_pk_add_f16 v49, v10, v32
	v_pk_max_f16 v50, v119, v119
	s_nop 0
	v_pk_min_f16 v49, v50, v49
	v_pk_add_f16 v50, v11, v33
	s_nop 0
	v_pk_min_f16 v49, v49, v50
	s_nop 0
	v_lshrrev_b32_e32 v50, 16, v49
	v_min3_f16 v50, v48, v49, v50
	v_lshl_add_u64 v[48:49], v[42:43], 1, v[36:37]
	global_store_short v[48:49], v50, off
	s_or_b64 exec, exec, s[18:19]
	s_and_b64 s[22:23], s[6:7], s[10:11]
	s_and_saveexec_b64 s[18:19], s[22:23]
	s_cbranch_execz .LBB217_87
.LBB217_96:
	s_and_b64 vcc, exec, s[0:1]
	s_cbranch_vccnz .LBB217_98
; %bb.97:
	v_lshl_add_u64 v[48:49], v[44:45], 1, v[38:39]
	flat_load_ushort v48, v[48:49]
	s_waitcnt vmcnt(0) lgkmcnt(0)
	v_mul_f16_e32 v48, s26, v48
	s_branch .LBB217_99
.LBB217_98:
	v_mov_b32_e32 v48, 0
.LBB217_99:
	v_pk_add_f16 v49, v0, v32
	v_pk_max_f16 v50, v118, v118
	s_nop 0
	v_pk_min_f16 v49, v50, v49
	v_pk_add_f16 v50, v1, v33
	s_nop 0
	v_pk_min_f16 v49, v49, v50
	s_nop 0
	v_lshrrev_b32_e32 v50, 16, v49
	v_min3_f16 v50, v48, v49, v50
	v_lshl_add_u64 v[48:49], v[44:45], 1, v[36:37]
	global_store_short v[48:49], v50, off
	s_or_b64 exec, exec, s[18:19]
	s_and_b64 s[18:19], s[8:9], s[10:11]
	s_and_saveexec_b64 s[10:11], s[18:19]
	s_cbranch_execz .LBB217_104
.LBB217_100:
	s_and_b64 vcc, exec, s[0:1]
	s_cbranch_vccnz .LBB217_102
; %bb.101:
	v_lshl_add_u64 v[38:39], v[46:47], 1, v[38:39]
	flat_load_ushort v38, v[38:39]
	s_waitcnt vmcnt(0) lgkmcnt(0)
	v_mul_f16_e32 v38, s26, v38
	s_branch .LBB217_103
.LBB217_102:
	v_mov_b32_e32 v38, 0
.LBB217_103:
	v_pk_add_f16 v32, v2, v32
	v_pk_max_f16 v39, v117, v117
	v_pk_add_f16 v33, v3, v33
	v_pk_min_f16 v32, v39, v32
	s_nop 0
	v_pk_min_f16 v32, v32, v33
	s_nop 0
	v_lshrrev_b32_e32 v33, 16, v32
	v_min3_f16 v38, v38, v32, v33
	v_lshl_add_u64 v[32:33], v[46:47], 1, v[36:37]
	global_store_short v[32:33], v38, off
.LBB217_104:
	s_or_b64 exec, exec, s[10:11]
	v_add_u32_e32 v38, 24, v52
	v_mad_i64_i32 v[32:33], s[18:19], v38, s21, 0
	v_cmp_gt_i32_e64 s[10:11], s13, v38
	v_lshl_add_u64 v[36:37], v[32:33], 1, s[16:17]
	v_mad_i64_i32 v[32:33], s[18:19], v38, s20, 0
	v_lshl_add_u64 v[32:33], v[32:33], 1, s[14:15]
	s_and_b64 s[22:23], s[2:3], s[10:11]
	s_and_saveexec_b64 s[18:19], s[22:23]
	s_cbranch_execnz .LBB217_108
; %bb.105:
	s_or_b64 exec, exec, s[18:19]
	s_and_b64 s[22:23], s[4:5], s[10:11]
	s_and_saveexec_b64 s[18:19], s[22:23]
	s_cbranch_execnz .LBB217_112
.LBB217_106:
	s_or_b64 exec, exec, s[18:19]
	s_and_b64 s[22:23], s[6:7], s[10:11]
	s_and_saveexec_b64 s[18:19], s[22:23]
	s_cbranch_execnz .LBB217_116
.LBB217_107:
	s_or_b64 exec, exec, s[18:19]
	s_and_b64 s[18:19], s[8:9], s[10:11]
	s_and_saveexec_b64 s[10:11], s[18:19]
	s_cbranch_execnz .LBB217_120
	s_branch .LBB217_124
.LBB217_108:
	s_and_b64 vcc, exec, s[0:1]
	s_cbranch_vccnz .LBB217_110
; %bb.109:
	v_lshl_add_u64 v[38:39], v[40:41], 1, v[36:37]
	flat_load_ushort v38, v[38:39]
	s_waitcnt vmcnt(0) lgkmcnt(0)
	v_mul_f16_e32 v38, s26, v38
	s_branch .LBB217_111
.LBB217_110:
	v_mov_b32_e32 v38, 0
.LBB217_111:
	v_pk_add_f16 v39, v8, v34
	v_pk_max_f16 v48, v116, v116
	s_nop 0
	v_pk_min_f16 v39, v48, v39
	v_pk_add_f16 v48, v9, v35
	s_nop 0
	v_pk_min_f16 v39, v39, v48
	s_nop 0
	v_lshrrev_b32_e32 v48, 16, v39
	v_min3_f16 v48, v38, v39, v48
	v_lshl_add_u64 v[38:39], v[40:41], 1, v[32:33]
	global_store_short v[38:39], v48, off
	s_or_b64 exec, exec, s[18:19]
	s_and_b64 s[22:23], s[4:5], s[10:11]
	s_and_saveexec_b64 s[18:19], s[22:23]
	s_cbranch_execz .LBB217_106
.LBB217_112:
	s_and_b64 vcc, exec, s[0:1]
	s_cbranch_vccnz .LBB217_114
; %bb.113:
	v_lshl_add_u64 v[38:39], v[42:43], 1, v[36:37]
	flat_load_ushort v38, v[38:39]
	s_waitcnt vmcnt(0) lgkmcnt(0)
	v_mul_f16_e32 v38, s26, v38
	s_branch .LBB217_115
.LBB217_114:
	v_mov_b32_e32 v38, 0
.LBB217_115:
	v_pk_add_f16 v39, v10, v34
	v_pk_max_f16 v48, v115, v115
	s_nop 0
	v_pk_min_f16 v39, v48, v39
	v_pk_add_f16 v48, v11, v35
	s_nop 0
	v_pk_min_f16 v39, v39, v48
	s_nop 0
	v_lshrrev_b32_e32 v48, 16, v39
	v_min3_f16 v48, v38, v39, v48
	v_lshl_add_u64 v[38:39], v[42:43], 1, v[32:33]
	global_store_short v[38:39], v48, off
	s_or_b64 exec, exec, s[18:19]
	s_and_b64 s[22:23], s[6:7], s[10:11]
	s_and_saveexec_b64 s[18:19], s[22:23]
	s_cbranch_execz .LBB217_107
.LBB217_116:
	s_and_b64 vcc, exec, s[0:1]
	s_cbranch_vccnz .LBB217_118
; %bb.117:
	v_lshl_add_u64 v[38:39], v[44:45], 1, v[36:37]
	flat_load_ushort v38, v[38:39]
	s_waitcnt vmcnt(0) lgkmcnt(0)
	v_mul_f16_e32 v38, s26, v38
	s_branch .LBB217_119
.LBB217_118:
	v_mov_b32_e32 v38, 0
.LBB217_119:
	v_pk_add_f16 v39, v0, v34
	v_pk_max_f16 v48, v114, v114
	s_nop 0
	v_pk_min_f16 v39, v48, v39
	v_pk_add_f16 v48, v1, v35
	s_nop 0
	v_pk_min_f16 v39, v39, v48
	s_nop 0
	v_lshrrev_b32_e32 v48, 16, v39
	v_min3_f16 v48, v38, v39, v48
	v_lshl_add_u64 v[38:39], v[44:45], 1, v[32:33]
	global_store_short v[38:39], v48, off
	s_or_b64 exec, exec, s[18:19]
	s_and_b64 s[18:19], s[8:9], s[10:11]
	s_and_saveexec_b64 s[10:11], s[18:19]
	s_cbranch_execz .LBB217_124
.LBB217_120:
	s_and_b64 vcc, exec, s[0:1]
	s_cbranch_vccnz .LBB217_122
; %bb.121:
	v_lshl_add_u64 v[36:37], v[46:47], 1, v[36:37]
	flat_load_ushort v36, v[36:37]
	s_waitcnt vmcnt(0) lgkmcnt(0)
	v_mul_f16_e32 v36, s26, v36
	s_branch .LBB217_123
.LBB217_122:
	v_mov_b32_e32 v36, 0
.LBB217_123:
	v_pk_add_f16 v34, v2, v34
	v_pk_max_f16 v37, v113, v113
	v_pk_add_f16 v35, v3, v35
	v_pk_min_f16 v34, v37, v34
	v_lshl_add_u64 v[32:33], v[46:47], 1, v[32:33]
	v_pk_min_f16 v34, v34, v35
	s_nop 0
	v_lshrrev_b32_e32 v35, 16, v34
	v_min3_f16 v34, v36, v34, v35
	global_store_short v[32:33], v34, off
.LBB217_124:
	s_or_b64 exec, exec, s[10:11]
	v_add_u32_e32 v36, 32, v52
	v_mad_i64_i32 v[32:33], s[18:19], v36, s21, 0
	v_cmp_gt_i32_e64 s[10:11], s13, v36
	v_lshl_add_u64 v[34:35], v[32:33], 1, s[16:17]
	v_mad_i64_i32 v[32:33], s[18:19], v36, s20, 0
	v_lshl_add_u64 v[32:33], v[32:33], 1, s[14:15]
	s_and_b64 s[22:23], s[2:3], s[10:11]
	s_and_saveexec_b64 s[18:19], s[22:23]
	s_cbranch_execnz .LBB217_128
; %bb.125:
	s_or_b64 exec, exec, s[18:19]
	s_and_b64 s[22:23], s[4:5], s[10:11]
	s_and_saveexec_b64 s[18:19], s[22:23]
	s_cbranch_execnz .LBB217_132
.LBB217_126:
	s_or_b64 exec, exec, s[18:19]
	s_and_b64 s[22:23], s[6:7], s[10:11]
	s_and_saveexec_b64 s[18:19], s[22:23]
	s_cbranch_execnz .LBB217_136
.LBB217_127:
	s_or_b64 exec, exec, s[18:19]
	s_and_b64 s[18:19], s[8:9], s[10:11]
	s_and_saveexec_b64 s[10:11], s[18:19]
	s_cbranch_execnz .LBB217_140
	s_branch .LBB217_144
.LBB217_128:
	s_and_b64 vcc, exec, s[0:1]
	s_cbranch_vccnz .LBB217_130
; %bb.129:
	v_lshl_add_u64 v[36:37], v[40:41], 1, v[34:35]
	flat_load_ushort v36, v[36:37]
	s_waitcnt vmcnt(0) lgkmcnt(0)
	v_mul_f16_e32 v36, s26, v36
	s_branch .LBB217_131
.LBB217_130:
	v_mov_b32_e32 v36, 0
.LBB217_131:
	v_pk_add_f16 v37, v8, v28
	v_pk_max_f16 v38, v110, v110
	s_nop 0
	v_pk_min_f16 v37, v38, v37
	v_pk_add_f16 v38, v9, v29
	s_nop 0
	v_pk_min_f16 v37, v37, v38
	s_nop 0
	v_lshrrev_b32_e32 v38, 16, v37
	v_min3_f16 v38, v36, v37, v38
	v_lshl_add_u64 v[36:37], v[40:41], 1, v[32:33]
	global_store_short v[36:37], v38, off
	s_or_b64 exec, exec, s[18:19]
	s_and_b64 s[22:23], s[4:5], s[10:11]
	s_and_saveexec_b64 s[18:19], s[22:23]
	s_cbranch_execz .LBB217_126
.LBB217_132:
	s_and_b64 vcc, exec, s[0:1]
	s_cbranch_vccnz .LBB217_134
; %bb.133:
	v_lshl_add_u64 v[36:37], v[42:43], 1, v[34:35]
	flat_load_ushort v36, v[36:37]
	s_waitcnt vmcnt(0) lgkmcnt(0)
	v_mul_f16_e32 v36, s26, v36
	s_branch .LBB217_135
.LBB217_134:
	v_mov_b32_e32 v36, 0
.LBB217_135:
	v_pk_add_f16 v37, v10, v28
	v_pk_max_f16 v38, v109, v109
	s_nop 0
	v_pk_min_f16 v37, v38, v37
	v_pk_add_f16 v38, v11, v29
	s_nop 0
	v_pk_min_f16 v37, v37, v38
	s_nop 0
	v_lshrrev_b32_e32 v38, 16, v37
	v_min3_f16 v38, v36, v37, v38
	v_lshl_add_u64 v[36:37], v[42:43], 1, v[32:33]
	global_store_short v[36:37], v38, off
	s_or_b64 exec, exec, s[18:19]
	s_and_b64 s[22:23], s[6:7], s[10:11]
	s_and_saveexec_b64 s[18:19], s[22:23]
	s_cbranch_execz .LBB217_127
.LBB217_136:
	s_and_b64 vcc, exec, s[0:1]
	s_cbranch_vccnz .LBB217_138
; %bb.137:
	v_lshl_add_u64 v[36:37], v[44:45], 1, v[34:35]
	flat_load_ushort v36, v[36:37]
	s_waitcnt vmcnt(0) lgkmcnt(0)
	v_mul_f16_e32 v36, s26, v36
	s_branch .LBB217_139
.LBB217_138:
	v_mov_b32_e32 v36, 0
.LBB217_139:
	v_pk_add_f16 v37, v0, v28
	v_pk_max_f16 v38, v108, v108
	s_nop 0
	v_pk_min_f16 v37, v38, v37
	v_pk_add_f16 v38, v1, v29
	s_nop 0
	v_pk_min_f16 v37, v37, v38
	s_nop 0
	v_lshrrev_b32_e32 v38, 16, v37
	v_min3_f16 v38, v36, v37, v38
	v_lshl_add_u64 v[36:37], v[44:45], 1, v[32:33]
	global_store_short v[36:37], v38, off
	s_or_b64 exec, exec, s[18:19]
	s_and_b64 s[18:19], s[8:9], s[10:11]
	s_and_saveexec_b64 s[10:11], s[18:19]
	s_cbranch_execz .LBB217_144
.LBB217_140:
	s_and_b64 vcc, exec, s[0:1]
	s_cbranch_vccnz .LBB217_142
; %bb.141:
	v_lshl_add_u64 v[34:35], v[46:47], 1, v[34:35]
	flat_load_ushort v34, v[34:35]
	s_waitcnt vmcnt(0) lgkmcnt(0)
	v_mul_f16_e32 v34, s26, v34
	s_branch .LBB217_143
.LBB217_142:
	v_mov_b32_e32 v34, 0
.LBB217_143:
	v_pk_add_f16 v28, v2, v28
	v_pk_max_f16 v35, v107, v107
	v_pk_add_f16 v29, v3, v29
	v_pk_min_f16 v28, v35, v28
	s_nop 0
	v_pk_min_f16 v28, v28, v29
	s_nop 0
	v_lshrrev_b32_e32 v29, 16, v28
	v_min3_f16 v34, v34, v28, v29
	v_lshl_add_u64 v[28:29], v[46:47], 1, v[32:33]
	global_store_short v[28:29], v34, off
.LBB217_144:
	s_or_b64 exec, exec, s[10:11]
	v_add_u32_e32 v34, 40, v52
	v_mad_i64_i32 v[28:29], s[18:19], v34, s21, 0
	v_cmp_gt_i32_e64 s[10:11], s13, v34
	v_lshl_add_u64 v[32:33], v[28:29], 1, s[16:17]
	v_mad_i64_i32 v[28:29], s[18:19], v34, s20, 0
	v_lshl_add_u64 v[28:29], v[28:29], 1, s[14:15]
	s_and_b64 s[22:23], s[2:3], s[10:11]
	s_and_saveexec_b64 s[18:19], s[22:23]
	s_cbranch_execnz .LBB217_148
; %bb.145:
	s_or_b64 exec, exec, s[18:19]
	s_and_b64 s[22:23], s[4:5], s[10:11]
	s_and_saveexec_b64 s[18:19], s[22:23]
	s_cbranch_execnz .LBB217_152
.LBB217_146:
	s_or_b64 exec, exec, s[18:19]
	s_and_b64 s[22:23], s[6:7], s[10:11]
	s_and_saveexec_b64 s[18:19], s[22:23]
	s_cbranch_execnz .LBB217_156
.LBB217_147:
	s_or_b64 exec, exec, s[18:19]
	s_and_b64 s[18:19], s[8:9], s[10:11]
	s_and_saveexec_b64 s[10:11], s[18:19]
	s_cbranch_execnz .LBB217_160
	s_branch .LBB217_164
.LBB217_148:
	s_and_b64 vcc, exec, s[0:1]
	s_cbranch_vccnz .LBB217_150
; %bb.149:
	v_lshl_add_u64 v[34:35], v[40:41], 1, v[32:33]
	flat_load_ushort v34, v[34:35]
	s_waitcnt vmcnt(0) lgkmcnt(0)
	v_mul_f16_e32 v34, s26, v34
	s_branch .LBB217_151
.LBB217_150:
	v_mov_b32_e32 v34, 0
.LBB217_151:
	v_pk_add_f16 v35, v8, v30
	v_pk_max_f16 v36, v106, v106
	s_nop 0
	v_pk_min_f16 v35, v36, v35
	v_pk_add_f16 v36, v9, v31
	s_nop 0
	v_pk_min_f16 v35, v35, v36
	s_nop 0
	v_lshrrev_b32_e32 v36, 16, v35
	v_min3_f16 v36, v34, v35, v36
	v_lshl_add_u64 v[34:35], v[40:41], 1, v[28:29]
	global_store_short v[34:35], v36, off
	s_or_b64 exec, exec, s[18:19]
	s_and_b64 s[22:23], s[4:5], s[10:11]
	s_and_saveexec_b64 s[18:19], s[22:23]
	s_cbranch_execz .LBB217_146
.LBB217_152:
	s_and_b64 vcc, exec, s[0:1]
	s_cbranch_vccnz .LBB217_154
; %bb.153:
	v_lshl_add_u64 v[34:35], v[42:43], 1, v[32:33]
	flat_load_ushort v34, v[34:35]
	s_waitcnt vmcnt(0) lgkmcnt(0)
	v_mul_f16_e32 v34, s26, v34
	s_branch .LBB217_155
.LBB217_154:
	v_mov_b32_e32 v34, 0
.LBB217_155:
	v_pk_add_f16 v35, v10, v30
	v_pk_max_f16 v36, v104, v104
	s_nop 0
	v_pk_min_f16 v35, v36, v35
	v_pk_add_f16 v36, v11, v31
	s_nop 0
	v_pk_min_f16 v35, v35, v36
	s_nop 0
	v_lshrrev_b32_e32 v36, 16, v35
	v_min3_f16 v36, v34, v35, v36
	v_lshl_add_u64 v[34:35], v[42:43], 1, v[28:29]
	global_store_short v[34:35], v36, off
	s_or_b64 exec, exec, s[18:19]
	s_and_b64 s[22:23], s[6:7], s[10:11]
	s_and_saveexec_b64 s[18:19], s[22:23]
	s_cbranch_execz .LBB217_147
.LBB217_156:
	s_and_b64 vcc, exec, s[0:1]
	s_cbranch_vccnz .LBB217_158
; %bb.157:
	v_lshl_add_u64 v[34:35], v[44:45], 1, v[32:33]
	flat_load_ushort v34, v[34:35]
	s_waitcnt vmcnt(0) lgkmcnt(0)
	v_mul_f16_e32 v34, s26, v34
	s_branch .LBB217_159
.LBB217_158:
	v_mov_b32_e32 v34, 0
.LBB217_159:
	v_pk_add_f16 v35, v0, v30
	v_pk_max_f16 v36, v101, v101
	s_nop 0
	v_pk_min_f16 v35, v36, v35
	v_pk_add_f16 v36, v1, v31
	s_nop 0
	v_pk_min_f16 v35, v35, v36
	s_nop 0
	v_lshrrev_b32_e32 v36, 16, v35
	v_min3_f16 v36, v34, v35, v36
	v_lshl_add_u64 v[34:35], v[44:45], 1, v[28:29]
	global_store_short v[34:35], v36, off
	s_or_b64 exec, exec, s[18:19]
	s_and_b64 s[18:19], s[8:9], s[10:11]
	s_and_saveexec_b64 s[10:11], s[18:19]
	s_cbranch_execz .LBB217_164
.LBB217_160:
	s_and_b64 vcc, exec, s[0:1]
	s_cbranch_vccnz .LBB217_162
; %bb.161:
	v_lshl_add_u64 v[32:33], v[46:47], 1, v[32:33]
	flat_load_ushort v32, v[32:33]
	s_waitcnt vmcnt(0) lgkmcnt(0)
	v_mul_f16_e32 v32, s26, v32
	s_branch .LBB217_163
.LBB217_162:
	v_mov_b32_e32 v32, 0
.LBB217_163:
	v_pk_add_f16 v30, v2, v30
	v_pk_max_f16 v33, v100, v100
	v_pk_add_f16 v31, v3, v31
	v_pk_min_f16 v30, v33, v30
	v_lshl_add_u64 v[28:29], v[46:47], 1, v[28:29]
	v_pk_min_f16 v30, v30, v31
	s_nop 0
	v_lshrrev_b32_e32 v31, 16, v30
	v_min3_f16 v30, v32, v30, v31
	global_store_short v[28:29], v30, off
.LBB217_164:
	s_or_b64 exec, exec, s[10:11]
	v_add_u32_e32 v32, 48, v52
	v_mad_i64_i32 v[28:29], s[18:19], v32, s21, 0
	v_cmp_gt_i32_e64 s[10:11], s13, v32
	v_lshl_add_u64 v[30:31], v[28:29], 1, s[16:17]
	v_mad_i64_i32 v[28:29], s[18:19], v32, s20, 0
	v_lshl_add_u64 v[28:29], v[28:29], 1, s[14:15]
	s_and_b64 s[22:23], s[2:3], s[10:11]
	s_and_saveexec_b64 s[18:19], s[22:23]
	s_cbranch_execnz .LBB217_168
; %bb.165:
	s_or_b64 exec, exec, s[18:19]
	s_and_b64 s[22:23], s[4:5], s[10:11]
	s_and_saveexec_b64 s[18:19], s[22:23]
	s_cbranch_execnz .LBB217_172
.LBB217_166:
	s_or_b64 exec, exec, s[18:19]
	s_and_b64 s[22:23], s[6:7], s[10:11]
	s_and_saveexec_b64 s[18:19], s[22:23]
	s_cbranch_execnz .LBB217_176
.LBB217_167:
	s_or_b64 exec, exec, s[18:19]
	s_and_b64 s[18:19], s[8:9], s[10:11]
	s_and_saveexec_b64 s[10:11], s[18:19]
	s_cbranch_execnz .LBB217_180
	s_branch .LBB217_184
.LBB217_168:
	s_and_b64 vcc, exec, s[0:1]
	s_cbranch_vccnz .LBB217_170
; %bb.169:
	v_lshl_add_u64 v[32:33], v[40:41], 1, v[30:31]
	flat_load_ushort v32, v[32:33]
	s_waitcnt vmcnt(0) lgkmcnt(0)
	v_mul_f16_e32 v32, s26, v32
	s_branch .LBB217_171
.LBB217_170:
	v_mov_b32_e32 v32, 0
.LBB217_171:
	v_pk_add_f16 v33, v8, v24
	v_pk_max_f16 v34, v99, v99
	s_nop 0
	v_pk_min_f16 v33, v34, v33
	v_pk_add_f16 v34, v9, v25
	s_nop 0
	v_pk_min_f16 v33, v33, v34
	s_nop 0
	v_lshrrev_b32_e32 v34, 16, v33
	v_min3_f16 v34, v32, v33, v34
	v_lshl_add_u64 v[32:33], v[40:41], 1, v[28:29]
	global_store_short v[32:33], v34, off
	s_or_b64 exec, exec, s[18:19]
	s_and_b64 s[22:23], s[4:5], s[10:11]
	s_and_saveexec_b64 s[18:19], s[22:23]
	s_cbranch_execz .LBB217_166
.LBB217_172:
	s_and_b64 vcc, exec, s[0:1]
	s_cbranch_vccnz .LBB217_174
; %bb.173:
	v_lshl_add_u64 v[32:33], v[42:43], 1, v[30:31]
	flat_load_ushort v32, v[32:33]
	s_waitcnt vmcnt(0) lgkmcnt(0)
	v_mul_f16_e32 v32, s26, v32
	s_branch .LBB217_175
.LBB217_174:
	v_mov_b32_e32 v32, 0
.LBB217_175:
	v_pk_add_f16 v33, v10, v24
	v_pk_max_f16 v34, v98, v98
	s_nop 0
	v_pk_min_f16 v33, v34, v33
	v_pk_add_f16 v34, v11, v25
	s_nop 0
	v_pk_min_f16 v33, v33, v34
	s_nop 0
	v_lshrrev_b32_e32 v34, 16, v33
	v_min3_f16 v34, v32, v33, v34
	v_lshl_add_u64 v[32:33], v[42:43], 1, v[28:29]
	global_store_short v[32:33], v34, off
	s_or_b64 exec, exec, s[18:19]
	s_and_b64 s[22:23], s[6:7], s[10:11]
	s_and_saveexec_b64 s[18:19], s[22:23]
	s_cbranch_execz .LBB217_167
.LBB217_176:
	s_and_b64 vcc, exec, s[0:1]
	s_cbranch_vccnz .LBB217_178
; %bb.177:
	v_lshl_add_u64 v[32:33], v[44:45], 1, v[30:31]
	flat_load_ushort v32, v[32:33]
	s_waitcnt vmcnt(0) lgkmcnt(0)
	v_mul_f16_e32 v32, s26, v32
	s_branch .LBB217_179
.LBB217_178:
	v_mov_b32_e32 v32, 0
.LBB217_179:
	v_pk_add_f16 v33, v0, v24
	v_pk_max_f16 v34, v97, v97
	s_nop 0
	v_pk_min_f16 v33, v34, v33
	v_pk_add_f16 v34, v1, v25
	s_nop 0
	v_pk_min_f16 v33, v33, v34
	s_nop 0
	v_lshrrev_b32_e32 v34, 16, v33
	v_min3_f16 v34, v32, v33, v34
	v_lshl_add_u64 v[32:33], v[44:45], 1, v[28:29]
	global_store_short v[32:33], v34, off
	s_or_b64 exec, exec, s[18:19]
	s_and_b64 s[18:19], s[8:9], s[10:11]
	s_and_saveexec_b64 s[10:11], s[18:19]
	s_cbranch_execz .LBB217_184
.LBB217_180:
	s_and_b64 vcc, exec, s[0:1]
	s_cbranch_vccnz .LBB217_182
; %bb.181:
	v_lshl_add_u64 v[30:31], v[46:47], 1, v[30:31]
	flat_load_ushort v30, v[30:31]
	s_waitcnt vmcnt(0) lgkmcnt(0)
	v_mul_f16_e32 v30, s26, v30
	s_branch .LBB217_183
.LBB217_182:
	v_mov_b32_e32 v30, 0
.LBB217_183:
	v_pk_add_f16 v24, v2, v24
	v_pk_max_f16 v31, v96, v96
	v_pk_add_f16 v25, v3, v25
	v_pk_min_f16 v24, v31, v24
	s_nop 0
	v_pk_min_f16 v24, v24, v25
	s_nop 0
	v_lshrrev_b32_e32 v25, 16, v24
	v_min3_f16 v30, v30, v24, v25
	v_lshl_add_u64 v[24:25], v[46:47], 1, v[28:29]
	global_store_short v[24:25], v30, off
.LBB217_184:
	s_or_b64 exec, exec, s[10:11]
	v_add_u32_e32 v30, 56, v52
	v_mad_i64_i32 v[24:25], s[18:19], v30, s21, 0
	v_cmp_gt_i32_e64 s[10:11], s13, v30
	v_lshl_add_u64 v[28:29], v[24:25], 1, s[16:17]
	v_mad_i64_i32 v[24:25], s[18:19], v30, s20, 0
	v_lshl_add_u64 v[24:25], v[24:25], 1, s[14:15]
	s_and_b64 s[22:23], s[2:3], s[10:11]
	s_and_saveexec_b64 s[18:19], s[22:23]
	s_cbranch_execnz .LBB217_188
; %bb.185:
	s_or_b64 exec, exec, s[18:19]
	s_and_b64 s[22:23], s[4:5], s[10:11]
	s_and_saveexec_b64 s[18:19], s[22:23]
	s_cbranch_execnz .LBB217_192
.LBB217_186:
	s_or_b64 exec, exec, s[18:19]
	s_and_b64 s[22:23], s[6:7], s[10:11]
	s_and_saveexec_b64 s[18:19], s[22:23]
	s_cbranch_execnz .LBB217_196
.LBB217_187:
	s_or_b64 exec, exec, s[18:19]
	s_and_b64 s[18:19], s[8:9], s[10:11]
	s_and_saveexec_b64 s[10:11], s[18:19]
	s_cbranch_execnz .LBB217_200
	s_branch .LBB217_204
.LBB217_188:
	s_and_b64 vcc, exec, s[0:1]
	s_cbranch_vccnz .LBB217_190
; %bb.189:
	v_lshl_add_u64 v[30:31], v[40:41], 1, v[28:29]
	flat_load_ushort v30, v[30:31]
	s_waitcnt vmcnt(0) lgkmcnt(0)
	v_mul_f16_e32 v30, s26, v30
	s_branch .LBB217_191
.LBB217_190:
	v_mov_b32_e32 v30, 0
.LBB217_191:
	v_pk_add_f16 v31, v8, v26
	v_pk_max_f16 v32, v95, v95
	s_nop 0
	v_pk_min_f16 v31, v32, v31
	v_pk_add_f16 v32, v9, v27
	s_nop 0
	v_pk_min_f16 v31, v31, v32
	s_nop 0
	v_lshrrev_b32_e32 v32, 16, v31
	v_min3_f16 v32, v30, v31, v32
	v_lshl_add_u64 v[30:31], v[40:41], 1, v[24:25]
	global_store_short v[30:31], v32, off
	s_or_b64 exec, exec, s[18:19]
	s_and_b64 s[22:23], s[4:5], s[10:11]
	s_and_saveexec_b64 s[18:19], s[22:23]
	s_cbranch_execz .LBB217_186
.LBB217_192:
	s_and_b64 vcc, exec, s[0:1]
	s_cbranch_vccnz .LBB217_194
; %bb.193:
	v_lshl_add_u64 v[30:31], v[42:43], 1, v[28:29]
	flat_load_ushort v30, v[30:31]
	s_waitcnt vmcnt(0) lgkmcnt(0)
	v_mul_f16_e32 v30, s26, v30
	s_branch .LBB217_195
.LBB217_194:
	v_mov_b32_e32 v30, 0
.LBB217_195:
	v_pk_add_f16 v31, v10, v26
	v_pk_max_f16 v32, v92, v92
	s_nop 0
	v_pk_min_f16 v31, v32, v31
	v_pk_add_f16 v32, v11, v27
	s_nop 0
	v_pk_min_f16 v31, v31, v32
	s_nop 0
	v_lshrrev_b32_e32 v32, 16, v31
	v_min3_f16 v32, v30, v31, v32
	v_lshl_add_u64 v[30:31], v[42:43], 1, v[24:25]
	global_store_short v[30:31], v32, off
	s_or_b64 exec, exec, s[18:19]
	s_and_b64 s[22:23], s[6:7], s[10:11]
	s_and_saveexec_b64 s[18:19], s[22:23]
	s_cbranch_execz .LBB217_187
.LBB217_196:
	s_and_b64 vcc, exec, s[0:1]
	s_cbranch_vccnz .LBB217_198
; %bb.197:
	v_lshl_add_u64 v[30:31], v[44:45], 1, v[28:29]
	flat_load_ushort v30, v[30:31]
	s_waitcnt vmcnt(0) lgkmcnt(0)
	v_mul_f16_e32 v30, s26, v30
	s_branch .LBB217_199
.LBB217_198:
	v_mov_b32_e32 v30, 0
.LBB217_199:
	v_pk_add_f16 v31, v0, v26
	v_pk_max_f16 v32, v91, v91
	s_nop 0
	v_pk_min_f16 v31, v32, v31
	v_pk_add_f16 v32, v1, v27
	s_nop 0
	v_pk_min_f16 v31, v31, v32
	s_nop 0
	v_lshrrev_b32_e32 v32, 16, v31
	v_min3_f16 v32, v30, v31, v32
	v_lshl_add_u64 v[30:31], v[44:45], 1, v[24:25]
	global_store_short v[30:31], v32, off
	s_or_b64 exec, exec, s[18:19]
	s_and_b64 s[18:19], s[8:9], s[10:11]
	s_and_saveexec_b64 s[10:11], s[18:19]
	s_cbranch_execz .LBB217_204
.LBB217_200:
	s_and_b64 vcc, exec, s[0:1]
	s_cbranch_vccnz .LBB217_202
; %bb.201:
	v_lshl_add_u64 v[28:29], v[46:47], 1, v[28:29]
	flat_load_ushort v28, v[28:29]
	s_waitcnt vmcnt(0) lgkmcnt(0)
	v_mul_f16_e32 v28, s26, v28
	s_branch .LBB217_203
.LBB217_202:
	v_mov_b32_e32 v28, 0
.LBB217_203:
	v_pk_add_f16 v26, v2, v26
	v_pk_max_f16 v29, v90, v90
	v_pk_add_f16 v27, v3, v27
	v_pk_min_f16 v26, v29, v26
	v_lshl_add_u64 v[24:25], v[46:47], 1, v[24:25]
	v_pk_min_f16 v26, v26, v27
	s_nop 0
	v_lshrrev_b32_e32 v27, 16, v26
	v_min3_f16 v26, v28, v26, v27
	global_store_short v[24:25], v26, off
.LBB217_204:
	s_or_b64 exec, exec, s[10:11]
	v_add_u32_e32 v28, 64, v52
	v_mad_i64_i32 v[24:25], s[18:19], v28, s21, 0
	v_cmp_gt_i32_e64 s[10:11], s13, v28
	v_lshl_add_u64 v[26:27], v[24:25], 1, s[16:17]
	v_mad_i64_i32 v[24:25], s[18:19], v28, s20, 0
	v_lshl_add_u64 v[24:25], v[24:25], 1, s[14:15]
	s_and_b64 s[22:23], s[2:3], s[10:11]
	s_and_saveexec_b64 s[18:19], s[22:23]
	s_cbranch_execnz .LBB217_208
; %bb.205:
	s_or_b64 exec, exec, s[18:19]
	s_and_b64 s[22:23], s[4:5], s[10:11]
	s_and_saveexec_b64 s[18:19], s[22:23]
	s_cbranch_execnz .LBB217_212
.LBB217_206:
	s_or_b64 exec, exec, s[18:19]
	s_and_b64 s[22:23], s[6:7], s[10:11]
	s_and_saveexec_b64 s[18:19], s[22:23]
	s_cbranch_execnz .LBB217_216
.LBB217_207:
	s_or_b64 exec, exec, s[18:19]
	s_and_b64 s[18:19], s[8:9], s[10:11]
	s_and_saveexec_b64 s[10:11], s[18:19]
	s_cbranch_execnz .LBB217_220
	s_branch .LBB217_224
.LBB217_208:
	s_and_b64 vcc, exec, s[0:1]
	s_cbranch_vccnz .LBB217_210
; %bb.209:
	v_lshl_add_u64 v[28:29], v[40:41], 1, v[26:27]
	flat_load_ushort v28, v[28:29]
	s_waitcnt vmcnt(0) lgkmcnt(0)
	v_mul_f16_e32 v28, s26, v28
	s_branch .LBB217_211
.LBB217_210:
	v_mov_b32_e32 v28, 0
.LBB217_211:
	v_pk_add_f16 v29, v8, v20
	v_pk_max_f16 v30, v89, v89
	s_nop 0
	v_pk_min_f16 v29, v30, v29
	v_pk_add_f16 v30, v9, v21
	s_nop 0
	v_pk_min_f16 v29, v29, v30
	s_nop 0
	v_lshrrev_b32_e32 v30, 16, v29
	v_min3_f16 v30, v28, v29, v30
	v_lshl_add_u64 v[28:29], v[40:41], 1, v[24:25]
	global_store_short v[28:29], v30, off
	s_or_b64 exec, exec, s[18:19]
	s_and_b64 s[22:23], s[4:5], s[10:11]
	s_and_saveexec_b64 s[18:19], s[22:23]
	s_cbranch_execz .LBB217_206
.LBB217_212:
	s_and_b64 vcc, exec, s[0:1]
	s_cbranch_vccnz .LBB217_214
; %bb.213:
	v_lshl_add_u64 v[28:29], v[42:43], 1, v[26:27]
	flat_load_ushort v28, v[28:29]
	s_waitcnt vmcnt(0) lgkmcnt(0)
	v_mul_f16_e32 v28, s26, v28
	s_branch .LBB217_215
.LBB217_214:
	v_mov_b32_e32 v28, 0
.LBB217_215:
	v_pk_add_f16 v29, v10, v20
	v_pk_max_f16 v30, v88, v88
	s_nop 0
	v_pk_min_f16 v29, v30, v29
	v_pk_add_f16 v30, v11, v21
	s_nop 0
	v_pk_min_f16 v29, v29, v30
	s_nop 0
	v_lshrrev_b32_e32 v30, 16, v29
	v_min3_f16 v30, v28, v29, v30
	v_lshl_add_u64 v[28:29], v[42:43], 1, v[24:25]
	global_store_short v[28:29], v30, off
	s_or_b64 exec, exec, s[18:19]
	s_and_b64 s[22:23], s[6:7], s[10:11]
	s_and_saveexec_b64 s[18:19], s[22:23]
	s_cbranch_execz .LBB217_207
.LBB217_216:
	s_and_b64 vcc, exec, s[0:1]
	s_cbranch_vccnz .LBB217_218
; %bb.217:
	v_lshl_add_u64 v[28:29], v[44:45], 1, v[26:27]
	flat_load_ushort v28, v[28:29]
	s_waitcnt vmcnt(0) lgkmcnt(0)
	v_mul_f16_e32 v28, s26, v28
	s_branch .LBB217_219
.LBB217_218:
	v_mov_b32_e32 v28, 0
.LBB217_219:
	v_pk_add_f16 v29, v0, v20
	v_pk_max_f16 v30, v87, v87
	s_nop 0
	v_pk_min_f16 v29, v30, v29
	v_pk_add_f16 v30, v1, v21
	s_nop 0
	v_pk_min_f16 v29, v29, v30
	s_nop 0
	v_lshrrev_b32_e32 v30, 16, v29
	v_min3_f16 v30, v28, v29, v30
	v_lshl_add_u64 v[28:29], v[44:45], 1, v[24:25]
	global_store_short v[28:29], v30, off
	s_or_b64 exec, exec, s[18:19]
	s_and_b64 s[18:19], s[8:9], s[10:11]
	s_and_saveexec_b64 s[10:11], s[18:19]
	s_cbranch_execz .LBB217_224
.LBB217_220:
	s_and_b64 vcc, exec, s[0:1]
	s_cbranch_vccnz .LBB217_222
; %bb.221:
	v_lshl_add_u64 v[26:27], v[46:47], 1, v[26:27]
	flat_load_ushort v26, v[26:27]
	s_waitcnt vmcnt(0) lgkmcnt(0)
	v_mul_f16_e32 v26, s26, v26
	s_branch .LBB217_223
.LBB217_222:
	v_mov_b32_e32 v26, 0
.LBB217_223:
	v_pk_add_f16 v20, v2, v20
	v_pk_max_f16 v27, v86, v86
	v_pk_add_f16 v21, v3, v21
	v_pk_min_f16 v20, v27, v20
	s_nop 0
	v_pk_min_f16 v20, v20, v21
	s_nop 0
	v_lshrrev_b32_e32 v21, 16, v20
	v_min3_f16 v26, v26, v20, v21
	v_lshl_add_u64 v[20:21], v[46:47], 1, v[24:25]
	global_store_short v[20:21], v26, off
.LBB217_224:
	s_or_b64 exec, exec, s[10:11]
	v_add_u32_e32 v26, 0x48, v52
	v_mad_i64_i32 v[20:21], s[18:19], v26, s21, 0
	v_cmp_gt_i32_e64 s[10:11], s13, v26
	v_lshl_add_u64 v[24:25], v[20:21], 1, s[16:17]
	v_mad_i64_i32 v[20:21], s[18:19], v26, s20, 0
	v_lshl_add_u64 v[20:21], v[20:21], 1, s[14:15]
	s_and_b64 s[22:23], s[2:3], s[10:11]
	s_and_saveexec_b64 s[18:19], s[22:23]
	s_cbranch_execnz .LBB217_228
; %bb.225:
	s_or_b64 exec, exec, s[18:19]
	s_and_b64 s[22:23], s[4:5], s[10:11]
	s_and_saveexec_b64 s[18:19], s[22:23]
	s_cbranch_execnz .LBB217_232
.LBB217_226:
	s_or_b64 exec, exec, s[18:19]
	s_and_b64 s[22:23], s[6:7], s[10:11]
	s_and_saveexec_b64 s[18:19], s[22:23]
	s_cbranch_execnz .LBB217_236
.LBB217_227:
	s_or_b64 exec, exec, s[18:19]
	s_and_b64 s[18:19], s[8:9], s[10:11]
	s_and_saveexec_b64 s[10:11], s[18:19]
	s_cbranch_execnz .LBB217_240
	s_branch .LBB217_244
.LBB217_228:
	s_and_b64 vcc, exec, s[0:1]
	s_cbranch_vccnz .LBB217_230
; %bb.229:
	v_lshl_add_u64 v[26:27], v[40:41], 1, v[24:25]
	flat_load_ushort v26, v[26:27]
	s_waitcnt vmcnt(0) lgkmcnt(0)
	v_mul_f16_e32 v26, s26, v26
	s_branch .LBB217_231
.LBB217_230:
	v_mov_b32_e32 v26, 0
.LBB217_231:
	v_pk_add_f16 v27, v8, v22
	v_pk_max_f16 v28, v85, v85
	s_nop 0
	v_pk_min_f16 v27, v28, v27
	v_pk_add_f16 v28, v9, v23
	s_nop 0
	v_pk_min_f16 v27, v27, v28
	s_nop 0
	v_lshrrev_b32_e32 v28, 16, v27
	v_min3_f16 v28, v26, v27, v28
	v_lshl_add_u64 v[26:27], v[40:41], 1, v[20:21]
	global_store_short v[26:27], v28, off
	s_or_b64 exec, exec, s[18:19]
	s_and_b64 s[22:23], s[4:5], s[10:11]
	s_and_saveexec_b64 s[18:19], s[22:23]
	s_cbranch_execz .LBB217_226
.LBB217_232:
	s_and_b64 vcc, exec, s[0:1]
	s_cbranch_vccnz .LBB217_234
; %bb.233:
	v_lshl_add_u64 v[26:27], v[42:43], 1, v[24:25]
	flat_load_ushort v26, v[26:27]
	s_waitcnt vmcnt(0) lgkmcnt(0)
	v_mul_f16_e32 v26, s26, v26
	s_branch .LBB217_235
.LBB217_234:
	v_mov_b32_e32 v26, 0
.LBB217_235:
	v_pk_add_f16 v27, v10, v22
	v_pk_max_f16 v28, v84, v84
	s_nop 0
	v_pk_min_f16 v27, v28, v27
	v_pk_add_f16 v28, v11, v23
	s_nop 0
	v_pk_min_f16 v27, v27, v28
	s_nop 0
	v_lshrrev_b32_e32 v28, 16, v27
	v_min3_f16 v28, v26, v27, v28
	v_lshl_add_u64 v[26:27], v[42:43], 1, v[20:21]
	global_store_short v[26:27], v28, off
	s_or_b64 exec, exec, s[18:19]
	s_and_b64 s[22:23], s[6:7], s[10:11]
	s_and_saveexec_b64 s[18:19], s[22:23]
	s_cbranch_execz .LBB217_227
.LBB217_236:
	s_and_b64 vcc, exec, s[0:1]
	s_cbranch_vccnz .LBB217_238
; %bb.237:
	v_lshl_add_u64 v[26:27], v[44:45], 1, v[24:25]
	flat_load_ushort v26, v[26:27]
	s_waitcnt vmcnt(0) lgkmcnt(0)
	v_mul_f16_e32 v26, s26, v26
	s_branch .LBB217_239
.LBB217_238:
	v_mov_b32_e32 v26, 0
.LBB217_239:
	v_pk_add_f16 v27, v0, v22
	v_pk_max_f16 v28, v83, v83
	s_nop 0
	v_pk_min_f16 v27, v28, v27
	v_pk_add_f16 v28, v1, v23
	s_nop 0
	v_pk_min_f16 v27, v27, v28
	s_nop 0
	v_lshrrev_b32_e32 v28, 16, v27
	v_min3_f16 v28, v26, v27, v28
	v_lshl_add_u64 v[26:27], v[44:45], 1, v[20:21]
	global_store_short v[26:27], v28, off
	s_or_b64 exec, exec, s[18:19]
	s_and_b64 s[18:19], s[8:9], s[10:11]
	s_and_saveexec_b64 s[10:11], s[18:19]
	s_cbranch_execz .LBB217_244
.LBB217_240:
	s_and_b64 vcc, exec, s[0:1]
	s_cbranch_vccnz .LBB217_242
; %bb.241:
	v_lshl_add_u64 v[24:25], v[46:47], 1, v[24:25]
	flat_load_ushort v24, v[24:25]
	s_waitcnt vmcnt(0) lgkmcnt(0)
	v_mul_f16_e32 v24, s26, v24
	s_branch .LBB217_243
.LBB217_242:
	v_mov_b32_e32 v24, 0
.LBB217_243:
	v_pk_add_f16 v22, v2, v22
	v_pk_max_f16 v25, v82, v82
	v_pk_add_f16 v23, v3, v23
	v_pk_min_f16 v22, v25, v22
	v_lshl_add_u64 v[20:21], v[46:47], 1, v[20:21]
	v_pk_min_f16 v22, v22, v23
	s_nop 0
	v_lshrrev_b32_e32 v23, 16, v22
	v_min3_f16 v22, v24, v22, v23
	global_store_short v[20:21], v22, off
.LBB217_244:
	s_or_b64 exec, exec, s[10:11]
	v_add_u32_e32 v24, 0x50, v52
	v_mad_i64_i32 v[20:21], s[18:19], v24, s21, 0
	v_cmp_gt_i32_e64 s[10:11], s13, v24
	v_lshl_add_u64 v[22:23], v[20:21], 1, s[16:17]
	v_mad_i64_i32 v[20:21], s[18:19], v24, s20, 0
	v_lshl_add_u64 v[20:21], v[20:21], 1, s[14:15]
	s_and_b64 s[22:23], s[2:3], s[10:11]
	s_and_saveexec_b64 s[18:19], s[22:23]
	s_cbranch_execnz .LBB217_248
; %bb.245:
	s_or_b64 exec, exec, s[18:19]
	s_and_b64 s[22:23], s[4:5], s[10:11]
	s_and_saveexec_b64 s[18:19], s[22:23]
	s_cbranch_execnz .LBB217_252
.LBB217_246:
	s_or_b64 exec, exec, s[18:19]
	s_and_b64 s[22:23], s[6:7], s[10:11]
	s_and_saveexec_b64 s[18:19], s[22:23]
	s_cbranch_execnz .LBB217_256
.LBB217_247:
	s_or_b64 exec, exec, s[18:19]
	s_and_b64 s[18:19], s[8:9], s[10:11]
	s_and_saveexec_b64 s[10:11], s[18:19]
	s_cbranch_execnz .LBB217_260
	s_branch .LBB217_264
.LBB217_248:
	s_and_b64 vcc, exec, s[0:1]
	s_cbranch_vccnz .LBB217_250
; %bb.249:
	v_lshl_add_u64 v[24:25], v[40:41], 1, v[22:23]
	flat_load_ushort v24, v[24:25]
	s_waitcnt vmcnt(0) lgkmcnt(0)
	v_mul_f16_e32 v24, s26, v24
	s_branch .LBB217_251
.LBB217_250:
	v_mov_b32_e32 v24, 0
.LBB217_251:
	v_pk_add_f16 v25, v8, v16
	v_pk_max_f16 v26, v81, v81
	s_nop 0
	v_pk_min_f16 v25, v26, v25
	v_pk_add_f16 v26, v9, v17
	s_nop 0
	v_pk_min_f16 v25, v25, v26
	s_nop 0
	v_lshrrev_b32_e32 v26, 16, v25
	v_min3_f16 v26, v24, v25, v26
	v_lshl_add_u64 v[24:25], v[40:41], 1, v[20:21]
	global_store_short v[24:25], v26, off
	s_or_b64 exec, exec, s[18:19]
	s_and_b64 s[22:23], s[4:5], s[10:11]
	s_and_saveexec_b64 s[18:19], s[22:23]
	s_cbranch_execz .LBB217_246
.LBB217_252:
	s_and_b64 vcc, exec, s[0:1]
	s_cbranch_vccnz .LBB217_254
; %bb.253:
	v_lshl_add_u64 v[24:25], v[42:43], 1, v[22:23]
	flat_load_ushort v24, v[24:25]
	s_waitcnt vmcnt(0) lgkmcnt(0)
	v_mul_f16_e32 v24, s26, v24
	s_branch .LBB217_255
.LBB217_254:
	v_mov_b32_e32 v24, 0
.LBB217_255:
	v_pk_add_f16 v25, v10, v16
	v_pk_max_f16 v26, v80, v80
	s_nop 0
	v_pk_min_f16 v25, v26, v25
	v_pk_add_f16 v26, v11, v17
	s_nop 0
	v_pk_min_f16 v25, v25, v26
	s_nop 0
	v_lshrrev_b32_e32 v26, 16, v25
	v_min3_f16 v26, v24, v25, v26
	v_lshl_add_u64 v[24:25], v[42:43], 1, v[20:21]
	global_store_short v[24:25], v26, off
	s_or_b64 exec, exec, s[18:19]
	s_and_b64 s[22:23], s[6:7], s[10:11]
	s_and_saveexec_b64 s[18:19], s[22:23]
	s_cbranch_execz .LBB217_247
.LBB217_256:
	s_and_b64 vcc, exec, s[0:1]
	s_cbranch_vccnz .LBB217_258
; %bb.257:
	v_lshl_add_u64 v[24:25], v[44:45], 1, v[22:23]
	flat_load_ushort v24, v[24:25]
	s_waitcnt vmcnt(0) lgkmcnt(0)
	v_mul_f16_e32 v24, s26, v24
	s_branch .LBB217_259
.LBB217_258:
	v_mov_b32_e32 v24, 0
.LBB217_259:
	v_pk_add_f16 v25, v0, v16
	v_pk_max_f16 v26, v79, v79
	s_nop 0
	v_pk_min_f16 v25, v26, v25
	v_pk_add_f16 v26, v1, v17
	s_nop 0
	v_pk_min_f16 v25, v25, v26
	s_nop 0
	v_lshrrev_b32_e32 v26, 16, v25
	v_min3_f16 v26, v24, v25, v26
	v_lshl_add_u64 v[24:25], v[44:45], 1, v[20:21]
	global_store_short v[24:25], v26, off
	s_or_b64 exec, exec, s[18:19]
	s_and_b64 s[18:19], s[8:9], s[10:11]
	s_and_saveexec_b64 s[10:11], s[18:19]
	s_cbranch_execz .LBB217_264
.LBB217_260:
	s_and_b64 vcc, exec, s[0:1]
	s_cbranch_vccnz .LBB217_262
; %bb.261:
	v_lshl_add_u64 v[22:23], v[46:47], 1, v[22:23]
	flat_load_ushort v22, v[22:23]
	s_waitcnt vmcnt(0) lgkmcnt(0)
	v_mul_f16_e32 v22, s26, v22
	s_branch .LBB217_263
.LBB217_262:
	v_mov_b32_e32 v22, 0
.LBB217_263:
	v_pk_add_f16 v16, v2, v16
	v_pk_max_f16 v23, v78, v78
	v_pk_add_f16 v17, v3, v17
	v_pk_min_f16 v16, v23, v16
	s_nop 0
	v_pk_min_f16 v16, v16, v17
	s_nop 0
	v_lshrrev_b32_e32 v17, 16, v16
	v_min3_f16 v22, v22, v16, v17
	v_lshl_add_u64 v[16:17], v[46:47], 1, v[20:21]
	global_store_short v[16:17], v22, off
.LBB217_264:
	s_or_b64 exec, exec, s[10:11]
	v_add_u32_e32 v22, 0x58, v52
	v_mad_i64_i32 v[16:17], s[18:19], v22, s21, 0
	v_cmp_gt_i32_e64 s[10:11], s13, v22
	v_lshl_add_u64 v[20:21], v[16:17], 1, s[16:17]
	v_mad_i64_i32 v[16:17], s[18:19], v22, s20, 0
	v_lshl_add_u64 v[16:17], v[16:17], 1, s[14:15]
	s_and_b64 s[22:23], s[2:3], s[10:11]
	s_and_saveexec_b64 s[18:19], s[22:23]
	s_cbranch_execnz .LBB217_268
; %bb.265:
	s_or_b64 exec, exec, s[18:19]
	s_and_b64 s[22:23], s[4:5], s[10:11]
	s_and_saveexec_b64 s[18:19], s[22:23]
	s_cbranch_execnz .LBB217_272
.LBB217_266:
	s_or_b64 exec, exec, s[18:19]
	s_and_b64 s[22:23], s[6:7], s[10:11]
	s_and_saveexec_b64 s[18:19], s[22:23]
	s_cbranch_execnz .LBB217_276
.LBB217_267:
	s_or_b64 exec, exec, s[18:19]
	s_and_b64 s[18:19], s[8:9], s[10:11]
	s_and_saveexec_b64 s[10:11], s[18:19]
	s_cbranch_execnz .LBB217_280
	s_branch .LBB217_284
.LBB217_268:
	s_and_b64 vcc, exec, s[0:1]
	s_cbranch_vccnz .LBB217_270
; %bb.269:
	v_lshl_add_u64 v[22:23], v[40:41], 1, v[20:21]
	flat_load_ushort v22, v[22:23]
	s_waitcnt vmcnt(0) lgkmcnt(0)
	v_mul_f16_e32 v22, s26, v22
	s_branch .LBB217_271
.LBB217_270:
	v_mov_b32_e32 v22, 0
.LBB217_271:
	v_pk_add_f16 v23, v8, v18
	v_pk_max_f16 v24, v77, v77
	s_nop 0
	v_pk_min_f16 v23, v24, v23
	v_pk_add_f16 v24, v9, v19
	s_nop 0
	v_pk_min_f16 v23, v23, v24
	s_nop 0
	v_lshrrev_b32_e32 v24, 16, v23
	v_min3_f16 v24, v22, v23, v24
	v_lshl_add_u64 v[22:23], v[40:41], 1, v[16:17]
	global_store_short v[22:23], v24, off
	s_or_b64 exec, exec, s[18:19]
	s_and_b64 s[22:23], s[4:5], s[10:11]
	s_and_saveexec_b64 s[18:19], s[22:23]
	s_cbranch_execz .LBB217_266
.LBB217_272:
	s_and_b64 vcc, exec, s[0:1]
	s_cbranch_vccnz .LBB217_274
; %bb.273:
	v_lshl_add_u64 v[22:23], v[42:43], 1, v[20:21]
	flat_load_ushort v22, v[22:23]
	s_waitcnt vmcnt(0) lgkmcnt(0)
	v_mul_f16_e32 v22, s26, v22
	s_branch .LBB217_275
.LBB217_274:
	v_mov_b32_e32 v22, 0
.LBB217_275:
	v_pk_add_f16 v23, v10, v18
	v_pk_max_f16 v24, v76, v76
	s_nop 0
	v_pk_min_f16 v23, v24, v23
	v_pk_add_f16 v24, v11, v19
	s_nop 0
	v_pk_min_f16 v23, v23, v24
	s_nop 0
	v_lshrrev_b32_e32 v24, 16, v23
	v_min3_f16 v24, v22, v23, v24
	v_lshl_add_u64 v[22:23], v[42:43], 1, v[16:17]
	global_store_short v[22:23], v24, off
	s_or_b64 exec, exec, s[18:19]
	s_and_b64 s[22:23], s[6:7], s[10:11]
	s_and_saveexec_b64 s[18:19], s[22:23]
	s_cbranch_execz .LBB217_267
.LBB217_276:
	s_and_b64 vcc, exec, s[0:1]
	s_cbranch_vccnz .LBB217_278
; %bb.277:
	v_lshl_add_u64 v[22:23], v[44:45], 1, v[20:21]
	flat_load_ushort v22, v[22:23]
	s_waitcnt vmcnt(0) lgkmcnt(0)
	v_mul_f16_e32 v22, s26, v22
	s_branch .LBB217_279
.LBB217_278:
	v_mov_b32_e32 v22, 0
.LBB217_279:
	v_pk_add_f16 v23, v0, v18
	v_pk_max_f16 v24, v75, v75
	s_nop 0
	v_pk_min_f16 v23, v24, v23
	v_pk_add_f16 v24, v1, v19
	s_nop 0
	v_pk_min_f16 v23, v23, v24
	s_nop 0
	v_lshrrev_b32_e32 v24, 16, v23
	v_min3_f16 v24, v22, v23, v24
	v_lshl_add_u64 v[22:23], v[44:45], 1, v[16:17]
	global_store_short v[22:23], v24, off
	s_or_b64 exec, exec, s[18:19]
	s_and_b64 s[18:19], s[8:9], s[10:11]
	s_and_saveexec_b64 s[10:11], s[18:19]
	s_cbranch_execz .LBB217_284
.LBB217_280:
	s_and_b64 vcc, exec, s[0:1]
	s_cbranch_vccnz .LBB217_282
; %bb.281:
	v_lshl_add_u64 v[20:21], v[46:47], 1, v[20:21]
	flat_load_ushort v20, v[20:21]
	s_waitcnt vmcnt(0) lgkmcnt(0)
	v_mul_f16_e32 v20, s26, v20
	s_branch .LBB217_283
.LBB217_282:
	v_mov_b32_e32 v20, 0
.LBB217_283:
	v_pk_add_f16 v18, v2, v18
	v_pk_max_f16 v21, v74, v74
	v_pk_add_f16 v19, v3, v19
	v_pk_min_f16 v18, v21, v18
	v_lshl_add_u64 v[16:17], v[46:47], 1, v[16:17]
	v_pk_min_f16 v18, v18, v19
	s_nop 0
	v_lshrrev_b32_e32 v19, 16, v18
	v_min3_f16 v18, v20, v18, v19
	global_store_short v[16:17], v18, off
.LBB217_284:
	s_or_b64 exec, exec, s[10:11]
	v_add_u32_e32 v20, 0x60, v52
	v_mad_i64_i32 v[16:17], s[18:19], v20, s21, 0
	v_cmp_gt_i32_e64 s[10:11], s13, v20
	v_lshl_add_u64 v[18:19], v[16:17], 1, s[16:17]
	v_mad_i64_i32 v[16:17], s[18:19], v20, s20, 0
	v_lshl_add_u64 v[16:17], v[16:17], 1, s[14:15]
	s_and_b64 s[22:23], s[2:3], s[10:11]
	s_and_saveexec_b64 s[18:19], s[22:23]
	s_cbranch_execnz .LBB217_288
; %bb.285:
	s_or_b64 exec, exec, s[18:19]
	s_and_b64 s[22:23], s[4:5], s[10:11]
	s_and_saveexec_b64 s[18:19], s[22:23]
	s_cbranch_execnz .LBB217_292
.LBB217_286:
	s_or_b64 exec, exec, s[18:19]
	s_and_b64 s[22:23], s[6:7], s[10:11]
	s_and_saveexec_b64 s[18:19], s[22:23]
	s_cbranch_execnz .LBB217_296
.LBB217_287:
	s_or_b64 exec, exec, s[18:19]
	s_and_b64 s[18:19], s[8:9], s[10:11]
	s_and_saveexec_b64 s[10:11], s[18:19]
	s_cbranch_execnz .LBB217_300
	s_branch .LBB217_304
.LBB217_288:
	s_and_b64 vcc, exec, s[0:1]
	s_cbranch_vccnz .LBB217_290
; %bb.289:
	v_lshl_add_u64 v[20:21], v[40:41], 1, v[18:19]
	flat_load_ushort v20, v[20:21]
	s_waitcnt vmcnt(0) lgkmcnt(0)
	v_mul_f16_e32 v20, s26, v20
	s_branch .LBB217_291
.LBB217_290:
	v_mov_b32_e32 v20, 0
.LBB217_291:
	v_pk_add_f16 v21, v8, v12
	v_pk_max_f16 v22, v73, v73
	s_nop 0
	v_pk_min_f16 v21, v22, v21
	v_pk_add_f16 v22, v9, v13
	s_nop 0
	v_pk_min_f16 v21, v21, v22
	s_nop 0
	v_lshrrev_b32_e32 v22, 16, v21
	v_min3_f16 v22, v20, v21, v22
	v_lshl_add_u64 v[20:21], v[40:41], 1, v[16:17]
	global_store_short v[20:21], v22, off
	s_or_b64 exec, exec, s[18:19]
	s_and_b64 s[22:23], s[4:5], s[10:11]
	s_and_saveexec_b64 s[18:19], s[22:23]
	s_cbranch_execz .LBB217_286
.LBB217_292:
	s_and_b64 vcc, exec, s[0:1]
	s_cbranch_vccnz .LBB217_294
; %bb.293:
	v_lshl_add_u64 v[20:21], v[42:43], 1, v[18:19]
	flat_load_ushort v20, v[20:21]
	s_waitcnt vmcnt(0) lgkmcnt(0)
	v_mul_f16_e32 v20, s26, v20
	s_branch .LBB217_295
.LBB217_294:
	v_mov_b32_e32 v20, 0
.LBB217_295:
	v_pk_add_f16 v21, v10, v12
	v_pk_max_f16 v22, v72, v72
	s_nop 0
	v_pk_min_f16 v21, v22, v21
	v_pk_add_f16 v22, v11, v13
	s_nop 0
	v_pk_min_f16 v21, v21, v22
	s_nop 0
	v_lshrrev_b32_e32 v22, 16, v21
	v_min3_f16 v22, v20, v21, v22
	v_lshl_add_u64 v[20:21], v[42:43], 1, v[16:17]
	global_store_short v[20:21], v22, off
	s_or_b64 exec, exec, s[18:19]
	s_and_b64 s[22:23], s[6:7], s[10:11]
	s_and_saveexec_b64 s[18:19], s[22:23]
	s_cbranch_execz .LBB217_287
.LBB217_296:
	s_and_b64 vcc, exec, s[0:1]
	s_cbranch_vccnz .LBB217_298
; %bb.297:
	v_lshl_add_u64 v[20:21], v[44:45], 1, v[18:19]
	flat_load_ushort v20, v[20:21]
	s_waitcnt vmcnt(0) lgkmcnt(0)
	v_mul_f16_e32 v20, s26, v20
	s_branch .LBB217_299
.LBB217_298:
	v_mov_b32_e32 v20, 0
.LBB217_299:
	v_pk_add_f16 v21, v0, v12
	v_pk_max_f16 v22, v71, v71
	s_nop 0
	v_pk_min_f16 v21, v22, v21
	v_pk_add_f16 v22, v1, v13
	s_nop 0
	v_pk_min_f16 v21, v21, v22
	s_nop 0
	v_lshrrev_b32_e32 v22, 16, v21
	v_min3_f16 v22, v20, v21, v22
	v_lshl_add_u64 v[20:21], v[44:45], 1, v[16:17]
	global_store_short v[20:21], v22, off
	s_or_b64 exec, exec, s[18:19]
	s_and_b64 s[18:19], s[8:9], s[10:11]
	s_and_saveexec_b64 s[10:11], s[18:19]
	s_cbranch_execz .LBB217_304
.LBB217_300:
	s_and_b64 vcc, exec, s[0:1]
	s_cbranch_vccnz .LBB217_302
; %bb.301:
	v_lshl_add_u64 v[18:19], v[46:47], 1, v[18:19]
	flat_load_ushort v18, v[18:19]
	s_waitcnt vmcnt(0) lgkmcnt(0)
	v_mul_f16_e32 v18, s26, v18
	s_branch .LBB217_303
.LBB217_302:
	v_mov_b32_e32 v18, 0
.LBB217_303:
	v_pk_add_f16 v12, v2, v12
	v_pk_max_f16 v19, v70, v70
	v_pk_add_f16 v13, v3, v13
	v_pk_min_f16 v12, v19, v12
	s_nop 0
	v_pk_min_f16 v12, v12, v13
	s_nop 0
	v_lshrrev_b32_e32 v13, 16, v12
	v_min3_f16 v18, v18, v12, v13
	v_lshl_add_u64 v[12:13], v[46:47], 1, v[16:17]
	global_store_short v[12:13], v18, off
.LBB217_304:
	s_or_b64 exec, exec, s[10:11]
	v_add_u32_e32 v18, 0x68, v52
	v_mad_i64_i32 v[12:13], s[18:19], v18, s21, 0
	v_cmp_gt_i32_e64 s[10:11], s13, v18
	v_lshl_add_u64 v[16:17], v[12:13], 1, s[16:17]
	v_mad_i64_i32 v[12:13], s[18:19], v18, s20, 0
	v_lshl_add_u64 v[12:13], v[12:13], 1, s[14:15]
	s_and_b64 s[22:23], s[2:3], s[10:11]
	s_and_saveexec_b64 s[18:19], s[22:23]
	s_cbranch_execnz .LBB217_308
; %bb.305:
	s_or_b64 exec, exec, s[18:19]
	s_and_b64 s[22:23], s[4:5], s[10:11]
	s_and_saveexec_b64 s[18:19], s[22:23]
	s_cbranch_execnz .LBB217_312
.LBB217_306:
	s_or_b64 exec, exec, s[18:19]
	s_and_b64 s[22:23], s[6:7], s[10:11]
	s_and_saveexec_b64 s[18:19], s[22:23]
	s_cbranch_execnz .LBB217_316
.LBB217_307:
	s_or_b64 exec, exec, s[18:19]
	s_and_b64 s[18:19], s[8:9], s[10:11]
	s_and_saveexec_b64 s[10:11], s[18:19]
	s_cbranch_execnz .LBB217_320
	s_branch .LBB217_324
.LBB217_308:
	s_and_b64 vcc, exec, s[0:1]
	s_cbranch_vccnz .LBB217_310
; %bb.309:
	v_lshl_add_u64 v[18:19], v[40:41], 1, v[16:17]
	flat_load_ushort v18, v[18:19]
	s_waitcnt vmcnt(0) lgkmcnt(0)
	v_mul_f16_e32 v18, s26, v18
	s_branch .LBB217_311
.LBB217_310:
	v_mov_b32_e32 v18, 0
.LBB217_311:
	v_pk_add_f16 v19, v8, v14
	v_pk_max_f16 v20, v69, v69
	s_nop 0
	v_pk_min_f16 v19, v20, v19
	v_pk_add_f16 v20, v9, v15
	s_nop 0
	v_pk_min_f16 v19, v19, v20
	s_nop 0
	v_lshrrev_b32_e32 v20, 16, v19
	v_min3_f16 v20, v18, v19, v20
	v_lshl_add_u64 v[18:19], v[40:41], 1, v[12:13]
	global_store_short v[18:19], v20, off
	s_or_b64 exec, exec, s[18:19]
	s_and_b64 s[22:23], s[4:5], s[10:11]
	s_and_saveexec_b64 s[18:19], s[22:23]
	s_cbranch_execz .LBB217_306
.LBB217_312:
	s_and_b64 vcc, exec, s[0:1]
	s_cbranch_vccnz .LBB217_314
; %bb.313:
	v_lshl_add_u64 v[18:19], v[42:43], 1, v[16:17]
	flat_load_ushort v18, v[18:19]
	s_waitcnt vmcnt(0) lgkmcnt(0)
	v_mul_f16_e32 v18, s26, v18
	s_branch .LBB217_315
.LBB217_314:
	v_mov_b32_e32 v18, 0
.LBB217_315:
	v_pk_add_f16 v19, v10, v14
	v_pk_max_f16 v20, v68, v68
	s_nop 0
	v_pk_min_f16 v19, v20, v19
	v_pk_add_f16 v20, v11, v15
	s_nop 0
	v_pk_min_f16 v19, v19, v20
	s_nop 0
	v_lshrrev_b32_e32 v20, 16, v19
	v_min3_f16 v20, v18, v19, v20
	v_lshl_add_u64 v[18:19], v[42:43], 1, v[12:13]
	global_store_short v[18:19], v20, off
	s_or_b64 exec, exec, s[18:19]
	s_and_b64 s[22:23], s[6:7], s[10:11]
	s_and_saveexec_b64 s[18:19], s[22:23]
	s_cbranch_execz .LBB217_307
.LBB217_316:
	s_and_b64 vcc, exec, s[0:1]
	s_cbranch_vccnz .LBB217_318
; %bb.317:
	v_lshl_add_u64 v[18:19], v[44:45], 1, v[16:17]
	flat_load_ushort v18, v[18:19]
	s_waitcnt vmcnt(0) lgkmcnt(0)
	v_mul_f16_e32 v18, s26, v18
	s_branch .LBB217_319
.LBB217_318:
	v_mov_b32_e32 v18, 0
.LBB217_319:
	v_pk_add_f16 v19, v0, v14
	v_pk_max_f16 v20, v67, v67
	s_nop 0
	v_pk_min_f16 v19, v20, v19
	v_pk_add_f16 v20, v1, v15
	s_nop 0
	v_pk_min_f16 v19, v19, v20
	s_nop 0
	v_lshrrev_b32_e32 v20, 16, v19
	v_min3_f16 v20, v18, v19, v20
	v_lshl_add_u64 v[18:19], v[44:45], 1, v[12:13]
	global_store_short v[18:19], v20, off
	s_or_b64 exec, exec, s[18:19]
	s_and_b64 s[18:19], s[8:9], s[10:11]
	s_and_saveexec_b64 s[10:11], s[18:19]
	s_cbranch_execz .LBB217_324
.LBB217_320:
	s_and_b64 vcc, exec, s[0:1]
	s_cbranch_vccnz .LBB217_322
; %bb.321:
	v_lshl_add_u64 v[16:17], v[46:47], 1, v[16:17]
	flat_load_ushort v16, v[16:17]
	s_waitcnt vmcnt(0) lgkmcnt(0)
	v_mul_f16_e32 v16, s26, v16
	s_branch .LBB217_323
.LBB217_322:
	v_mov_b32_e32 v16, 0
.LBB217_323:
	v_pk_add_f16 v14, v2, v14
	v_pk_max_f16 v17, v66, v66
	v_pk_add_f16 v15, v3, v15
	v_pk_min_f16 v14, v17, v14
	v_lshl_add_u64 v[12:13], v[46:47], 1, v[12:13]
	v_pk_min_f16 v14, v14, v15
	s_nop 0
	v_lshrrev_b32_e32 v15, 16, v14
	v_min3_f16 v14, v16, v14, v15
	global_store_short v[12:13], v14, off
.LBB217_324:
	s_or_b64 exec, exec, s[10:11]
	v_add_u32_e32 v16, 0x70, v52
	v_mad_i64_i32 v[12:13], s[18:19], v16, s21, 0
	v_cmp_gt_i32_e64 s[10:11], s13, v16
	v_lshl_add_u64 v[14:15], v[12:13], 1, s[16:17]
	v_mad_i64_i32 v[12:13], s[18:19], v16, s20, 0
	v_lshl_add_u64 v[12:13], v[12:13], 1, s[14:15]
	s_and_b64 s[22:23], s[2:3], s[10:11]
	s_and_saveexec_b64 s[18:19], s[22:23]
	s_cbranch_execnz .LBB217_328
; %bb.325:
	s_or_b64 exec, exec, s[18:19]
	s_and_b64 s[22:23], s[4:5], s[10:11]
	s_and_saveexec_b64 s[18:19], s[22:23]
	s_cbranch_execnz .LBB217_332
.LBB217_326:
	s_or_b64 exec, exec, s[18:19]
	s_and_b64 s[22:23], s[6:7], s[10:11]
	s_and_saveexec_b64 s[18:19], s[22:23]
	s_cbranch_execnz .LBB217_336
.LBB217_327:
	s_or_b64 exec, exec, s[18:19]
	s_and_b64 s[18:19], s[8:9], s[10:11]
	s_and_saveexec_b64 s[10:11], s[18:19]
	s_cbranch_execnz .LBB217_340
	s_branch .LBB217_344
.LBB217_328:
	s_and_b64 vcc, exec, s[0:1]
	s_cbranch_vccnz .LBB217_330
; %bb.329:
	v_lshl_add_u64 v[16:17], v[40:41], 1, v[14:15]
	flat_load_ushort v16, v[16:17]
	s_waitcnt vmcnt(0) lgkmcnt(0)
	v_mul_f16_e32 v16, s26, v16
	s_branch .LBB217_331
.LBB217_330:
	v_mov_b32_e32 v16, 0
.LBB217_331:
	v_pk_add_f16 v17, v8, v4
	v_pk_max_f16 v18, v65, v65
	s_nop 0
	v_pk_min_f16 v17, v18, v17
	v_pk_add_f16 v18, v9, v5
	s_nop 0
	v_pk_min_f16 v17, v17, v18
	s_nop 0
	v_lshrrev_b32_e32 v18, 16, v17
	v_min3_f16 v18, v16, v17, v18
	v_lshl_add_u64 v[16:17], v[40:41], 1, v[12:13]
	global_store_short v[16:17], v18, off
	s_or_b64 exec, exec, s[18:19]
	s_and_b64 s[22:23], s[4:5], s[10:11]
	s_and_saveexec_b64 s[18:19], s[22:23]
	s_cbranch_execz .LBB217_326
.LBB217_332:
	s_and_b64 vcc, exec, s[0:1]
	s_cbranch_vccnz .LBB217_334
; %bb.333:
	v_lshl_add_u64 v[16:17], v[42:43], 1, v[14:15]
	flat_load_ushort v16, v[16:17]
	s_waitcnt vmcnt(0) lgkmcnt(0)
	v_mul_f16_e32 v16, s26, v16
	s_branch .LBB217_335
.LBB217_334:
	v_mov_b32_e32 v16, 0
.LBB217_335:
	v_pk_add_f16 v17, v10, v4
	v_pk_max_f16 v18, v64, v64
	s_nop 0
	v_pk_min_f16 v17, v18, v17
	v_pk_add_f16 v18, v11, v5
	s_nop 0
	v_pk_min_f16 v17, v17, v18
	s_nop 0
	v_lshrrev_b32_e32 v18, 16, v17
	v_min3_f16 v18, v16, v17, v18
	v_lshl_add_u64 v[16:17], v[42:43], 1, v[12:13]
	global_store_short v[16:17], v18, off
	s_or_b64 exec, exec, s[18:19]
	s_and_b64 s[22:23], s[6:7], s[10:11]
	s_and_saveexec_b64 s[18:19], s[22:23]
	s_cbranch_execz .LBB217_327
.LBB217_336:
	s_and_b64 vcc, exec, s[0:1]
	s_cbranch_vccnz .LBB217_338
; %bb.337:
	v_lshl_add_u64 v[16:17], v[44:45], 1, v[14:15]
	flat_load_ushort v16, v[16:17]
	s_waitcnt vmcnt(0) lgkmcnt(0)
	v_mul_f16_e32 v16, s26, v16
	s_branch .LBB217_339
.LBB217_338:
	v_mov_b32_e32 v16, 0
.LBB217_339:
	v_pk_add_f16 v17, v0, v4
	v_pk_max_f16 v18, v63, v63
	s_nop 0
	v_pk_min_f16 v17, v18, v17
	v_pk_add_f16 v18, v1, v5
	s_nop 0
	v_pk_min_f16 v17, v17, v18
	s_nop 0
	v_lshrrev_b32_e32 v18, 16, v17
	v_min3_f16 v18, v16, v17, v18
	v_lshl_add_u64 v[16:17], v[44:45], 1, v[12:13]
	global_store_short v[16:17], v18, off
	s_or_b64 exec, exec, s[18:19]
	s_and_b64 s[18:19], s[8:9], s[10:11]
	s_and_saveexec_b64 s[10:11], s[18:19]
	s_cbranch_execz .LBB217_344
.LBB217_340:
	s_and_b64 vcc, exec, s[0:1]
	s_cbranch_vccnz .LBB217_342
; %bb.341:
	v_lshl_add_u64 v[14:15], v[46:47], 1, v[14:15]
	flat_load_ushort v14, v[14:15]
	s_waitcnt vmcnt(0) lgkmcnt(0)
	v_mul_f16_e32 v14, s26, v14
	s_branch .LBB217_343
.LBB217_342:
	v_mov_b32_e32 v14, 0
.LBB217_343:
	v_pk_add_f16 v4, v2, v4
	v_pk_max_f16 v15, v62, v62
	v_pk_add_f16 v5, v3, v5
	v_pk_min_f16 v4, v15, v4
	s_nop 0
	v_pk_min_f16 v4, v4, v5
	s_nop 0
	v_lshrrev_b32_e32 v5, 16, v4
	v_min3_f16 v14, v14, v4, v5
	v_lshl_add_u64 v[4:5], v[46:47], 1, v[12:13]
	global_store_short v[4:5], v14, off
.LBB217_344:
	s_or_b64 exec, exec, s[10:11]
	v_add_u32_e32 v14, 0x78, v52
	v_cmp_gt_i32_e64 s[10:11], s13, v14
	v_mad_i64_i32 v[4:5], s[12:13], v14, s21, 0
	v_lshl_add_u64 v[12:13], v[4:5], 1, s[16:17]
	v_mad_i64_i32 v[4:5], s[12:13], v14, s20, 0
	v_lshl_add_u64 v[4:5], v[4:5], 1, s[14:15]
	s_and_b64 s[12:13], s[2:3], s[10:11]
	s_and_saveexec_b64 s[2:3], s[12:13]
	s_cbranch_execnz .LBB217_349
; %bb.345:
	s_or_b64 exec, exec, s[2:3]
	s_and_b64 s[4:5], s[4:5], s[10:11]
	s_and_saveexec_b64 s[2:3], s[4:5]
	s_cbranch_execnz .LBB217_353
.LBB217_346:
	s_or_b64 exec, exec, s[2:3]
	s_and_b64 s[4:5], s[6:7], s[10:11]
	s_and_saveexec_b64 s[2:3], s[4:5]
	s_cbranch_execnz .LBB217_357
.LBB217_347:
	s_or_b64 exec, exec, s[2:3]
	s_and_b64 s[2:3], s[8:9], s[10:11]
	s_and_saveexec_b64 s[4:5], s[2:3]
	s_cbranch_execnz .LBB217_361
.LBB217_348:
	s_endpgm
.LBB217_349:
	s_and_b64 vcc, exec, s[0:1]
	s_cbranch_vccnz .LBB217_351
; %bb.350:
	v_lshl_add_u64 v[14:15], v[40:41], 1, v[12:13]
	flat_load_ushort v14, v[14:15]
	s_waitcnt vmcnt(0) lgkmcnt(0)
	v_mul_f16_e32 v14, s26, v14
	s_branch .LBB217_352
.LBB217_351:
	v_mov_b32_e32 v14, 0
.LBB217_352:
	v_pk_add_f16 v8, v8, v6
	v_pk_max_f16 v15, v60, v60
	v_pk_add_f16 v9, v9, v7
	v_pk_min_f16 v8, v15, v8
	s_nop 0
	v_pk_min_f16 v8, v8, v9
	s_nop 0
	v_lshrrev_b32_e32 v9, 16, v8
	v_min3_f16 v14, v14, v8, v9
	v_lshl_add_u64 v[8:9], v[40:41], 1, v[4:5]
	global_store_short v[8:9], v14, off
	s_or_b64 exec, exec, s[2:3]
	s_and_b64 s[4:5], s[4:5], s[10:11]
	s_and_saveexec_b64 s[2:3], s[4:5]
	s_cbranch_execz .LBB217_346
.LBB217_353:
	s_and_b64 vcc, exec, s[0:1]
	s_cbranch_vccnz .LBB217_355
; %bb.354:
	v_lshl_add_u64 v[8:9], v[42:43], 1, v[12:13]
	flat_load_ushort v8, v[8:9]
	s_waitcnt vmcnt(0) lgkmcnt(0)
	v_mul_f16_e32 v8, s26, v8
	s_branch .LBB217_356
.LBB217_355:
	v_mov_b32_e32 v8, 0
.LBB217_356:
	v_pk_add_f16 v9, v10, v6
	v_pk_max_f16 v10, v59, v59
	s_nop 0
	v_pk_min_f16 v9, v10, v9
	v_pk_add_f16 v10, v11, v7
	s_nop 0
	v_pk_min_f16 v9, v9, v10
	s_nop 0
	v_lshrrev_b32_e32 v10, 16, v9
	v_min3_f16 v10, v8, v9, v10
	v_lshl_add_u64 v[8:9], v[42:43], 1, v[4:5]
	global_store_short v[8:9], v10, off
	s_or_b64 exec, exec, s[2:3]
	s_and_b64 s[4:5], s[6:7], s[10:11]
	s_and_saveexec_b64 s[2:3], s[4:5]
	s_cbranch_execz .LBB217_347
.LBB217_357:
	s_and_b64 vcc, exec, s[0:1]
	s_cbranch_vccnz .LBB217_359
; %bb.358:
	v_lshl_add_u64 v[8:9], v[44:45], 1, v[12:13]
	flat_load_ushort v8, v[8:9]
	s_waitcnt vmcnt(0) lgkmcnt(0)
	v_mul_f16_e32 v8, s26, v8
	s_branch .LBB217_360
.LBB217_359:
	v_mov_b32_e32 v8, 0
.LBB217_360:
	v_pk_add_f16 v0, v0, v6
	v_pk_max_f16 v9, v58, v58
	v_pk_add_f16 v1, v1, v7
	v_pk_min_f16 v0, v9, v0
	s_nop 0
	v_pk_min_f16 v0, v0, v1
	s_nop 0
	v_lshrrev_b32_e32 v1, 16, v0
	v_min3_f16 v8, v8, v0, v1
	v_lshl_add_u64 v[0:1], v[44:45], 1, v[4:5]
	global_store_short v[0:1], v8, off
	s_or_b64 exec, exec, s[2:3]
	s_and_b64 s[2:3], s[8:9], s[10:11]
	s_and_saveexec_b64 s[4:5], s[2:3]
	s_cbranch_execz .LBB217_348
.LBB217_361:
	s_and_b64 vcc, exec, s[0:1]
	s_cbranch_vccnz .LBB217_363
; %bb.362:
	v_lshl_add_u64 v[0:1], v[46:47], 1, v[12:13]
	flat_load_ushort v0, v[0:1]
	s_waitcnt vmcnt(0) lgkmcnt(0)
	v_mul_f16_e32 v0, s26, v0
	s_branch .LBB217_364
.LBB217_363:
	v_mov_b32_e32 v0, 0
.LBB217_364:
	v_pk_add_f16 v1, v2, v6
	v_pk_max_f16 v2, v61, v61
	s_nop 0
	v_pk_min_f16 v1, v2, v1
	v_pk_add_f16 v2, v3, v7
	s_nop 0
	v_pk_min_f16 v1, v1, v2
	s_nop 0
	v_lshrrev_b32_e32 v2, 16, v1
	v_min3_f16 v2, v0, v1, v2
	v_lshl_add_u64 v[0:1], v[46:47], 1, v[4:5]
	global_store_short v[0:1], v2, off
	s_endpgm
	.section	.rodata,"a",@progbits
	.p2align	6, 0x0
	.amdhsa_kernel _ZN12_GLOBAL__N_120geam_min_plus_kernelIDF16_Dv2_DF16_S1_Li32ELi8ELi128ELi128ELi4ELi4ELi64ELi4ELi64ELc84ELc78ELb1ELb1ELb1EDF16_KPKDF16_KPDF16_EEviiiT16_PT17_ilS9_ilS7_S9_ilPT18_ili26rocblas_geam_ex_operation_
		.amdhsa_group_segment_fixed_size 4096
		.amdhsa_private_segment_fixed_size 0
		.amdhsa_kernarg_size 128
		.amdhsa_user_sgpr_count 2
		.amdhsa_user_sgpr_dispatch_ptr 0
		.amdhsa_user_sgpr_queue_ptr 0
		.amdhsa_user_sgpr_kernarg_segment_ptr 1
		.amdhsa_user_sgpr_dispatch_id 0
		.amdhsa_user_sgpr_kernarg_preload_length 0
		.amdhsa_user_sgpr_kernarg_preload_offset 0
		.amdhsa_user_sgpr_private_segment_size 0
		.amdhsa_uses_dynamic_stack 0
		.amdhsa_enable_private_segment 0
		.amdhsa_system_sgpr_workgroup_id_x 1
		.amdhsa_system_sgpr_workgroup_id_y 0
		.amdhsa_system_sgpr_workgroup_id_z 1
		.amdhsa_system_sgpr_workgroup_info 0
		.amdhsa_system_vgpr_workitem_id 1
		.amdhsa_next_free_vgpr 165
		.amdhsa_next_free_sgpr 36
		.amdhsa_accum_offset 168
		.amdhsa_reserve_vcc 1
		.amdhsa_float_round_mode_32 0
		.amdhsa_float_round_mode_16_64 0
		.amdhsa_float_denorm_mode_32 3
		.amdhsa_float_denorm_mode_16_64 3
		.amdhsa_dx10_clamp 1
		.amdhsa_ieee_mode 1
		.amdhsa_fp16_overflow 0
		.amdhsa_tg_split 0
		.amdhsa_exception_fp_ieee_invalid_op 0
		.amdhsa_exception_fp_denorm_src 0
		.amdhsa_exception_fp_ieee_div_zero 0
		.amdhsa_exception_fp_ieee_overflow 0
		.amdhsa_exception_fp_ieee_underflow 0
		.amdhsa_exception_fp_ieee_inexact 0
		.amdhsa_exception_int_div_zero 0
	.end_amdhsa_kernel
	.section	.text._ZN12_GLOBAL__N_120geam_min_plus_kernelIDF16_Dv2_DF16_S1_Li32ELi8ELi128ELi128ELi4ELi4ELi64ELi4ELi64ELc84ELc78ELb1ELb1ELb1EDF16_KPKDF16_KPDF16_EEviiiT16_PT17_ilS9_ilS7_S9_ilPT18_ili26rocblas_geam_ex_operation_,"axG",@progbits,_ZN12_GLOBAL__N_120geam_min_plus_kernelIDF16_Dv2_DF16_S1_Li32ELi8ELi128ELi128ELi4ELi4ELi64ELi4ELi64ELc84ELc78ELb1ELb1ELb1EDF16_KPKDF16_KPDF16_EEviiiT16_PT17_ilS9_ilS7_S9_ilPT18_ili26rocblas_geam_ex_operation_,comdat
.Lfunc_end217:
	.size	_ZN12_GLOBAL__N_120geam_min_plus_kernelIDF16_Dv2_DF16_S1_Li32ELi8ELi128ELi128ELi4ELi4ELi64ELi4ELi64ELc84ELc78ELb1ELb1ELb1EDF16_KPKDF16_KPDF16_EEviiiT16_PT17_ilS9_ilS7_S9_ilPT18_ili26rocblas_geam_ex_operation_, .Lfunc_end217-_ZN12_GLOBAL__N_120geam_min_plus_kernelIDF16_Dv2_DF16_S1_Li32ELi8ELi128ELi128ELi4ELi4ELi64ELi4ELi64ELc84ELc78ELb1ELb1ELb1EDF16_KPKDF16_KPDF16_EEviiiT16_PT17_ilS9_ilS7_S9_ilPT18_ili26rocblas_geam_ex_operation_
                                        ; -- End function
	.section	.AMDGPU.csdata,"",@progbits
; Kernel info:
; codeLenInByte = 19676
; NumSgprs: 42
; NumVgprs: 165
; NumAgprs: 0
; TotalNumVgprs: 165
; ScratchSize: 0
; MemoryBound: 0
; FloatMode: 240
; IeeeMode: 1
; LDSByteSize: 4096 bytes/workgroup (compile time only)
; SGPRBlocks: 5
; VGPRBlocks: 20
; NumSGPRsForWavesPerEU: 42
; NumVGPRsForWavesPerEU: 165
; AccumOffset: 168
; Occupancy: 3
; WaveLimiterHint : 1
; COMPUTE_PGM_RSRC2:SCRATCH_EN: 0
; COMPUTE_PGM_RSRC2:USER_SGPR: 2
; COMPUTE_PGM_RSRC2:TRAP_HANDLER: 0
; COMPUTE_PGM_RSRC2:TGID_X_EN: 1
; COMPUTE_PGM_RSRC2:TGID_Y_EN: 0
; COMPUTE_PGM_RSRC2:TGID_Z_EN: 1
; COMPUTE_PGM_RSRC2:TIDIG_COMP_CNT: 1
; COMPUTE_PGM_RSRC3_GFX90A:ACCUM_OFFSET: 41
; COMPUTE_PGM_RSRC3_GFX90A:TG_SPLIT: 0
	.section	.text._ZN12_GLOBAL__N_120geam_min_plus_kernelIDF16_Dv2_DF16_S1_Li32ELi8ELi128ELi128ELi4ELi4ELi64ELi4ELi64ELc84ELc78ELb0ELb1ELb1EDF16_KPKDF16_KPDF16_EEviiiT16_PT17_ilS9_ilS7_S9_ilPT18_ili26rocblas_geam_ex_operation_,"axG",@progbits,_ZN12_GLOBAL__N_120geam_min_plus_kernelIDF16_Dv2_DF16_S1_Li32ELi8ELi128ELi128ELi4ELi4ELi64ELi4ELi64ELc84ELc78ELb0ELb1ELb1EDF16_KPKDF16_KPDF16_EEviiiT16_PT17_ilS9_ilS7_S9_ilPT18_ili26rocblas_geam_ex_operation_,comdat
	.globl	_ZN12_GLOBAL__N_120geam_min_plus_kernelIDF16_Dv2_DF16_S1_Li32ELi8ELi128ELi128ELi4ELi4ELi64ELi4ELi64ELc84ELc78ELb0ELb1ELb1EDF16_KPKDF16_KPDF16_EEviiiT16_PT17_ilS9_ilS7_S9_ilPT18_ili26rocblas_geam_ex_operation_ ; -- Begin function _ZN12_GLOBAL__N_120geam_min_plus_kernelIDF16_Dv2_DF16_S1_Li32ELi8ELi128ELi128ELi4ELi4ELi64ELi4ELi64ELc84ELc78ELb0ELb1ELb1EDF16_KPKDF16_KPDF16_EEviiiT16_PT17_ilS9_ilS7_S9_ilPT18_ili26rocblas_geam_ex_operation_
	.p2align	8
	.type	_ZN12_GLOBAL__N_120geam_min_plus_kernelIDF16_Dv2_DF16_S1_Li32ELi8ELi128ELi128ELi4ELi4ELi64ELi4ELi64ELc84ELc78ELb0ELb1ELb1EDF16_KPKDF16_KPDF16_EEviiiT16_PT17_ilS9_ilS7_S9_ilPT18_ili26rocblas_geam_ex_operation_,@function
_ZN12_GLOBAL__N_120geam_min_plus_kernelIDF16_Dv2_DF16_S1_Li32ELi8ELi128ELi128ELi4ELi4ELi64ELi4ELi64ELc84ELc78ELb0ELb1ELb1EDF16_KPKDF16_KPDF16_EEviiiT16_PT17_ilS9_ilS7_S9_ilPT18_ili26rocblas_geam_ex_operation_: ; @_ZN12_GLOBAL__N_120geam_min_plus_kernelIDF16_Dv2_DF16_S1_Li32ELi8ELi128ELi128ELi4ELi4ELi64ELi4ELi64ELc84ELc78ELb0ELb1ELb1EDF16_KPKDF16_KPDF16_EEviiiT16_PT17_ilS9_ilS7_S9_ilPT18_ili26rocblas_geam_ex_operation_
; %bb.0:
	s_load_dwordx4 s[12:15], s[0:1], 0x0
	s_load_dwordx4 s[4:7], s[0:1], 0x20
	s_mov_b32 s8, s3
	s_mov_b32 s9, 0
	s_waitcnt lgkmcnt(0)
	v_cmp_eq_f16_e64 s[10:11], s15, 0
	s_and_b64 vcc, exec, s[10:11]
	s_cbranch_vccnz .LBB218_3
; %bb.1:
	s_load_dwordx2 s[16:17], s[0:1], 0x10
	s_lshl_b64 s[18:19], s[8:9], 3
	s_waitcnt lgkmcnt(0)
	s_add_u32 s16, s16, s18
	s_addc_u32 s17, s17, s19
	s_load_dwordx2 s[16:17], s[16:17], 0x0
	s_lshl_b64 s[4:5], s[4:5], 1
	s_waitcnt lgkmcnt(0)
	s_add_u32 s22, s16, s4
	s_addc_u32 s23, s17, s5
	s_andn2_b64 vcc, exec, s[10:11]
	s_cbranch_vccnz .LBB218_4
.LBB218_2:
	s_mov_b64 s[24:25], 0
	s_cbranch_execz .LBB218_5
	s_branch .LBB218_6
.LBB218_3:
	s_mov_b64 s[22:23], 0
	s_andn2_b64 vcc, exec, s[10:11]
	s_cbranch_vccz .LBB218_2
.LBB218_4:
                                        ; implicit-def: $sgpr24_sgpr25
.LBB218_5:
	s_lshl_b64 s[10:11], s[8:9], 3
	s_add_u32 s6, s6, s10
	s_load_dwordx2 s[4:5], s[0:1], 0x38
	s_addc_u32 s7, s7, s11
	s_load_dwordx2 s[6:7], s[6:7], 0x0
	s_waitcnt lgkmcnt(0)
	s_lshl_b64 s[4:5], s[4:5], 1
	s_add_u32 s24, s6, s4
	s_addc_u32 s25, s7, s5
.LBB218_6:
	s_load_dword s28, s[0:1], 0x40
	s_load_dwordx4 s[4:7], s[0:1], 0x58
	s_waitcnt lgkmcnt(0)
	v_cmp_eq_f16_e64 s[10:11], s28, 0
	v_cmp_neq_f16_e64 s[18:19], s28, 0
	s_and_b64 vcc, exec, s[10:11]
	s_cbranch_vccnz .LBB218_8
; %bb.7:
	s_load_dwordx2 s[10:11], s[0:1], 0x48
	s_lshl_b64 s[16:17], s[8:9], 3
	s_waitcnt lgkmcnt(0)
	s_add_u32 s10, s10, s16
	s_addc_u32 s11, s11, s17
	s_load_dwordx2 s[10:11], s[10:11], 0x0
	s_lshl_b64 s[4:5], s[4:5], 1
	s_waitcnt lgkmcnt(0)
	s_add_u32 s16, s10, s4
	s_addc_u32 s17, s11, s5
	s_branch .LBB218_9
.LBB218_8:
	s_mov_b64 s[16:17], 0
.LBB218_9:
	s_lshl_b64 s[4:5], s[8:9], 3
	s_add_u32 s6, s6, s4
	s_addc_u32 s7, s7, s5
	s_add_i32 s4, s12, -1
	s_ashr_i32 s3, s4, 31
	s_lshr_b32 s3, s3, 25
	s_add_i32 s3, s4, s3
	s_ashr_i32 s3, s3, 7
	s_add_i32 s5, s3, 1
	v_cvt_f32_u32_e32 v1, s5
	v_and_b32_e32 v85, 0x3ff, v0
	v_bfe_u32 v86, v0, 10, 10
	s_load_dwordx2 s[20:21], s[6:7], 0x0
	v_rcp_iflag_f32_e32 v1, v1
	s_not_b32 s3, s3
	s_load_dword s34, s[0:1], 0x18
	v_and_b32_e32 v95, 3, v85
	v_mul_f32_e32 v0, 0x4f7ffffe, v1
	v_cvt_u32_f32_e32 v0, v0
	v_lshl_add_u32 v1, v86, 5, v85
	v_lshrrev_b32_e32 v4, 2, v1
	v_cmp_eq_f16_e64 s[26:27], s15, 0
	v_readfirstlane_b32 s6, v0
	s_mul_i32 s3, s3, s6
	s_mul_hi_u32 s3, s6, s3
	s_add_i32 s6, s6, s3
	s_mul_hi_u32 s3, s2, s6
	s_mul_i32 s6, s3, s5
	s_sub_i32 s6, s2, s6
	s_add_i32 s7, s3, 1
	s_sub_i32 s8, s6, s5
	s_cmp_ge_u32 s6, s5
	s_cselect_b32 s3, s7, s3
	s_cselect_b32 s6, s8, s6
	s_add_i32 s7, s3, 1
	s_cmp_ge_u32 s6, s5
	s_cselect_b32 s6, s7, s3
	s_mul_i32 s3, s6, s5
	s_sub_i32 s2, s2, s3
	s_lshl_b32 s29, s2, 7
	v_add_u32_e32 v40, s29, v4
	v_cmp_le_i32_e64 s[8:9], s14, v95
	s_add_i32 s31, s14, -1
	v_cmp_le_i32_e32 vcc, s12, v40
	v_min_i32_e32 v0, s31, v95
	v_mov_b32_e32 v6, 0x7c00
	s_or_b64 s[2:3], s[8:9], vcc
	v_ashrrev_i32_e32 v1, 31, v0
	v_cndmask_b32_e64 v5, 0, v6, s[2:3]
	s_or_b64 s[2:3], s[26:27], s[2:3]
	v_lshl_add_u64 v[2:3], v[0:1], 1, s[22:23]
	s_xor_b64 s[10:11], s[2:3], -1
	s_and_saveexec_b64 s[2:3], s[10:11]
	s_cbranch_execz .LBB218_11
; %bb.10:
	s_waitcnt lgkmcnt(0)
	v_mad_i64_i32 v[8:9], s[10:11], v40, s34, 0
	v_lshl_add_u64 v[8:9], v[8:9], 1, v[2:3]
	flat_load_ushort v5, v[8:9]
	s_waitcnt vmcnt(0) lgkmcnt(0)
	v_mul_f16_e32 v5, s15, v5
.LBB218_11:
	s_or_b64 exec, exec, s[2:3]
	v_add_u32_e32 v7, 64, v40
	v_cmp_le_i32_e64 s[2:3], s12, v7
	v_min_i32_e32 v42, s4, v7
	s_or_b64 s[4:5], s[8:9], s[2:3]
	v_cndmask_b32_e64 v6, 0, v6, s[4:5]
	s_or_b64 s[4:5], s[26:27], s[4:5]
	s_xor_b64 s[10:11], s[4:5], -1
	s_and_saveexec_b64 s[4:5], s[10:11]
	s_cbranch_execz .LBB218_13
; %bb.12:
	s_waitcnt lgkmcnt(0)
	v_mad_i64_i32 v[6:7], s[10:11], v42, s34, 0
	v_lshl_add_u64 v[2:3], v[6:7], 1, v[2:3]
	flat_load_ushort v2, v[2:3]
	s_waitcnt vmcnt(0) lgkmcnt(0)
	v_mul_f16_e32 v6, s15, v2
.LBB218_13:
	s_or_b64 exec, exec, s[4:5]
	s_lshl_b32 s30, s6, 7
	s_load_dword s35, s[0:1], 0x30
	v_add_u32_e32 v44, s30, v4
	v_cmp_le_i32_e64 s[4:5], s13, v44
	v_mov_b32_e32 v2, 0x7c00
	s_or_b64 s[6:7], s[8:9], s[4:5]
	v_cndmask_b32_e64 v7, 0, v2, s[6:7]
	s_or_b64 s[6:7], s[26:27], s[6:7]
	v_lshl_add_u64 v[0:1], v[0:1], 1, s[24:25]
	s_xor_b64 s[10:11], s[6:7], -1
	s_and_saveexec_b64 s[6:7], s[10:11]
	s_cbranch_execz .LBB218_15
; %bb.14:
	s_waitcnt lgkmcnt(0)
	v_mad_i64_i32 v[8:9], s[10:11], v44, s35, 0
	v_lshl_add_u64 v[8:9], v[8:9], 1, v[0:1]
	flat_load_ushort v3, v[8:9]
	s_waitcnt vmcnt(0) lgkmcnt(0)
	v_mul_f16_e32 v7, s15, v3
.LBB218_15:
	s_or_b64 exec, exec, s[6:7]
	v_add_u32_e32 v3, 64, v44
	v_cmp_le_i32_e64 s[6:7], s13, v3
	s_or_b64 s[8:9], s[8:9], s[6:7]
	s_add_i32 s10, s13, -1
	v_cndmask_b32_e64 v8, 0, v2, s[8:9]
	s_or_b64 s[8:9], s[26:27], s[8:9]
	v_min_i32_e32 v46, s10, v3
	s_xor_b64 s[10:11], s[8:9], -1
	s_and_saveexec_b64 s[8:9], s[10:11]
	s_cbranch_execz .LBB218_17
; %bb.16:
	s_waitcnt lgkmcnt(0)
	v_mad_i64_i32 v[2:3], s[10:11], v46, s35, 0
	v_lshl_add_u64 v[0:1], v[2:3], 1, v[0:1]
	flat_load_ushort v0, v[0:1]
	s_waitcnt vmcnt(0) lgkmcnt(0)
	v_mul_f16_e32 v8, s15, v0
.LBB218_17:
	s_or_b64 exec, exec, s[8:9]
	v_or_b32_e32 v0, 4, v95
	v_cmp_le_i32_e64 s[8:9], s14, v0
	v_min_i32_e32 v0, s31, v0
	v_mov_b32_e32 v9, 0x7c00
	s_or_b64 s[10:11], s[8:9], vcc
	v_ashrrev_i32_e32 v1, 31, v0
	v_cndmask_b32_e64 v41, 0, v9, s[10:11]
	s_or_b64 s[10:11], s[26:27], s[10:11]
	v_lshl_add_u64 v[2:3], v[0:1], 1, s[22:23]
	s_xor_b64 s[36:37], s[10:11], -1
	s_and_saveexec_b64 s[10:11], s[36:37]
	s_cbranch_execz .LBB218_19
; %bb.18:
	s_waitcnt lgkmcnt(0)
	v_mad_i64_i32 v[10:11], s[36:37], v40, s34, 0
	v_lshl_add_u64 v[10:11], v[10:11], 1, v[2:3]
	flat_load_ushort v10, v[10:11]
	s_waitcnt vmcnt(0) lgkmcnt(0)
	v_mul_f16_e32 v41, s15, v10
.LBB218_19:
	s_or_b64 exec, exec, s[10:11]
	s_or_b64 s[10:11], s[8:9], s[2:3]
	v_cndmask_b32_e64 v43, 0, v9, s[10:11]
	s_or_b64 s[10:11], s[26:27], s[10:11]
	s_xor_b64 s[36:37], s[10:11], -1
	s_and_saveexec_b64 s[10:11], s[36:37]
	s_cbranch_execz .LBB218_21
; %bb.20:
	s_waitcnt lgkmcnt(0)
	v_mad_i64_i32 v[10:11], s[36:37], v42, s34, 0
	v_lshl_add_u64 v[2:3], v[10:11], 1, v[2:3]
	flat_load_ushort v2, v[2:3]
	s_waitcnt vmcnt(0) lgkmcnt(0)
	v_mul_f16_e32 v43, s15, v2
.LBB218_21:
	s_or_b64 exec, exec, s[10:11]
	v_mov_b32_e32 v2, 0x7c00
	s_or_b64 s[10:11], s[8:9], s[4:5]
	v_cndmask_b32_e64 v45, 0, v2, s[10:11]
	s_or_b64 s[10:11], s[26:27], s[10:11]
	v_lshl_add_u64 v[0:1], v[0:1], 1, s[24:25]
	s_xor_b64 s[36:37], s[10:11], -1
	s_and_saveexec_b64 s[10:11], s[36:37]
	s_cbranch_execz .LBB218_23
; %bb.22:
	s_waitcnt lgkmcnt(0)
	v_mad_i64_i32 v[10:11], s[36:37], v44, s35, 0
	v_lshl_add_u64 v[10:11], v[10:11], 1, v[0:1]
	flat_load_ushort v3, v[10:11]
	s_waitcnt vmcnt(0) lgkmcnt(0)
	v_mul_f16_e32 v45, s15, v3
.LBB218_23:
	s_or_b64 exec, exec, s[10:11]
	s_or_b64 s[8:9], s[8:9], s[6:7]
	v_cndmask_b32_e64 v47, 0, v2, s[8:9]
	s_or_b64 s[8:9], s[26:27], s[8:9]
	s_xor_b64 s[36:37], s[8:9], -1
	s_movk_i32 s10, 0x7c00
	s_and_saveexec_b64 s[8:9], s[36:37]
	s_cbranch_execz .LBB218_25
; %bb.24:
	s_waitcnt lgkmcnt(0)
	v_mad_i64_i32 v[2:3], s[36:37], v46, s35, 0
	v_lshl_add_u64 v[0:1], v[2:3], 1, v[0:1]
	flat_load_ushort v0, v[0:1]
	s_waitcnt vmcnt(0) lgkmcnt(0)
	v_mul_f16_e32 v47, s15, v0
.LBB218_25:
	s_or_b64 exec, exec, s[8:9]
	v_lshlrev_b32_e32 v0, 1, v95
	v_lshl_or_b32 v105, v4, 3, v0
	v_lshlrev_b32_e32 v97, 3, v85
	v_lshlrev_b32_e32 v98, 3, v86
	ds_write_b16 v105, v5
	ds_write_b16 v105, v6 offset:512
	ds_write_b16 v105, v7 offset:2048
	;; [unrolled: 1-line block ×3, first 2 shown]
	s_waitcnt lgkmcnt(0)
	s_barrier
	ds_read2_b64 v[4:7], v97 offset1:32
	ds_read2_b64 v[0:3], v97 offset0:64 offset1:96
	v_add_u32_e32 v106, 0x800, v98
	ds_read2_b64 v[36:39], v106 offset1:8
	ds_read2_b64 v[32:35], v106 offset0:16 offset1:24
	ds_read2_b64 v[28:31], v106 offset0:32 offset1:40
	;; [unrolled: 1-line block ×7, first 2 shown]
	s_cmp_lt_i32 s14, 9
	s_waitcnt lgkmcnt(7)
	v_pk_add_f16 v48, v4, v36
	s_waitcnt lgkmcnt(2)
	v_pk_add_f16 v78, v4, v16
	v_pk_min_f16 v48, v48, s10 op_sel_hi:[1,0]
	v_pk_min_f16 v123, v78, s10 op_sel_hi:[1,0]
	v_pk_add_f16 v78, v6, v16
	v_pk_add_f16 v49, v6, v36
	v_pk_min_f16 v124, v78, s10 op_sel_hi:[1,0]
	v_pk_add_f16 v78, v0, v16
	v_pk_add_f16 v50, v0, v36
	;; [unrolled: 3-line block ×5, first 2 shown]
	v_pk_min_f16 v128, v78, s10 op_sel_hi:[1,0]
	s_waitcnt lgkmcnt(1)
	v_pk_add_f16 v78, v4, v12
	v_pk_add_f16 v53, v0, v38
	v_pk_min_f16 v129, v78, s10 op_sel_hi:[1,0]
	v_pk_add_f16 v78, v6, v12
	v_pk_add_f16 v38, v2, v38
	v_pk_min_f16 v130, v78, s10 op_sel_hi:[1,0]
	;; [unrolled: 3-line block ×6, first 2 shown]
	s_waitcnt lgkmcnt(0)
	v_pk_add_f16 v78, v4, v8
	v_pk_add_f16 v57, v4, v34
	v_pk_min_f16 v135, v78, s10 op_sel_hi:[1,0]
	v_pk_add_f16 v78, v6, v8
	v_pk_add_f16 v58, v6, v34
	;; [unrolled: 1-line block ×32, first 2 shown]
	v_pk_min_f16 v136, v78, s10 op_sel_hi:[1,0]
	v_pk_add_f16 v78, v0, v8
	v_pk_add_f16 v8, v2, v8
	;; [unrolled: 1-line block ×7, first 2 shown]
	v_pk_min_f16 v49, v49, s10 op_sel_hi:[1,0]
	v_pk_min_f16 v122, v48, v10
	v_pk_add_f16 v10, v7, v37
	v_pk_min_f16 v50, v50, s10 op_sel_hi:[1,0]
	v_pk_min_f16 v121, v49, v10
	v_pk_add_f16 v10, v1, v37
	;; [unrolled: 3-line block ×37, first 2 shown]
	v_pk_min_f16 v77, v77, s10 op_sel_hi:[1,0]
	v_pk_min_f16 v137, v78, s10 op_sel_hi:[1,0]
	v_pk_min_f16 v78, v76, v10
	v_pk_add_f16 v10, v1, v23
	v_pk_min_f16 v22, v22, s10 op_sel_hi:[1,0]
	v_pk_min_f16 v77, v77, v10
	v_pk_add_f16 v10, v3, v23
	;; [unrolled: 3-line block ×11, first 2 shown]
	ds_write_b16 v105, v41 offset:1024
	ds_write_b16 v105, v43 offset:1536
	;; [unrolled: 1-line block ×4, first 2 shown]
	v_pk_min_f16 v67, v129, v10
	v_pk_add_f16 v10, v7, v13
	s_waitcnt lgkmcnt(0)
	v_pk_min_f16 v66, v130, v10
	v_pk_add_f16 v10, v1, v13
	s_barrier
	v_pk_min_f16 v65, v131, v10
	v_pk_add_f16 v10, v3, v13
	s_nop 0
	v_pk_min_f16 v64, v12, v10
	v_pk_add_f16 v10, v5, v15
	s_nop 0
	v_pk_min_f16 v63, v132, v10
	v_pk_add_f16 v10, v7, v15
	s_nop 0
	v_pk_min_f16 v62, v133, v10
	v_pk_add_f16 v10, v1, v15
	s_nop 0
	v_pk_min_f16 v61, v134, v10
	v_pk_add_f16 v10, v3, v15
	s_nop 0
	v_pk_min_f16 v60, v14, v10
	v_pk_add_f16 v10, v5, v9
	v_pk_add_f16 v5, v5, v11
	v_pk_min_f16 v59, v135, v10
	v_pk_add_f16 v10, v7, v9
	v_pk_min_f16 v54, v4, v5
	v_pk_min_f16 v58, v136, v10
	v_pk_add_f16 v10, v1, v9
	v_pk_add_f16 v1, v1, v11
	;; [unrolled: 1-line block ×4, first 2 shown]
	v_pk_min_f16 v52, v0, v1
	v_pk_add_f16 v0, v3, v11
	v_pk_min_f16 v57, v137, v10
	v_pk_min_f16 v56, v8, v9
	;; [unrolled: 1-line block ×4, first 2 shown]
	s_cbranch_scc1 .LBB218_44
; %bb.26:
	v_mov_b32_e32 v0, 0x400
	v_lshl_add_u32 v126, v85, 3, v0
	v_mov_b32_e32 v0, 0xc00
	v_add_u32_e32 v123, 0x800, v105
	v_add_u32_e32 v124, 0x400, v105
	;; [unrolled: 1-line block ×3, first 2 shown]
	s_add_i32 s33, s14, -8
	v_mad_i64_i32 v[40:41], s[8:9], v40, s34, 0
	v_mad_i64_i32 v[42:43], s[8:9], v42, s34, 0
	;; [unrolled: 1-line block ×4, first 2 shown]
	v_lshl_add_u32 v127, v86, 3, v0
	s_mov_b32 s34, 0
	v_mov_b32_e32 v128, 0x7c00
	s_branch .LBB218_28
.LBB218_27:                             ;   in Loop: Header=BB218_28 Depth=1
	s_or_b64 exec, exec, s[8:9]
	ds_read2_b64 v[4:7], v97 offset1:32
	ds_read2_b64 v[0:3], v97 offset0:64 offset1:96
	ds_read2_b64 v[132:135], v106 offset1:8
	ds_read2_b64 v[136:139], v106 offset0:16 offset1:24
	ds_read2_b64 v[28:31], v106 offset0:32 offset1:40
	;; [unrolled: 1-line block ×7, first 2 shown]
	s_waitcnt lgkmcnt(7)
	v_pk_add_f16 v48, v4, v132
	v_pk_max_f16 v49, v114, v114
	v_pk_max_f16 v113, v113, v113
	v_pk_min_f16 v48, v49, v48
	v_pk_add_f16 v49, v6, v132
	v_pk_max_f16 v112, v112, v112
	v_pk_min_f16 v49, v113, v49
	v_pk_add_f16 v113, v0, v132
	;; [unrolled: 3-line block ×7, first 2 shown]
	v_pk_max_f16 v104, v104, v104
	v_pk_min_f16 v107, v107, v113
	s_waitcnt lgkmcnt(6)
	v_pk_add_f16 v113, v4, v136
	v_pk_max_f16 v103, v103, v103
	v_pk_min_f16 v104, v104, v113
	v_pk_add_f16 v113, v6, v136
	v_pk_max_f16 v102, v102, v102
	v_pk_min_f16 v103, v103, v113
	;; [unrolled: 3-line block ×8, first 2 shown]
	s_waitcnt lgkmcnt(5)
	v_pk_add_f16 v113, v4, v28
	v_pk_max_f16 v92, v92, v92
	v_pk_min_f16 v93, v93, v113
	v_pk_add_f16 v113, v6, v28
	v_pk_max_f16 v90, v90, v90
	v_pk_min_f16 v92, v92, v113
	v_pk_add_f16 v113, v0, v28
	v_pk_add_f16 v28, v2, v28
	v_pk_max_f16 v89, v89, v89
	v_pk_min_f16 v28, v90, v28
	v_pk_add_f16 v90, v4, v30
	v_pk_max_f16 v88, v88, v88
	v_pk_min_f16 v89, v89, v90
	v_pk_add_f16 v90, v6, v30
	v_pk_max_f16 v84, v84, v84
	v_pk_min_f16 v88, v88, v90
	v_pk_add_f16 v90, v0, v30
	v_pk_add_f16 v30, v2, v30
	v_pk_max_f16 v83, v83, v83
	v_pk_min_f16 v30, v84, v30
	s_waitcnt lgkmcnt(4)
	v_pk_add_f16 v84, v4, v24
	v_pk_max_f16 v82, v82, v82
	v_pk_min_f16 v83, v83, v84
	v_pk_add_f16 v84, v6, v24
	v_pk_max_f16 v80, v80, v80
	v_pk_min_f16 v82, v82, v84
	v_pk_add_f16 v84, v0, v24
	v_pk_add_f16 v24, v2, v24
	v_pk_max_f16 v79, v79, v79
	v_pk_min_f16 v24, v80, v24
	v_pk_add_f16 v80, v4, v26
	v_pk_max_f16 v78, v78, v78
	v_pk_min_f16 v79, v79, v80
	v_pk_add_f16 v80, v6, v26
	v_pk_max_f16 v76, v76, v76
	v_pk_min_f16 v78, v78, v80
	v_pk_add_f16 v80, v0, v26
	v_pk_add_f16 v26, v2, v26
	v_pk_max_f16 v75, v75, v75
	v_pk_min_f16 v26, v76, v26
	;; [unrolled: 21-line block ×5, first 2 shown]
	s_waitcnt lgkmcnt(0)
	v_pk_add_f16 v52, v4, v8
	v_pk_max_f16 v39, v39, v39
	v_pk_min_f16 v51, v51, v52
	v_pk_add_f16 v52, v6, v8
	v_pk_add_f16 v4, v4, v10
	v_pk_min_f16 v39, v39, v52
	v_pk_add_f16 v52, v0, v8
	v_pk_add_f16 v8, v2, v8
	;; [unrolled: 1-line block ×5, first 2 shown]
	v_pk_max_f16 v10, v33, v33
	v_pk_max_f16 v91, v91, v91
	v_pk_min_f16 v2, v10, v2
	v_pk_add_f16 v10, v5, v133
	v_pk_min_f16 v91, v91, v113
	v_pk_min_f16 v122, v48, v10
	v_pk_add_f16 v10, v7, v133
	v_pk_max_f16 v87, v87, v87
	v_pk_min_f16 v121, v49, v10
	v_pk_add_f16 v10, v1, v133
	v_pk_min_f16 v87, v87, v90
	v_pk_min_f16 v120, v112, v10
	v_pk_add_f16 v10, v3, v133
	;; [unrolled: 6-line block ×10, first 2 shown]
	v_pk_max_f16 v36, v36, v36
	v_pk_min_f16 v101, v28, v10
	v_pk_add_f16 v10, v5, v31
	v_pk_max_f16 v34, v34, v34
	v_pk_min_f16 v100, v89, v10
	v_pk_add_f16 v10, v7, v31
	;; [unrolled: 3-line block ×4, first 2 shown]
	v_pk_min_f16 v4, v36, v4
	v_pk_min_f16 v94, v30, v10
	v_pk_add_f16 v10, v5, v25
	v_pk_max_f16 v35, v35, v35
	v_pk_min_f16 v93, v83, v10
	v_pk_add_f16 v10, v7, v25
	v_pk_min_f16 v0, v34, v0
	v_pk_min_f16 v92, v82, v10
	v_pk_add_f16 v10, v1, v25
	v_pk_min_f16 v38, v38, v52
	;; [unrolled: 3-line block ×4, first 2 shown]
	v_pk_min_f16 v89, v79, v10
	v_pk_add_f16 v10, v7, v27
	s_add_i32 s34, s34, 8
	v_pk_min_f16 v88, v78, v10
	v_pk_add_f16 v10, v1, v27
	s_cmp_ge_i32 s34, s33
	v_pk_min_f16 v87, v77, v10
	v_pk_add_f16 v10, v3, v27
	ds_write_b16 v124, v129
	ds_write_b16 v124, v130 offset:512
	ds_write_b16 v125, v50
	ds_write_b16 v125, v32 offset:512
	v_pk_min_f16 v84, v26, v10
	v_pk_add_f16 v10, v5, v21
	s_waitcnt lgkmcnt(0)
	v_pk_min_f16 v83, v75, v10
	v_pk_add_f16 v10, v7, v21
	s_barrier
	v_pk_min_f16 v82, v74, v10
	v_pk_add_f16 v10, v1, v21
	s_nop 0
	v_pk_min_f16 v81, v73, v10
	v_pk_add_f16 v10, v3, v21
	s_nop 0
	;; [unrolled: 3-line block ×22, first 2 shown]
	v_pk_min_f16 v60, v14, v10
	v_pk_add_f16 v10, v5, v9
	v_pk_add_f16 v5, v5, v11
	v_pk_min_f16 v59, v51, v10
	v_pk_add_f16 v10, v7, v9
	v_pk_min_f16 v54, v4, v5
	v_pk_min_f16 v58, v39, v10
	v_pk_add_f16 v10, v1, v9
	v_pk_add_f16 v1, v1, v11
	;; [unrolled: 1-line block ×4, first 2 shown]
	v_pk_min_f16 v52, v0, v1
	v_pk_add_f16 v0, v3, v11
	v_pk_min_f16 v57, v38, v10
	v_pk_min_f16 v56, v8, v9
	;; [unrolled: 1-line block ×4, first 2 shown]
	s_cbranch_scc1 .LBB218_44
.LBB218_28:                             ; =>This Inner Loop Header: Depth=1
	v_add_u32_e32 v48, s34, v95
	v_add_u32_e32 v0, 8, v48
	v_cmp_le_i32_e64 s[8:9], s14, v0
	v_min_i32_e32 v0, s31, v0
	s_or_b64 s[10:11], vcc, s[8:9]
	v_ashrrev_i32_e32 v1, 31, v0
	v_cndmask_b32_e64 v49, 0, v128, s[10:11]
	s_or_b64 s[10:11], s[26:27], s[10:11]
	v_lshl_add_u64 v[2:3], v[0:1], 1, s[22:23]
	s_xor_b64 s[36:37], s[10:11], -1
	s_and_saveexec_b64 s[10:11], s[36:37]
	s_cbranch_execz .LBB218_30
; %bb.29:                               ;   in Loop: Header=BB218_28 Depth=1
	v_lshl_add_u64 v[4:5], v[40:41], 1, v[2:3]
	flat_load_ushort v4, v[4:5]
	s_waitcnt vmcnt(0) lgkmcnt(0)
	v_mul_f16_e32 v49, s15, v4
.LBB218_30:                             ;   in Loop: Header=BB218_28 Depth=1
	s_or_b64 exec, exec, s[10:11]
	s_or_b64 s[10:11], s[2:3], s[8:9]
	v_cndmask_b32_e64 v50, 0, v128, s[10:11]
	s_or_b64 s[10:11], s[26:27], s[10:11]
	s_xor_b64 s[36:37], s[10:11], -1
	s_and_saveexec_b64 s[10:11], s[36:37]
	s_cbranch_execz .LBB218_32
; %bb.31:                               ;   in Loop: Header=BB218_28 Depth=1
	v_lshl_add_u64 v[2:3], v[42:43], 1, v[2:3]
	flat_load_ushort v2, v[2:3]
	s_waitcnt vmcnt(0) lgkmcnt(0)
	v_mul_f16_e32 v50, s15, v2
.LBB218_32:                             ;   in Loop: Header=BB218_28 Depth=1
	s_or_b64 exec, exec, s[10:11]
	s_or_b64 s[10:11], s[4:5], s[8:9]
	v_cndmask_b32_e64 v51, 0, v128, s[10:11]
	s_or_b64 s[10:11], s[26:27], s[10:11]
	v_lshl_add_u64 v[0:1], v[0:1], 1, s[24:25]
	s_xor_b64 s[36:37], s[10:11], -1
	s_and_saveexec_b64 s[10:11], s[36:37]
	s_cbranch_execz .LBB218_34
; %bb.33:                               ;   in Loop: Header=BB218_28 Depth=1
	v_lshl_add_u64 v[2:3], v[44:45], 1, v[0:1]
	flat_load_ushort v2, v[2:3]
	s_waitcnt vmcnt(0) lgkmcnt(0)
	v_mul_f16_e32 v51, s15, v2
.LBB218_34:                             ;   in Loop: Header=BB218_28 Depth=1
	s_or_b64 exec, exec, s[10:11]
	s_or_b64 s[8:9], s[6:7], s[8:9]
	v_cndmask_b32_e64 v129, 0, v128, s[8:9]
	s_or_b64 s[8:9], s[26:27], s[8:9]
	s_xor_b64 s[10:11], s[8:9], -1
	s_and_saveexec_b64 s[8:9], s[10:11]
	s_cbranch_execz .LBB218_36
; %bb.35:                               ;   in Loop: Header=BB218_28 Depth=1
	v_lshl_add_u64 v[0:1], v[46:47], 1, v[0:1]
	flat_load_ushort v0, v[0:1]
	s_waitcnt vmcnt(0) lgkmcnt(0)
	v_mul_f16_e32 v129, s15, v0
.LBB218_36:                             ;   in Loop: Header=BB218_28 Depth=1
	s_or_b64 exec, exec, s[8:9]
	ds_read2_b64 v[4:7], v126 offset1:32
	ds_read2_b64 v[0:3], v126 offset0:64 offset1:96
	ds_read2_b64 v[36:39], v127 offset1:8
	ds_read2_b64 v[32:35], v127 offset0:16 offset1:24
	ds_read2_b64 v[28:31], v127 offset0:32 offset1:40
	;; [unrolled: 1-line block ×7, first 2 shown]
	v_add_u32_e32 v48, 12, v48
	v_cmp_le_i32_e64 s[8:9], s14, v48
	v_min_i32_e32 v48, s31, v48
	s_or_b64 s[10:11], vcc, s[8:9]
	ds_write_b16 v105, v49
	ds_write_b16 v105, v50 offset:512
	ds_write_b16 v123, v51
	ds_write_b16 v123, v129 offset:512
	v_ashrrev_i32_e32 v49, 31, v48
	v_cndmask_b32_e64 v129, 0, v128, s[10:11]
	s_or_b64 s[10:11], s[26:27], s[10:11]
	v_lshl_add_u64 v[50:51], v[48:49], 1, s[22:23]
	s_xor_b64 s[10:11], s[10:11], -1
	s_waitcnt lgkmcnt(0)
	s_barrier
	s_and_saveexec_b64 s[36:37], s[10:11]
	s_xor_b64 s[10:11], exec, s[36:37]
	s_cbranch_execz .LBB218_38
; %bb.37:                               ;   in Loop: Header=BB218_28 Depth=1
	v_lshl_add_u64 v[130:131], v[40:41], 1, v[50:51]
	flat_load_ushort v129, v[130:131]
	s_waitcnt vmcnt(0) lgkmcnt(0)
	v_mul_f16_e32 v129, s15, v129
.LBB218_38:                             ;   in Loop: Header=BB218_28 Depth=1
	s_or_b64 exec, exec, s[10:11]
	s_or_b64 s[10:11], s[2:3], s[8:9]
	v_cndmask_b32_e64 v130, 0, v128, s[10:11]
	s_or_b64 s[10:11], s[26:27], s[10:11]
	s_xor_b64 s[36:37], s[10:11], -1
	s_and_saveexec_b64 s[10:11], s[36:37]
	s_cbranch_execz .LBB218_40
; %bb.39:                               ;   in Loop: Header=BB218_28 Depth=1
	v_lshl_add_u64 v[50:51], v[42:43], 1, v[50:51]
	flat_load_ushort v50, v[50:51]
	s_waitcnt vmcnt(0) lgkmcnt(0)
	v_mul_f16_e32 v130, s15, v50
.LBB218_40:                             ;   in Loop: Header=BB218_28 Depth=1
	s_or_b64 exec, exec, s[10:11]
	s_or_b64 s[10:11], s[4:5], s[8:9]
	v_cndmask_b32_e64 v50, 0, v128, s[10:11]
	s_or_b64 s[10:11], s[26:27], s[10:11]
	v_lshl_add_u64 v[48:49], v[48:49], 1, s[24:25]
	s_xor_b64 s[36:37], s[10:11], -1
	s_and_saveexec_b64 s[10:11], s[36:37]
	s_cbranch_execz .LBB218_42
; %bb.41:                               ;   in Loop: Header=BB218_28 Depth=1
	v_lshl_add_u64 v[50:51], v[44:45], 1, v[48:49]
	flat_load_ushort v50, v[50:51]
	s_waitcnt vmcnt(0) lgkmcnt(0)
	v_mul_f16_e32 v50, s15, v50
.LBB218_42:                             ;   in Loop: Header=BB218_28 Depth=1
	s_or_b64 exec, exec, s[10:11]
	v_pk_add_f16 v51, v4, v36
	v_pk_max_f16 v122, v122, v122
	v_pk_max_f16 v121, v121, v121
	v_pk_min_f16 v51, v122, v51
	v_pk_add_f16 v122, v6, v36
	v_pk_max_f16 v119, v119, v119
	v_pk_min_f16 v121, v121, v122
	v_pk_add_f16 v122, v0, v36
	v_pk_add_f16 v36, v2, v36
	v_pk_max_f16 v118, v118, v118
	v_pk_min_f16 v36, v119, v36
	v_pk_add_f16 v119, v4, v38
	v_pk_max_f16 v117, v117, v117
	v_pk_min_f16 v118, v118, v119
	;; [unrolled: 3-line block ×3, first 2 shown]
	v_pk_add_f16 v119, v0, v38
	v_pk_add_f16 v38, v2, v38
	v_pk_max_f16 v114, v114, v114
	v_pk_min_f16 v38, v115, v38
	v_pk_add_f16 v115, v4, v32
	v_pk_max_f16 v116, v116, v116
	v_pk_min_f16 v115, v114, v115
	;; [unrolled: 3-line block ×3, first 2 shown]
	v_pk_min_f16 v119, v113, v114
	v_pk_add_f16 v113, v0, v32
	v_pk_add_f16 v32, v2, v32
	v_pk_max_f16 v111, v111, v111
	v_pk_max_f16 v110, v110, v110
	v_pk_min_f16 v32, v111, v32
	v_pk_add_f16 v111, v4, v34
	v_pk_max_f16 v109, v109, v109
	v_pk_min_f16 v131, v110, v111
	v_pk_add_f16 v110, v6, v34
	v_pk_max_f16 v107, v107, v107
	v_pk_min_f16 v132, v109, v110
	v_pk_add_f16 v109, v0, v34
	v_pk_add_f16 v34, v2, v34
	v_pk_max_f16 v104, v104, v104
	v_pk_min_f16 v34, v107, v34
	v_pk_add_f16 v107, v4, v28
	v_pk_max_f16 v103, v103, v103
	v_pk_min_f16 v134, v104, v107
	v_pk_add_f16 v104, v6, v28
	v_pk_max_f16 v101, v101, v101
	v_pk_min_f16 v135, v103, v104
	v_pk_add_f16 v103, v0, v28
	v_pk_add_f16 v28, v2, v28
	;; [unrolled: 10-line block ×11, first 2 shown]
	v_pk_max_f16 v59, v59, v59
	v_pk_min_f16 v14, v60, v14
	v_pk_add_f16 v60, v4, v8
	v_pk_max_f16 v58, v58, v58
	v_pk_min_f16 v164, v59, v60
	v_pk_add_f16 v59, v6, v8
	v_pk_add_f16 v4, v4, v10
	v_pk_min_f16 v165, v58, v59
	v_pk_add_f16 v58, v0, v8
	v_pk_add_f16 v8, v2, v8
	;; [unrolled: 1-line block ×5, first 2 shown]
	v_pk_max_f16 v10, v55, v55
	v_pk_max_f16 v120, v120, v120
	v_pk_min_f16 v2, v10, v2
	v_pk_add_f16 v10, v5, v37
	v_pk_max_f16 v112, v112, v112
	v_pk_min_f16 v114, v51, v10
	v_pk_add_f16 v10, v7, v37
	v_pk_min_f16 v120, v120, v122
	v_pk_min_f16 v122, v112, v113
	;; [unrolled: 1-line block ×3, first 2 shown]
	v_pk_add_f16 v10, v1, v37
	v_pk_max_f16 v108, v108, v108
	v_pk_min_f16 v112, v120, v10
	v_pk_add_f16 v10, v3, v37
	v_pk_min_f16 v133, v108, v109
	v_pk_min_f16 v111, v36, v10
	v_pk_add_f16 v10, v5, v39
	v_pk_max_f16 v102, v102, v102
	v_pk_min_f16 v110, v118, v10
	v_pk_add_f16 v10, v7, v39
	v_pk_min_f16 v136, v102, v103
	v_pk_min_f16 v109, v117, v10
	;; [unrolled: 6-line block ×16, first 2 shown]
	v_pk_add_f16 v10, v1, v21
	s_or_b64 s[8:9], s[6:7], s[8:9]
	v_pk_min_f16 v73, v148, v10
	v_pk_add_f16 v10, v3, v21
	v_cndmask_b32_e64 v32, 0, v128, s[8:9]
	v_pk_min_f16 v72, v20, v10
	v_pk_add_f16 v10, v5, v23
	s_or_b64 s[8:9], s[26:27], s[8:9]
	v_pk_min_f16 v71, v149, v10
	v_pk_add_f16 v10, v7, v23
	s_xor_b64 s[10:11], s[8:9], -1
	v_pk_min_f16 v70, v150, v10
	v_pk_add_f16 v10, v1, v23
	s_nop 0
	v_pk_min_f16 v69, v151, v10
	v_pk_add_f16 v10, v3, v23
	s_nop 0
	;; [unrolled: 3-line block ×18, first 2 shown]
	v_pk_min_f16 v52, v14, v10
	v_pk_add_f16 v10, v5, v9
	v_pk_add_f16 v5, v5, v11
	v_pk_min_f16 v51, v164, v10
	v_pk_add_f16 v10, v7, v9
	v_pk_min_f16 v36, v4, v5
	v_pk_min_f16 v39, v165, v10
	v_pk_add_f16 v10, v1, v9
	v_pk_add_f16 v1, v1, v11
	;; [unrolled: 1-line block ×4, first 2 shown]
	v_pk_min_f16 v34, v0, v1
	v_pk_add_f16 v0, v3, v11
	v_pk_min_f16 v38, v166, v10
	v_pk_min_f16 v37, v8, v9
	v_pk_min_f16 v35, v6, v4
	v_pk_min_f16 v33, v2, v0
	s_and_saveexec_b64 s[8:9], s[10:11]
	s_cbranch_execz .LBB218_27
; %bb.43:                               ;   in Loop: Header=BB218_28 Depth=1
	v_lshl_add_u64 v[0:1], v[46:47], 1, v[48:49]
	flat_load_ushort v0, v[0:1]
	s_waitcnt vmcnt(0) lgkmcnt(0)
	v_mul_f16_e32 v32, s15, v0
	s_branch .LBB218_27
.LBB218_44:
	v_add_u32_e32 v4, 0x800, v98
	s_load_dwordx2 s[2:3], s[0:1], 0x70
	s_load_dword s23, s[0:1], 0x50
	s_load_dword s22, s[0:1], 0x68
	ds_read2_b64 v[8:11], v97 offset0:128 offset1:160
	ds_read2_b64 v[0:3], v97 offset0:192 offset1:224
	;; [unrolled: 1-line block ×10, first 2 shown]
	s_waitcnt lgkmcnt(0)
	s_lshl_b64 s[0:1], s[2:3], 1
	s_add_u32 s14, s20, s0
	v_add_u32_e32 v40, s29, v85
	v_add_u32_e32 v85, s30, v86
	s_addc_u32 s15, s21, s1
	v_mad_i64_i32 v[42:43], s[0:1], v85, s23, 0
	v_lshl_add_u64 v[50:51], v[42:43], 1, s[16:17]
	v_mad_i64_i32 v[42:43], s[0:1], v85, s22, 0
	v_cmp_gt_i32_e64 s[2:3], s12, v40
	v_cmp_gt_i32_e64 s[10:11], s13, v85
	v_lshl_add_u64 v[48:49], v[42:43], 1, s[14:15]
	v_cndmask_b32_e64 v42, 0, 1, s[18:19]
	v_ashrrev_i32_e32 v41, 31, v40
	s_and_b64 s[4:5], s[2:3], s[10:11]
	v_cmp_ne_u32_e64 s[0:1], 1, v42
	s_and_saveexec_b64 s[6:7], s[4:5]
	s_xor_b64 s[4:5], exec, s[6:7]
	s_cbranch_execz .LBB218_49
; %bb.45:
	s_and_b64 vcc, exec, s[0:1]
	s_cbranch_vccnz .LBB218_47
; %bb.46:
	v_lshl_add_u64 v[42:43], v[40:41], 1, v[50:51]
	flat_load_ushort v42, v[42:43]
	s_waitcnt vmcnt(0) lgkmcnt(0)
	v_mul_f16_e32 v42, s28, v42
	s_branch .LBB218_48
.LBB218_47:
	v_mov_b32_e32 v42, 0
.LBB218_48:
	v_pk_add_f16 v43, v8, v36
	v_pk_max_f16 v44, v122, v122
	s_nop 0
	v_pk_min_f16 v43, v44, v43
	v_pk_add_f16 v44, v9, v37
	s_nop 0
	v_pk_min_f16 v43, v43, v44
	s_nop 0
	v_lshrrev_b32_e32 v44, 16, v43
	v_min3_f16 v44, v42, v43, v44
	v_lshl_add_u64 v[42:43], v[40:41], 1, v[48:49]
	global_store_short v[42:43], v44, off
.LBB218_49:
	s_or_b64 exec, exec, s[4:5]
	v_add_u32_e32 v42, 32, v40
	v_cmp_gt_i32_e64 s[4:5], s12, v42
	v_ashrrev_i32_e32 v43, 31, v42
	s_and_b64 s[8:9], s[4:5], s[10:11]
	s_and_saveexec_b64 s[6:7], s[8:9]
	s_cbranch_execz .LBB218_54
; %bb.50:
	s_and_b64 vcc, exec, s[0:1]
	s_cbranch_vccnz .LBB218_52
; %bb.51:
	v_lshl_add_u64 v[44:45], v[42:43], 1, v[50:51]
	flat_load_ushort v44, v[44:45]
	s_waitcnt vmcnt(0) lgkmcnt(0)
	v_mul_f16_e32 v44, s28, v44
	s_branch .LBB218_53
.LBB218_52:
	v_mov_b32_e32 v44, 0
.LBB218_53:
	v_pk_add_f16 v45, v10, v36
	v_pk_max_f16 v46, v121, v121
	s_nop 0
	v_pk_min_f16 v45, v46, v45
	v_pk_add_f16 v46, v11, v37
	s_nop 0
	v_pk_min_f16 v45, v45, v46
	s_nop 0
	v_lshrrev_b32_e32 v46, 16, v45
	v_min3_f16 v46, v44, v45, v46
	v_lshl_add_u64 v[44:45], v[42:43], 1, v[48:49]
	global_store_short v[44:45], v46, off
.LBB218_54:
	s_or_b64 exec, exec, s[6:7]
	v_add_u32_e32 v44, 64, v40
	v_cmp_gt_i32_e64 s[6:7], s12, v44
	v_ashrrev_i32_e32 v45, 31, v44
	s_and_b64 s[18:19], s[6:7], s[10:11]
	s_and_saveexec_b64 s[8:9], s[18:19]
	;; [unrolled: 32-line block ×3, first 2 shown]
	s_cbranch_execz .LBB218_64
; %bb.60:
	s_and_b64 vcc, exec, s[0:1]
	s_cbranch_vccnz .LBB218_62
; %bb.61:
	v_lshl_add_u64 v[50:51], v[46:47], 1, v[50:51]
	flat_load_ushort v50, v[50:51]
	s_waitcnt vmcnt(0) lgkmcnt(0)
	v_mul_f16_e32 v50, s28, v50
	s_branch .LBB218_63
.LBB218_62:
	v_mov_b32_e32 v50, 0
.LBB218_63:
	v_pk_add_f16 v36, v2, v36
	v_pk_max_f16 v51, v119, v119
	v_pk_add_f16 v37, v3, v37
	v_pk_min_f16 v36, v51, v36
	s_nop 0
	v_pk_min_f16 v36, v36, v37
	s_nop 0
	v_lshrrev_b32_e32 v37, 16, v36
	v_min3_f16 v50, v50, v36, v37
	v_lshl_add_u64 v[36:37], v[46:47], 1, v[48:49]
	global_store_short v[36:37], v50, off
.LBB218_64:
	s_or_b64 exec, exec, s[10:11]
	v_add_u32_e32 v50, 8, v85
	v_mad_i64_i32 v[36:37], s[18:19], v50, s23, 0
	v_cmp_gt_i32_e64 s[10:11], s13, v50
	v_lshl_add_u64 v[48:49], v[36:37], 1, s[16:17]
	v_mad_i64_i32 v[36:37], s[18:19], v50, s22, 0
	v_lshl_add_u64 v[36:37], v[36:37], 1, s[14:15]
	s_and_b64 s[20:21], s[2:3], s[10:11]
	s_and_saveexec_b64 s[18:19], s[20:21]
	s_cbranch_execnz .LBB218_68
; %bb.65:
	s_or_b64 exec, exec, s[18:19]
	s_and_b64 s[20:21], s[4:5], s[10:11]
	s_and_saveexec_b64 s[18:19], s[20:21]
	s_cbranch_execnz .LBB218_72
.LBB218_66:
	s_or_b64 exec, exec, s[18:19]
	s_and_b64 s[20:21], s[6:7], s[10:11]
	s_and_saveexec_b64 s[18:19], s[20:21]
	s_cbranch_execnz .LBB218_76
.LBB218_67:
	s_or_b64 exec, exec, s[18:19]
	s_and_b64 s[18:19], s[8:9], s[10:11]
	s_and_saveexec_b64 s[10:11], s[18:19]
	s_cbranch_execnz .LBB218_80
	s_branch .LBB218_84
.LBB218_68:
	s_and_b64 vcc, exec, s[0:1]
	s_cbranch_vccnz .LBB218_70
; %bb.69:
	v_lshl_add_u64 v[50:51], v[40:41], 1, v[48:49]
	flat_load_ushort v50, v[50:51]
	s_waitcnt vmcnt(0) lgkmcnt(0)
	v_mul_f16_e32 v50, s28, v50
	s_branch .LBB218_71
.LBB218_70:
	v_mov_b32_e32 v50, 0
.LBB218_71:
	v_pk_add_f16 v51, v8, v38
	v_pk_max_f16 v86, v118, v118
	s_nop 0
	v_pk_min_f16 v51, v86, v51
	v_pk_add_f16 v86, v9, v39
	s_nop 0
	v_pk_min_f16 v51, v51, v86
	s_nop 0
	v_lshrrev_b32_e32 v86, 16, v51
	v_min3_f16 v86, v50, v51, v86
	v_lshl_add_u64 v[50:51], v[40:41], 1, v[36:37]
	global_store_short v[50:51], v86, off
	s_or_b64 exec, exec, s[18:19]
	s_and_b64 s[20:21], s[4:5], s[10:11]
	s_and_saveexec_b64 s[18:19], s[20:21]
	s_cbranch_execz .LBB218_66
.LBB218_72:
	s_and_b64 vcc, exec, s[0:1]
	s_cbranch_vccnz .LBB218_74
; %bb.73:
	v_lshl_add_u64 v[50:51], v[42:43], 1, v[48:49]
	flat_load_ushort v50, v[50:51]
	s_waitcnt vmcnt(0) lgkmcnt(0)
	v_mul_f16_e32 v50, s28, v50
	s_branch .LBB218_75
.LBB218_74:
	v_mov_b32_e32 v50, 0
.LBB218_75:
	v_pk_add_f16 v51, v10, v38
	v_pk_max_f16 v86, v117, v117
	s_nop 0
	v_pk_min_f16 v51, v86, v51
	v_pk_add_f16 v86, v11, v39
	s_nop 0
	v_pk_min_f16 v51, v51, v86
	s_nop 0
	v_lshrrev_b32_e32 v86, 16, v51
	v_min3_f16 v86, v50, v51, v86
	v_lshl_add_u64 v[50:51], v[42:43], 1, v[36:37]
	global_store_short v[50:51], v86, off
	s_or_b64 exec, exec, s[18:19]
	s_and_b64 s[20:21], s[6:7], s[10:11]
	s_and_saveexec_b64 s[18:19], s[20:21]
	s_cbranch_execz .LBB218_67
.LBB218_76:
	s_and_b64 vcc, exec, s[0:1]
	s_cbranch_vccnz .LBB218_78
; %bb.77:
	v_lshl_add_u64 v[50:51], v[44:45], 1, v[48:49]
	flat_load_ushort v50, v[50:51]
	s_waitcnt vmcnt(0) lgkmcnt(0)
	v_mul_f16_e32 v50, s28, v50
	s_branch .LBB218_79
.LBB218_78:
	v_mov_b32_e32 v50, 0
.LBB218_79:
	v_pk_add_f16 v51, v0, v38
	v_pk_max_f16 v86, v116, v116
	s_nop 0
	v_pk_min_f16 v51, v86, v51
	v_pk_add_f16 v86, v1, v39
	s_nop 0
	v_pk_min_f16 v51, v51, v86
	s_nop 0
	v_lshrrev_b32_e32 v86, 16, v51
	v_min3_f16 v86, v50, v51, v86
	v_lshl_add_u64 v[50:51], v[44:45], 1, v[36:37]
	global_store_short v[50:51], v86, off
	s_or_b64 exec, exec, s[18:19]
	s_and_b64 s[18:19], s[8:9], s[10:11]
	s_and_saveexec_b64 s[10:11], s[18:19]
	s_cbranch_execz .LBB218_84
.LBB218_80:
	s_and_b64 vcc, exec, s[0:1]
	s_cbranch_vccnz .LBB218_82
; %bb.81:
	v_lshl_add_u64 v[48:49], v[46:47], 1, v[48:49]
	flat_load_ushort v48, v[48:49]
	s_waitcnt vmcnt(0) lgkmcnt(0)
	v_mul_f16_e32 v48, s28, v48
	s_branch .LBB218_83
.LBB218_82:
	v_mov_b32_e32 v48, 0
.LBB218_83:
	v_pk_add_f16 v38, v2, v38
	v_pk_max_f16 v49, v115, v115
	v_pk_add_f16 v39, v3, v39
	v_pk_min_f16 v38, v49, v38
	v_lshl_add_u64 v[36:37], v[46:47], 1, v[36:37]
	v_pk_min_f16 v38, v38, v39
	s_nop 0
	v_lshrrev_b32_e32 v39, 16, v38
	v_min3_f16 v38, v48, v38, v39
	global_store_short v[36:37], v38, off
.LBB218_84:
	s_or_b64 exec, exec, s[10:11]
	v_add_u32_e32 v48, 16, v85
	v_mad_i64_i32 v[36:37], s[18:19], v48, s23, 0
	v_cmp_gt_i32_e64 s[10:11], s13, v48
	v_lshl_add_u64 v[38:39], v[36:37], 1, s[16:17]
	v_mad_i64_i32 v[36:37], s[18:19], v48, s22, 0
	v_lshl_add_u64 v[36:37], v[36:37], 1, s[14:15]
	s_and_b64 s[20:21], s[2:3], s[10:11]
	s_and_saveexec_b64 s[18:19], s[20:21]
	s_cbranch_execnz .LBB218_88
; %bb.85:
	s_or_b64 exec, exec, s[18:19]
	s_and_b64 s[20:21], s[4:5], s[10:11]
	s_and_saveexec_b64 s[18:19], s[20:21]
	s_cbranch_execnz .LBB218_92
.LBB218_86:
	s_or_b64 exec, exec, s[18:19]
	s_and_b64 s[20:21], s[6:7], s[10:11]
	s_and_saveexec_b64 s[18:19], s[20:21]
	s_cbranch_execnz .LBB218_96
.LBB218_87:
	s_or_b64 exec, exec, s[18:19]
	s_and_b64 s[18:19], s[8:9], s[10:11]
	s_and_saveexec_b64 s[10:11], s[18:19]
	s_cbranch_execnz .LBB218_100
	s_branch .LBB218_104
.LBB218_88:
	s_and_b64 vcc, exec, s[0:1]
	s_cbranch_vccnz .LBB218_90
; %bb.89:
	v_lshl_add_u64 v[48:49], v[40:41], 1, v[38:39]
	flat_load_ushort v48, v[48:49]
	s_waitcnt vmcnt(0) lgkmcnt(0)
	v_mul_f16_e32 v48, s28, v48
	s_branch .LBB218_91
.LBB218_90:
	v_mov_b32_e32 v48, 0
.LBB218_91:
	v_pk_add_f16 v49, v8, v32
	v_pk_max_f16 v50, v114, v114
	s_nop 0
	v_pk_min_f16 v49, v50, v49
	v_pk_add_f16 v50, v9, v33
	s_nop 0
	v_pk_min_f16 v49, v49, v50
	s_nop 0
	v_lshrrev_b32_e32 v50, 16, v49
	v_min3_f16 v50, v48, v49, v50
	v_lshl_add_u64 v[48:49], v[40:41], 1, v[36:37]
	global_store_short v[48:49], v50, off
	s_or_b64 exec, exec, s[18:19]
	s_and_b64 s[20:21], s[4:5], s[10:11]
	s_and_saveexec_b64 s[18:19], s[20:21]
	s_cbranch_execz .LBB218_86
.LBB218_92:
	s_and_b64 vcc, exec, s[0:1]
	s_cbranch_vccnz .LBB218_94
; %bb.93:
	v_lshl_add_u64 v[48:49], v[42:43], 1, v[38:39]
	flat_load_ushort v48, v[48:49]
	s_waitcnt vmcnt(0) lgkmcnt(0)
	v_mul_f16_e32 v48, s28, v48
	s_branch .LBB218_95
.LBB218_94:
	v_mov_b32_e32 v48, 0
.LBB218_95:
	v_pk_add_f16 v49, v10, v32
	v_pk_max_f16 v50, v113, v113
	s_nop 0
	v_pk_min_f16 v49, v50, v49
	v_pk_add_f16 v50, v11, v33
	s_nop 0
	v_pk_min_f16 v49, v49, v50
	s_nop 0
	v_lshrrev_b32_e32 v50, 16, v49
	v_min3_f16 v50, v48, v49, v50
	v_lshl_add_u64 v[48:49], v[42:43], 1, v[36:37]
	global_store_short v[48:49], v50, off
	s_or_b64 exec, exec, s[18:19]
	s_and_b64 s[20:21], s[6:7], s[10:11]
	s_and_saveexec_b64 s[18:19], s[20:21]
	s_cbranch_execz .LBB218_87
.LBB218_96:
	s_and_b64 vcc, exec, s[0:1]
	s_cbranch_vccnz .LBB218_98
; %bb.97:
	v_lshl_add_u64 v[48:49], v[44:45], 1, v[38:39]
	flat_load_ushort v48, v[48:49]
	s_waitcnt vmcnt(0) lgkmcnt(0)
	v_mul_f16_e32 v48, s28, v48
	s_branch .LBB218_99
.LBB218_98:
	v_mov_b32_e32 v48, 0
.LBB218_99:
	v_pk_add_f16 v49, v0, v32
	v_pk_max_f16 v50, v112, v112
	s_nop 0
	v_pk_min_f16 v49, v50, v49
	v_pk_add_f16 v50, v1, v33
	s_nop 0
	v_pk_min_f16 v49, v49, v50
	s_nop 0
	v_lshrrev_b32_e32 v50, 16, v49
	v_min3_f16 v50, v48, v49, v50
	v_lshl_add_u64 v[48:49], v[44:45], 1, v[36:37]
	global_store_short v[48:49], v50, off
	s_or_b64 exec, exec, s[18:19]
	s_and_b64 s[18:19], s[8:9], s[10:11]
	s_and_saveexec_b64 s[10:11], s[18:19]
	s_cbranch_execz .LBB218_104
.LBB218_100:
	s_and_b64 vcc, exec, s[0:1]
	s_cbranch_vccnz .LBB218_102
; %bb.101:
	v_lshl_add_u64 v[38:39], v[46:47], 1, v[38:39]
	flat_load_ushort v38, v[38:39]
	s_waitcnt vmcnt(0) lgkmcnt(0)
	v_mul_f16_e32 v38, s28, v38
	s_branch .LBB218_103
.LBB218_102:
	v_mov_b32_e32 v38, 0
.LBB218_103:
	v_pk_add_f16 v32, v2, v32
	v_pk_max_f16 v39, v111, v111
	v_pk_add_f16 v33, v3, v33
	v_pk_min_f16 v32, v39, v32
	s_nop 0
	v_pk_min_f16 v32, v32, v33
	s_nop 0
	v_lshrrev_b32_e32 v33, 16, v32
	v_min3_f16 v38, v38, v32, v33
	v_lshl_add_u64 v[32:33], v[46:47], 1, v[36:37]
	global_store_short v[32:33], v38, off
.LBB218_104:
	s_or_b64 exec, exec, s[10:11]
	v_add_u32_e32 v38, 24, v85
	v_mad_i64_i32 v[32:33], s[18:19], v38, s23, 0
	v_cmp_gt_i32_e64 s[10:11], s13, v38
	v_lshl_add_u64 v[36:37], v[32:33], 1, s[16:17]
	v_mad_i64_i32 v[32:33], s[18:19], v38, s22, 0
	v_lshl_add_u64 v[32:33], v[32:33], 1, s[14:15]
	s_and_b64 s[20:21], s[2:3], s[10:11]
	s_and_saveexec_b64 s[18:19], s[20:21]
	s_cbranch_execnz .LBB218_108
; %bb.105:
	s_or_b64 exec, exec, s[18:19]
	s_and_b64 s[20:21], s[4:5], s[10:11]
	s_and_saveexec_b64 s[18:19], s[20:21]
	s_cbranch_execnz .LBB218_112
.LBB218_106:
	s_or_b64 exec, exec, s[18:19]
	s_and_b64 s[20:21], s[6:7], s[10:11]
	s_and_saveexec_b64 s[18:19], s[20:21]
	s_cbranch_execnz .LBB218_116
.LBB218_107:
	s_or_b64 exec, exec, s[18:19]
	s_and_b64 s[18:19], s[8:9], s[10:11]
	s_and_saveexec_b64 s[10:11], s[18:19]
	s_cbranch_execnz .LBB218_120
	s_branch .LBB218_124
.LBB218_108:
	s_and_b64 vcc, exec, s[0:1]
	s_cbranch_vccnz .LBB218_110
; %bb.109:
	v_lshl_add_u64 v[38:39], v[40:41], 1, v[36:37]
	flat_load_ushort v38, v[38:39]
	s_waitcnt vmcnt(0) lgkmcnt(0)
	v_mul_f16_e32 v38, s28, v38
	s_branch .LBB218_111
.LBB218_110:
	v_mov_b32_e32 v38, 0
.LBB218_111:
	v_pk_add_f16 v39, v8, v34
	v_pk_max_f16 v48, v110, v110
	s_nop 0
	v_pk_min_f16 v39, v48, v39
	v_pk_add_f16 v48, v9, v35
	s_nop 0
	v_pk_min_f16 v39, v39, v48
	s_nop 0
	v_lshrrev_b32_e32 v48, 16, v39
	v_min3_f16 v48, v38, v39, v48
	v_lshl_add_u64 v[38:39], v[40:41], 1, v[32:33]
	global_store_short v[38:39], v48, off
	s_or_b64 exec, exec, s[18:19]
	s_and_b64 s[20:21], s[4:5], s[10:11]
	s_and_saveexec_b64 s[18:19], s[20:21]
	s_cbranch_execz .LBB218_106
.LBB218_112:
	s_and_b64 vcc, exec, s[0:1]
	s_cbranch_vccnz .LBB218_114
; %bb.113:
	v_lshl_add_u64 v[38:39], v[42:43], 1, v[36:37]
	flat_load_ushort v38, v[38:39]
	s_waitcnt vmcnt(0) lgkmcnt(0)
	v_mul_f16_e32 v38, s28, v38
	s_branch .LBB218_115
.LBB218_114:
	v_mov_b32_e32 v38, 0
.LBB218_115:
	v_pk_add_f16 v39, v10, v34
	v_pk_max_f16 v48, v109, v109
	s_nop 0
	v_pk_min_f16 v39, v48, v39
	v_pk_add_f16 v48, v11, v35
	s_nop 0
	v_pk_min_f16 v39, v39, v48
	s_nop 0
	v_lshrrev_b32_e32 v48, 16, v39
	v_min3_f16 v48, v38, v39, v48
	v_lshl_add_u64 v[38:39], v[42:43], 1, v[32:33]
	global_store_short v[38:39], v48, off
	s_or_b64 exec, exec, s[18:19]
	s_and_b64 s[20:21], s[6:7], s[10:11]
	s_and_saveexec_b64 s[18:19], s[20:21]
	s_cbranch_execz .LBB218_107
.LBB218_116:
	s_and_b64 vcc, exec, s[0:1]
	s_cbranch_vccnz .LBB218_118
; %bb.117:
	v_lshl_add_u64 v[38:39], v[44:45], 1, v[36:37]
	flat_load_ushort v38, v[38:39]
	s_waitcnt vmcnt(0) lgkmcnt(0)
	v_mul_f16_e32 v38, s28, v38
	s_branch .LBB218_119
.LBB218_118:
	v_mov_b32_e32 v38, 0
.LBB218_119:
	v_pk_add_f16 v39, v0, v34
	v_pk_max_f16 v48, v108, v108
	s_nop 0
	v_pk_min_f16 v39, v48, v39
	v_pk_add_f16 v48, v1, v35
	s_nop 0
	v_pk_min_f16 v39, v39, v48
	s_nop 0
	v_lshrrev_b32_e32 v48, 16, v39
	v_min3_f16 v48, v38, v39, v48
	v_lshl_add_u64 v[38:39], v[44:45], 1, v[32:33]
	global_store_short v[38:39], v48, off
	s_or_b64 exec, exec, s[18:19]
	s_and_b64 s[18:19], s[8:9], s[10:11]
	s_and_saveexec_b64 s[10:11], s[18:19]
	s_cbranch_execz .LBB218_124
.LBB218_120:
	s_and_b64 vcc, exec, s[0:1]
	s_cbranch_vccnz .LBB218_122
; %bb.121:
	v_lshl_add_u64 v[36:37], v[46:47], 1, v[36:37]
	flat_load_ushort v36, v[36:37]
	s_waitcnt vmcnt(0) lgkmcnt(0)
	v_mul_f16_e32 v36, s28, v36
	s_branch .LBB218_123
.LBB218_122:
	v_mov_b32_e32 v36, 0
.LBB218_123:
	v_pk_add_f16 v34, v2, v34
	v_pk_max_f16 v37, v107, v107
	v_pk_add_f16 v35, v3, v35
	v_pk_min_f16 v34, v37, v34
	v_lshl_add_u64 v[32:33], v[46:47], 1, v[32:33]
	v_pk_min_f16 v34, v34, v35
	s_nop 0
	v_lshrrev_b32_e32 v35, 16, v34
	v_min3_f16 v34, v36, v34, v35
	global_store_short v[32:33], v34, off
.LBB218_124:
	s_or_b64 exec, exec, s[10:11]
	v_add_u32_e32 v36, 32, v85
	v_mad_i64_i32 v[32:33], s[18:19], v36, s23, 0
	v_cmp_gt_i32_e64 s[10:11], s13, v36
	v_lshl_add_u64 v[34:35], v[32:33], 1, s[16:17]
	v_mad_i64_i32 v[32:33], s[18:19], v36, s22, 0
	v_lshl_add_u64 v[32:33], v[32:33], 1, s[14:15]
	s_and_b64 s[20:21], s[2:3], s[10:11]
	s_and_saveexec_b64 s[18:19], s[20:21]
	s_cbranch_execnz .LBB218_128
; %bb.125:
	s_or_b64 exec, exec, s[18:19]
	s_and_b64 s[20:21], s[4:5], s[10:11]
	s_and_saveexec_b64 s[18:19], s[20:21]
	s_cbranch_execnz .LBB218_132
.LBB218_126:
	s_or_b64 exec, exec, s[18:19]
	s_and_b64 s[20:21], s[6:7], s[10:11]
	s_and_saveexec_b64 s[18:19], s[20:21]
	s_cbranch_execnz .LBB218_136
.LBB218_127:
	s_or_b64 exec, exec, s[18:19]
	s_and_b64 s[18:19], s[8:9], s[10:11]
	s_and_saveexec_b64 s[10:11], s[18:19]
	s_cbranch_execnz .LBB218_140
	s_branch .LBB218_144
.LBB218_128:
	s_and_b64 vcc, exec, s[0:1]
	s_cbranch_vccnz .LBB218_130
; %bb.129:
	v_lshl_add_u64 v[36:37], v[40:41], 1, v[34:35]
	flat_load_ushort v36, v[36:37]
	s_waitcnt vmcnt(0) lgkmcnt(0)
	v_mul_f16_e32 v36, s28, v36
	s_branch .LBB218_131
.LBB218_130:
	v_mov_b32_e32 v36, 0
.LBB218_131:
	v_pk_add_f16 v37, v8, v28
	v_pk_max_f16 v38, v104, v104
	s_nop 0
	v_pk_min_f16 v37, v38, v37
	v_pk_add_f16 v38, v9, v29
	s_nop 0
	v_pk_min_f16 v37, v37, v38
	s_nop 0
	v_lshrrev_b32_e32 v38, 16, v37
	v_min3_f16 v38, v36, v37, v38
	v_lshl_add_u64 v[36:37], v[40:41], 1, v[32:33]
	global_store_short v[36:37], v38, off
	s_or_b64 exec, exec, s[18:19]
	s_and_b64 s[20:21], s[4:5], s[10:11]
	s_and_saveexec_b64 s[18:19], s[20:21]
	s_cbranch_execz .LBB218_126
.LBB218_132:
	s_and_b64 vcc, exec, s[0:1]
	s_cbranch_vccnz .LBB218_134
; %bb.133:
	v_lshl_add_u64 v[36:37], v[42:43], 1, v[34:35]
	flat_load_ushort v36, v[36:37]
	s_waitcnt vmcnt(0) lgkmcnt(0)
	v_mul_f16_e32 v36, s28, v36
	s_branch .LBB218_135
.LBB218_134:
	v_mov_b32_e32 v36, 0
.LBB218_135:
	v_pk_add_f16 v37, v10, v28
	v_pk_max_f16 v38, v103, v103
	s_nop 0
	v_pk_min_f16 v37, v38, v37
	v_pk_add_f16 v38, v11, v29
	s_nop 0
	v_pk_min_f16 v37, v37, v38
	s_nop 0
	v_lshrrev_b32_e32 v38, 16, v37
	v_min3_f16 v38, v36, v37, v38
	v_lshl_add_u64 v[36:37], v[42:43], 1, v[32:33]
	global_store_short v[36:37], v38, off
	s_or_b64 exec, exec, s[18:19]
	s_and_b64 s[20:21], s[6:7], s[10:11]
	s_and_saveexec_b64 s[18:19], s[20:21]
	s_cbranch_execz .LBB218_127
.LBB218_136:
	s_and_b64 vcc, exec, s[0:1]
	s_cbranch_vccnz .LBB218_138
; %bb.137:
	v_lshl_add_u64 v[36:37], v[44:45], 1, v[34:35]
	flat_load_ushort v36, v[36:37]
	s_waitcnt vmcnt(0) lgkmcnt(0)
	v_mul_f16_e32 v36, s28, v36
	s_branch .LBB218_139
.LBB218_138:
	v_mov_b32_e32 v36, 0
.LBB218_139:
	v_pk_add_f16 v37, v0, v28
	v_pk_max_f16 v38, v102, v102
	s_nop 0
	v_pk_min_f16 v37, v38, v37
	v_pk_add_f16 v38, v1, v29
	s_nop 0
	v_pk_min_f16 v37, v37, v38
	s_nop 0
	v_lshrrev_b32_e32 v38, 16, v37
	v_min3_f16 v38, v36, v37, v38
	v_lshl_add_u64 v[36:37], v[44:45], 1, v[32:33]
	global_store_short v[36:37], v38, off
	s_or_b64 exec, exec, s[18:19]
	s_and_b64 s[18:19], s[8:9], s[10:11]
	s_and_saveexec_b64 s[10:11], s[18:19]
	s_cbranch_execz .LBB218_144
.LBB218_140:
	s_and_b64 vcc, exec, s[0:1]
	s_cbranch_vccnz .LBB218_142
; %bb.141:
	v_lshl_add_u64 v[34:35], v[46:47], 1, v[34:35]
	flat_load_ushort v34, v[34:35]
	s_waitcnt vmcnt(0) lgkmcnt(0)
	v_mul_f16_e32 v34, s28, v34
	s_branch .LBB218_143
.LBB218_142:
	v_mov_b32_e32 v34, 0
.LBB218_143:
	v_pk_add_f16 v28, v2, v28
	v_pk_max_f16 v35, v101, v101
	v_pk_add_f16 v29, v3, v29
	v_pk_min_f16 v28, v35, v28
	s_nop 0
	v_pk_min_f16 v28, v28, v29
	s_nop 0
	v_lshrrev_b32_e32 v29, 16, v28
	v_min3_f16 v34, v34, v28, v29
	v_lshl_add_u64 v[28:29], v[46:47], 1, v[32:33]
	global_store_short v[28:29], v34, off
.LBB218_144:
	s_or_b64 exec, exec, s[10:11]
	v_add_u32_e32 v34, 40, v85
	v_mad_i64_i32 v[28:29], s[18:19], v34, s23, 0
	v_cmp_gt_i32_e64 s[10:11], s13, v34
	v_lshl_add_u64 v[32:33], v[28:29], 1, s[16:17]
	v_mad_i64_i32 v[28:29], s[18:19], v34, s22, 0
	v_lshl_add_u64 v[28:29], v[28:29], 1, s[14:15]
	s_and_b64 s[20:21], s[2:3], s[10:11]
	s_and_saveexec_b64 s[18:19], s[20:21]
	s_cbranch_execnz .LBB218_148
; %bb.145:
	s_or_b64 exec, exec, s[18:19]
	s_and_b64 s[20:21], s[4:5], s[10:11]
	s_and_saveexec_b64 s[18:19], s[20:21]
	s_cbranch_execnz .LBB218_152
.LBB218_146:
	s_or_b64 exec, exec, s[18:19]
	s_and_b64 s[20:21], s[6:7], s[10:11]
	s_and_saveexec_b64 s[18:19], s[20:21]
	s_cbranch_execnz .LBB218_156
.LBB218_147:
	s_or_b64 exec, exec, s[18:19]
	s_and_b64 s[18:19], s[8:9], s[10:11]
	s_and_saveexec_b64 s[10:11], s[18:19]
	s_cbranch_execnz .LBB218_160
	s_branch .LBB218_164
.LBB218_148:
	s_and_b64 vcc, exec, s[0:1]
	s_cbranch_vccnz .LBB218_150
; %bb.149:
	v_lshl_add_u64 v[34:35], v[40:41], 1, v[32:33]
	flat_load_ushort v34, v[34:35]
	s_waitcnt vmcnt(0) lgkmcnt(0)
	v_mul_f16_e32 v34, s28, v34
	s_branch .LBB218_151
.LBB218_150:
	v_mov_b32_e32 v34, 0
.LBB218_151:
	v_pk_add_f16 v35, v8, v30
	v_pk_max_f16 v36, v100, v100
	s_nop 0
	v_pk_min_f16 v35, v36, v35
	v_pk_add_f16 v36, v9, v31
	s_nop 0
	v_pk_min_f16 v35, v35, v36
	s_nop 0
	v_lshrrev_b32_e32 v36, 16, v35
	v_min3_f16 v36, v34, v35, v36
	v_lshl_add_u64 v[34:35], v[40:41], 1, v[28:29]
	global_store_short v[34:35], v36, off
	s_or_b64 exec, exec, s[18:19]
	s_and_b64 s[20:21], s[4:5], s[10:11]
	s_and_saveexec_b64 s[18:19], s[20:21]
	s_cbranch_execz .LBB218_146
.LBB218_152:
	s_and_b64 vcc, exec, s[0:1]
	s_cbranch_vccnz .LBB218_154
; %bb.153:
	v_lshl_add_u64 v[34:35], v[42:43], 1, v[32:33]
	flat_load_ushort v34, v[34:35]
	s_waitcnt vmcnt(0) lgkmcnt(0)
	v_mul_f16_e32 v34, s28, v34
	s_branch .LBB218_155
.LBB218_154:
	v_mov_b32_e32 v34, 0
.LBB218_155:
	v_pk_add_f16 v35, v10, v30
	v_pk_max_f16 v36, v99, v99
	s_nop 0
	v_pk_min_f16 v35, v36, v35
	v_pk_add_f16 v36, v11, v31
	s_nop 0
	v_pk_min_f16 v35, v35, v36
	s_nop 0
	v_lshrrev_b32_e32 v36, 16, v35
	v_min3_f16 v36, v34, v35, v36
	v_lshl_add_u64 v[34:35], v[42:43], 1, v[28:29]
	global_store_short v[34:35], v36, off
	s_or_b64 exec, exec, s[18:19]
	s_and_b64 s[20:21], s[6:7], s[10:11]
	s_and_saveexec_b64 s[18:19], s[20:21]
	s_cbranch_execz .LBB218_147
.LBB218_156:
	s_and_b64 vcc, exec, s[0:1]
	s_cbranch_vccnz .LBB218_158
; %bb.157:
	v_lshl_add_u64 v[34:35], v[44:45], 1, v[32:33]
	flat_load_ushort v34, v[34:35]
	s_waitcnt vmcnt(0) lgkmcnt(0)
	v_mul_f16_e32 v34, s28, v34
	s_branch .LBB218_159
.LBB218_158:
	v_mov_b32_e32 v34, 0
.LBB218_159:
	v_pk_add_f16 v35, v0, v30
	v_pk_max_f16 v36, v96, v96
	s_nop 0
	v_pk_min_f16 v35, v36, v35
	v_pk_add_f16 v36, v1, v31
	s_nop 0
	v_pk_min_f16 v35, v35, v36
	s_nop 0
	v_lshrrev_b32_e32 v36, 16, v35
	v_min3_f16 v36, v34, v35, v36
	v_lshl_add_u64 v[34:35], v[44:45], 1, v[28:29]
	global_store_short v[34:35], v36, off
	s_or_b64 exec, exec, s[18:19]
	s_and_b64 s[18:19], s[8:9], s[10:11]
	s_and_saveexec_b64 s[10:11], s[18:19]
	s_cbranch_execz .LBB218_164
.LBB218_160:
	s_and_b64 vcc, exec, s[0:1]
	s_cbranch_vccnz .LBB218_162
; %bb.161:
	v_lshl_add_u64 v[32:33], v[46:47], 1, v[32:33]
	flat_load_ushort v32, v[32:33]
	s_waitcnt vmcnt(0) lgkmcnt(0)
	v_mul_f16_e32 v32, s28, v32
	s_branch .LBB218_163
.LBB218_162:
	v_mov_b32_e32 v32, 0
.LBB218_163:
	v_pk_add_f16 v30, v2, v30
	v_pk_max_f16 v33, v94, v94
	v_pk_add_f16 v31, v3, v31
	v_pk_min_f16 v30, v33, v30
	v_lshl_add_u64 v[28:29], v[46:47], 1, v[28:29]
	v_pk_min_f16 v30, v30, v31
	s_nop 0
	v_lshrrev_b32_e32 v31, 16, v30
	v_min3_f16 v30, v32, v30, v31
	global_store_short v[28:29], v30, off
.LBB218_164:
	s_or_b64 exec, exec, s[10:11]
	v_add_u32_e32 v32, 48, v85
	v_mad_i64_i32 v[28:29], s[18:19], v32, s23, 0
	v_cmp_gt_i32_e64 s[10:11], s13, v32
	v_lshl_add_u64 v[30:31], v[28:29], 1, s[16:17]
	v_mad_i64_i32 v[28:29], s[18:19], v32, s22, 0
	v_lshl_add_u64 v[28:29], v[28:29], 1, s[14:15]
	s_and_b64 s[20:21], s[2:3], s[10:11]
	s_and_saveexec_b64 s[18:19], s[20:21]
	s_cbranch_execnz .LBB218_168
; %bb.165:
	s_or_b64 exec, exec, s[18:19]
	s_and_b64 s[20:21], s[4:5], s[10:11]
	s_and_saveexec_b64 s[18:19], s[20:21]
	s_cbranch_execnz .LBB218_172
.LBB218_166:
	s_or_b64 exec, exec, s[18:19]
	s_and_b64 s[20:21], s[6:7], s[10:11]
	s_and_saveexec_b64 s[18:19], s[20:21]
	s_cbranch_execnz .LBB218_176
.LBB218_167:
	s_or_b64 exec, exec, s[18:19]
	s_and_b64 s[18:19], s[8:9], s[10:11]
	s_and_saveexec_b64 s[10:11], s[18:19]
	s_cbranch_execnz .LBB218_180
	s_branch .LBB218_184
.LBB218_168:
	s_and_b64 vcc, exec, s[0:1]
	s_cbranch_vccnz .LBB218_170
; %bb.169:
	v_lshl_add_u64 v[32:33], v[40:41], 1, v[30:31]
	flat_load_ushort v32, v[32:33]
	s_waitcnt vmcnt(0) lgkmcnt(0)
	v_mul_f16_e32 v32, s28, v32
	s_branch .LBB218_171
.LBB218_170:
	v_mov_b32_e32 v32, 0
.LBB218_171:
	v_pk_add_f16 v33, v8, v24
	v_pk_max_f16 v34, v93, v93
	s_nop 0
	v_pk_min_f16 v33, v34, v33
	v_pk_add_f16 v34, v9, v25
	s_nop 0
	v_pk_min_f16 v33, v33, v34
	s_nop 0
	v_lshrrev_b32_e32 v34, 16, v33
	v_min3_f16 v34, v32, v33, v34
	v_lshl_add_u64 v[32:33], v[40:41], 1, v[28:29]
	global_store_short v[32:33], v34, off
	s_or_b64 exec, exec, s[18:19]
	s_and_b64 s[20:21], s[4:5], s[10:11]
	s_and_saveexec_b64 s[18:19], s[20:21]
	s_cbranch_execz .LBB218_166
.LBB218_172:
	s_and_b64 vcc, exec, s[0:1]
	s_cbranch_vccnz .LBB218_174
; %bb.173:
	v_lshl_add_u64 v[32:33], v[42:43], 1, v[30:31]
	flat_load_ushort v32, v[32:33]
	s_waitcnt vmcnt(0) lgkmcnt(0)
	v_mul_f16_e32 v32, s28, v32
	s_branch .LBB218_175
.LBB218_174:
	v_mov_b32_e32 v32, 0
.LBB218_175:
	v_pk_add_f16 v33, v10, v24
	v_pk_max_f16 v34, v92, v92
	s_nop 0
	v_pk_min_f16 v33, v34, v33
	v_pk_add_f16 v34, v11, v25
	s_nop 0
	v_pk_min_f16 v33, v33, v34
	s_nop 0
	v_lshrrev_b32_e32 v34, 16, v33
	v_min3_f16 v34, v32, v33, v34
	v_lshl_add_u64 v[32:33], v[42:43], 1, v[28:29]
	global_store_short v[32:33], v34, off
	s_or_b64 exec, exec, s[18:19]
	s_and_b64 s[20:21], s[6:7], s[10:11]
	s_and_saveexec_b64 s[18:19], s[20:21]
	s_cbranch_execz .LBB218_167
.LBB218_176:
	s_and_b64 vcc, exec, s[0:1]
	s_cbranch_vccnz .LBB218_178
; %bb.177:
	v_lshl_add_u64 v[32:33], v[44:45], 1, v[30:31]
	flat_load_ushort v32, v[32:33]
	s_waitcnt vmcnt(0) lgkmcnt(0)
	v_mul_f16_e32 v32, s28, v32
	s_branch .LBB218_179
.LBB218_178:
	v_mov_b32_e32 v32, 0
.LBB218_179:
	v_pk_add_f16 v33, v0, v24
	v_pk_max_f16 v34, v91, v91
	s_nop 0
	v_pk_min_f16 v33, v34, v33
	v_pk_add_f16 v34, v1, v25
	s_nop 0
	v_pk_min_f16 v33, v33, v34
	s_nop 0
	v_lshrrev_b32_e32 v34, 16, v33
	v_min3_f16 v34, v32, v33, v34
	v_lshl_add_u64 v[32:33], v[44:45], 1, v[28:29]
	global_store_short v[32:33], v34, off
	s_or_b64 exec, exec, s[18:19]
	s_and_b64 s[18:19], s[8:9], s[10:11]
	s_and_saveexec_b64 s[10:11], s[18:19]
	s_cbranch_execz .LBB218_184
.LBB218_180:
	s_and_b64 vcc, exec, s[0:1]
	s_cbranch_vccnz .LBB218_182
; %bb.181:
	v_lshl_add_u64 v[30:31], v[46:47], 1, v[30:31]
	flat_load_ushort v30, v[30:31]
	s_waitcnt vmcnt(0) lgkmcnt(0)
	v_mul_f16_e32 v30, s28, v30
	s_branch .LBB218_183
.LBB218_182:
	v_mov_b32_e32 v30, 0
.LBB218_183:
	v_pk_add_f16 v24, v2, v24
	v_pk_max_f16 v31, v90, v90
	v_pk_add_f16 v25, v3, v25
	v_pk_min_f16 v24, v31, v24
	s_nop 0
	v_pk_min_f16 v24, v24, v25
	s_nop 0
	v_lshrrev_b32_e32 v25, 16, v24
	v_min3_f16 v30, v30, v24, v25
	v_lshl_add_u64 v[24:25], v[46:47], 1, v[28:29]
	global_store_short v[24:25], v30, off
.LBB218_184:
	s_or_b64 exec, exec, s[10:11]
	v_add_u32_e32 v30, 56, v85
	v_mad_i64_i32 v[24:25], s[18:19], v30, s23, 0
	v_cmp_gt_i32_e64 s[10:11], s13, v30
	v_lshl_add_u64 v[28:29], v[24:25], 1, s[16:17]
	v_mad_i64_i32 v[24:25], s[18:19], v30, s22, 0
	v_lshl_add_u64 v[24:25], v[24:25], 1, s[14:15]
	s_and_b64 s[20:21], s[2:3], s[10:11]
	s_and_saveexec_b64 s[18:19], s[20:21]
	s_cbranch_execnz .LBB218_188
; %bb.185:
	s_or_b64 exec, exec, s[18:19]
	s_and_b64 s[20:21], s[4:5], s[10:11]
	s_and_saveexec_b64 s[18:19], s[20:21]
	s_cbranch_execnz .LBB218_192
.LBB218_186:
	s_or_b64 exec, exec, s[18:19]
	s_and_b64 s[20:21], s[6:7], s[10:11]
	s_and_saveexec_b64 s[18:19], s[20:21]
	s_cbranch_execnz .LBB218_196
.LBB218_187:
	s_or_b64 exec, exec, s[18:19]
	s_and_b64 s[18:19], s[8:9], s[10:11]
	s_and_saveexec_b64 s[10:11], s[18:19]
	s_cbranch_execnz .LBB218_200
	s_branch .LBB218_204
.LBB218_188:
	s_and_b64 vcc, exec, s[0:1]
	s_cbranch_vccnz .LBB218_190
; %bb.189:
	v_lshl_add_u64 v[30:31], v[40:41], 1, v[28:29]
	flat_load_ushort v30, v[30:31]
	s_waitcnt vmcnt(0) lgkmcnt(0)
	v_mul_f16_e32 v30, s28, v30
	s_branch .LBB218_191
.LBB218_190:
	v_mov_b32_e32 v30, 0
.LBB218_191:
	v_pk_add_f16 v31, v8, v26
	v_pk_max_f16 v32, v89, v89
	s_nop 0
	v_pk_min_f16 v31, v32, v31
	v_pk_add_f16 v32, v9, v27
	s_nop 0
	v_pk_min_f16 v31, v31, v32
	s_nop 0
	v_lshrrev_b32_e32 v32, 16, v31
	v_min3_f16 v32, v30, v31, v32
	v_lshl_add_u64 v[30:31], v[40:41], 1, v[24:25]
	global_store_short v[30:31], v32, off
	s_or_b64 exec, exec, s[18:19]
	s_and_b64 s[20:21], s[4:5], s[10:11]
	s_and_saveexec_b64 s[18:19], s[20:21]
	s_cbranch_execz .LBB218_186
.LBB218_192:
	s_and_b64 vcc, exec, s[0:1]
	s_cbranch_vccnz .LBB218_194
; %bb.193:
	v_lshl_add_u64 v[30:31], v[42:43], 1, v[28:29]
	flat_load_ushort v30, v[30:31]
	s_waitcnt vmcnt(0) lgkmcnt(0)
	v_mul_f16_e32 v30, s28, v30
	s_branch .LBB218_195
.LBB218_194:
	v_mov_b32_e32 v30, 0
.LBB218_195:
	v_pk_add_f16 v31, v10, v26
	v_pk_max_f16 v32, v88, v88
	s_nop 0
	v_pk_min_f16 v31, v32, v31
	v_pk_add_f16 v32, v11, v27
	s_nop 0
	v_pk_min_f16 v31, v31, v32
	s_nop 0
	v_lshrrev_b32_e32 v32, 16, v31
	v_min3_f16 v32, v30, v31, v32
	v_lshl_add_u64 v[30:31], v[42:43], 1, v[24:25]
	global_store_short v[30:31], v32, off
	s_or_b64 exec, exec, s[18:19]
	s_and_b64 s[20:21], s[6:7], s[10:11]
	s_and_saveexec_b64 s[18:19], s[20:21]
	s_cbranch_execz .LBB218_187
.LBB218_196:
	s_and_b64 vcc, exec, s[0:1]
	s_cbranch_vccnz .LBB218_198
; %bb.197:
	v_lshl_add_u64 v[30:31], v[44:45], 1, v[28:29]
	flat_load_ushort v30, v[30:31]
	s_waitcnt vmcnt(0) lgkmcnt(0)
	v_mul_f16_e32 v30, s28, v30
	s_branch .LBB218_199
.LBB218_198:
	v_mov_b32_e32 v30, 0
.LBB218_199:
	v_pk_add_f16 v31, v0, v26
	v_pk_max_f16 v32, v87, v87
	s_nop 0
	v_pk_min_f16 v31, v32, v31
	v_pk_add_f16 v32, v1, v27
	s_nop 0
	v_pk_min_f16 v31, v31, v32
	s_nop 0
	v_lshrrev_b32_e32 v32, 16, v31
	v_min3_f16 v32, v30, v31, v32
	v_lshl_add_u64 v[30:31], v[44:45], 1, v[24:25]
	global_store_short v[30:31], v32, off
	s_or_b64 exec, exec, s[18:19]
	s_and_b64 s[18:19], s[8:9], s[10:11]
	s_and_saveexec_b64 s[10:11], s[18:19]
	s_cbranch_execz .LBB218_204
.LBB218_200:
	s_and_b64 vcc, exec, s[0:1]
	s_cbranch_vccnz .LBB218_202
; %bb.201:
	v_lshl_add_u64 v[28:29], v[46:47], 1, v[28:29]
	flat_load_ushort v28, v[28:29]
	s_waitcnt vmcnt(0) lgkmcnt(0)
	v_mul_f16_e32 v28, s28, v28
	s_branch .LBB218_203
.LBB218_202:
	v_mov_b32_e32 v28, 0
.LBB218_203:
	v_pk_add_f16 v26, v2, v26
	v_pk_max_f16 v29, v84, v84
	v_pk_add_f16 v27, v3, v27
	v_pk_min_f16 v26, v29, v26
	v_lshl_add_u64 v[24:25], v[46:47], 1, v[24:25]
	v_pk_min_f16 v26, v26, v27
	s_nop 0
	v_lshrrev_b32_e32 v27, 16, v26
	v_min3_f16 v26, v28, v26, v27
	global_store_short v[24:25], v26, off
.LBB218_204:
	s_or_b64 exec, exec, s[10:11]
	v_add_u32_e32 v28, 64, v85
	v_mad_i64_i32 v[24:25], s[18:19], v28, s23, 0
	v_cmp_gt_i32_e64 s[10:11], s13, v28
	v_lshl_add_u64 v[26:27], v[24:25], 1, s[16:17]
	v_mad_i64_i32 v[24:25], s[18:19], v28, s22, 0
	v_lshl_add_u64 v[24:25], v[24:25], 1, s[14:15]
	s_and_b64 s[20:21], s[2:3], s[10:11]
	s_and_saveexec_b64 s[18:19], s[20:21]
	s_cbranch_execnz .LBB218_208
; %bb.205:
	s_or_b64 exec, exec, s[18:19]
	s_and_b64 s[20:21], s[4:5], s[10:11]
	s_and_saveexec_b64 s[18:19], s[20:21]
	s_cbranch_execnz .LBB218_212
.LBB218_206:
	s_or_b64 exec, exec, s[18:19]
	s_and_b64 s[20:21], s[6:7], s[10:11]
	s_and_saveexec_b64 s[18:19], s[20:21]
	s_cbranch_execnz .LBB218_216
.LBB218_207:
	s_or_b64 exec, exec, s[18:19]
	s_and_b64 s[18:19], s[8:9], s[10:11]
	s_and_saveexec_b64 s[10:11], s[18:19]
	s_cbranch_execnz .LBB218_220
	s_branch .LBB218_224
.LBB218_208:
	s_and_b64 vcc, exec, s[0:1]
	s_cbranch_vccnz .LBB218_210
; %bb.209:
	v_lshl_add_u64 v[28:29], v[40:41], 1, v[26:27]
	flat_load_ushort v28, v[28:29]
	s_waitcnt vmcnt(0) lgkmcnt(0)
	v_mul_f16_e32 v28, s28, v28
	s_branch .LBB218_211
.LBB218_210:
	v_mov_b32_e32 v28, 0
.LBB218_211:
	v_pk_add_f16 v29, v8, v20
	v_pk_max_f16 v30, v83, v83
	s_nop 0
	v_pk_min_f16 v29, v30, v29
	v_pk_add_f16 v30, v9, v21
	s_nop 0
	v_pk_min_f16 v29, v29, v30
	s_nop 0
	v_lshrrev_b32_e32 v30, 16, v29
	v_min3_f16 v30, v28, v29, v30
	v_lshl_add_u64 v[28:29], v[40:41], 1, v[24:25]
	global_store_short v[28:29], v30, off
	s_or_b64 exec, exec, s[18:19]
	s_and_b64 s[20:21], s[4:5], s[10:11]
	s_and_saveexec_b64 s[18:19], s[20:21]
	s_cbranch_execz .LBB218_206
.LBB218_212:
	s_and_b64 vcc, exec, s[0:1]
	s_cbranch_vccnz .LBB218_214
; %bb.213:
	v_lshl_add_u64 v[28:29], v[42:43], 1, v[26:27]
	flat_load_ushort v28, v[28:29]
	s_waitcnt vmcnt(0) lgkmcnt(0)
	v_mul_f16_e32 v28, s28, v28
	s_branch .LBB218_215
.LBB218_214:
	v_mov_b32_e32 v28, 0
.LBB218_215:
	v_pk_add_f16 v29, v10, v20
	v_pk_max_f16 v30, v82, v82
	s_nop 0
	v_pk_min_f16 v29, v30, v29
	v_pk_add_f16 v30, v11, v21
	s_nop 0
	v_pk_min_f16 v29, v29, v30
	s_nop 0
	v_lshrrev_b32_e32 v30, 16, v29
	v_min3_f16 v30, v28, v29, v30
	v_lshl_add_u64 v[28:29], v[42:43], 1, v[24:25]
	global_store_short v[28:29], v30, off
	s_or_b64 exec, exec, s[18:19]
	s_and_b64 s[20:21], s[6:7], s[10:11]
	s_and_saveexec_b64 s[18:19], s[20:21]
	s_cbranch_execz .LBB218_207
.LBB218_216:
	s_and_b64 vcc, exec, s[0:1]
	s_cbranch_vccnz .LBB218_218
; %bb.217:
	v_lshl_add_u64 v[28:29], v[44:45], 1, v[26:27]
	flat_load_ushort v28, v[28:29]
	s_waitcnt vmcnt(0) lgkmcnt(0)
	v_mul_f16_e32 v28, s28, v28
	s_branch .LBB218_219
.LBB218_218:
	v_mov_b32_e32 v28, 0
.LBB218_219:
	v_pk_add_f16 v29, v0, v20
	v_pk_max_f16 v30, v81, v81
	s_nop 0
	v_pk_min_f16 v29, v30, v29
	v_pk_add_f16 v30, v1, v21
	s_nop 0
	v_pk_min_f16 v29, v29, v30
	s_nop 0
	v_lshrrev_b32_e32 v30, 16, v29
	v_min3_f16 v30, v28, v29, v30
	v_lshl_add_u64 v[28:29], v[44:45], 1, v[24:25]
	global_store_short v[28:29], v30, off
	s_or_b64 exec, exec, s[18:19]
	s_and_b64 s[18:19], s[8:9], s[10:11]
	s_and_saveexec_b64 s[10:11], s[18:19]
	s_cbranch_execz .LBB218_224
.LBB218_220:
	s_and_b64 vcc, exec, s[0:1]
	s_cbranch_vccnz .LBB218_222
; %bb.221:
	v_lshl_add_u64 v[26:27], v[46:47], 1, v[26:27]
	flat_load_ushort v26, v[26:27]
	s_waitcnt vmcnt(0) lgkmcnt(0)
	v_mul_f16_e32 v26, s28, v26
	s_branch .LBB218_223
.LBB218_222:
	v_mov_b32_e32 v26, 0
.LBB218_223:
	v_pk_add_f16 v20, v2, v20
	v_pk_max_f16 v27, v80, v80
	v_pk_add_f16 v21, v3, v21
	v_pk_min_f16 v20, v27, v20
	s_nop 0
	v_pk_min_f16 v20, v20, v21
	s_nop 0
	v_lshrrev_b32_e32 v21, 16, v20
	v_min3_f16 v26, v26, v20, v21
	v_lshl_add_u64 v[20:21], v[46:47], 1, v[24:25]
	global_store_short v[20:21], v26, off
.LBB218_224:
	s_or_b64 exec, exec, s[10:11]
	v_add_u32_e32 v26, 0x48, v85
	v_mad_i64_i32 v[20:21], s[18:19], v26, s23, 0
	v_cmp_gt_i32_e64 s[10:11], s13, v26
	v_lshl_add_u64 v[24:25], v[20:21], 1, s[16:17]
	v_mad_i64_i32 v[20:21], s[18:19], v26, s22, 0
	v_lshl_add_u64 v[20:21], v[20:21], 1, s[14:15]
	s_and_b64 s[20:21], s[2:3], s[10:11]
	s_and_saveexec_b64 s[18:19], s[20:21]
	s_cbranch_execnz .LBB218_228
; %bb.225:
	s_or_b64 exec, exec, s[18:19]
	s_and_b64 s[20:21], s[4:5], s[10:11]
	s_and_saveexec_b64 s[18:19], s[20:21]
	s_cbranch_execnz .LBB218_232
.LBB218_226:
	s_or_b64 exec, exec, s[18:19]
	s_and_b64 s[20:21], s[6:7], s[10:11]
	s_and_saveexec_b64 s[18:19], s[20:21]
	s_cbranch_execnz .LBB218_236
.LBB218_227:
	s_or_b64 exec, exec, s[18:19]
	s_and_b64 s[18:19], s[8:9], s[10:11]
	s_and_saveexec_b64 s[10:11], s[18:19]
	s_cbranch_execnz .LBB218_240
	s_branch .LBB218_244
.LBB218_228:
	s_and_b64 vcc, exec, s[0:1]
	s_cbranch_vccnz .LBB218_230
; %bb.229:
	v_lshl_add_u64 v[26:27], v[40:41], 1, v[24:25]
	flat_load_ushort v26, v[26:27]
	s_waitcnt vmcnt(0) lgkmcnt(0)
	v_mul_f16_e32 v26, s28, v26
	s_branch .LBB218_231
.LBB218_230:
	v_mov_b32_e32 v26, 0
.LBB218_231:
	v_pk_add_f16 v27, v8, v22
	v_pk_max_f16 v28, v79, v79
	s_nop 0
	v_pk_min_f16 v27, v28, v27
	v_pk_add_f16 v28, v9, v23
	s_nop 0
	v_pk_min_f16 v27, v27, v28
	s_nop 0
	v_lshrrev_b32_e32 v28, 16, v27
	v_min3_f16 v28, v26, v27, v28
	v_lshl_add_u64 v[26:27], v[40:41], 1, v[20:21]
	global_store_short v[26:27], v28, off
	s_or_b64 exec, exec, s[18:19]
	s_and_b64 s[20:21], s[4:5], s[10:11]
	s_and_saveexec_b64 s[18:19], s[20:21]
	s_cbranch_execz .LBB218_226
.LBB218_232:
	s_and_b64 vcc, exec, s[0:1]
	s_cbranch_vccnz .LBB218_234
; %bb.233:
	v_lshl_add_u64 v[26:27], v[42:43], 1, v[24:25]
	flat_load_ushort v26, v[26:27]
	s_waitcnt vmcnt(0) lgkmcnt(0)
	v_mul_f16_e32 v26, s28, v26
	s_branch .LBB218_235
.LBB218_234:
	v_mov_b32_e32 v26, 0
.LBB218_235:
	v_pk_add_f16 v27, v10, v22
	v_pk_max_f16 v28, v78, v78
	s_nop 0
	v_pk_min_f16 v27, v28, v27
	v_pk_add_f16 v28, v11, v23
	s_nop 0
	v_pk_min_f16 v27, v27, v28
	s_nop 0
	v_lshrrev_b32_e32 v28, 16, v27
	v_min3_f16 v28, v26, v27, v28
	v_lshl_add_u64 v[26:27], v[42:43], 1, v[20:21]
	global_store_short v[26:27], v28, off
	s_or_b64 exec, exec, s[18:19]
	s_and_b64 s[20:21], s[6:7], s[10:11]
	s_and_saveexec_b64 s[18:19], s[20:21]
	s_cbranch_execz .LBB218_227
.LBB218_236:
	s_and_b64 vcc, exec, s[0:1]
	s_cbranch_vccnz .LBB218_238
; %bb.237:
	v_lshl_add_u64 v[26:27], v[44:45], 1, v[24:25]
	flat_load_ushort v26, v[26:27]
	s_waitcnt vmcnt(0) lgkmcnt(0)
	v_mul_f16_e32 v26, s28, v26
	s_branch .LBB218_239
.LBB218_238:
	v_mov_b32_e32 v26, 0
.LBB218_239:
	v_pk_add_f16 v27, v0, v22
	v_pk_max_f16 v28, v77, v77
	s_nop 0
	v_pk_min_f16 v27, v28, v27
	v_pk_add_f16 v28, v1, v23
	s_nop 0
	v_pk_min_f16 v27, v27, v28
	s_nop 0
	v_lshrrev_b32_e32 v28, 16, v27
	v_min3_f16 v28, v26, v27, v28
	v_lshl_add_u64 v[26:27], v[44:45], 1, v[20:21]
	global_store_short v[26:27], v28, off
	s_or_b64 exec, exec, s[18:19]
	s_and_b64 s[18:19], s[8:9], s[10:11]
	s_and_saveexec_b64 s[10:11], s[18:19]
	s_cbranch_execz .LBB218_244
.LBB218_240:
	s_and_b64 vcc, exec, s[0:1]
	s_cbranch_vccnz .LBB218_242
; %bb.241:
	v_lshl_add_u64 v[24:25], v[46:47], 1, v[24:25]
	flat_load_ushort v24, v[24:25]
	s_waitcnt vmcnt(0) lgkmcnt(0)
	v_mul_f16_e32 v24, s28, v24
	s_branch .LBB218_243
.LBB218_242:
	v_mov_b32_e32 v24, 0
.LBB218_243:
	v_pk_add_f16 v22, v2, v22
	v_pk_max_f16 v25, v76, v76
	v_pk_add_f16 v23, v3, v23
	v_pk_min_f16 v22, v25, v22
	v_lshl_add_u64 v[20:21], v[46:47], 1, v[20:21]
	v_pk_min_f16 v22, v22, v23
	s_nop 0
	v_lshrrev_b32_e32 v23, 16, v22
	v_min3_f16 v22, v24, v22, v23
	global_store_short v[20:21], v22, off
.LBB218_244:
	s_or_b64 exec, exec, s[10:11]
	v_add_u32_e32 v24, 0x50, v85
	v_mad_i64_i32 v[20:21], s[18:19], v24, s23, 0
	v_cmp_gt_i32_e64 s[10:11], s13, v24
	v_lshl_add_u64 v[22:23], v[20:21], 1, s[16:17]
	v_mad_i64_i32 v[20:21], s[18:19], v24, s22, 0
	v_lshl_add_u64 v[20:21], v[20:21], 1, s[14:15]
	s_and_b64 s[20:21], s[2:3], s[10:11]
	s_and_saveexec_b64 s[18:19], s[20:21]
	s_cbranch_execnz .LBB218_248
; %bb.245:
	s_or_b64 exec, exec, s[18:19]
	s_and_b64 s[20:21], s[4:5], s[10:11]
	s_and_saveexec_b64 s[18:19], s[20:21]
	s_cbranch_execnz .LBB218_252
.LBB218_246:
	s_or_b64 exec, exec, s[18:19]
	s_and_b64 s[20:21], s[6:7], s[10:11]
	s_and_saveexec_b64 s[18:19], s[20:21]
	s_cbranch_execnz .LBB218_256
.LBB218_247:
	s_or_b64 exec, exec, s[18:19]
	s_and_b64 s[18:19], s[8:9], s[10:11]
	s_and_saveexec_b64 s[10:11], s[18:19]
	s_cbranch_execnz .LBB218_260
	s_branch .LBB218_264
.LBB218_248:
	s_and_b64 vcc, exec, s[0:1]
	s_cbranch_vccnz .LBB218_250
; %bb.249:
	v_lshl_add_u64 v[24:25], v[40:41], 1, v[22:23]
	flat_load_ushort v24, v[24:25]
	s_waitcnt vmcnt(0) lgkmcnt(0)
	v_mul_f16_e32 v24, s28, v24
	s_branch .LBB218_251
.LBB218_250:
	v_mov_b32_e32 v24, 0
.LBB218_251:
	v_pk_add_f16 v25, v8, v16
	v_pk_max_f16 v26, v75, v75
	s_nop 0
	v_pk_min_f16 v25, v26, v25
	v_pk_add_f16 v26, v9, v17
	s_nop 0
	v_pk_min_f16 v25, v25, v26
	s_nop 0
	v_lshrrev_b32_e32 v26, 16, v25
	v_min3_f16 v26, v24, v25, v26
	v_lshl_add_u64 v[24:25], v[40:41], 1, v[20:21]
	global_store_short v[24:25], v26, off
	s_or_b64 exec, exec, s[18:19]
	s_and_b64 s[20:21], s[4:5], s[10:11]
	s_and_saveexec_b64 s[18:19], s[20:21]
	s_cbranch_execz .LBB218_246
.LBB218_252:
	s_and_b64 vcc, exec, s[0:1]
	s_cbranch_vccnz .LBB218_254
; %bb.253:
	v_lshl_add_u64 v[24:25], v[42:43], 1, v[22:23]
	flat_load_ushort v24, v[24:25]
	s_waitcnt vmcnt(0) lgkmcnt(0)
	v_mul_f16_e32 v24, s28, v24
	s_branch .LBB218_255
.LBB218_254:
	v_mov_b32_e32 v24, 0
.LBB218_255:
	v_pk_add_f16 v25, v10, v16
	v_pk_max_f16 v26, v74, v74
	s_nop 0
	v_pk_min_f16 v25, v26, v25
	v_pk_add_f16 v26, v11, v17
	s_nop 0
	v_pk_min_f16 v25, v25, v26
	s_nop 0
	v_lshrrev_b32_e32 v26, 16, v25
	v_min3_f16 v26, v24, v25, v26
	v_lshl_add_u64 v[24:25], v[42:43], 1, v[20:21]
	global_store_short v[24:25], v26, off
	s_or_b64 exec, exec, s[18:19]
	s_and_b64 s[20:21], s[6:7], s[10:11]
	s_and_saveexec_b64 s[18:19], s[20:21]
	s_cbranch_execz .LBB218_247
.LBB218_256:
	s_and_b64 vcc, exec, s[0:1]
	s_cbranch_vccnz .LBB218_258
; %bb.257:
	v_lshl_add_u64 v[24:25], v[44:45], 1, v[22:23]
	flat_load_ushort v24, v[24:25]
	s_waitcnt vmcnt(0) lgkmcnt(0)
	v_mul_f16_e32 v24, s28, v24
	s_branch .LBB218_259
.LBB218_258:
	v_mov_b32_e32 v24, 0
.LBB218_259:
	v_pk_add_f16 v25, v0, v16
	v_pk_max_f16 v26, v73, v73
	s_nop 0
	v_pk_min_f16 v25, v26, v25
	v_pk_add_f16 v26, v1, v17
	s_nop 0
	v_pk_min_f16 v25, v25, v26
	s_nop 0
	v_lshrrev_b32_e32 v26, 16, v25
	v_min3_f16 v26, v24, v25, v26
	v_lshl_add_u64 v[24:25], v[44:45], 1, v[20:21]
	global_store_short v[24:25], v26, off
	s_or_b64 exec, exec, s[18:19]
	s_and_b64 s[18:19], s[8:9], s[10:11]
	s_and_saveexec_b64 s[10:11], s[18:19]
	s_cbranch_execz .LBB218_264
.LBB218_260:
	s_and_b64 vcc, exec, s[0:1]
	s_cbranch_vccnz .LBB218_262
; %bb.261:
	v_lshl_add_u64 v[22:23], v[46:47], 1, v[22:23]
	flat_load_ushort v22, v[22:23]
	s_waitcnt vmcnt(0) lgkmcnt(0)
	v_mul_f16_e32 v22, s28, v22
	s_branch .LBB218_263
.LBB218_262:
	v_mov_b32_e32 v22, 0
.LBB218_263:
	v_pk_add_f16 v16, v2, v16
	v_pk_max_f16 v23, v72, v72
	v_pk_add_f16 v17, v3, v17
	v_pk_min_f16 v16, v23, v16
	s_nop 0
	v_pk_min_f16 v16, v16, v17
	s_nop 0
	v_lshrrev_b32_e32 v17, 16, v16
	v_min3_f16 v22, v22, v16, v17
	v_lshl_add_u64 v[16:17], v[46:47], 1, v[20:21]
	global_store_short v[16:17], v22, off
.LBB218_264:
	s_or_b64 exec, exec, s[10:11]
	v_add_u32_e32 v22, 0x58, v85
	v_mad_i64_i32 v[16:17], s[18:19], v22, s23, 0
	v_cmp_gt_i32_e64 s[10:11], s13, v22
	v_lshl_add_u64 v[20:21], v[16:17], 1, s[16:17]
	v_mad_i64_i32 v[16:17], s[18:19], v22, s22, 0
	v_lshl_add_u64 v[16:17], v[16:17], 1, s[14:15]
	s_and_b64 s[20:21], s[2:3], s[10:11]
	s_and_saveexec_b64 s[18:19], s[20:21]
	s_cbranch_execnz .LBB218_268
; %bb.265:
	s_or_b64 exec, exec, s[18:19]
	s_and_b64 s[20:21], s[4:5], s[10:11]
	s_and_saveexec_b64 s[18:19], s[20:21]
	s_cbranch_execnz .LBB218_272
.LBB218_266:
	s_or_b64 exec, exec, s[18:19]
	s_and_b64 s[20:21], s[6:7], s[10:11]
	s_and_saveexec_b64 s[18:19], s[20:21]
	s_cbranch_execnz .LBB218_276
.LBB218_267:
	s_or_b64 exec, exec, s[18:19]
	s_and_b64 s[18:19], s[8:9], s[10:11]
	s_and_saveexec_b64 s[10:11], s[18:19]
	s_cbranch_execnz .LBB218_280
	s_branch .LBB218_284
.LBB218_268:
	s_and_b64 vcc, exec, s[0:1]
	s_cbranch_vccnz .LBB218_270
; %bb.269:
	v_lshl_add_u64 v[22:23], v[40:41], 1, v[20:21]
	flat_load_ushort v22, v[22:23]
	s_waitcnt vmcnt(0) lgkmcnt(0)
	v_mul_f16_e32 v22, s28, v22
	s_branch .LBB218_271
.LBB218_270:
	v_mov_b32_e32 v22, 0
.LBB218_271:
	v_pk_add_f16 v23, v8, v18
	v_pk_max_f16 v24, v71, v71
	s_nop 0
	v_pk_min_f16 v23, v24, v23
	v_pk_add_f16 v24, v9, v19
	s_nop 0
	v_pk_min_f16 v23, v23, v24
	s_nop 0
	v_lshrrev_b32_e32 v24, 16, v23
	v_min3_f16 v24, v22, v23, v24
	v_lshl_add_u64 v[22:23], v[40:41], 1, v[16:17]
	global_store_short v[22:23], v24, off
	s_or_b64 exec, exec, s[18:19]
	s_and_b64 s[20:21], s[4:5], s[10:11]
	s_and_saveexec_b64 s[18:19], s[20:21]
	s_cbranch_execz .LBB218_266
.LBB218_272:
	s_and_b64 vcc, exec, s[0:1]
	s_cbranch_vccnz .LBB218_274
; %bb.273:
	v_lshl_add_u64 v[22:23], v[42:43], 1, v[20:21]
	flat_load_ushort v22, v[22:23]
	s_waitcnt vmcnt(0) lgkmcnt(0)
	v_mul_f16_e32 v22, s28, v22
	s_branch .LBB218_275
.LBB218_274:
	v_mov_b32_e32 v22, 0
.LBB218_275:
	v_pk_add_f16 v23, v10, v18
	v_pk_max_f16 v24, v70, v70
	s_nop 0
	v_pk_min_f16 v23, v24, v23
	v_pk_add_f16 v24, v11, v19
	s_nop 0
	v_pk_min_f16 v23, v23, v24
	s_nop 0
	v_lshrrev_b32_e32 v24, 16, v23
	v_min3_f16 v24, v22, v23, v24
	v_lshl_add_u64 v[22:23], v[42:43], 1, v[16:17]
	global_store_short v[22:23], v24, off
	s_or_b64 exec, exec, s[18:19]
	s_and_b64 s[20:21], s[6:7], s[10:11]
	s_and_saveexec_b64 s[18:19], s[20:21]
	s_cbranch_execz .LBB218_267
.LBB218_276:
	s_and_b64 vcc, exec, s[0:1]
	s_cbranch_vccnz .LBB218_278
; %bb.277:
	v_lshl_add_u64 v[22:23], v[44:45], 1, v[20:21]
	flat_load_ushort v22, v[22:23]
	s_waitcnt vmcnt(0) lgkmcnt(0)
	v_mul_f16_e32 v22, s28, v22
	s_branch .LBB218_279
.LBB218_278:
	v_mov_b32_e32 v22, 0
.LBB218_279:
	v_pk_add_f16 v23, v0, v18
	v_pk_max_f16 v24, v69, v69
	s_nop 0
	v_pk_min_f16 v23, v24, v23
	v_pk_add_f16 v24, v1, v19
	s_nop 0
	v_pk_min_f16 v23, v23, v24
	s_nop 0
	v_lshrrev_b32_e32 v24, 16, v23
	v_min3_f16 v24, v22, v23, v24
	v_lshl_add_u64 v[22:23], v[44:45], 1, v[16:17]
	global_store_short v[22:23], v24, off
	s_or_b64 exec, exec, s[18:19]
	s_and_b64 s[18:19], s[8:9], s[10:11]
	s_and_saveexec_b64 s[10:11], s[18:19]
	s_cbranch_execz .LBB218_284
.LBB218_280:
	s_and_b64 vcc, exec, s[0:1]
	s_cbranch_vccnz .LBB218_282
; %bb.281:
	v_lshl_add_u64 v[20:21], v[46:47], 1, v[20:21]
	flat_load_ushort v20, v[20:21]
	s_waitcnt vmcnt(0) lgkmcnt(0)
	v_mul_f16_e32 v20, s28, v20
	s_branch .LBB218_283
.LBB218_282:
	v_mov_b32_e32 v20, 0
.LBB218_283:
	v_pk_add_f16 v18, v2, v18
	v_pk_max_f16 v21, v68, v68
	v_pk_add_f16 v19, v3, v19
	v_pk_min_f16 v18, v21, v18
	v_lshl_add_u64 v[16:17], v[46:47], 1, v[16:17]
	v_pk_min_f16 v18, v18, v19
	s_nop 0
	v_lshrrev_b32_e32 v19, 16, v18
	v_min3_f16 v18, v20, v18, v19
	global_store_short v[16:17], v18, off
.LBB218_284:
	s_or_b64 exec, exec, s[10:11]
	v_add_u32_e32 v20, 0x60, v85
	v_mad_i64_i32 v[16:17], s[18:19], v20, s23, 0
	v_cmp_gt_i32_e64 s[10:11], s13, v20
	v_lshl_add_u64 v[18:19], v[16:17], 1, s[16:17]
	v_mad_i64_i32 v[16:17], s[18:19], v20, s22, 0
	v_lshl_add_u64 v[16:17], v[16:17], 1, s[14:15]
	s_and_b64 s[20:21], s[2:3], s[10:11]
	s_and_saveexec_b64 s[18:19], s[20:21]
	s_cbranch_execnz .LBB218_288
; %bb.285:
	s_or_b64 exec, exec, s[18:19]
	s_and_b64 s[20:21], s[4:5], s[10:11]
	s_and_saveexec_b64 s[18:19], s[20:21]
	s_cbranch_execnz .LBB218_292
.LBB218_286:
	s_or_b64 exec, exec, s[18:19]
	s_and_b64 s[20:21], s[6:7], s[10:11]
	s_and_saveexec_b64 s[18:19], s[20:21]
	s_cbranch_execnz .LBB218_296
.LBB218_287:
	s_or_b64 exec, exec, s[18:19]
	s_and_b64 s[18:19], s[8:9], s[10:11]
	s_and_saveexec_b64 s[10:11], s[18:19]
	s_cbranch_execnz .LBB218_300
	s_branch .LBB218_304
.LBB218_288:
	s_and_b64 vcc, exec, s[0:1]
	s_cbranch_vccnz .LBB218_290
; %bb.289:
	v_lshl_add_u64 v[20:21], v[40:41], 1, v[18:19]
	flat_load_ushort v20, v[20:21]
	s_waitcnt vmcnt(0) lgkmcnt(0)
	v_mul_f16_e32 v20, s28, v20
	s_branch .LBB218_291
.LBB218_290:
	v_mov_b32_e32 v20, 0
.LBB218_291:
	v_pk_add_f16 v21, v8, v12
	v_pk_max_f16 v22, v67, v67
	s_nop 0
	v_pk_min_f16 v21, v22, v21
	v_pk_add_f16 v22, v9, v13
	s_nop 0
	v_pk_min_f16 v21, v21, v22
	s_nop 0
	v_lshrrev_b32_e32 v22, 16, v21
	v_min3_f16 v22, v20, v21, v22
	v_lshl_add_u64 v[20:21], v[40:41], 1, v[16:17]
	global_store_short v[20:21], v22, off
	s_or_b64 exec, exec, s[18:19]
	s_and_b64 s[20:21], s[4:5], s[10:11]
	s_and_saveexec_b64 s[18:19], s[20:21]
	s_cbranch_execz .LBB218_286
.LBB218_292:
	s_and_b64 vcc, exec, s[0:1]
	s_cbranch_vccnz .LBB218_294
; %bb.293:
	v_lshl_add_u64 v[20:21], v[42:43], 1, v[18:19]
	flat_load_ushort v20, v[20:21]
	s_waitcnt vmcnt(0) lgkmcnt(0)
	v_mul_f16_e32 v20, s28, v20
	s_branch .LBB218_295
.LBB218_294:
	v_mov_b32_e32 v20, 0
.LBB218_295:
	v_pk_add_f16 v21, v10, v12
	v_pk_max_f16 v22, v66, v66
	s_nop 0
	v_pk_min_f16 v21, v22, v21
	v_pk_add_f16 v22, v11, v13
	s_nop 0
	v_pk_min_f16 v21, v21, v22
	s_nop 0
	v_lshrrev_b32_e32 v22, 16, v21
	v_min3_f16 v22, v20, v21, v22
	v_lshl_add_u64 v[20:21], v[42:43], 1, v[16:17]
	global_store_short v[20:21], v22, off
	s_or_b64 exec, exec, s[18:19]
	s_and_b64 s[20:21], s[6:7], s[10:11]
	s_and_saveexec_b64 s[18:19], s[20:21]
	s_cbranch_execz .LBB218_287
.LBB218_296:
	s_and_b64 vcc, exec, s[0:1]
	s_cbranch_vccnz .LBB218_298
; %bb.297:
	v_lshl_add_u64 v[20:21], v[44:45], 1, v[18:19]
	flat_load_ushort v20, v[20:21]
	s_waitcnt vmcnt(0) lgkmcnt(0)
	v_mul_f16_e32 v20, s28, v20
	s_branch .LBB218_299
.LBB218_298:
	v_mov_b32_e32 v20, 0
.LBB218_299:
	v_pk_add_f16 v21, v0, v12
	v_pk_max_f16 v22, v65, v65
	s_nop 0
	v_pk_min_f16 v21, v22, v21
	v_pk_add_f16 v22, v1, v13
	s_nop 0
	v_pk_min_f16 v21, v21, v22
	s_nop 0
	v_lshrrev_b32_e32 v22, 16, v21
	v_min3_f16 v22, v20, v21, v22
	v_lshl_add_u64 v[20:21], v[44:45], 1, v[16:17]
	global_store_short v[20:21], v22, off
	s_or_b64 exec, exec, s[18:19]
	s_and_b64 s[18:19], s[8:9], s[10:11]
	s_and_saveexec_b64 s[10:11], s[18:19]
	s_cbranch_execz .LBB218_304
.LBB218_300:
	s_and_b64 vcc, exec, s[0:1]
	s_cbranch_vccnz .LBB218_302
; %bb.301:
	v_lshl_add_u64 v[18:19], v[46:47], 1, v[18:19]
	flat_load_ushort v18, v[18:19]
	s_waitcnt vmcnt(0) lgkmcnt(0)
	v_mul_f16_e32 v18, s28, v18
	s_branch .LBB218_303
.LBB218_302:
	v_mov_b32_e32 v18, 0
.LBB218_303:
	v_pk_add_f16 v12, v2, v12
	v_pk_max_f16 v19, v64, v64
	v_pk_add_f16 v13, v3, v13
	v_pk_min_f16 v12, v19, v12
	s_nop 0
	v_pk_min_f16 v12, v12, v13
	s_nop 0
	v_lshrrev_b32_e32 v13, 16, v12
	v_min3_f16 v18, v18, v12, v13
	v_lshl_add_u64 v[12:13], v[46:47], 1, v[16:17]
	global_store_short v[12:13], v18, off
.LBB218_304:
	s_or_b64 exec, exec, s[10:11]
	v_add_u32_e32 v18, 0x68, v85
	v_mad_i64_i32 v[12:13], s[18:19], v18, s23, 0
	v_cmp_gt_i32_e64 s[10:11], s13, v18
	v_lshl_add_u64 v[16:17], v[12:13], 1, s[16:17]
	v_mad_i64_i32 v[12:13], s[18:19], v18, s22, 0
	v_lshl_add_u64 v[12:13], v[12:13], 1, s[14:15]
	s_and_b64 s[20:21], s[2:3], s[10:11]
	s_and_saveexec_b64 s[18:19], s[20:21]
	s_cbranch_execnz .LBB218_308
; %bb.305:
	s_or_b64 exec, exec, s[18:19]
	s_and_b64 s[20:21], s[4:5], s[10:11]
	s_and_saveexec_b64 s[18:19], s[20:21]
	s_cbranch_execnz .LBB218_312
.LBB218_306:
	s_or_b64 exec, exec, s[18:19]
	s_and_b64 s[20:21], s[6:7], s[10:11]
	s_and_saveexec_b64 s[18:19], s[20:21]
	s_cbranch_execnz .LBB218_316
.LBB218_307:
	s_or_b64 exec, exec, s[18:19]
	s_and_b64 s[18:19], s[8:9], s[10:11]
	s_and_saveexec_b64 s[10:11], s[18:19]
	s_cbranch_execnz .LBB218_320
	s_branch .LBB218_324
.LBB218_308:
	s_and_b64 vcc, exec, s[0:1]
	s_cbranch_vccnz .LBB218_310
; %bb.309:
	v_lshl_add_u64 v[18:19], v[40:41], 1, v[16:17]
	flat_load_ushort v18, v[18:19]
	s_waitcnt vmcnt(0) lgkmcnt(0)
	v_mul_f16_e32 v18, s28, v18
	s_branch .LBB218_311
.LBB218_310:
	v_mov_b32_e32 v18, 0
.LBB218_311:
	v_pk_add_f16 v19, v8, v14
	v_pk_max_f16 v20, v63, v63
	s_nop 0
	v_pk_min_f16 v19, v20, v19
	v_pk_add_f16 v20, v9, v15
	s_nop 0
	v_pk_min_f16 v19, v19, v20
	s_nop 0
	v_lshrrev_b32_e32 v20, 16, v19
	v_min3_f16 v20, v18, v19, v20
	v_lshl_add_u64 v[18:19], v[40:41], 1, v[12:13]
	global_store_short v[18:19], v20, off
	s_or_b64 exec, exec, s[18:19]
	s_and_b64 s[20:21], s[4:5], s[10:11]
	s_and_saveexec_b64 s[18:19], s[20:21]
	s_cbranch_execz .LBB218_306
.LBB218_312:
	s_and_b64 vcc, exec, s[0:1]
	s_cbranch_vccnz .LBB218_314
; %bb.313:
	v_lshl_add_u64 v[18:19], v[42:43], 1, v[16:17]
	flat_load_ushort v18, v[18:19]
	s_waitcnt vmcnt(0) lgkmcnt(0)
	v_mul_f16_e32 v18, s28, v18
	s_branch .LBB218_315
.LBB218_314:
	v_mov_b32_e32 v18, 0
.LBB218_315:
	v_pk_add_f16 v19, v10, v14
	v_pk_max_f16 v20, v62, v62
	s_nop 0
	v_pk_min_f16 v19, v20, v19
	v_pk_add_f16 v20, v11, v15
	s_nop 0
	v_pk_min_f16 v19, v19, v20
	s_nop 0
	v_lshrrev_b32_e32 v20, 16, v19
	v_min3_f16 v20, v18, v19, v20
	v_lshl_add_u64 v[18:19], v[42:43], 1, v[12:13]
	global_store_short v[18:19], v20, off
	s_or_b64 exec, exec, s[18:19]
	s_and_b64 s[20:21], s[6:7], s[10:11]
	s_and_saveexec_b64 s[18:19], s[20:21]
	s_cbranch_execz .LBB218_307
.LBB218_316:
	s_and_b64 vcc, exec, s[0:1]
	s_cbranch_vccnz .LBB218_318
; %bb.317:
	v_lshl_add_u64 v[18:19], v[44:45], 1, v[16:17]
	flat_load_ushort v18, v[18:19]
	s_waitcnt vmcnt(0) lgkmcnt(0)
	v_mul_f16_e32 v18, s28, v18
	s_branch .LBB218_319
.LBB218_318:
	v_mov_b32_e32 v18, 0
.LBB218_319:
	v_pk_add_f16 v19, v0, v14
	v_pk_max_f16 v20, v61, v61
	s_nop 0
	v_pk_min_f16 v19, v20, v19
	v_pk_add_f16 v20, v1, v15
	s_nop 0
	v_pk_min_f16 v19, v19, v20
	s_nop 0
	v_lshrrev_b32_e32 v20, 16, v19
	v_min3_f16 v20, v18, v19, v20
	v_lshl_add_u64 v[18:19], v[44:45], 1, v[12:13]
	global_store_short v[18:19], v20, off
	s_or_b64 exec, exec, s[18:19]
	s_and_b64 s[18:19], s[8:9], s[10:11]
	s_and_saveexec_b64 s[10:11], s[18:19]
	s_cbranch_execz .LBB218_324
.LBB218_320:
	s_and_b64 vcc, exec, s[0:1]
	s_cbranch_vccnz .LBB218_322
; %bb.321:
	v_lshl_add_u64 v[16:17], v[46:47], 1, v[16:17]
	flat_load_ushort v16, v[16:17]
	s_waitcnt vmcnt(0) lgkmcnt(0)
	v_mul_f16_e32 v16, s28, v16
	s_branch .LBB218_323
.LBB218_322:
	v_mov_b32_e32 v16, 0
.LBB218_323:
	v_pk_add_f16 v14, v2, v14
	v_pk_max_f16 v17, v60, v60
	v_pk_add_f16 v15, v3, v15
	v_pk_min_f16 v14, v17, v14
	v_lshl_add_u64 v[12:13], v[46:47], 1, v[12:13]
	v_pk_min_f16 v14, v14, v15
	s_nop 0
	v_lshrrev_b32_e32 v15, 16, v14
	v_min3_f16 v14, v16, v14, v15
	global_store_short v[12:13], v14, off
.LBB218_324:
	s_or_b64 exec, exec, s[10:11]
	v_add_u32_e32 v16, 0x70, v85
	v_mad_i64_i32 v[12:13], s[18:19], v16, s23, 0
	v_cmp_gt_i32_e64 s[10:11], s13, v16
	v_lshl_add_u64 v[14:15], v[12:13], 1, s[16:17]
	v_mad_i64_i32 v[12:13], s[18:19], v16, s22, 0
	v_lshl_add_u64 v[12:13], v[12:13], 1, s[14:15]
	s_and_b64 s[20:21], s[2:3], s[10:11]
	s_and_saveexec_b64 s[18:19], s[20:21]
	s_cbranch_execnz .LBB218_328
; %bb.325:
	s_or_b64 exec, exec, s[18:19]
	s_and_b64 s[20:21], s[4:5], s[10:11]
	s_and_saveexec_b64 s[18:19], s[20:21]
	s_cbranch_execnz .LBB218_332
.LBB218_326:
	s_or_b64 exec, exec, s[18:19]
	s_and_b64 s[20:21], s[6:7], s[10:11]
	s_and_saveexec_b64 s[18:19], s[20:21]
	s_cbranch_execnz .LBB218_336
.LBB218_327:
	s_or_b64 exec, exec, s[18:19]
	s_and_b64 s[18:19], s[8:9], s[10:11]
	s_and_saveexec_b64 s[10:11], s[18:19]
	s_cbranch_execnz .LBB218_340
	s_branch .LBB218_344
.LBB218_328:
	s_and_b64 vcc, exec, s[0:1]
	s_cbranch_vccnz .LBB218_330
; %bb.329:
	v_lshl_add_u64 v[16:17], v[40:41], 1, v[14:15]
	flat_load_ushort v16, v[16:17]
	s_waitcnt vmcnt(0) lgkmcnt(0)
	v_mul_f16_e32 v16, s28, v16
	s_branch .LBB218_331
.LBB218_330:
	v_mov_b32_e32 v16, 0
.LBB218_331:
	v_pk_add_f16 v17, v8, v4
	v_pk_max_f16 v18, v59, v59
	s_nop 0
	v_pk_min_f16 v17, v18, v17
	v_pk_add_f16 v18, v9, v5
	s_nop 0
	v_pk_min_f16 v17, v17, v18
	s_nop 0
	v_lshrrev_b32_e32 v18, 16, v17
	v_min3_f16 v18, v16, v17, v18
	v_lshl_add_u64 v[16:17], v[40:41], 1, v[12:13]
	global_store_short v[16:17], v18, off
	s_or_b64 exec, exec, s[18:19]
	s_and_b64 s[20:21], s[4:5], s[10:11]
	s_and_saveexec_b64 s[18:19], s[20:21]
	s_cbranch_execz .LBB218_326
.LBB218_332:
	s_and_b64 vcc, exec, s[0:1]
	s_cbranch_vccnz .LBB218_334
; %bb.333:
	v_lshl_add_u64 v[16:17], v[42:43], 1, v[14:15]
	flat_load_ushort v16, v[16:17]
	s_waitcnt vmcnt(0) lgkmcnt(0)
	v_mul_f16_e32 v16, s28, v16
	s_branch .LBB218_335
.LBB218_334:
	v_mov_b32_e32 v16, 0
.LBB218_335:
	v_pk_add_f16 v17, v10, v4
	v_pk_max_f16 v18, v58, v58
	s_nop 0
	v_pk_min_f16 v17, v18, v17
	v_pk_add_f16 v18, v11, v5
	s_nop 0
	v_pk_min_f16 v17, v17, v18
	s_nop 0
	v_lshrrev_b32_e32 v18, 16, v17
	v_min3_f16 v18, v16, v17, v18
	v_lshl_add_u64 v[16:17], v[42:43], 1, v[12:13]
	global_store_short v[16:17], v18, off
	s_or_b64 exec, exec, s[18:19]
	s_and_b64 s[20:21], s[6:7], s[10:11]
	s_and_saveexec_b64 s[18:19], s[20:21]
	s_cbranch_execz .LBB218_327
.LBB218_336:
	s_and_b64 vcc, exec, s[0:1]
	s_cbranch_vccnz .LBB218_338
; %bb.337:
	v_lshl_add_u64 v[16:17], v[44:45], 1, v[14:15]
	flat_load_ushort v16, v[16:17]
	s_waitcnt vmcnt(0) lgkmcnt(0)
	v_mul_f16_e32 v16, s28, v16
	s_branch .LBB218_339
.LBB218_338:
	v_mov_b32_e32 v16, 0
.LBB218_339:
	v_pk_add_f16 v17, v0, v4
	v_pk_max_f16 v18, v57, v57
	s_nop 0
	v_pk_min_f16 v17, v18, v17
	v_pk_add_f16 v18, v1, v5
	s_nop 0
	v_pk_min_f16 v17, v17, v18
	s_nop 0
	v_lshrrev_b32_e32 v18, 16, v17
	v_min3_f16 v18, v16, v17, v18
	v_lshl_add_u64 v[16:17], v[44:45], 1, v[12:13]
	global_store_short v[16:17], v18, off
	s_or_b64 exec, exec, s[18:19]
	s_and_b64 s[18:19], s[8:9], s[10:11]
	s_and_saveexec_b64 s[10:11], s[18:19]
	s_cbranch_execz .LBB218_344
.LBB218_340:
	s_and_b64 vcc, exec, s[0:1]
	s_cbranch_vccnz .LBB218_342
; %bb.341:
	v_lshl_add_u64 v[14:15], v[46:47], 1, v[14:15]
	flat_load_ushort v14, v[14:15]
	s_waitcnt vmcnt(0) lgkmcnt(0)
	v_mul_f16_e32 v14, s28, v14
	s_branch .LBB218_343
.LBB218_342:
	v_mov_b32_e32 v14, 0
.LBB218_343:
	v_pk_add_f16 v4, v2, v4
	v_pk_max_f16 v15, v56, v56
	v_pk_add_f16 v5, v3, v5
	v_pk_min_f16 v4, v15, v4
	s_nop 0
	v_pk_min_f16 v4, v4, v5
	s_nop 0
	v_lshrrev_b32_e32 v5, 16, v4
	v_min3_f16 v14, v14, v4, v5
	v_lshl_add_u64 v[4:5], v[46:47], 1, v[12:13]
	global_store_short v[4:5], v14, off
.LBB218_344:
	s_or_b64 exec, exec, s[10:11]
	v_add_u32_e32 v14, 0x78, v85
	v_cmp_gt_i32_e64 s[10:11], s13, v14
	v_mad_i64_i32 v[4:5], s[12:13], v14, s23, 0
	v_lshl_add_u64 v[12:13], v[4:5], 1, s[16:17]
	v_mad_i64_i32 v[4:5], s[12:13], v14, s22, 0
	v_lshl_add_u64 v[4:5], v[4:5], 1, s[14:15]
	s_and_b64 s[12:13], s[2:3], s[10:11]
	s_and_saveexec_b64 s[2:3], s[12:13]
	s_cbranch_execnz .LBB218_349
; %bb.345:
	s_or_b64 exec, exec, s[2:3]
	s_and_b64 s[4:5], s[4:5], s[10:11]
	s_and_saveexec_b64 s[2:3], s[4:5]
	s_cbranch_execnz .LBB218_353
.LBB218_346:
	s_or_b64 exec, exec, s[2:3]
	s_and_b64 s[4:5], s[6:7], s[10:11]
	s_and_saveexec_b64 s[2:3], s[4:5]
	s_cbranch_execnz .LBB218_357
.LBB218_347:
	s_or_b64 exec, exec, s[2:3]
	s_and_b64 s[2:3], s[8:9], s[10:11]
	s_and_saveexec_b64 s[4:5], s[2:3]
	s_cbranch_execnz .LBB218_361
.LBB218_348:
	s_endpgm
.LBB218_349:
	s_and_b64 vcc, exec, s[0:1]
	s_cbranch_vccnz .LBB218_351
; %bb.350:
	v_lshl_add_u64 v[14:15], v[40:41], 1, v[12:13]
	flat_load_ushort v14, v[14:15]
	s_waitcnt vmcnt(0) lgkmcnt(0)
	v_mul_f16_e32 v14, s28, v14
	s_branch .LBB218_352
.LBB218_351:
	v_mov_b32_e32 v14, 0
.LBB218_352:
	v_pk_add_f16 v8, v8, v6
	v_pk_max_f16 v15, v54, v54
	v_pk_add_f16 v9, v9, v7
	v_pk_min_f16 v8, v15, v8
	s_nop 0
	v_pk_min_f16 v8, v8, v9
	s_nop 0
	v_lshrrev_b32_e32 v9, 16, v8
	v_min3_f16 v14, v14, v8, v9
	v_lshl_add_u64 v[8:9], v[40:41], 1, v[4:5]
	global_store_short v[8:9], v14, off
	s_or_b64 exec, exec, s[2:3]
	s_and_b64 s[4:5], s[4:5], s[10:11]
	s_and_saveexec_b64 s[2:3], s[4:5]
	s_cbranch_execz .LBB218_346
.LBB218_353:
	s_and_b64 vcc, exec, s[0:1]
	s_cbranch_vccnz .LBB218_355
; %bb.354:
	v_lshl_add_u64 v[8:9], v[42:43], 1, v[12:13]
	flat_load_ushort v8, v[8:9]
	s_waitcnt vmcnt(0) lgkmcnt(0)
	v_mul_f16_e32 v8, s28, v8
	s_branch .LBB218_356
.LBB218_355:
	v_mov_b32_e32 v8, 0
.LBB218_356:
	v_pk_add_f16 v9, v10, v6
	v_pk_max_f16 v10, v53, v53
	s_nop 0
	v_pk_min_f16 v9, v10, v9
	v_pk_add_f16 v10, v11, v7
	s_nop 0
	v_pk_min_f16 v9, v9, v10
	s_nop 0
	v_lshrrev_b32_e32 v10, 16, v9
	v_min3_f16 v10, v8, v9, v10
	v_lshl_add_u64 v[8:9], v[42:43], 1, v[4:5]
	global_store_short v[8:9], v10, off
	s_or_b64 exec, exec, s[2:3]
	s_and_b64 s[4:5], s[6:7], s[10:11]
	s_and_saveexec_b64 s[2:3], s[4:5]
	s_cbranch_execz .LBB218_347
.LBB218_357:
	s_and_b64 vcc, exec, s[0:1]
	s_cbranch_vccnz .LBB218_359
; %bb.358:
	v_lshl_add_u64 v[8:9], v[44:45], 1, v[12:13]
	flat_load_ushort v8, v[8:9]
	s_waitcnt vmcnt(0) lgkmcnt(0)
	v_mul_f16_e32 v8, s28, v8
	s_branch .LBB218_360
.LBB218_359:
	v_mov_b32_e32 v8, 0
.LBB218_360:
	v_pk_add_f16 v0, v0, v6
	v_pk_max_f16 v9, v52, v52
	v_pk_add_f16 v1, v1, v7
	v_pk_min_f16 v0, v9, v0
	s_nop 0
	v_pk_min_f16 v0, v0, v1
	s_nop 0
	v_lshrrev_b32_e32 v1, 16, v0
	v_min3_f16 v8, v8, v0, v1
	v_lshl_add_u64 v[0:1], v[44:45], 1, v[4:5]
	global_store_short v[0:1], v8, off
	s_or_b64 exec, exec, s[2:3]
	s_and_b64 s[2:3], s[8:9], s[10:11]
	s_and_saveexec_b64 s[4:5], s[2:3]
	s_cbranch_execz .LBB218_348
.LBB218_361:
	s_and_b64 vcc, exec, s[0:1]
	s_cbranch_vccnz .LBB218_363
; %bb.362:
	v_lshl_add_u64 v[0:1], v[46:47], 1, v[12:13]
	flat_load_ushort v0, v[0:1]
	s_waitcnt vmcnt(0) lgkmcnt(0)
	v_mul_f16_e32 v0, s28, v0
	s_branch .LBB218_364
.LBB218_363:
	v_mov_b32_e32 v0, 0
.LBB218_364:
	v_pk_add_f16 v1, v2, v6
	v_pk_max_f16 v2, v55, v55
	s_nop 0
	v_pk_min_f16 v1, v2, v1
	v_pk_add_f16 v2, v3, v7
	s_nop 0
	v_pk_min_f16 v1, v1, v2
	s_nop 0
	v_lshrrev_b32_e32 v2, 16, v1
	v_min3_f16 v2, v0, v1, v2
	v_lshl_add_u64 v[0:1], v[46:47], 1, v[4:5]
	global_store_short v[0:1], v2, off
	s_endpgm
	.section	.rodata,"a",@progbits
	.p2align	6, 0x0
	.amdhsa_kernel _ZN12_GLOBAL__N_120geam_min_plus_kernelIDF16_Dv2_DF16_S1_Li32ELi8ELi128ELi128ELi4ELi4ELi64ELi4ELi64ELc84ELc78ELb0ELb1ELb1EDF16_KPKDF16_KPDF16_EEviiiT16_PT17_ilS9_ilS7_S9_ilPT18_ili26rocblas_geam_ex_operation_
		.amdhsa_group_segment_fixed_size 4096
		.amdhsa_private_segment_fixed_size 0
		.amdhsa_kernarg_size 128
		.amdhsa_user_sgpr_count 2
		.amdhsa_user_sgpr_dispatch_ptr 0
		.amdhsa_user_sgpr_queue_ptr 0
		.amdhsa_user_sgpr_kernarg_segment_ptr 1
		.amdhsa_user_sgpr_dispatch_id 0
		.amdhsa_user_sgpr_kernarg_preload_length 0
		.amdhsa_user_sgpr_kernarg_preload_offset 0
		.amdhsa_user_sgpr_private_segment_size 0
		.amdhsa_uses_dynamic_stack 0
		.amdhsa_enable_private_segment 0
		.amdhsa_system_sgpr_workgroup_id_x 1
		.amdhsa_system_sgpr_workgroup_id_y 0
		.amdhsa_system_sgpr_workgroup_id_z 1
		.amdhsa_system_sgpr_workgroup_info 0
		.amdhsa_system_vgpr_workitem_id 1
		.amdhsa_next_free_vgpr 167
		.amdhsa_next_free_sgpr 38
		.amdhsa_accum_offset 168
		.amdhsa_reserve_vcc 1
		.amdhsa_float_round_mode_32 0
		.amdhsa_float_round_mode_16_64 0
		.amdhsa_float_denorm_mode_32 3
		.amdhsa_float_denorm_mode_16_64 3
		.amdhsa_dx10_clamp 1
		.amdhsa_ieee_mode 1
		.amdhsa_fp16_overflow 0
		.amdhsa_tg_split 0
		.amdhsa_exception_fp_ieee_invalid_op 0
		.amdhsa_exception_fp_denorm_src 0
		.amdhsa_exception_fp_ieee_div_zero 0
		.amdhsa_exception_fp_ieee_overflow 0
		.amdhsa_exception_fp_ieee_underflow 0
		.amdhsa_exception_fp_ieee_inexact 0
		.amdhsa_exception_int_div_zero 0
	.end_amdhsa_kernel
	.section	.text._ZN12_GLOBAL__N_120geam_min_plus_kernelIDF16_Dv2_DF16_S1_Li32ELi8ELi128ELi128ELi4ELi4ELi64ELi4ELi64ELc84ELc78ELb0ELb1ELb1EDF16_KPKDF16_KPDF16_EEviiiT16_PT17_ilS9_ilS7_S9_ilPT18_ili26rocblas_geam_ex_operation_,"axG",@progbits,_ZN12_GLOBAL__N_120geam_min_plus_kernelIDF16_Dv2_DF16_S1_Li32ELi8ELi128ELi128ELi4ELi4ELi64ELi4ELi64ELc84ELc78ELb0ELb1ELb1EDF16_KPKDF16_KPDF16_EEviiiT16_PT17_ilS9_ilS7_S9_ilPT18_ili26rocblas_geam_ex_operation_,comdat
.Lfunc_end218:
	.size	_ZN12_GLOBAL__N_120geam_min_plus_kernelIDF16_Dv2_DF16_S1_Li32ELi8ELi128ELi128ELi4ELi4ELi64ELi4ELi64ELc84ELc78ELb0ELb1ELb1EDF16_KPKDF16_KPDF16_EEviiiT16_PT17_ilS9_ilS7_S9_ilPT18_ili26rocblas_geam_ex_operation_, .Lfunc_end218-_ZN12_GLOBAL__N_120geam_min_plus_kernelIDF16_Dv2_DF16_S1_Li32ELi8ELi128ELi128ELi4ELi4ELi64ELi4ELi64ELc84ELc78ELb0ELb1ELb1EDF16_KPKDF16_KPDF16_EEviiiT16_PT17_ilS9_ilS7_S9_ilPT18_ili26rocblas_geam_ex_operation_
                                        ; -- End function
	.section	.AMDGPU.csdata,"",@progbits
; Kernel info:
; codeLenInByte = 19996
; NumSgprs: 44
; NumVgprs: 167
; NumAgprs: 0
; TotalNumVgprs: 167
; ScratchSize: 0
; MemoryBound: 0
; FloatMode: 240
; IeeeMode: 1
; LDSByteSize: 4096 bytes/workgroup (compile time only)
; SGPRBlocks: 5
; VGPRBlocks: 20
; NumSGPRsForWavesPerEU: 44
; NumVGPRsForWavesPerEU: 167
; AccumOffset: 168
; Occupancy: 3
; WaveLimiterHint : 1
; COMPUTE_PGM_RSRC2:SCRATCH_EN: 0
; COMPUTE_PGM_RSRC2:USER_SGPR: 2
; COMPUTE_PGM_RSRC2:TRAP_HANDLER: 0
; COMPUTE_PGM_RSRC2:TGID_X_EN: 1
; COMPUTE_PGM_RSRC2:TGID_Y_EN: 0
; COMPUTE_PGM_RSRC2:TGID_Z_EN: 1
; COMPUTE_PGM_RSRC2:TIDIG_COMP_CNT: 1
; COMPUTE_PGM_RSRC3_GFX90A:ACCUM_OFFSET: 41
; COMPUTE_PGM_RSRC3_GFX90A:TG_SPLIT: 0
	.section	.text._ZN12_GLOBAL__N_120geam_min_plus_kernelIDF16_Dv2_DF16_S1_Li8ELi32ELi64ELi256ELi4ELi64ELi4ELi64ELi4ELc78ELc84ELb0ELb0ELb1EPKDF16_KS3_KPDF16_EEviiiT16_PT17_ilS9_ilS7_S9_ilPT18_ili26rocblas_geam_ex_operation_,"axG",@progbits,_ZN12_GLOBAL__N_120geam_min_plus_kernelIDF16_Dv2_DF16_S1_Li8ELi32ELi64ELi256ELi4ELi64ELi4ELi64ELi4ELc78ELc84ELb0ELb0ELb1EPKDF16_KS3_KPDF16_EEviiiT16_PT17_ilS9_ilS7_S9_ilPT18_ili26rocblas_geam_ex_operation_,comdat
	.globl	_ZN12_GLOBAL__N_120geam_min_plus_kernelIDF16_Dv2_DF16_S1_Li8ELi32ELi64ELi256ELi4ELi64ELi4ELi64ELi4ELc78ELc84ELb0ELb0ELb1EPKDF16_KS3_KPDF16_EEviiiT16_PT17_ilS9_ilS7_S9_ilPT18_ili26rocblas_geam_ex_operation_ ; -- Begin function _ZN12_GLOBAL__N_120geam_min_plus_kernelIDF16_Dv2_DF16_S1_Li8ELi32ELi64ELi256ELi4ELi64ELi4ELi64ELi4ELc78ELc84ELb0ELb0ELb1EPKDF16_KS3_KPDF16_EEviiiT16_PT17_ilS9_ilS7_S9_ilPT18_ili26rocblas_geam_ex_operation_
	.p2align	8
	.type	_ZN12_GLOBAL__N_120geam_min_plus_kernelIDF16_Dv2_DF16_S1_Li8ELi32ELi64ELi256ELi4ELi64ELi4ELi64ELi4ELc78ELc84ELb0ELb0ELb1EPKDF16_KS3_KPDF16_EEviiiT16_PT17_ilS9_ilS7_S9_ilPT18_ili26rocblas_geam_ex_operation_,@function
_ZN12_GLOBAL__N_120geam_min_plus_kernelIDF16_Dv2_DF16_S1_Li8ELi32ELi64ELi256ELi4ELi64ELi4ELi64ELi4ELc78ELc84ELb0ELb0ELb1EPKDF16_KS3_KPDF16_EEviiiT16_PT17_ilS9_ilS7_S9_ilPT18_ili26rocblas_geam_ex_operation_: ; @_ZN12_GLOBAL__N_120geam_min_plus_kernelIDF16_Dv2_DF16_S1_Li8ELi32ELi64ELi256ELi4ELi64ELi4ELi64ELi4ELc78ELc84ELb0ELb0ELb1EPKDF16_KS3_KPDF16_EEviiiT16_PT17_ilS9_ilS7_S9_ilPT18_ili26rocblas_geam_ex_operation_
; %bb.0:
	s_load_dwordx4 s[8:11], s[0:1], 0x10
	s_load_dwordx4 s[12:15], s[0:1], 0x28
	s_mov_b32 s24, s3
	s_mov_b32 s25, 0
	s_lshl_b64 s[4:5], s[24:25], 1
	s_waitcnt lgkmcnt(0)
	s_add_u32 s6, s8, s4
	s_addc_u32 s7, s9, s5
	v_mov_b32_e32 v1, 0
	global_load_ushort v46, v1, s[6:7]
	s_load_dwordx4 s[16:19], s[0:1], 0x40
	s_load_dwordx2 s[26:27], s[0:1], 0x50
	s_mov_b64 s[20:21], 0
	s_mov_b64 s[22:23], 0
	s_waitcnt lgkmcnt(0)
	s_add_u32 s4, s18, s4
	s_addc_u32 s5, s19, s5
	s_waitcnt vmcnt(0)
	v_cmp_eq_f16_e64 s[8:9], 0, v46
	v_cmp_neq_f16_e64 s[6:7], 0, v46
	s_and_b64 vcc, exec, s[8:9]
	s_cbranch_vccnz .LBB219_2
; %bb.1:
	s_lshl_b64 s[18:19], s[24:25], 3
	s_add_u32 s10, s10, s18
	s_addc_u32 s11, s11, s19
	s_load_dwordx2 s[10:11], s[10:11], 0x0
	s_lshl_b64 s[12:13], s[12:13], 1
	s_waitcnt lgkmcnt(0)
	s_add_u32 s22, s10, s12
	s_addc_u32 s23, s11, s13
.LBB219_2:
	global_load_ushort v52, v1, s[4:5]
	v_cndmask_b32_e64 v1, 0, 1, s[6:7]
	v_cmp_ne_u32_e64 s[4:5], 1, v1
	s_andn2_b64 vcc, exec, s[6:7]
	s_cbranch_vccnz .LBB219_4
; %bb.3:
	s_lshl_b64 s[10:11], s[24:25], 3
	s_add_u32 s10, s14, s10
	s_addc_u32 s11, s15, s11
	s_load_dwordx2 s[10:11], s[10:11], 0x0
	s_lshl_b64 s[12:13], s[16:17], 1
	s_waitcnt lgkmcnt(0)
	s_add_u32 s20, s10, s12
	s_addc_u32 s21, s11, s13
.LBB219_4:
	s_load_dwordx4 s[16:19], s[0:1], 0x60
	s_waitcnt vmcnt(0)
	v_cmp_eq_f16_e32 vcc, 0, v52
	s_and_b64 s[12:13], exec, vcc
	s_mov_b64 vcc, s[12:13]
	s_cbranch_vccnz .LBB219_6
; %bb.5:
	s_lshl_b64 s[10:11], s[24:25], 3
	s_add_u32 s10, s26, s10
	s_addc_u32 s11, s27, s11
	s_load_dwordx2 s[10:11], s[10:11], 0x0
	s_waitcnt lgkmcnt(0)
	s_lshl_b64 s[14:15], s[16:17], 1
	s_add_u32 s14, s10, s14
	s_addc_u32 s15, s11, s15
	s_branch .LBB219_7
.LBB219_6:
	s_mov_b64 s[14:15], 0
.LBB219_7:
	s_waitcnt lgkmcnt(0)
	s_load_dword s16, s[0:1], 0x20
	s_load_dword s3, s[0:1], 0x0
	s_lshl_b64 s[10:11], s[24:25], 3
	v_and_b32_e32 v48, 0x3ff, v0
	v_bfe_u32 v49, v0, 10, 10
	s_waitcnt lgkmcnt(0)
	s_ashr_i32 s17, s16, 31
	s_add_u32 s24, s18, s10
	s_addc_u32 s25, s19, s11
	s_add_i32 s3, s3, -1
	s_ashr_i32 s10, s3, 31
	s_lshr_b32 s10, s10, 26
	s_add_i32 s3, s3, s10
	s_ashr_i32 s3, s3, 6
	s_add_i32 s18, s3, 1
	v_cvt_f32_u32_e32 v1, s18
	s_not_b32 s3, s3
	v_lshl_add_u32 v2, v49, 3, v48
	v_and_b32_e32 v33, 63, v2
	v_rcp_iflag_f32_e32 v0, v1
	v_cndmask_b32_e64 v1, 0, 1, s[8:9]
	v_cmp_ne_u32_e64 s[10:11], 1, v1
	v_lshrrev_b32_e32 v32, 6, v2
	v_mul_f32_e32 v0, 0x4f7ffffe, v0
	v_cvt_u32_f32_e32 v0, v0
	s_nop 0
	v_readfirstlane_b32 s19, v0
	s_mul_i32 s3, s3, s19
	s_mul_hi_u32 s3, s19, s3
	s_add_i32 s19, s19, s3
	s_mul_hi_u32 s3, s2, s19
	s_mul_i32 s19, s3, s18
	s_sub_i32 s19, s2, s19
	s_add_i32 s26, s3, 1
	s_sub_i32 s27, s19, s18
	s_cmp_ge_u32 s19, s18
	s_cselect_b32 s3, s26, s3
	s_cselect_b32 s19, s27, s19
	s_add_i32 s26, s3, 1
	s_cmp_ge_u32 s19, s18
	s_cselect_b32 s19, s26, s3
	s_mul_i32 s3, s19, s18
	s_sub_i32 s18, s2, s3
	s_andn2_b64 vcc, exec, s[8:9]
	s_lshl_b32 s26, s18, 6
	s_cbranch_vccnz .LBB219_10
; %bb.8:
	v_mov_b32_e32 v1, 0
	s_mov_b32 s18, 0
	v_or_b32_e32 v2, s26, v33
	v_ashrrev_i32_e32 v3, 31, v2
	s_cbranch_execz .LBB219_11
; %bb.9:
	v_mov_b32_e32 v8, s18
	s_branch .LBB219_12
.LBB219_10:
                                        ; implicit-def: $sgpr18
                                        ; implicit-def: $vgpr0_vgpr1
	v_or_b32_e32 v2, s26, v33
	v_ashrrev_i32_e32 v3, 31, v2
.LBB219_11:
	v_mad_i64_i32 v[0:1], s[8:9], s16, v32, 0
	v_lshl_add_u64 v[0:1], v[0:1], 1, s[22:23]
	v_lshl_add_u64 v[0:1], v[2:3], 1, v[0:1]
	flat_load_ushort v0, v[0:1]
	v_mov_b32_e32 v1, 0
	s_waitcnt vmcnt(0) lgkmcnt(0)
	v_mul_f16_e32 v8, v46, v0
.LBB219_12:
	s_load_dword s18, s[0:1], 0x38
	s_lshl_b32 s27, s19, 8
	v_or_b32_e32 v0, s27, v33
	s_and_b64 vcc, exec, s[4:5]
	s_waitcnt lgkmcnt(0)
	s_ashr_i32 s19, s18, 31
	v_mul_lo_u32 v1, v1, s18
	v_mul_lo_u32 v6, v32, s19
	v_mad_u64_u32 v[4:5], s[8:9], v32, s18, 0
	v_add3_u32 v5, v5, v6, v1
	v_lshl_add_u64 v[4:5], v[4:5], 1, s[20:21]
	v_ashrrev_i32_e32 v1, 31, v0
	s_cbranch_vccnz .LBB219_17
; %bb.13:
	v_lshl_add_u64 v[6:7], v[0:1], 1, v[4:5]
	flat_load_ushort v9, v[6:7]
	flat_load_ushort v10, v[6:7] offset:128
	s_waitcnt vmcnt(0) lgkmcnt(0)
	v_mul_f16_e32 v9, v46, v9
	v_mul_f16_e32 v10, v46, v10
	s_and_b64 vcc, exec, s[4:5]
	s_cbranch_vccnz .LBB219_18
.LBB219_14:
	v_lshl_add_u64 v[4:5], v[0:1], 1, v[4:5]
	flat_load_ushort v6, v[4:5] offset:256
	flat_load_ushort v7, v[4:5] offset:384
	s_waitcnt vmcnt(0) lgkmcnt(0)
	v_mul_f16_e32 v5, v46, v6
	v_mul_f16_e32 v11, v46, v7
	s_and_b64 vcc, exec, s[10:11]
	v_add_u32_e32 v4, 4, v32
	s_cbranch_vccnz .LBB219_19
.LBB219_15:
	v_mov_b32_e32 v7, 0
	s_mov_b32 s10, 0
	s_cbranch_execz .LBB219_20
; %bb.16:
	v_mov_b32_e32 v34, s10
	s_branch .LBB219_21
.LBB219_17:
	v_mov_b32_e32 v9, 0
	v_mov_b32_e32 v10, 0
	s_and_b64 vcc, exec, s[4:5]
	s_cbranch_vccz .LBB219_14
.LBB219_18:
	v_mov_b32_e32 v5, 0
	v_mov_b32_e32 v11, 0
	s_and_b64 vcc, exec, s[10:11]
	v_add_u32_e32 v4, 4, v32
	s_cbranch_vccz .LBB219_15
.LBB219_19:
                                        ; implicit-def: $sgpr10
                                        ; implicit-def: $vgpr6_vgpr7
.LBB219_20:
	v_mad_i64_i32 v[6:7], s[8:9], s16, v4, 0
	v_lshl_add_u64 v[6:7], v[6:7], 1, s[22:23]
	v_lshl_add_u64 v[2:3], v[2:3], 1, v[6:7]
	flat_load_ushort v2, v[2:3]
	v_mov_b32_e32 v7, 0
	s_waitcnt vmcnt(0) lgkmcnt(0)
	v_mul_f16_e32 v34, v46, v2
.LBB219_21:
	v_mul_lo_u32 v6, v7, s18
	v_mul_lo_u32 v7, v4, s19
	v_mad_u64_u32 v[2:3], s[8:9], v4, s18, 0
	v_add3_u32 v3, v3, v7, v6
	s_and_b64 vcc, exec, s[4:5]
	v_lshl_add_u64 v[2:3], v[2:3], 1, s[20:21]
	s_cbranch_vccnz .LBB219_24
; %bb.22:
	v_lshl_add_u64 v[6:7], v[0:1], 1, v[2:3]
	flat_load_ushort v4, v[6:7]
	flat_load_ushort v12, v[6:7] offset:128
	s_waitcnt vmcnt(0) lgkmcnt(0)
	v_mul_f16_e32 v35, v46, v4
	v_mul_f16_e32 v36, v46, v12
	s_and_b64 vcc, exec, s[4:5]
	s_cbranch_vccnz .LBB219_25
.LBB219_23:
	v_lshl_add_u64 v[0:1], v[0:1], 1, v[2:3]
	flat_load_ushort v2, v[0:1] offset:256
	flat_load_ushort v3, v[0:1] offset:384
	s_waitcnt vmcnt(0) lgkmcnt(0)
	v_mul_f16_e32 v37, v46, v2
	v_mul_f16_e32 v38, v46, v3
	s_branch .LBB219_26
.LBB219_24:
	v_mov_b32_e32 v35, 0
	v_mov_b32_e32 v36, 0
	s_and_b64 vcc, exec, s[4:5]
	s_cbranch_vccz .LBB219_23
.LBB219_25:
	v_mov_b32_e32 v37, 0
	v_mov_b32_e32 v38, 0
.LBB219_26:
	v_lshlrev_b32_e32 v0, 1, v32
	v_lshlrev_b32_e32 v50, 3, v48
	v_lshl_add_u32 v47, v33, 3, v0
	v_add_u32_e32 v80, 0x1000, v50
	v_lshlrev_b32_e32 v51, 3, v49
	s_load_dwordx2 s[8:9], s[24:25], 0x0
	s_load_dword s10, s[0:1], 0x8
	ds_write_b16 v47, v8 offset:4096
	ds_write_b16 v47, v9
	ds_write_b16 v47, v10 offset:512
	ds_write_b16 v47, v5 offset:1024
	ds_write_b16 v47, v11 offset:1536
	s_waitcnt lgkmcnt(0)
	s_barrier
	ds_read2_b64 v[16:19], v80 offset1:8
	ds_read2_b64 v[12:15], v80 offset0:16 offset1:24
	ds_read2_b64 v[4:7], v80 offset0:32 offset1:40
	ds_read2_b64 v[28:31], v51 offset1:32
	ds_read2_b64 v[0:3], v80 offset0:48 offset1:56
	ds_read2_b64 v[24:27], v51 offset0:64 offset1:96
	;; [unrolled: 1-line block ×4, first 2 shown]
	s_movk_i32 s11, 0x7c00
	s_waitcnt lgkmcnt(4)
	v_pk_add_f16 v39, v16, v28
	s_waitcnt lgkmcnt(3)
	v_pk_add_f16 v45, v0, v28
	;; [unrolled: 2-line block ×3, first 2 shown]
	v_pk_add_f16 v43, v4, v28
	v_pk_min_f16 v118, v81, s11 op_sel_hi:[1,0]
	v_pk_add_f16 v81, v16, v22
	v_pk_add_f16 v57, v4, v30
	v_pk_min_f16 v119, v81, s11 op_sel_hi:[1,0]
	v_pk_add_f16 v81, v18, v22
	;; [unrolled: 3-line block ×7, first 2 shown]
	v_pk_add_f16 v73, v0, v26
	v_pk_min_f16 v125, v81, s11 op_sel_hi:[1,0]
	s_waitcnt lgkmcnt(0)
	v_pk_add_f16 v81, v16, v8
	v_pk_min_f16 v39, v39, s11 op_sel_hi:[1,0]
	v_pk_min_f16 v126, v81, s11 op_sel_hi:[1,0]
	v_pk_add_f16 v81, v18, v8
	v_pk_add_f16 v40, v18, v28
	v_pk_min_f16 v127, v81, s11 op_sel_hi:[1,0]
	v_pk_add_f16 v81, v12, v8
	v_pk_add_f16 v41, v12, v28
	;; [unrolled: 3-line block ×4, first 2 shown]
	v_pk_min_f16 v130, v81, s11 op_sel_hi:[1,0]
	v_pk_add_f16 v81, v6, v8
	v_pk_min_f16 v133, v4, s11 op_sel_hi:[1,0]
	v_pk_min_f16 v131, v81, s11 op_sel_hi:[1,0]
	v_pk_add_f16 v81, v0, v8
	v_pk_add_f16 v4, v6, v10
	;; [unrolled: 1-line block ×31, first 2 shown]
	v_pk_min_f16 v6, v4, s11 op_sel_hi:[1,0]
	v_pk_min_f16 v4, v0, s11 op_sel_hi:[1,0]
	v_pk_add_f16 v0, v2, v10
	v_pk_add_f16 v2, v17, v29
	v_pk_min_f16 v40, v40, s11 op_sel_hi:[1,0]
	v_pk_min_f16 v117, v39, v2
	v_pk_add_f16 v2, v19, v29
	v_pk_min_f16 v41, v41, s11 op_sel_hi:[1,0]
	v_pk_min_f16 v116, v40, v2
	;; [unrolled: 3-line block ×36, first 2 shown]
	v_pk_add_f16 v2, v5, v21
	v_pk_min_f16 v79, v79, s11 op_sel_hi:[1,0]
	v_pk_min_f16 v132, v81, s11 op_sel_hi:[1,0]
	v_pk_min_f16 v81, v78, v2
	v_pk_add_f16 v2, v7, v21
	v_pk_min_f16 v20, v20, s11 op_sel_hi:[1,0]
	v_pk_min_f16 v79, v79, v2
	v_pk_add_f16 v2, v1, v21
	;; [unrolled: 3-line block ×4, first 2 shown]
	v_pk_add_f16 v16, v16, v10
	v_pk_min_f16 v76, v119, v2
	v_pk_add_f16 v2, v19, v23
	v_pk_min_f16 v16, v16, s11 op_sel_hi:[1,0]
	v_pk_min_f16 v75, v120, v2
	v_pk_add_f16 v2, v13, v23
	v_pk_add_f16 v18, v18, v10
	v_pk_min_f16 v74, v121, v2
	v_pk_add_f16 v2, v15, v23
	v_pk_min_f16 v18, v18, s11 op_sel_hi:[1,0]
	v_pk_min_f16 v73, v122, v2
	v_pk_add_f16 v2, v5, v23
	;; [unrolled: 6-line block ×4, first 2 shown]
	v_pk_min_f16 v0, v0, s11 op_sel_hi:[1,0]
	v_pk_min_f16 v67, v126, v2
	v_pk_add_f16 v2, v19, v9
	s_cmp_lt_i32 s10, 9
	v_pk_min_f16 v66, v127, v2
	v_pk_add_f16 v2, v13, v9
	ds_write_b16 v47, v34 offset:4608
	ds_write_b16 v47, v35 offset:2048
	;; [unrolled: 1-line block ×5, first 2 shown]
	v_pk_min_f16 v65, v128, v2
	v_pk_add_f16 v2, v15, v9
	s_waitcnt lgkmcnt(0)
	v_pk_min_f16 v64, v129, v2
	v_pk_add_f16 v2, v5, v9
	s_barrier
	v_pk_min_f16 v63, v130, v2
	v_pk_add_f16 v2, v7, v9
	s_nop 0
	v_pk_min_f16 v62, v131, v2
	v_pk_add_f16 v2, v1, v9
	v_pk_add_f16 v1, v1, v11
	v_pk_min_f16 v61, v132, v2
	v_pk_add_f16 v2, v3, v9
	v_pk_min_f16 v54, v4, v1
	v_pk_min_f16 v59, v8, v2
	v_pk_add_f16 v2, v17, v11
	v_pk_add_f16 v1, v3, v11
	v_pk_min_f16 v60, v16, v2
	v_pk_add_f16 v2, v19, v11
	v_pk_min_f16 v68, v0, v1
	v_pk_min_f16 v58, v18, v2
	v_pk_add_f16 v2, v13, v11
	s_nop 0
	v_pk_min_f16 v57, v12, v2
	v_pk_add_f16 v2, v15, v11
	s_nop 0
	;; [unrolled: 3-line block ×4, first 2 shown]
	v_pk_min_f16 v53, v6, v2
	s_cbranch_scc1 .LBB219_44
; %bb.27:
	v_mov_b32_e32 v0, 0x1200
	v_lshl_add_u32 v121, v48, 3, v0
	v_mov_b32_e32 v0, 0x800
	v_add_u32_e32 v2, 12, v32
	s_add_i32 s24, s10, -8
	v_lshl_add_u32 v122, v49, 3, v0
	v_mad_i64_i32 v[0:1], s[10:11], v2, s16, 0
	v_lshlrev_b64 v[34:35], 1, v[0:1]
	v_lshl_or_b32 v0, s2, 6, v33
	s_lshl_b32 s2, s3, 6
	v_subrev_u32_e32 v0, s2, v0
	v_ashrrev_i32_e32 v1, 31, v0
	v_lshl_add_u64 v[36:37], v[0:1], 1, s[22:23]
	v_mad_i64_i32 v[0:1], s[10:11], v2, s18, 0
	v_lshlrev_b64 v[38:39], 1, v[0:1]
	v_add_u32_e32 v0, s27, v33
	v_ashrrev_i32_e32 v1, 31, v0
	v_add_u32_e32 v2, 8, v32
	v_lshl_add_u64 v[40:41], v[0:1], 1, s[20:21]
	s_lshl_b64 s[10:11], s[18:19], 4
	v_mad_i64_i32 v[0:1], s[18:19], v2, s18, 0
	s_lshl_b64 s[2:3], s[16:17], 4
	v_lshlrev_b64 v[32:33], 1, v[0:1]
	v_mad_i64_i32 v[0:1], s[16:17], v2, s16, 0
	v_or_b32_e32 v118, 0x1000, v47
	v_add_u32_e32 v119, 0x1200, v47
	v_or_b32_e32 v120, 0x800, v47
	v_lshlrev_b64 v[42:43], 1, v[0:1]
	s_mov_b32 s16, 0
	s_and_b64 s[6:7], exec, s[6:7]
	s_branch .LBB219_30
.LBB219_28:                             ;   in Loop: Header=BB219_30 Depth=1
	flat_load_ushort v0, v[44:45] offset:256
	flat_load_ushort v1, v[44:45] offset:384
	s_waitcnt vmcnt(0) lgkmcnt(0)
	v_mul_f16_e32 v28, v46, v0
	v_mul_f16_e32 v29, v46, v1
.LBB219_29:                             ;   in Loop: Header=BB219_30 Depth=1
	ds_read2_b64 v[8:11], v80 offset1:8
	ds_read2_b64 v[4:7], v80 offset0:16 offset1:24
	ds_read2_b64 v[0:3], v80 offset0:32 offset1:40
	ds_read2_b64 v[126:129], v51 offset1:32
	ds_read2_b64 v[12:15], v80 offset0:48 offset1:56
	ds_read2_b64 v[24:27], v51 offset0:64 offset1:96
	ds_read2_b64 v[20:23], v51 offset0:128 offset1:160
	ds_read2_b64 v[16:19], v51 offset0:192 offset1:224
	s_waitcnt lgkmcnt(4)
	v_pk_add_f16 v44, v8, v126
	v_pk_max_f16 v45, v115, v115
	v_pk_max_f16 v114, v114, v114
	v_pk_min_f16 v44, v45, v44
	v_pk_add_f16 v45, v10, v126
	v_pk_max_f16 v113, v113, v113
	v_pk_min_f16 v45, v114, v45
	v_pk_add_f16 v114, v4, v126
	;; [unrolled: 3-line block ×5, first 2 shown]
	v_pk_max_f16 v109, v109, v109
	v_pk_min_f16 v110, v110, v114
	s_waitcnt lgkmcnt(3)
	v_pk_add_f16 v114, v12, v126
	v_pk_max_f16 v108, v108, v108
	v_pk_min_f16 v109, v109, v114
	v_pk_add_f16 v114, v14, v126
	v_pk_max_f16 v107, v107, v107
	v_pk_min_f16 v108, v108, v114
	;; [unrolled: 3-line block ×10, first 2 shown]
	s_waitcnt lgkmcnt(2)
	v_pk_add_f16 v114, v8, v24
	v_pk_max_f16 v98, v98, v98
	v_pk_min_f16 v99, v99, v114
	v_pk_add_f16 v114, v10, v24
	v_pk_max_f16 v97, v97, v97
	v_pk_min_f16 v98, v98, v114
	;; [unrolled: 3-line block ×6, first 2 shown]
	v_pk_add_f16 v114, v12, v24
	v_pk_add_f16 v24, v14, v24
	v_pk_max_f16 v91, v91, v91
	v_pk_min_f16 v24, v92, v24
	v_pk_add_f16 v92, v8, v26
	v_pk_max_f16 v90, v90, v90
	v_pk_min_f16 v91, v91, v92
	;; [unrolled: 3-line block ×7, first 2 shown]
	v_pk_add_f16 v92, v12, v26
	v_pk_add_f16 v26, v14, v26
	v_pk_max_f16 v83, v83, v83
	v_pk_min_f16 v26, v84, v26
	s_waitcnt lgkmcnt(1)
	v_pk_add_f16 v84, v8, v20
	v_pk_max_f16 v82, v82, v82
	v_pk_min_f16 v83, v83, v84
	v_pk_add_f16 v84, v10, v20
	v_pk_max_f16 v81, v81, v81
	v_pk_min_f16 v82, v82, v84
	;; [unrolled: 3-line block ×6, first 2 shown]
	v_pk_add_f16 v84, v12, v20
	v_pk_add_f16 v20, v14, v20
	v_pk_max_f16 v74, v74, v74
	v_pk_min_f16 v20, v75, v20
	v_pk_add_f16 v75, v8, v22
	v_pk_max_f16 v73, v73, v73
	v_pk_min_f16 v74, v74, v75
	;; [unrolled: 3-line block ×7, first 2 shown]
	v_pk_add_f16 v75, v12, v22
	v_pk_add_f16 v22, v14, v22
	v_pk_max_f16 v66, v66, v66
	v_pk_min_f16 v22, v67, v22
	s_waitcnt lgkmcnt(0)
	v_pk_add_f16 v67, v8, v16
	v_pk_max_f16 v65, v65, v65
	v_pk_min_f16 v66, v66, v67
	v_pk_add_f16 v67, v10, v16
	v_pk_max_f16 v64, v64, v64
	v_pk_min_f16 v65, v65, v67
	;; [unrolled: 3-line block ×5, first 2 shown]
	v_pk_add_f16 v67, v2, v16
	v_pk_add_f16 v8, v8, v18
	v_pk_min_f16 v61, v61, v67
	v_pk_add_f16 v67, v12, v16
	v_pk_add_f16 v16, v14, v16
	;; [unrolled: 1-line block ×9, first 2 shown]
	v_pk_max_f16 v18, v53, v53
	v_pk_max_f16 v93, v93, v93
	v_pk_min_f16 v14, v18, v14
	v_pk_add_f16 v18, v9, v127
	v_pk_min_f16 v93, v93, v114
	v_pk_min_f16 v117, v44, v18
	v_pk_add_f16 v18, v11, v127
	v_pk_max_f16 v85, v85, v85
	v_pk_min_f16 v116, v45, v18
	v_pk_add_f16 v18, v5, v127
	v_pk_min_f16 v85, v85, v92
	v_pk_min_f16 v115, v113, v18
	v_pk_add_f16 v18, v7, v127
	;; [unrolled: 6-line block ×5, first 2 shown]
	v_pk_max_f16 v54, v54, v54
	v_pk_min_f16 v108, v106, v18
	v_pk_add_f16 v18, v5, v129
	v_pk_max_f16 v55, v55, v55
	v_pk_min_f16 v107, v105, v18
	v_pk_add_f16 v18, v7, v129
	v_pk_min_f16 v0, v54, v0
	v_pk_min_f16 v106, v104, v18
	v_pk_add_f16 v18, v1, v129
	v_pk_max_f16 v31, v31, v31
	v_pk_min_f16 v105, v103, v18
	v_pk_add_f16 v18, v3, v129
	v_pk_max_f16 v58, v58, v58
	;; [unrolled: 3-line block ×3, first 2 shown]
	v_pk_min_f16 v103, v101, v18
	v_pk_add_f16 v18, v15, v129
	v_pk_min_f16 v6, v55, v6
	v_pk_min_f16 v102, v100, v18
	v_pk_add_f16 v18, v9, v25
	v_pk_min_f16 v2, v31, v2
	v_pk_min_f16 v101, v99, v18
	v_pk_add_f16 v18, v11, v25
	v_pk_max_f16 v30, v30, v30
	v_pk_min_f16 v100, v98, v18
	v_pk_add_f16 v18, v5, v25
	v_pk_max_f16 v59, v59, v59
	v_pk_min_f16 v99, v97, v18
	v_pk_add_f16 v18, v7, v25
	v_pk_min_f16 v8, v58, v8
	v_pk_min_f16 v98, v96, v18
	v_pk_add_f16 v18, v1, v25
	v_pk_max_f16 v57, v57, v57
	v_pk_min_f16 v97, v95, v18
	v_pk_add_f16 v18, v3, v25
	v_pk_min_f16 v4, v56, v4
	v_pk_min_f16 v96, v94, v18
	v_pk_add_f16 v18, v13, v25
	v_pk_min_f16 v12, v30, v12
	;; [unrolled: 3-line block ×4, first 2 shown]
	v_pk_min_f16 v93, v91, v18
	v_pk_add_f16 v18, v11, v27
	s_add_i32 s16, s16, 8
	v_pk_min_f16 v92, v90, v18
	v_pk_add_f16 v18, v5, v27
	v_lshl_add_u64 v[36:37], v[36:37], 0, s[2:3]
	v_pk_min_f16 v91, v89, v18
	v_pk_add_f16 v18, v7, v27
	s_cmp_ge_i32 s16, s24
	v_pk_min_f16 v90, v88, v18
	v_pk_add_f16 v18, v1, v27
	v_lshl_add_u64 v[40:41], v[40:41], 0, s[10:11]
	v_pk_min_f16 v89, v87, v18
	v_pk_add_f16 v18, v3, v27
	ds_write_b16 v119, v123
	ds_write_b16 v120, v124
	ds_write_b16 v120, v125 offset:512
	ds_write_b16 v120, v28 offset:1024
	;; [unrolled: 1-line block ×3, first 2 shown]
	v_pk_min_f16 v88, v86, v18
	v_pk_add_f16 v18, v13, v27
	s_waitcnt lgkmcnt(0)
	v_pk_min_f16 v87, v85, v18
	v_pk_add_f16 v18, v15, v27
	s_barrier
	v_pk_min_f16 v85, v26, v18
	v_pk_add_f16 v18, v9, v21
	s_nop 0
	v_pk_min_f16 v86, v83, v18
	v_pk_add_f16 v18, v11, v21
	s_nop 0
	;; [unrolled: 3-line block ×16, first 2 shown]
	v_pk_min_f16 v69, v22, v18
	v_pk_add_f16 v18, v9, v17
	v_pk_add_f16 v9, v9, v19
	v_pk_min_f16 v67, v66, v18
	v_pk_add_f16 v18, v11, v17
	s_nop 0
	v_pk_min_f16 v66, v65, v18
	v_pk_add_f16 v18, v5, v17
	v_pk_add_f16 v5, v5, v19
	v_pk_min_f16 v65, v64, v18
	v_pk_add_f16 v18, v7, v17
	v_pk_min_f16 v57, v4, v5
	v_pk_min_f16 v64, v63, v18
	v_pk_add_f16 v18, v1, v17
	v_pk_add_f16 v1, v1, v19
	v_pk_min_f16 v63, v62, v18
	v_pk_add_f16 v18, v3, v17
	v_pk_min_f16 v55, v0, v1
	v_pk_add_f16 v0, v3, v19
	v_pk_min_f16 v62, v61, v18
	v_pk_add_f16 v18, v13, v17
	v_pk_min_f16 v53, v2, v0
	v_pk_add_f16 v0, v13, v19
	v_pk_min_f16 v61, v60, v18
	v_pk_add_f16 v17, v15, v17
	v_pk_min_f16 v60, v8, v9
	v_pk_add_f16 v8, v11, v19
	v_pk_add_f16 v4, v7, v19
	v_pk_min_f16 v54, v12, v0
	v_pk_add_f16 v0, v15, v19
	v_pk_min_f16 v59, v16, v17
	v_pk_min_f16 v58, v10, v8
	;; [unrolled: 1-line block ×4, first 2 shown]
	s_cbranch_scc1 .LBB219_44
.LBB219_30:                             ; =>This Inner Loop Header: Depth=1
	s_and_b64 vcc, exec, s[4:5]
	s_cbranch_vccnz .LBB219_34
; %bb.31:                               ;   in Loop: Header=BB219_30 Depth=1
	v_lshl_add_u64 v[0:1], v[36:37], 0, v[42:43]
	flat_load_ushort v0, v[0:1]
	s_waitcnt vmcnt(0) lgkmcnt(0)
	v_mul_f16_e32 v44, v46, v0
	s_and_b64 vcc, exec, s[4:5]
	v_lshl_add_u64 v[0:1], v[40:41], 0, v[32:33]
	s_cbranch_vccnz .LBB219_35
.LBB219_32:                             ;   in Loop: Header=BB219_30 Depth=1
	flat_load_ushort v2, v[0:1]
	flat_load_ushort v3, v[0:1] offset:128
	s_waitcnt vmcnt(0) lgkmcnt(0)
	v_mul_f16_e32 v45, v46, v2
	v_mul_f16_e32 v123, v46, v3
	s_and_b64 vcc, exec, s[4:5]
	s_cbranch_vccnz .LBB219_36
.LBB219_33:                             ;   in Loop: Header=BB219_30 Depth=1
	flat_load_ushort v2, v[0:1] offset:256
	flat_load_ushort v3, v[0:1] offset:384
	s_waitcnt vmcnt(0) lgkmcnt(0)
	v_mul_f16_e32 v124, v46, v2
	v_mul_f16_e32 v125, v46, v3
	s_branch .LBB219_37
.LBB219_34:                             ;   in Loop: Header=BB219_30 Depth=1
	v_mov_b32_e32 v44, 0
	s_and_b64 vcc, exec, s[4:5]
	v_lshl_add_u64 v[0:1], v[40:41], 0, v[32:33]
	s_cbranch_vccz .LBB219_32
.LBB219_35:                             ;   in Loop: Header=BB219_30 Depth=1
	v_mov_b32_e32 v45, 0
	v_mov_b32_e32 v123, 0
	s_and_b64 vcc, exec, s[4:5]
	s_cbranch_vccz .LBB219_33
.LBB219_36:                             ;   in Loop: Header=BB219_30 Depth=1
	v_mov_b32_e32 v124, 0
	v_mov_b32_e32 v125, 0
.LBB219_37:                             ;   in Loop: Header=BB219_30 Depth=1
	ds_read2_b64 v[12:15], v121 offset1:8
	ds_read2_b64 v[8:11], v121 offset0:16 offset1:24
	ds_read2_b64 v[4:7], v121 offset0:32 offset1:40
	;; [unrolled: 1-line block ×3, first 2 shown]
	ds_read2_b64 v[28:31], v122 offset1:32
	ds_read2_b64 v[24:27], v122 offset0:64 offset1:96
	ds_read2_b64 v[20:23], v122 offset0:128 offset1:160
	;; [unrolled: 1-line block ×3, first 2 shown]
	s_mov_b64 vcc, s[6:7]
	ds_write_b16 v118, v44
	ds_write_b16 v47, v45
	ds_write_b16 v47, v123 offset:512
	ds_write_b16 v47, v124 offset:1024
	;; [unrolled: 1-line block ×3, first 2 shown]
	s_waitcnt lgkmcnt(0)
	s_barrier
	s_cbranch_vccz .LBB219_40
; %bb.38:                               ;   in Loop: Header=BB219_30 Depth=1
	v_lshl_add_u64 v[44:45], v[36:37], 0, v[34:35]
	flat_load_ushort v44, v[44:45]
	s_waitcnt vmcnt(0) lgkmcnt(0)
	v_mul_f16_e32 v123, v46, v44
	s_and_b64 vcc, exec, s[4:5]
	v_lshl_add_u64 v[44:45], v[40:41], 0, v[38:39]
	s_cbranch_vccnz .LBB219_41
.LBB219_39:                             ;   in Loop: Header=BB219_30 Depth=1
	flat_load_ushort v124, v[44:45]
	flat_load_ushort v125, v[44:45] offset:128
	s_waitcnt vmcnt(0) lgkmcnt(0)
	v_mul_f16_e32 v124, v46, v124
	v_mul_f16_e32 v125, v46, v125
	s_branch .LBB219_42
.LBB219_40:                             ;   in Loop: Header=BB219_30 Depth=1
	v_mov_b32_e32 v123, 0
	s_and_b64 vcc, exec, s[4:5]
	v_lshl_add_u64 v[44:45], v[40:41], 0, v[38:39]
	s_cbranch_vccz .LBB219_39
.LBB219_41:                             ;   in Loop: Header=BB219_30 Depth=1
	v_mov_b32_e32 v124, 0
	v_mov_b32_e32 v125, 0
.LBB219_42:                             ;   in Loop: Header=BB219_30 Depth=1
	v_pk_add_f16 v126, v12, v28
	v_pk_max_f16 v117, v117, v117
	v_pk_max_f16 v116, v116, v116
	v_pk_min_f16 v117, v117, v126
	v_pk_add_f16 v126, v14, v28
	v_pk_max_f16 v115, v115, v115
	v_pk_min_f16 v116, v116, v126
	v_pk_add_f16 v126, v8, v28
	v_pk_max_f16 v114, v114, v114
	v_pk_min_f16 v126, v115, v126
	v_pk_add_f16 v115, v10, v28
	v_pk_max_f16 v113, v113, v113
	v_pk_min_f16 v127, v114, v115
	v_pk_add_f16 v114, v4, v28
	v_pk_max_f16 v112, v112, v112
	v_pk_min_f16 v128, v113, v114
	v_pk_add_f16 v113, v6, v28
	v_pk_max_f16 v110, v110, v110
	v_pk_min_f16 v129, v112, v113
	v_pk_add_f16 v112, v0, v28
	v_pk_add_f16 v28, v2, v28
	v_pk_max_f16 v109, v109, v109
	v_pk_min_f16 v28, v110, v28
	v_pk_add_f16 v110, v12, v30
	v_pk_max_f16 v108, v108, v108
	v_pk_min_f16 v131, v109, v110
	v_pk_add_f16 v109, v14, v30
	v_pk_max_f16 v107, v107, v107
	v_pk_min_f16 v132, v108, v109
	v_pk_add_f16 v108, v8, v30
	v_pk_max_f16 v106, v106, v106
	v_pk_min_f16 v133, v107, v108
	v_pk_add_f16 v107, v10, v30
	v_pk_max_f16 v105, v105, v105
	v_pk_min_f16 v134, v106, v107
	v_pk_add_f16 v106, v4, v30
	v_pk_max_f16 v104, v104, v104
	v_pk_min_f16 v135, v105, v106
	v_pk_add_f16 v105, v6, v30
	v_pk_max_f16 v102, v102, v102
	v_pk_min_f16 v136, v104, v105
	v_pk_add_f16 v104, v0, v30
	v_pk_add_f16 v30, v2, v30
	v_pk_max_f16 v101, v101, v101
	v_pk_min_f16 v30, v102, v30
	v_pk_add_f16 v102, v12, v24
	;; [unrolled: 22-line block ×6, first 2 shown]
	v_pk_max_f16 v66, v66, v66
	v_pk_min_f16 v166, v67, v69
	v_pk_add_f16 v67, v14, v16
	v_pk_max_f16 v65, v65, v65
	v_pk_min_f16 v167, v66, v67
	v_pk_add_f16 v66, v8, v16
	;; [unrolled: 3-line block ×5, first 2 shown]
	v_pk_add_f16 v12, v12, v18
	v_pk_min_f16 v171, v62, v63
	v_pk_add_f16 v62, v0, v16
	v_pk_add_f16 v16, v2, v16
	;; [unrolled: 1-line block ×9, first 2 shown]
	v_pk_max_f16 v18, v68, v68
	v_pk_max_f16 v111, v111, v111
	v_pk_min_f16 v2, v18, v2
	v_pk_add_f16 v18, v13, v29
	v_pk_min_f16 v130, v111, v112
	v_pk_min_f16 v115, v117, v18
	v_pk_add_f16 v18, v15, v29
	v_pk_max_f16 v103, v103, v103
	v_pk_min_f16 v114, v116, v18
	v_pk_add_f16 v18, v9, v29
	v_pk_min_f16 v137, v103, v104
	v_pk_min_f16 v113, v126, v18
	v_pk_add_f16 v18, v11, v29
	;; [unrolled: 6-line block ×6, first 2 shown]
	v_pk_max_f16 v61, v61, v61
	v_pk_min_f16 v104, v134, v18
	v_pk_add_f16 v18, v5, v31
	v_pk_max_f16 v59, v59, v59
	v_pk_min_f16 v103, v135, v18
	v_pk_add_f16 v18, v7, v31
	;; [unrolled: 3-line block ×3, first 2 shown]
	v_pk_min_f16 v172, v61, v62
	v_pk_min_f16 v101, v137, v18
	v_pk_add_f16 v18, v3, v31
	v_pk_min_f16 v16, v59, v16
	v_pk_min_f16 v100, v30, v18
	v_pk_add_f16 v18, v13, v25
	v_pk_max_f16 v59, v60, v60
	v_pk_min_f16 v99, v138, v18
	v_pk_add_f16 v18, v15, v25
	v_pk_max_f16 v57, v57, v57
	;; [unrolled: 3-line block ×3, first 2 shown]
	v_pk_min_f16 v97, v140, v18
	v_pk_add_f16 v18, v11, v25
	v_pk_min_f16 v6, v53, v6
	v_pk_min_f16 v96, v141, v18
	v_pk_add_f16 v18, v5, v25
	v_pk_max_f16 v53, v54, v54
	v_pk_min_f16 v95, v142, v18
	v_pk_add_f16 v18, v7, v25
	v_pk_min_f16 v12, v59, v12
	v_pk_min_f16 v94, v143, v18
	v_pk_add_f16 v18, v1, v25
	v_pk_max_f16 v58, v58, v58
	;; [unrolled: 6-line block ×3, first 2 shown]
	v_pk_min_f16 v91, v145, v18
	v_pk_add_f16 v18, v15, v27
	v_pk_min_f16 v4, v55, v4
	v_pk_min_f16 v90, v146, v18
	v_pk_add_f16 v18, v9, v27
	v_pk_min_f16 v0, v53, v0
	;; [unrolled: 3-line block ×4, first 2 shown]
	v_pk_min_f16 v87, v149, v18
	v_pk_add_f16 v18, v7, v27
	s_and_b64 vcc, exec, s[4:5]
	v_pk_min_f16 v86, v150, v18
	v_pk_add_f16 v18, v1, v27
	s_nop 0
	v_pk_min_f16 v85, v151, v18
	v_pk_add_f16 v18, v3, v27
	s_nop 0
	v_pk_min_f16 v84, v26, v18
	v_pk_add_f16 v18, v13, v21
	s_nop 0
	v_pk_min_f16 v83, v152, v18
	v_pk_add_f16 v18, v15, v21
	s_nop 0
	v_pk_min_f16 v82, v153, v18
	v_pk_add_f16 v18, v9, v21
	s_nop 0
	v_pk_min_f16 v81, v154, v18
	v_pk_add_f16 v18, v11, v21
	s_nop 0
	v_pk_min_f16 v79, v155, v18
	v_pk_add_f16 v18, v5, v21
	s_nop 0
	v_pk_min_f16 v78, v156, v18
	v_pk_add_f16 v18, v7, v21
	s_nop 0
	v_pk_min_f16 v77, v157, v18
	v_pk_add_f16 v18, v1, v21
	s_nop 0
	v_pk_min_f16 v76, v158, v18
	v_pk_add_f16 v18, v3, v21
	s_nop 0
	v_pk_min_f16 v75, v20, v18
	v_pk_add_f16 v18, v13, v23
	s_nop 0
	v_pk_min_f16 v74, v159, v18
	v_pk_add_f16 v18, v15, v23
	s_nop 0
	v_pk_min_f16 v73, v160, v18
	v_pk_add_f16 v18, v9, v23
	s_nop 0
	v_pk_min_f16 v72, v161, v18
	v_pk_add_f16 v18, v11, v23
	s_nop 0
	v_pk_min_f16 v71, v162, v18
	v_pk_add_f16 v18, v5, v23
	s_nop 0
	v_pk_min_f16 v70, v163, v18
	v_pk_add_f16 v18, v7, v23
	s_nop 0
	v_pk_min_f16 v69, v164, v18
	v_pk_add_f16 v18, v1, v23
	s_nop 0
	v_pk_min_f16 v68, v165, v18
	v_pk_add_f16 v18, v3, v23
	s_nop 0
	v_pk_min_f16 v67, v22, v18
	v_pk_add_f16 v18, v13, v17
	v_pk_add_f16 v13, v13, v19
	v_pk_min_f16 v66, v166, v18
	v_pk_add_f16 v18, v15, v17
	v_pk_min_f16 v58, v12, v13
	v_pk_min_f16 v65, v167, v18
	v_pk_add_f16 v18, v9, v17
	v_pk_add_f16 v9, v9, v19
	v_pk_min_f16 v64, v168, v18
	v_pk_add_f16 v18, v11, v17
	v_pk_add_f16 v12, v15, v19
	;; [unrolled: 3-line block ×3, first 2 shown]
	v_pk_min_f16 v62, v170, v18
	v_pk_add_f16 v18, v7, v17
	v_pk_min_f16 v56, v8, v9
	v_pk_min_f16 v61, v171, v18
	v_pk_add_f16 v18, v1, v17
	v_pk_add_f16 v1, v1, v19
	;; [unrolled: 1-line block ×4, first 2 shown]
	v_pk_min_f16 v54, v4, v5
	v_pk_add_f16 v4, v7, v19
	v_pk_min_f16 v30, v0, v1
	v_pk_add_f16 v0, v3, v19
	v_pk_min_f16 v60, v172, v18
	v_pk_min_f16 v59, v16, v17
	;; [unrolled: 1-line block ×6, first 2 shown]
	s_cbranch_vccz .LBB219_28
; %bb.43:                               ;   in Loop: Header=BB219_30 Depth=1
	v_mov_b32_e32 v28, 0
	v_mov_b32_e32 v29, 0
	s_branch .LBB219_29
.LBB219_44:
	s_load_dword s6, s[0:1], 0x58
	ds_read_b64 v[30:31], v50 offset:4608
	ds_read_b64 v[46:47], v51 offset:2048
	v_add_u32_e32 v80, s27, v49
	v_cmp_neq_f16_e64 s[4:5], 0, v52
	v_add_u32_e32 v28, s26, v48
	s_waitcnt lgkmcnt(0)
	v_mad_i64_i32 v[0:1], s[2:3], v80, s6, 0
	v_ashrrev_i32_e32 v29, 31, v28
	v_lshl_add_u64 v[48:49], v[0:1], 1, s[14:15]
	s_and_b64 vcc, exec, s[4:5]
	v_mov_b32_e32 v36, 0
	v_mov_b32_e32 v34, 0
	s_cbranch_vccz .LBB219_46
; %bb.45:
	v_lshl_add_u64 v[0:1], v[28:29], 1, v[48:49]
	flat_load_ushort v0, v[0:1]
	s_waitcnt vmcnt(0) lgkmcnt(0)
	v_mul_f16_e32 v34, v52, v0
.LBB219_46:
	v_add_u32_e32 v0, 0x1000, v50
	ds_read2_b64 v[8:11], v0 offset0:72 offset1:80
	ds_read2_b64 v[4:7], v0 offset0:88 offset1:96
	;; [unrolled: 1-line block ×3, first 2 shown]
	ds_read_b64 v[24:25], v50 offset:5056
	s_load_dword s7, s[0:1], 0x70
	s_load_dwordx2 s[2:3], s[0:1], 0x78
	v_add_u32_e32 v12, 0x800, v51
	ds_read2_b64 v[20:23], v12 offset0:32 offset1:64
	ds_read2_b64 v[16:19], v12 offset0:96 offset1:128
	;; [unrolled: 1-line block ×3, first 2 shown]
	ds_read_b64 v[26:27], v51 offset:3840
	v_pk_add_f16 v32, v30, v46
	v_pk_max_f16 v33, v117, v117
	s_waitcnt lgkmcnt(0)
	s_lshl_b64 s[0:1], s[2:3], 1
	s_add_u32 s2, s8, s0
	v_pk_min_f16 v32, v33, v32
	v_pk_add_f16 v33, v31, v47
	s_addc_u32 s3, s9, s1
	v_pk_min_f16 v35, v32, v33
	v_mad_i64_i32 v[38:39], s[0:1], v80, s7, 0
	v_add_u32_e32 v32, 8, v28
	v_lshl_add_u64 v[50:51], v[38:39], 1, s[2:3]
	v_lshrrev_b32_e32 v37, 16, v35
	v_cndmask_b32_e64 v38, 0, 1, s[4:5]
	v_ashrrev_i32_e32 v33, 31, v32
	v_min3_f16 v37, v34, v35, v37
	v_lshl_add_u64 v[34:35], v[28:29], 1, v[50:51]
	v_cmp_ne_u32_e64 s[0:1], 1, v38
	s_andn2_b64 vcc, exec, s[4:5]
	global_store_short v[34:35], v37, off
	s_cbranch_vccnz .LBB219_48
; %bb.47:
	v_lshl_add_u64 v[34:35], v[32:33], 1, v[48:49]
	flat_load_ushort v34, v[34:35]
	s_waitcnt vmcnt(0) lgkmcnt(0)
	v_mul_f16_e32 v36, v52, v34
.LBB219_48:
	v_pk_add_f16 v34, v8, v46
	v_pk_max_f16 v35, v116, v116
	s_and_b64 vcc, exec, s[0:1]
	v_pk_min_f16 v34, v35, v34
	v_pk_add_f16 v35, v9, v47
	v_mov_b32_e32 v39, 0
	v_pk_min_f16 v37, v34, v35
	v_add_u32_e32 v34, 16, v28
	v_lshrrev_b32_e32 v38, 16, v37
	v_min3_f16 v38, v36, v37, v38
	v_lshl_add_u64 v[36:37], v[32:33], 1, v[50:51]
	v_ashrrev_i32_e32 v35, 31, v34
	global_store_short v[36:37], v38, off
	v_mov_b32_e32 v38, 0
	s_cbranch_vccnz .LBB219_50
; %bb.49:
	v_lshl_add_u64 v[36:37], v[34:35], 1, v[48:49]
	flat_load_ushort v36, v[36:37]
	s_waitcnt vmcnt(0) lgkmcnt(0)
	v_mul_f16_e32 v39, v52, v36
.LBB219_50:
	v_pk_add_f16 v36, v10, v46
	v_pk_max_f16 v37, v115, v115
	s_and_b64 vcc, exec, s[0:1]
	v_pk_min_f16 v36, v37, v36
	v_pk_add_f16 v37, v11, v47
	s_nop 0
	v_pk_min_f16 v40, v36, v37
	v_add_u32_e32 v36, 24, v28
	v_lshrrev_b32_e32 v41, 16, v40
	v_ashrrev_i32_e32 v37, 31, v36
	v_min3_f16 v39, v39, v40, v41
	v_lshl_add_u64 v[40:41], v[34:35], 1, v[50:51]
	global_store_short v[40:41], v39, off
	s_cbranch_vccnz .LBB219_52
; %bb.51:
	v_lshl_add_u64 v[38:39], v[36:37], 1, v[48:49]
	flat_load_ushort v38, v[38:39]
	s_waitcnt vmcnt(0) lgkmcnt(0)
	v_mul_f16_e32 v38, v52, v38
.LBB219_52:
	v_pk_add_f16 v39, v4, v46
	v_pk_max_f16 v40, v114, v114
	v_add_u32_e32 v44, 32, v28
	v_pk_min_f16 v39, v40, v39
	v_pk_add_f16 v40, v5, v47
	v_ashrrev_i32_e32 v45, 31, v44
	v_pk_min_f16 v39, v39, v40
	s_and_b64 vcc, exec, s[0:1]
	v_lshrrev_b32_e32 v40, 16, v39
	v_min3_f16 v40, v38, v39, v40
	v_lshl_add_u64 v[38:39], v[36:37], 1, v[50:51]
	global_store_short v[38:39], v40, off
	v_mov_b32_e32 v38, 0
	v_mov_b32_e32 v39, 0
	s_cbranch_vccnz .LBB219_54
; %bb.53:
	v_lshl_add_u64 v[40:41], v[44:45], 1, v[48:49]
	flat_load_ushort v39, v[40:41]
	s_waitcnt vmcnt(0) lgkmcnt(0)
	v_mul_f16_e32 v39, v52, v39
.LBB219_54:
	v_pk_add_f16 v40, v6, v46
	v_pk_max_f16 v41, v113, v113
	v_add_u32_e32 v42, 40, v28
	v_pk_min_f16 v40, v41, v40
	v_pk_add_f16 v41, v7, v47
	v_ashrrev_i32_e32 v43, 31, v42
	v_pk_min_f16 v40, v40, v41
	s_and_b64 vcc, exec, s[0:1]
	v_lshrrev_b32_e32 v41, 16, v40
	v_min3_f16 v39, v39, v40, v41
	v_lshl_add_u64 v[40:41], v[44:45], 1, v[50:51]
	global_store_short v[40:41], v39, off
	s_cbranch_vccnz .LBB219_56
; %bb.55:
	v_lshl_add_u64 v[38:39], v[42:43], 1, v[48:49]
	flat_load_ushort v38, v[38:39]
	s_waitcnt vmcnt(0) lgkmcnt(0)
	v_mul_f16_e32 v38, v52, v38
.LBB219_56:
	v_pk_add_f16 v39, v0, v46
	v_pk_max_f16 v40, v112, v112
	s_and_b64 vcc, exec, s[0:1]
	v_pk_min_f16 v39, v40, v39
	v_pk_add_f16 v40, v1, v47
	v_mov_b32_e32 v113, 0
	v_pk_min_f16 v39, v39, v40
	v_add_u32_e32 v40, 48, v28
	v_lshrrev_b32_e32 v112, 16, v39
	v_min3_f16 v112, v38, v39, v112
	v_lshl_add_u64 v[38:39], v[42:43], 1, v[50:51]
	v_ashrrev_i32_e32 v41, 31, v40
	global_store_short v[38:39], v112, off
	v_mov_b32_e32 v112, 0
	s_cbranch_vccnz .LBB219_58
; %bb.57:
	v_lshl_add_u64 v[38:39], v[40:41], 1, v[48:49]
	flat_load_ushort v38, v[38:39]
	s_waitcnt vmcnt(0) lgkmcnt(0)
	v_mul_f16_e32 v113, v52, v38
.LBB219_58:
	v_pk_add_f16 v38, v2, v46
	v_pk_max_f16 v39, v111, v111
	s_and_b64 vcc, exec, s[0:1]
	v_pk_min_f16 v38, v39, v38
	v_pk_add_f16 v39, v3, v47
	s_nop 0
	v_pk_min_f16 v111, v38, v39
	v_add_u32_e32 v38, 56, v28
	v_lshrrev_b32_e32 v114, 16, v111
	v_ashrrev_i32_e32 v39, 31, v38
	v_min3_f16 v111, v113, v111, v114
	v_lshl_add_u64 v[114:115], v[40:41], 1, v[50:51]
	global_store_short v[114:115], v111, off
	s_cbranch_vccnz .LBB219_60
; %bb.59:
	v_lshl_add_u64 v[48:49], v[38:39], 1, v[48:49]
	flat_load_ushort v48, v[48:49]
	s_waitcnt vmcnt(0) lgkmcnt(0)
	v_mul_f16_e32 v112, v52, v48
.LBB219_60:
	v_pk_add_f16 v46, v24, v46
	v_pk_max_f16 v48, v110, v110
	v_pk_add_f16 v47, v25, v47
	v_pk_min_f16 v46, v48, v46
	s_and_b64 vcc, exec, s[0:1]
	v_pk_min_f16 v46, v46, v47
	s_nop 0
	v_lshrrev_b32_e32 v47, 16, v46
	v_min3_f16 v48, v112, v46, v47
	v_lshl_add_u64 v[46:47], v[38:39], 1, v[50:51]
	global_store_short v[46:47], v48, off
	v_add_u32_e32 v48, 32, v80
	v_mad_i64_i32 v[46:47], s[4:5], v48, s6, 0
	v_lshl_add_u64 v[46:47], v[46:47], 1, s[14:15]
	v_mov_b32_e32 v50, 0
	v_mov_b32_e32 v51, 0
	s_cbranch_vccnz .LBB219_62
; %bb.61:
	v_lshl_add_u64 v[110:111], v[28:29], 1, v[46:47]
	flat_load_ushort v49, v[110:111]
	s_waitcnt vmcnt(0) lgkmcnt(0)
	v_mul_f16_e32 v51, v52, v49
.LBB219_62:
	v_pk_add_f16 v49, v30, v20
	v_pk_max_f16 v109, v109, v109
	s_and_b64 vcc, exec, s[0:1]
	v_pk_min_f16 v49, v109, v49
	v_pk_add_f16 v109, v31, v21
	s_nop 0
	v_pk_min_f16 v109, v49, v109
	v_mad_i64_i32 v[48:49], s[4:5], v48, s7, 0
	v_lshl_add_u64 v[48:49], v[48:49], 1, s[2:3]
	v_lshrrev_b32_e32 v110, 16, v109
	v_min3_f16 v51, v51, v109, v110
	v_lshl_add_u64 v[110:111], v[28:29], 1, v[48:49]
	global_store_short v[110:111], v51, off
	s_cbranch_vccnz .LBB219_64
; %bb.63:
	v_lshl_add_u64 v[50:51], v[32:33], 1, v[46:47]
	flat_load_ushort v50, v[50:51]
	s_waitcnt vmcnt(0) lgkmcnt(0)
	v_mul_f16_e32 v50, v52, v50
.LBB219_64:
	v_pk_add_f16 v51, v8, v20
	v_pk_max_f16 v108, v108, v108
	s_and_b64 vcc, exec, s[0:1]
	v_pk_min_f16 v51, v108, v51
	v_pk_add_f16 v108, v9, v21
	s_nop 0
	v_pk_min_f16 v51, v51, v108
	s_nop 0
	v_lshrrev_b32_e32 v108, 16, v51
	v_min3_f16 v108, v50, v51, v108
	v_lshl_add_u64 v[50:51], v[32:33], 1, v[48:49]
	global_store_short v[50:51], v108, off
	v_mov_b32_e32 v50, 0
	v_mov_b32_e32 v51, 0
	s_cbranch_vccnz .LBB219_66
; %bb.65:
	v_lshl_add_u64 v[108:109], v[34:35], 1, v[46:47]
	flat_load_ushort v51, v[108:109]
	s_waitcnt vmcnt(0) lgkmcnt(0)
	v_mul_f16_e32 v51, v52, v51
.LBB219_66:
	v_pk_add_f16 v108, v10, v20
	v_pk_max_f16 v107, v107, v107
	s_and_b64 vcc, exec, s[0:1]
	v_pk_min_f16 v107, v107, v108
	v_pk_add_f16 v108, v11, v21
	s_nop 0
	v_pk_min_f16 v107, v107, v108
	s_nop 0
	v_lshrrev_b32_e32 v108, 16, v107
	v_min3_f16 v51, v51, v107, v108
	v_lshl_add_u64 v[108:109], v[34:35], 1, v[48:49]
	global_store_short v[108:109], v51, off
	s_cbranch_vccnz .LBB219_68
; %bb.67:
	v_lshl_add_u64 v[50:51], v[36:37], 1, v[46:47]
	flat_load_ushort v50, v[50:51]
	s_waitcnt vmcnt(0) lgkmcnt(0)
	v_mul_f16_e32 v50, v52, v50
.LBB219_68:
	v_pk_add_f16 v51, v4, v20
	v_pk_max_f16 v106, v106, v106
	s_and_b64 vcc, exec, s[0:1]
	v_pk_min_f16 v51, v106, v51
	v_pk_add_f16 v106, v5, v21
	s_nop 0
	v_pk_min_f16 v51, v51, v106
	s_nop 0
	v_lshrrev_b32_e32 v106, 16, v51
	v_min3_f16 v106, v50, v51, v106
	v_lshl_add_u64 v[50:51], v[36:37], 1, v[48:49]
	global_store_short v[50:51], v106, off
	v_mov_b32_e32 v50, 0
	v_mov_b32_e32 v51, 0
	s_cbranch_vccnz .LBB219_70
; %bb.69:
	v_lshl_add_u64 v[106:107], v[44:45], 1, v[46:47]
	flat_load_ushort v51, v[106:107]
	s_waitcnt vmcnt(0) lgkmcnt(0)
	v_mul_f16_e32 v51, v52, v51
.LBB219_70:
	v_pk_add_f16 v106, v6, v20
	v_pk_max_f16 v105, v105, v105
	s_and_b64 vcc, exec, s[0:1]
	v_pk_min_f16 v105, v105, v106
	v_pk_add_f16 v106, v7, v21
	s_nop 0
	v_pk_min_f16 v105, v105, v106
	s_nop 0
	v_lshrrev_b32_e32 v106, 16, v105
	v_min3_f16 v51, v51, v105, v106
	v_lshl_add_u64 v[106:107], v[44:45], 1, v[48:49]
	global_store_short v[106:107], v51, off
	s_cbranch_vccnz .LBB219_72
; %bb.71:
	v_lshl_add_u64 v[50:51], v[42:43], 1, v[46:47]
	flat_load_ushort v50, v[50:51]
	s_waitcnt vmcnt(0) lgkmcnt(0)
	v_mul_f16_e32 v50, v52, v50
.LBB219_72:
	v_pk_add_f16 v51, v0, v20
	v_pk_max_f16 v104, v104, v104
	s_and_b64 vcc, exec, s[0:1]
	v_pk_min_f16 v51, v104, v51
	v_pk_add_f16 v104, v1, v21
	s_nop 0
	v_pk_min_f16 v51, v51, v104
	s_nop 0
	v_lshrrev_b32_e32 v104, 16, v51
	v_min3_f16 v104, v50, v51, v104
	v_lshl_add_u64 v[50:51], v[42:43], 1, v[48:49]
	global_store_short v[50:51], v104, off
	v_mov_b32_e32 v50, 0
	v_mov_b32_e32 v51, 0
	s_cbranch_vccnz .LBB219_74
; %bb.73:
	v_lshl_add_u64 v[104:105], v[40:41], 1, v[46:47]
	flat_load_ushort v51, v[104:105]
	s_waitcnt vmcnt(0) lgkmcnt(0)
	v_mul_f16_e32 v51, v52, v51
.LBB219_74:
	v_pk_add_f16 v104, v2, v20
	v_pk_max_f16 v103, v103, v103
	s_and_b64 vcc, exec, s[0:1]
	v_pk_min_f16 v103, v103, v104
	v_pk_add_f16 v104, v3, v21
	s_nop 0
	v_pk_min_f16 v103, v103, v104
	s_nop 0
	v_lshrrev_b32_e32 v104, 16, v103
	v_min3_f16 v51, v51, v103, v104
	v_lshl_add_u64 v[104:105], v[40:41], 1, v[48:49]
	global_store_short v[104:105], v51, off
	s_cbranch_vccnz .LBB219_76
; %bb.75:
	v_lshl_add_u64 v[46:47], v[38:39], 1, v[46:47]
	flat_load_ushort v46, v[46:47]
	s_waitcnt vmcnt(0) lgkmcnt(0)
	v_mul_f16_e32 v50, v52, v46
.LBB219_76:
	v_pk_add_f16 v20, v24, v20
	v_pk_max_f16 v46, v102, v102
	v_pk_add_f16 v21, v25, v21
	v_pk_min_f16 v20, v46, v20
	s_and_b64 vcc, exec, s[0:1]
	v_pk_min_f16 v20, v20, v21
	s_nop 0
	v_lshrrev_b32_e32 v21, 16, v20
	v_min3_f16 v46, v50, v20, v21
	v_lshl_add_u64 v[20:21], v[38:39], 1, v[48:49]
	global_store_short v[20:21], v46, off
	v_add_u32_e32 v46, 64, v80
	v_mad_i64_i32 v[20:21], s[4:5], v46, s6, 0
	v_lshl_add_u64 v[20:21], v[20:21], 1, s[14:15]
	v_mov_b32_e32 v48, 0
	v_mov_b32_e32 v49, 0
	s_cbranch_vccnz .LBB219_78
; %bb.77:
	v_lshl_add_u64 v[50:51], v[28:29], 1, v[20:21]
	flat_load_ushort v47, v[50:51]
	s_waitcnt vmcnt(0) lgkmcnt(0)
	v_mul_f16_e32 v49, v52, v47
.LBB219_78:
	v_pk_add_f16 v47, v30, v22
	v_pk_max_f16 v50, v101, v101
	s_and_b64 vcc, exec, s[0:1]
	v_pk_min_f16 v47, v50, v47
	v_pk_add_f16 v50, v31, v23
	s_nop 0
	v_pk_min_f16 v50, v47, v50
	v_mad_i64_i32 v[46:47], s[4:5], v46, s7, 0
	v_lshl_add_u64 v[46:47], v[46:47], 1, s[2:3]
	v_lshrrev_b32_e32 v51, 16, v50
	v_min3_f16 v49, v49, v50, v51
	v_lshl_add_u64 v[50:51], v[28:29], 1, v[46:47]
	global_store_short v[50:51], v49, off
	s_cbranch_vccnz .LBB219_80
; %bb.79:
	v_lshl_add_u64 v[48:49], v[32:33], 1, v[20:21]
	flat_load_ushort v48, v[48:49]
	s_waitcnt vmcnt(0) lgkmcnt(0)
	v_mul_f16_e32 v48, v52, v48
.LBB219_80:
	v_pk_add_f16 v49, v8, v22
	v_pk_max_f16 v50, v100, v100
	s_and_b64 vcc, exec, s[0:1]
	v_pk_min_f16 v49, v50, v49
	v_pk_add_f16 v50, v9, v23
	s_nop 0
	v_pk_min_f16 v49, v49, v50
	s_nop 0
	v_lshrrev_b32_e32 v50, 16, v49
	v_min3_f16 v50, v48, v49, v50
	v_lshl_add_u64 v[48:49], v[32:33], 1, v[46:47]
	global_store_short v[48:49], v50, off
	v_mov_b32_e32 v48, 0
	v_mov_b32_e32 v49, 0
	s_cbranch_vccnz .LBB219_82
; %bb.81:
	v_lshl_add_u64 v[50:51], v[34:35], 1, v[20:21]
	flat_load_ushort v49, v[50:51]
	s_waitcnt vmcnt(0) lgkmcnt(0)
	v_mul_f16_e32 v49, v52, v49
.LBB219_82:
	v_pk_add_f16 v50, v10, v22
	v_pk_max_f16 v51, v99, v99
	s_and_b64 vcc, exec, s[0:1]
	v_pk_min_f16 v50, v51, v50
	v_pk_add_f16 v51, v11, v23
	s_nop 0
	v_pk_min_f16 v50, v50, v51
	s_nop 0
	v_lshrrev_b32_e32 v51, 16, v50
	v_min3_f16 v49, v49, v50, v51
	v_lshl_add_u64 v[50:51], v[34:35], 1, v[46:47]
	global_store_short v[50:51], v49, off
	s_cbranch_vccnz .LBB219_84
; %bb.83:
	v_lshl_add_u64 v[48:49], v[36:37], 1, v[20:21]
	flat_load_ushort v48, v[48:49]
	s_waitcnt vmcnt(0) lgkmcnt(0)
	v_mul_f16_e32 v48, v52, v48
.LBB219_84:
	v_pk_add_f16 v49, v4, v22
	v_pk_max_f16 v50, v98, v98
	s_and_b64 vcc, exec, s[0:1]
	v_pk_min_f16 v49, v50, v49
	v_pk_add_f16 v50, v5, v23
	s_nop 0
	v_pk_min_f16 v49, v49, v50
	s_nop 0
	v_lshrrev_b32_e32 v50, 16, v49
	v_min3_f16 v50, v48, v49, v50
	v_lshl_add_u64 v[48:49], v[36:37], 1, v[46:47]
	global_store_short v[48:49], v50, off
	v_mov_b32_e32 v48, 0
	v_mov_b32_e32 v49, 0
	s_cbranch_vccnz .LBB219_86
; %bb.85:
	v_lshl_add_u64 v[50:51], v[44:45], 1, v[20:21]
	flat_load_ushort v49, v[50:51]
	s_waitcnt vmcnt(0) lgkmcnt(0)
	v_mul_f16_e32 v49, v52, v49
.LBB219_86:
	v_pk_add_f16 v50, v6, v22
	v_pk_max_f16 v51, v97, v97
	s_and_b64 vcc, exec, s[0:1]
	v_pk_min_f16 v50, v51, v50
	v_pk_add_f16 v51, v7, v23
	s_nop 0
	v_pk_min_f16 v50, v50, v51
	s_nop 0
	v_lshrrev_b32_e32 v51, 16, v50
	v_min3_f16 v49, v49, v50, v51
	v_lshl_add_u64 v[50:51], v[44:45], 1, v[46:47]
	global_store_short v[50:51], v49, off
	s_cbranch_vccnz .LBB219_88
; %bb.87:
	v_lshl_add_u64 v[48:49], v[42:43], 1, v[20:21]
	flat_load_ushort v48, v[48:49]
	s_waitcnt vmcnt(0) lgkmcnt(0)
	v_mul_f16_e32 v48, v52, v48
.LBB219_88:
	v_pk_add_f16 v49, v0, v22
	v_pk_max_f16 v50, v96, v96
	s_and_b64 vcc, exec, s[0:1]
	v_pk_min_f16 v49, v50, v49
	v_pk_add_f16 v50, v1, v23
	s_nop 0
	v_pk_min_f16 v49, v49, v50
	s_nop 0
	v_lshrrev_b32_e32 v50, 16, v49
	v_min3_f16 v50, v48, v49, v50
	v_lshl_add_u64 v[48:49], v[42:43], 1, v[46:47]
	global_store_short v[48:49], v50, off
	v_mov_b32_e32 v48, 0
	v_mov_b32_e32 v49, 0
	s_cbranch_vccnz .LBB219_90
; %bb.89:
	v_lshl_add_u64 v[50:51], v[40:41], 1, v[20:21]
	flat_load_ushort v49, v[50:51]
	s_waitcnt vmcnt(0) lgkmcnt(0)
	v_mul_f16_e32 v49, v52, v49
.LBB219_90:
	v_pk_add_f16 v50, v2, v22
	v_pk_max_f16 v51, v95, v95
	s_and_b64 vcc, exec, s[0:1]
	v_pk_min_f16 v50, v51, v50
	v_pk_add_f16 v51, v3, v23
	s_nop 0
	v_pk_min_f16 v50, v50, v51
	s_nop 0
	v_lshrrev_b32_e32 v51, 16, v50
	v_min3_f16 v49, v49, v50, v51
	v_lshl_add_u64 v[50:51], v[40:41], 1, v[46:47]
	global_store_short v[50:51], v49, off
	s_cbranch_vccnz .LBB219_92
; %bb.91:
	v_lshl_add_u64 v[20:21], v[38:39], 1, v[20:21]
	flat_load_ushort v20, v[20:21]
	s_waitcnt vmcnt(0) lgkmcnt(0)
	v_mul_f16_e32 v48, v52, v20
.LBB219_92:
	v_pk_add_f16 v20, v24, v22
	v_pk_max_f16 v21, v94, v94
	s_and_b64 vcc, exec, s[0:1]
	v_pk_min_f16 v20, v21, v20
	v_pk_add_f16 v21, v25, v23
	s_nop 0
	v_pk_min_f16 v20, v20, v21
	s_nop 0
	v_lshrrev_b32_e32 v21, 16, v20
	v_min3_f16 v22, v48, v20, v21
	v_lshl_add_u64 v[20:21], v[38:39], 1, v[46:47]
	global_store_short v[20:21], v22, off
	v_add_u32_e32 v22, 0x60, v80
	v_mad_i64_i32 v[20:21], s[4:5], v22, s6, 0
	v_lshl_add_u64 v[20:21], v[20:21], 1, s[14:15]
	v_mov_b32_e32 v46, 0
	v_mov_b32_e32 v47, 0
	s_cbranch_vccnz .LBB219_94
; %bb.93:
	v_lshl_add_u64 v[48:49], v[28:29], 1, v[20:21]
	flat_load_ushort v23, v[48:49]
	s_waitcnt vmcnt(0) lgkmcnt(0)
	v_mul_f16_e32 v47, v52, v23
.LBB219_94:
	v_pk_add_f16 v23, v30, v16
	v_pk_max_f16 v48, v93, v93
	s_and_b64 vcc, exec, s[0:1]
	v_pk_min_f16 v23, v48, v23
	v_pk_add_f16 v48, v31, v17
	s_nop 0
	v_pk_min_f16 v48, v23, v48
	v_mad_i64_i32 v[22:23], s[4:5], v22, s7, 0
	v_lshl_add_u64 v[22:23], v[22:23], 1, s[2:3]
	v_lshrrev_b32_e32 v49, 16, v48
	v_min3_f16 v47, v47, v48, v49
	v_lshl_add_u64 v[48:49], v[28:29], 1, v[22:23]
	global_store_short v[48:49], v47, off
	s_cbranch_vccnz .LBB219_96
; %bb.95:
	v_lshl_add_u64 v[46:47], v[32:33], 1, v[20:21]
	flat_load_ushort v46, v[46:47]
	s_waitcnt vmcnt(0) lgkmcnt(0)
	v_mul_f16_e32 v46, v52, v46
.LBB219_96:
	v_pk_add_f16 v47, v8, v16
	v_pk_max_f16 v48, v92, v92
	s_and_b64 vcc, exec, s[0:1]
	v_pk_min_f16 v47, v48, v47
	v_pk_add_f16 v48, v9, v17
	s_nop 0
	v_pk_min_f16 v47, v47, v48
	s_nop 0
	v_lshrrev_b32_e32 v48, 16, v47
	v_min3_f16 v48, v46, v47, v48
	v_lshl_add_u64 v[46:47], v[32:33], 1, v[22:23]
	global_store_short v[46:47], v48, off
	v_mov_b32_e32 v46, 0
	v_mov_b32_e32 v47, 0
	s_cbranch_vccnz .LBB219_98
; %bb.97:
	v_lshl_add_u64 v[48:49], v[34:35], 1, v[20:21]
	flat_load_ushort v47, v[48:49]
	s_waitcnt vmcnt(0) lgkmcnt(0)
	v_mul_f16_e32 v47, v52, v47
.LBB219_98:
	v_pk_add_f16 v48, v10, v16
	v_pk_max_f16 v49, v91, v91
	s_and_b64 vcc, exec, s[0:1]
	v_pk_min_f16 v48, v49, v48
	v_pk_add_f16 v49, v11, v17
	s_nop 0
	v_pk_min_f16 v48, v48, v49
	s_nop 0
	v_lshrrev_b32_e32 v49, 16, v48
	v_min3_f16 v47, v47, v48, v49
	v_lshl_add_u64 v[48:49], v[34:35], 1, v[22:23]
	global_store_short v[48:49], v47, off
	s_cbranch_vccnz .LBB219_100
; %bb.99:
	v_lshl_add_u64 v[46:47], v[36:37], 1, v[20:21]
	flat_load_ushort v46, v[46:47]
	s_waitcnt vmcnt(0) lgkmcnt(0)
	v_mul_f16_e32 v46, v52, v46
.LBB219_100:
	v_pk_add_f16 v47, v4, v16
	v_pk_max_f16 v48, v90, v90
	s_and_b64 vcc, exec, s[0:1]
	v_pk_min_f16 v47, v48, v47
	v_pk_add_f16 v48, v5, v17
	s_nop 0
	v_pk_min_f16 v47, v47, v48
	s_nop 0
	v_lshrrev_b32_e32 v48, 16, v47
	v_min3_f16 v48, v46, v47, v48
	v_lshl_add_u64 v[46:47], v[36:37], 1, v[22:23]
	global_store_short v[46:47], v48, off
	v_mov_b32_e32 v46, 0
	v_mov_b32_e32 v47, 0
	s_cbranch_vccnz .LBB219_102
; %bb.101:
	v_lshl_add_u64 v[48:49], v[44:45], 1, v[20:21]
	flat_load_ushort v47, v[48:49]
	s_waitcnt vmcnt(0) lgkmcnt(0)
	v_mul_f16_e32 v47, v52, v47
.LBB219_102:
	v_pk_add_f16 v48, v6, v16
	v_pk_max_f16 v49, v89, v89
	s_and_b64 vcc, exec, s[0:1]
	v_pk_min_f16 v48, v49, v48
	v_pk_add_f16 v49, v7, v17
	s_nop 0
	v_pk_min_f16 v48, v48, v49
	s_nop 0
	;; [unrolled: 40-line block ×3, first 2 shown]
	v_lshrrev_b32_e32 v49, 16, v48
	v_min3_f16 v47, v47, v48, v49
	v_lshl_add_u64 v[48:49], v[40:41], 1, v[22:23]
	global_store_short v[48:49], v47, off
	s_cbranch_vccnz .LBB219_108
; %bb.107:
	v_lshl_add_u64 v[20:21], v[38:39], 1, v[20:21]
	flat_load_ushort v20, v[20:21]
	s_waitcnt vmcnt(0) lgkmcnt(0)
	v_mul_f16_e32 v46, v52, v20
.LBB219_108:
	v_pk_add_f16 v16, v24, v16
	v_pk_max_f16 v20, v85, v85
	v_pk_add_f16 v17, v25, v17
	v_pk_min_f16 v16, v20, v16
	s_and_b64 vcc, exec, s[0:1]
	v_pk_min_f16 v16, v16, v17
	s_nop 0
	v_lshrrev_b32_e32 v17, 16, v16
	v_min3_f16 v20, v46, v16, v17
	v_lshl_add_u64 v[16:17], v[38:39], 1, v[22:23]
	global_store_short v[16:17], v20, off
	v_add_u32_e32 v20, 0x80, v80
	v_mad_i64_i32 v[16:17], s[4:5], v20, s6, 0
	v_lshl_add_u64 v[16:17], v[16:17], 1, s[14:15]
	v_mov_b32_e32 v22, 0
	v_mov_b32_e32 v23, 0
	s_cbranch_vccnz .LBB219_110
; %bb.109:
	v_lshl_add_u64 v[46:47], v[28:29], 1, v[16:17]
	flat_load_ushort v21, v[46:47]
	s_waitcnt vmcnt(0) lgkmcnt(0)
	v_mul_f16_e32 v23, v52, v21
.LBB219_110:
	v_pk_add_f16 v21, v30, v18
	v_pk_max_f16 v46, v86, v86
	s_and_b64 vcc, exec, s[0:1]
	v_pk_min_f16 v21, v46, v21
	v_pk_add_f16 v46, v31, v19
	s_nop 0
	v_pk_min_f16 v46, v21, v46
	v_mad_i64_i32 v[20:21], s[4:5], v20, s7, 0
	v_lshl_add_u64 v[20:21], v[20:21], 1, s[2:3]
	v_lshrrev_b32_e32 v47, 16, v46
	v_min3_f16 v23, v23, v46, v47
	v_lshl_add_u64 v[46:47], v[28:29], 1, v[20:21]
	global_store_short v[46:47], v23, off
	s_cbranch_vccnz .LBB219_112
; %bb.111:
	v_lshl_add_u64 v[22:23], v[32:33], 1, v[16:17]
	flat_load_ushort v22, v[22:23]
	s_waitcnt vmcnt(0) lgkmcnt(0)
	v_mul_f16_e32 v22, v52, v22
.LBB219_112:
	v_pk_add_f16 v23, v8, v18
	v_pk_max_f16 v46, v84, v84
	s_and_b64 vcc, exec, s[0:1]
	v_pk_min_f16 v23, v46, v23
	v_pk_add_f16 v46, v9, v19
	s_nop 0
	v_pk_min_f16 v23, v23, v46
	s_nop 0
	v_lshrrev_b32_e32 v46, 16, v23
	v_min3_f16 v46, v22, v23, v46
	v_lshl_add_u64 v[22:23], v[32:33], 1, v[20:21]
	global_store_short v[22:23], v46, off
	v_mov_b32_e32 v22, 0
	v_mov_b32_e32 v23, 0
	s_cbranch_vccnz .LBB219_114
; %bb.113:
	v_lshl_add_u64 v[46:47], v[34:35], 1, v[16:17]
	flat_load_ushort v23, v[46:47]
	s_waitcnt vmcnt(0) lgkmcnt(0)
	v_mul_f16_e32 v23, v52, v23
.LBB219_114:
	v_pk_add_f16 v46, v10, v18
	v_pk_max_f16 v47, v83, v83
	s_and_b64 vcc, exec, s[0:1]
	v_pk_min_f16 v46, v47, v46
	v_pk_add_f16 v47, v11, v19
	s_nop 0
	v_pk_min_f16 v46, v46, v47
	s_nop 0
	v_lshrrev_b32_e32 v47, 16, v46
	v_min3_f16 v23, v23, v46, v47
	v_lshl_add_u64 v[46:47], v[34:35], 1, v[20:21]
	global_store_short v[46:47], v23, off
	s_cbranch_vccnz .LBB219_116
; %bb.115:
	v_lshl_add_u64 v[22:23], v[36:37], 1, v[16:17]
	flat_load_ushort v22, v[22:23]
	s_waitcnt vmcnt(0) lgkmcnt(0)
	v_mul_f16_e32 v22, v52, v22
.LBB219_116:
	v_pk_add_f16 v23, v4, v18
	v_pk_max_f16 v46, v82, v82
	s_and_b64 vcc, exec, s[0:1]
	v_pk_min_f16 v23, v46, v23
	v_pk_add_f16 v46, v5, v19
	s_nop 0
	v_pk_min_f16 v23, v23, v46
	s_nop 0
	v_lshrrev_b32_e32 v46, 16, v23
	v_min3_f16 v46, v22, v23, v46
	v_lshl_add_u64 v[22:23], v[36:37], 1, v[20:21]
	global_store_short v[22:23], v46, off
	v_mov_b32_e32 v22, 0
	v_mov_b32_e32 v23, 0
	s_cbranch_vccnz .LBB219_118
; %bb.117:
	v_lshl_add_u64 v[46:47], v[44:45], 1, v[16:17]
	flat_load_ushort v23, v[46:47]
	s_waitcnt vmcnt(0) lgkmcnt(0)
	v_mul_f16_e32 v23, v52, v23
.LBB219_118:
	v_pk_add_f16 v46, v6, v18
	v_pk_max_f16 v47, v81, v81
	s_and_b64 vcc, exec, s[0:1]
	v_pk_min_f16 v46, v47, v46
	v_pk_add_f16 v47, v7, v19
	s_nop 0
	v_pk_min_f16 v46, v46, v47
	s_nop 0
	;; [unrolled: 40-line block ×3, first 2 shown]
	v_lshrrev_b32_e32 v47, 16, v46
	v_min3_f16 v23, v23, v46, v47
	v_lshl_add_u64 v[46:47], v[40:41], 1, v[20:21]
	global_store_short v[46:47], v23, off
	s_cbranch_vccnz .LBB219_124
; %bb.123:
	v_lshl_add_u64 v[16:17], v[38:39], 1, v[16:17]
	flat_load_ushort v16, v[16:17]
	s_waitcnt vmcnt(0) lgkmcnt(0)
	v_mul_f16_e32 v22, v52, v16
.LBB219_124:
	v_pk_add_f16 v16, v24, v18
	v_pk_max_f16 v17, v77, v77
	s_and_b64 vcc, exec, s[0:1]
	v_pk_min_f16 v16, v17, v16
	v_pk_add_f16 v17, v25, v19
	s_nop 0
	v_pk_min_f16 v16, v16, v17
	s_nop 0
	v_lshrrev_b32_e32 v17, 16, v16
	v_min3_f16 v18, v22, v16, v17
	v_lshl_add_u64 v[16:17], v[38:39], 1, v[20:21]
	global_store_short v[16:17], v18, off
	v_add_u32_e32 v18, 0xa0, v80
	v_mad_i64_i32 v[16:17], s[4:5], v18, s6, 0
	v_lshl_add_u64 v[16:17], v[16:17], 1, s[14:15]
	v_mov_b32_e32 v20, 0
	v_mov_b32_e32 v21, 0
	s_cbranch_vccnz .LBB219_126
; %bb.125:
	v_lshl_add_u64 v[22:23], v[28:29], 1, v[16:17]
	flat_load_ushort v19, v[22:23]
	s_waitcnt vmcnt(0) lgkmcnt(0)
	v_mul_f16_e32 v21, v52, v19
.LBB219_126:
	v_pk_add_f16 v19, v30, v12
	v_pk_max_f16 v22, v76, v76
	s_and_b64 vcc, exec, s[0:1]
	v_pk_min_f16 v19, v22, v19
	v_pk_add_f16 v22, v31, v13
	s_nop 0
	v_pk_min_f16 v22, v19, v22
	v_mad_i64_i32 v[18:19], s[4:5], v18, s7, 0
	v_lshl_add_u64 v[18:19], v[18:19], 1, s[2:3]
	v_lshrrev_b32_e32 v23, 16, v22
	v_min3_f16 v21, v21, v22, v23
	v_lshl_add_u64 v[22:23], v[28:29], 1, v[18:19]
	global_store_short v[22:23], v21, off
	s_cbranch_vccnz .LBB219_128
; %bb.127:
	v_lshl_add_u64 v[20:21], v[32:33], 1, v[16:17]
	flat_load_ushort v20, v[20:21]
	s_waitcnt vmcnt(0) lgkmcnt(0)
	v_mul_f16_e32 v20, v52, v20
.LBB219_128:
	v_pk_add_f16 v21, v8, v12
	v_pk_max_f16 v22, v75, v75
	s_and_b64 vcc, exec, s[0:1]
	v_pk_min_f16 v21, v22, v21
	v_pk_add_f16 v22, v9, v13
	s_nop 0
	v_pk_min_f16 v21, v21, v22
	s_nop 0
	v_lshrrev_b32_e32 v22, 16, v21
	v_min3_f16 v22, v20, v21, v22
	v_lshl_add_u64 v[20:21], v[32:33], 1, v[18:19]
	global_store_short v[20:21], v22, off
	v_mov_b32_e32 v20, 0
	v_mov_b32_e32 v21, 0
	s_cbranch_vccnz .LBB219_130
; %bb.129:
	v_lshl_add_u64 v[22:23], v[34:35], 1, v[16:17]
	flat_load_ushort v21, v[22:23]
	s_waitcnt vmcnt(0) lgkmcnt(0)
	v_mul_f16_e32 v21, v52, v21
.LBB219_130:
	v_pk_add_f16 v22, v10, v12
	v_pk_max_f16 v23, v74, v74
	s_and_b64 vcc, exec, s[0:1]
	v_pk_min_f16 v22, v23, v22
	v_pk_add_f16 v23, v11, v13
	s_nop 0
	v_pk_min_f16 v22, v22, v23
	s_nop 0
	v_lshrrev_b32_e32 v23, 16, v22
	v_min3_f16 v21, v21, v22, v23
	v_lshl_add_u64 v[22:23], v[34:35], 1, v[18:19]
	global_store_short v[22:23], v21, off
	s_cbranch_vccnz .LBB219_132
; %bb.131:
	v_lshl_add_u64 v[20:21], v[36:37], 1, v[16:17]
	flat_load_ushort v20, v[20:21]
	s_waitcnt vmcnt(0) lgkmcnt(0)
	v_mul_f16_e32 v20, v52, v20
.LBB219_132:
	v_pk_add_f16 v21, v4, v12
	v_pk_max_f16 v22, v73, v73
	s_and_b64 vcc, exec, s[0:1]
	v_pk_min_f16 v21, v22, v21
	v_pk_add_f16 v22, v5, v13
	s_nop 0
	v_pk_min_f16 v21, v21, v22
	s_nop 0
	v_lshrrev_b32_e32 v22, 16, v21
	v_min3_f16 v22, v20, v21, v22
	v_lshl_add_u64 v[20:21], v[36:37], 1, v[18:19]
	global_store_short v[20:21], v22, off
	v_mov_b32_e32 v20, 0
	v_mov_b32_e32 v21, 0
	s_cbranch_vccnz .LBB219_134
; %bb.133:
	v_lshl_add_u64 v[22:23], v[44:45], 1, v[16:17]
	flat_load_ushort v21, v[22:23]
	s_waitcnt vmcnt(0) lgkmcnt(0)
	v_mul_f16_e32 v21, v52, v21
.LBB219_134:
	v_pk_add_f16 v22, v6, v12
	v_pk_max_f16 v23, v72, v72
	s_and_b64 vcc, exec, s[0:1]
	v_pk_min_f16 v22, v23, v22
	v_pk_add_f16 v23, v7, v13
	s_nop 0
	v_pk_min_f16 v22, v22, v23
	s_nop 0
	;; [unrolled: 40-line block ×3, first 2 shown]
	v_lshrrev_b32_e32 v23, 16, v22
	v_min3_f16 v21, v21, v22, v23
	v_lshl_add_u64 v[22:23], v[40:41], 1, v[18:19]
	global_store_short v[22:23], v21, off
	s_cbranch_vccnz .LBB219_140
; %bb.139:
	v_lshl_add_u64 v[16:17], v[38:39], 1, v[16:17]
	flat_load_ushort v16, v[16:17]
	s_waitcnt vmcnt(0) lgkmcnt(0)
	v_mul_f16_e32 v20, v52, v16
.LBB219_140:
	v_pk_add_f16 v12, v24, v12
	v_pk_max_f16 v16, v69, v69
	v_pk_add_f16 v13, v25, v13
	v_pk_min_f16 v12, v16, v12
	s_and_b64 vcc, exec, s[0:1]
	v_pk_min_f16 v12, v12, v13
	s_nop 0
	v_lshrrev_b32_e32 v13, 16, v12
	v_min3_f16 v16, v20, v12, v13
	v_lshl_add_u64 v[12:13], v[38:39], 1, v[18:19]
	global_store_short v[12:13], v16, off
	v_add_u32_e32 v16, 0xc0, v80
	v_mad_i64_i32 v[12:13], s[4:5], v16, s6, 0
	v_lshl_add_u64 v[12:13], v[12:13], 1, s[14:15]
	v_mov_b32_e32 v18, 0
	v_mov_b32_e32 v19, 0
	s_cbranch_vccnz .LBB219_142
; %bb.141:
	v_lshl_add_u64 v[20:21], v[28:29], 1, v[12:13]
	flat_load_ushort v17, v[20:21]
	s_waitcnt vmcnt(0) lgkmcnt(0)
	v_mul_f16_e32 v19, v52, v17
.LBB219_142:
	v_pk_add_f16 v17, v30, v14
	v_pk_max_f16 v20, v67, v67
	s_and_b64 vcc, exec, s[0:1]
	v_pk_min_f16 v17, v20, v17
	v_pk_add_f16 v20, v31, v15
	s_nop 0
	v_pk_min_f16 v20, v17, v20
	v_mad_i64_i32 v[16:17], s[4:5], v16, s7, 0
	v_lshl_add_u64 v[16:17], v[16:17], 1, s[2:3]
	v_lshrrev_b32_e32 v21, 16, v20
	v_min3_f16 v19, v19, v20, v21
	v_lshl_add_u64 v[20:21], v[28:29], 1, v[16:17]
	global_store_short v[20:21], v19, off
	s_cbranch_vccnz .LBB219_144
; %bb.143:
	v_lshl_add_u64 v[18:19], v[32:33], 1, v[12:13]
	flat_load_ushort v18, v[18:19]
	s_waitcnt vmcnt(0) lgkmcnt(0)
	v_mul_f16_e32 v18, v52, v18
.LBB219_144:
	v_pk_add_f16 v19, v8, v14
	v_pk_max_f16 v20, v66, v66
	s_and_b64 vcc, exec, s[0:1]
	v_pk_min_f16 v19, v20, v19
	v_pk_add_f16 v20, v9, v15
	s_nop 0
	v_pk_min_f16 v19, v19, v20
	s_nop 0
	v_lshrrev_b32_e32 v20, 16, v19
	v_min3_f16 v20, v18, v19, v20
	v_lshl_add_u64 v[18:19], v[32:33], 1, v[16:17]
	global_store_short v[18:19], v20, off
	v_mov_b32_e32 v18, 0
	v_mov_b32_e32 v19, 0
	s_cbranch_vccnz .LBB219_146
; %bb.145:
	v_lshl_add_u64 v[20:21], v[34:35], 1, v[12:13]
	flat_load_ushort v19, v[20:21]
	s_waitcnt vmcnt(0) lgkmcnt(0)
	v_mul_f16_e32 v19, v52, v19
.LBB219_146:
	v_pk_add_f16 v20, v10, v14
	v_pk_max_f16 v21, v65, v65
	s_and_b64 vcc, exec, s[0:1]
	v_pk_min_f16 v20, v21, v20
	v_pk_add_f16 v21, v11, v15
	s_nop 0
	v_pk_min_f16 v20, v20, v21
	s_nop 0
	v_lshrrev_b32_e32 v21, 16, v20
	v_min3_f16 v19, v19, v20, v21
	v_lshl_add_u64 v[20:21], v[34:35], 1, v[16:17]
	global_store_short v[20:21], v19, off
	s_cbranch_vccnz .LBB219_148
; %bb.147:
	v_lshl_add_u64 v[18:19], v[36:37], 1, v[12:13]
	flat_load_ushort v18, v[18:19]
	s_waitcnt vmcnt(0) lgkmcnt(0)
	v_mul_f16_e32 v18, v52, v18
.LBB219_148:
	v_pk_add_f16 v19, v4, v14
	v_pk_max_f16 v20, v64, v64
	s_and_b64 vcc, exec, s[0:1]
	v_pk_min_f16 v19, v20, v19
	v_pk_add_f16 v20, v5, v15
	s_nop 0
	v_pk_min_f16 v19, v19, v20
	s_nop 0
	v_lshrrev_b32_e32 v20, 16, v19
	v_min3_f16 v20, v18, v19, v20
	v_lshl_add_u64 v[18:19], v[36:37], 1, v[16:17]
	global_store_short v[18:19], v20, off
	v_mov_b32_e32 v18, 0
	v_mov_b32_e32 v19, 0
	s_cbranch_vccnz .LBB219_150
; %bb.149:
	v_lshl_add_u64 v[20:21], v[44:45], 1, v[12:13]
	flat_load_ushort v19, v[20:21]
	s_waitcnt vmcnt(0) lgkmcnt(0)
	v_mul_f16_e32 v19, v52, v19
.LBB219_150:
	v_pk_add_f16 v20, v6, v14
	v_pk_max_f16 v21, v63, v63
	s_and_b64 vcc, exec, s[0:1]
	v_pk_min_f16 v20, v21, v20
	v_pk_add_f16 v21, v7, v15
	s_nop 0
	v_pk_min_f16 v20, v20, v21
	s_nop 0
	;; [unrolled: 40-line block ×3, first 2 shown]
	v_lshrrev_b32_e32 v21, 16, v20
	v_min3_f16 v19, v19, v20, v21
	v_lshl_add_u64 v[20:21], v[40:41], 1, v[16:17]
	global_store_short v[20:21], v19, off
	s_cbranch_vccnz .LBB219_156
; %bb.155:
	v_lshl_add_u64 v[12:13], v[38:39], 1, v[12:13]
	flat_load_ushort v12, v[12:13]
	s_waitcnt vmcnt(0) lgkmcnt(0)
	v_mul_f16_e32 v18, v52, v12
.LBB219_156:
	v_pk_add_f16 v12, v24, v14
	v_pk_max_f16 v13, v59, v59
	s_and_b64 vcc, exec, s[0:1]
	v_pk_min_f16 v12, v13, v12
	v_pk_add_f16 v13, v25, v15
	s_nop 0
	v_pk_min_f16 v12, v12, v13
	s_nop 0
	v_lshrrev_b32_e32 v13, 16, v12
	v_min3_f16 v14, v18, v12, v13
	v_lshl_add_u64 v[12:13], v[38:39], 1, v[16:17]
	global_store_short v[12:13], v14, off
	v_add_u32_e32 v14, 0xe0, v80
	v_mad_i64_i32 v[12:13], s[4:5], v14, s6, 0
	v_lshl_add_u64 v[12:13], v[12:13], 1, s[14:15]
	v_mov_b32_e32 v16, 0
	v_mov_b32_e32 v17, 0
	s_cbranch_vccnz .LBB219_158
; %bb.157:
	v_lshl_add_u64 v[18:19], v[28:29], 1, v[12:13]
	flat_load_ushort v15, v[18:19]
	s_waitcnt vmcnt(0) lgkmcnt(0)
	v_mul_f16_e32 v17, v52, v15
.LBB219_158:
	v_pk_add_f16 v15, v30, v26
	v_pk_max_f16 v18, v60, v60
	s_and_b64 vcc, exec, s[0:1]
	v_pk_min_f16 v15, v18, v15
	v_pk_add_f16 v18, v31, v27
	s_nop 0
	v_pk_min_f16 v18, v15, v18
	v_mad_i64_i32 v[14:15], s[4:5], v14, s7, 0
	v_lshl_add_u64 v[14:15], v[14:15], 1, s[2:3]
	v_lshrrev_b32_e32 v19, 16, v18
	v_min3_f16 v17, v17, v18, v19
	v_lshl_add_u64 v[18:19], v[28:29], 1, v[14:15]
	global_store_short v[18:19], v17, off
	s_cbranch_vccnz .LBB219_160
; %bb.159:
	v_lshl_add_u64 v[16:17], v[32:33], 1, v[12:13]
	flat_load_ushort v16, v[16:17]
	s_waitcnt vmcnt(0) lgkmcnt(0)
	v_mul_f16_e32 v16, v52, v16
.LBB219_160:
	v_pk_add_f16 v8, v8, v26
	v_pk_max_f16 v17, v58, v58
	v_pk_add_f16 v9, v9, v27
	v_pk_min_f16 v8, v17, v8
	s_and_b64 vcc, exec, s[0:1]
	v_pk_min_f16 v8, v8, v9
	s_nop 0
	v_lshrrev_b32_e32 v9, 16, v8
	v_min3_f16 v16, v16, v8, v9
	v_lshl_add_u64 v[8:9], v[32:33], 1, v[14:15]
	global_store_short v[8:9], v16, off
	v_mov_b32_e32 v8, 0
	v_mov_b32_e32 v9, 0
	s_cbranch_vccnz .LBB219_162
; %bb.161:
	v_lshl_add_u64 v[16:17], v[34:35], 1, v[12:13]
	flat_load_ushort v9, v[16:17]
	s_waitcnt vmcnt(0) lgkmcnt(0)
	v_mul_f16_e32 v9, v52, v9
.LBB219_162:
	v_pk_add_f16 v10, v10, v26
	v_pk_max_f16 v16, v57, v57
	v_pk_add_f16 v11, v11, v27
	v_pk_min_f16 v10, v16, v10
	s_and_b64 vcc, exec, s[0:1]
	v_pk_min_f16 v10, v10, v11
	s_nop 0
	v_lshrrev_b32_e32 v11, 16, v10
	v_min3_f16 v9, v9, v10, v11
	v_lshl_add_u64 v[10:11], v[34:35], 1, v[14:15]
	global_store_short v[10:11], v9, off
	s_cbranch_vccnz .LBB219_164
; %bb.163:
	v_lshl_add_u64 v[8:9], v[36:37], 1, v[12:13]
	flat_load_ushort v8, v[8:9]
	s_waitcnt vmcnt(0) lgkmcnt(0)
	v_mul_f16_e32 v8, v52, v8
.LBB219_164:
	v_pk_add_f16 v4, v4, v26
	v_pk_max_f16 v9, v56, v56
	v_pk_add_f16 v5, v5, v27
	v_pk_min_f16 v4, v9, v4
	s_and_b64 vcc, exec, s[0:1]
	v_pk_min_f16 v4, v4, v5
	s_nop 0
	v_lshrrev_b32_e32 v5, 16, v4
	v_min3_f16 v8, v8, v4, v5
	v_lshl_add_u64 v[4:5], v[36:37], 1, v[14:15]
	global_store_short v[4:5], v8, off
	v_mov_b32_e32 v4, 0
	v_mov_b32_e32 v5, 0
	s_cbranch_vccnz .LBB219_166
; %bb.165:
	v_lshl_add_u64 v[8:9], v[44:45], 1, v[12:13]
	flat_load_ushort v5, v[8:9]
	s_waitcnt vmcnt(0) lgkmcnt(0)
	v_mul_f16_e32 v5, v52, v5
.LBB219_166:
	v_pk_add_f16 v6, v6, v26
	v_pk_max_f16 v8, v55, v55
	v_pk_add_f16 v7, v7, v27
	v_pk_min_f16 v6, v8, v6
	s_and_b64 vcc, exec, s[0:1]
	v_pk_min_f16 v6, v6, v7
	s_nop 0
	v_lshrrev_b32_e32 v7, 16, v6
	v_min3_f16 v5, v5, v6, v7
	v_lshl_add_u64 v[6:7], v[44:45], 1, v[14:15]
	global_store_short v[6:7], v5, off
	s_cbranch_vccnz .LBB219_168
; %bb.167:
	v_lshl_add_u64 v[4:5], v[42:43], 1, v[12:13]
	flat_load_ushort v4, v[4:5]
	s_waitcnt vmcnt(0) lgkmcnt(0)
	v_mul_f16_e32 v4, v52, v4
.LBB219_168:
	v_pk_add_f16 v0, v0, v26
	v_pk_max_f16 v5, v53, v53
	v_pk_add_f16 v2, v2, v26
	v_pk_min_f16 v0, v5, v0
	v_pk_max_f16 v5, v54, v54
	v_pk_add_f16 v1, v1, v27
	v_pk_min_f16 v2, v5, v2
	v_pk_min_f16 v0, v0, v1
	v_pk_add_f16 v1, v3, v27
	s_mov_b64 vcc, s[12:13]
	v_pk_min_f16 v2, v2, v1
	v_lshrrev_b32_e32 v1, 16, v0
	v_min3_f16 v3, v4, v0, v1
	v_lshl_add_u64 v[0:1], v[42:43], 1, v[14:15]
	global_store_short v[0:1], v3, off
	v_min_f16_sdwa v0, v2, v2 dst_sel:DWORD dst_unused:UNUSED_PAD src0_sel:DWORD src1_sel:WORD_1
	v_max_f16_e32 v0, v0, v0
	s_cbranch_vccz .LBB219_171
; %bb.169:
	v_min_f16_e32 v1, 0, v0
	v_lshl_add_u64 v[2:3], v[40:41], 1, v[14:15]
	s_mov_b32 s2, 0
	global_store_short v[2:3], v1, off
	s_cbranch_execz .LBB219_172
; %bb.170:
	v_mov_b32_e32 v0, s2
	s_branch .LBB219_173
.LBB219_171:
                                        ; implicit-def: $sgpr2
.LBB219_172:
	v_lshlrev_b64 v[2:3], 1, v[40:41]
	v_lshl_add_u64 v[4:5], v[12:13], 0, v[2:3]
	flat_load_ushort v1, v[4:5]
	v_lshl_add_u64 v[2:3], v[14:15], 0, v[2:3]
	s_waitcnt vmcnt(0) lgkmcnt(0)
	v_mul_f16_e32 v1, v52, v1
	v_min_f16_e32 v0, v1, v0
	global_store_short v[2:3], v0, off
	v_lshl_add_u64 v[0:1], v[38:39], 1, v[12:13]
	flat_load_ushort v0, v[0:1]
	s_waitcnt vmcnt(0) lgkmcnt(0)
	v_mul_f16_e32 v0, v52, v0
.LBB219_173:
	v_pk_add_f16 v1, v24, v26
	v_pk_max_f16 v2, v68, v68
	s_nop 0
	v_pk_min_f16 v1, v2, v1
	v_pk_add_f16 v2, v25, v27
	s_nop 0
	v_pk_min_f16 v1, v1, v2
	s_nop 0
	v_lshrrev_b32_e32 v2, 16, v1
	v_min3_f16 v2, v0, v1, v2
	v_lshl_add_u64 v[0:1], v[38:39], 1, v[14:15]
	global_store_short v[0:1], v2, off
	s_endpgm
	.section	.rodata,"a",@progbits
	.p2align	6, 0x0
	.amdhsa_kernel _ZN12_GLOBAL__N_120geam_min_plus_kernelIDF16_Dv2_DF16_S1_Li8ELi32ELi64ELi256ELi4ELi64ELi4ELi64ELi4ELc78ELc84ELb0ELb0ELb1EPKDF16_KS3_KPDF16_EEviiiT16_PT17_ilS9_ilS7_S9_ilPT18_ili26rocblas_geam_ex_operation_
		.amdhsa_group_segment_fixed_size 5120
		.amdhsa_private_segment_fixed_size 0
		.amdhsa_kernarg_size 136
		.amdhsa_user_sgpr_count 2
		.amdhsa_user_sgpr_dispatch_ptr 0
		.amdhsa_user_sgpr_queue_ptr 0
		.amdhsa_user_sgpr_kernarg_segment_ptr 1
		.amdhsa_user_sgpr_dispatch_id 0
		.amdhsa_user_sgpr_kernarg_preload_length 0
		.amdhsa_user_sgpr_kernarg_preload_offset 0
		.amdhsa_user_sgpr_private_segment_size 0
		.amdhsa_uses_dynamic_stack 0
		.amdhsa_enable_private_segment 0
		.amdhsa_system_sgpr_workgroup_id_x 1
		.amdhsa_system_sgpr_workgroup_id_y 0
		.amdhsa_system_sgpr_workgroup_id_z 1
		.amdhsa_system_sgpr_workgroup_info 0
		.amdhsa_system_vgpr_workitem_id 1
		.amdhsa_next_free_vgpr 173
		.amdhsa_next_free_sgpr 28
		.amdhsa_accum_offset 176
		.amdhsa_reserve_vcc 1
		.amdhsa_float_round_mode_32 0
		.amdhsa_float_round_mode_16_64 0
		.amdhsa_float_denorm_mode_32 3
		.amdhsa_float_denorm_mode_16_64 3
		.amdhsa_dx10_clamp 1
		.amdhsa_ieee_mode 1
		.amdhsa_fp16_overflow 0
		.amdhsa_tg_split 0
		.amdhsa_exception_fp_ieee_invalid_op 0
		.amdhsa_exception_fp_denorm_src 0
		.amdhsa_exception_fp_ieee_div_zero 0
		.amdhsa_exception_fp_ieee_overflow 0
		.amdhsa_exception_fp_ieee_underflow 0
		.amdhsa_exception_fp_ieee_inexact 0
		.amdhsa_exception_int_div_zero 0
	.end_amdhsa_kernel
	.section	.text._ZN12_GLOBAL__N_120geam_min_plus_kernelIDF16_Dv2_DF16_S1_Li8ELi32ELi64ELi256ELi4ELi64ELi4ELi64ELi4ELc78ELc84ELb0ELb0ELb1EPKDF16_KS3_KPDF16_EEviiiT16_PT17_ilS9_ilS7_S9_ilPT18_ili26rocblas_geam_ex_operation_,"axG",@progbits,_ZN12_GLOBAL__N_120geam_min_plus_kernelIDF16_Dv2_DF16_S1_Li8ELi32ELi64ELi256ELi4ELi64ELi4ELi64ELi4ELc78ELc84ELb0ELb0ELb1EPKDF16_KS3_KPDF16_EEviiiT16_PT17_ilS9_ilS7_S9_ilPT18_ili26rocblas_geam_ex_operation_,comdat
.Lfunc_end219:
	.size	_ZN12_GLOBAL__N_120geam_min_plus_kernelIDF16_Dv2_DF16_S1_Li8ELi32ELi64ELi256ELi4ELi64ELi4ELi64ELi4ELc78ELc84ELb0ELb0ELb1EPKDF16_KS3_KPDF16_EEviiiT16_PT17_ilS9_ilS7_S9_ilPT18_ili26rocblas_geam_ex_operation_, .Lfunc_end219-_ZN12_GLOBAL__N_120geam_min_plus_kernelIDF16_Dv2_DF16_S1_Li8ELi32ELi64ELi256ELi4ELi64ELi4ELi64ELi4ELc78ELc84ELb0ELb0ELb1EPKDF16_KS3_KPDF16_EEviiiT16_PT17_ilS9_ilS7_S9_ilPT18_ili26rocblas_geam_ex_operation_
                                        ; -- End function
	.section	.AMDGPU.csdata,"",@progbits
; Kernel info:
; codeLenInByte = 16980
; NumSgprs: 34
; NumVgprs: 173
; NumAgprs: 0
; TotalNumVgprs: 173
; ScratchSize: 0
; MemoryBound: 0
; FloatMode: 240
; IeeeMode: 1
; LDSByteSize: 5120 bytes/workgroup (compile time only)
; SGPRBlocks: 4
; VGPRBlocks: 21
; NumSGPRsForWavesPerEU: 34
; NumVGPRsForWavesPerEU: 173
; AccumOffset: 176
; Occupancy: 2
; WaveLimiterHint : 1
; COMPUTE_PGM_RSRC2:SCRATCH_EN: 0
; COMPUTE_PGM_RSRC2:USER_SGPR: 2
; COMPUTE_PGM_RSRC2:TRAP_HANDLER: 0
; COMPUTE_PGM_RSRC2:TGID_X_EN: 1
; COMPUTE_PGM_RSRC2:TGID_Y_EN: 0
; COMPUTE_PGM_RSRC2:TGID_Z_EN: 1
; COMPUTE_PGM_RSRC2:TIDIG_COMP_CNT: 1
; COMPUTE_PGM_RSRC3_GFX90A:ACCUM_OFFSET: 43
; COMPUTE_PGM_RSRC3_GFX90A:TG_SPLIT: 0
	.section	.text._ZN12_GLOBAL__N_120geam_min_plus_kernelIDF16_Dv2_DF16_S1_Li8ELi32ELi64ELi256ELi4ELi64ELi4ELi64ELi4ELc78ELc84ELb1ELb0ELb1EDF16_KPKDF16_KPDF16_EEviiiT16_PT17_ilS9_ilS7_S9_ilPT18_ili26rocblas_geam_ex_operation_,"axG",@progbits,_ZN12_GLOBAL__N_120geam_min_plus_kernelIDF16_Dv2_DF16_S1_Li8ELi32ELi64ELi256ELi4ELi64ELi4ELi64ELi4ELc78ELc84ELb1ELb0ELb1EDF16_KPKDF16_KPDF16_EEviiiT16_PT17_ilS9_ilS7_S9_ilPT18_ili26rocblas_geam_ex_operation_,comdat
	.globl	_ZN12_GLOBAL__N_120geam_min_plus_kernelIDF16_Dv2_DF16_S1_Li8ELi32ELi64ELi256ELi4ELi64ELi4ELi64ELi4ELc78ELc84ELb1ELb0ELb1EDF16_KPKDF16_KPDF16_EEviiiT16_PT17_ilS9_ilS7_S9_ilPT18_ili26rocblas_geam_ex_operation_ ; -- Begin function _ZN12_GLOBAL__N_120geam_min_plus_kernelIDF16_Dv2_DF16_S1_Li8ELi32ELi64ELi256ELi4ELi64ELi4ELi64ELi4ELc78ELc84ELb1ELb0ELb1EDF16_KPKDF16_KPDF16_EEviiiT16_PT17_ilS9_ilS7_S9_ilPT18_ili26rocblas_geam_ex_operation_
	.p2align	8
	.type	_ZN12_GLOBAL__N_120geam_min_plus_kernelIDF16_Dv2_DF16_S1_Li8ELi32ELi64ELi256ELi4ELi64ELi4ELi64ELi4ELc78ELc84ELb1ELb0ELb1EDF16_KPKDF16_KPDF16_EEviiiT16_PT17_ilS9_ilS7_S9_ilPT18_ili26rocblas_geam_ex_operation_,@function
_ZN12_GLOBAL__N_120geam_min_plus_kernelIDF16_Dv2_DF16_S1_Li8ELi32ELi64ELi256ELi4ELi64ELi4ELi64ELi4ELc78ELc84ELb1ELb0ELb1EDF16_KPKDF16_KPDF16_EEviiiT16_PT17_ilS9_ilS7_S9_ilPT18_ili26rocblas_geam_ex_operation_: ; @_ZN12_GLOBAL__N_120geam_min_plus_kernelIDF16_Dv2_DF16_S1_Li8ELi32ELi64ELi256ELi4ELi64ELi4ELi64ELi4ELc78ELc84ELb1ELb0ELb1EDF16_KPKDF16_KPDF16_EEviiiT16_PT17_ilS9_ilS7_S9_ilPT18_ili26rocblas_geam_ex_operation_
; %bb.0:
	s_load_dwordx2 s[12:13], s[0:1], 0x8
	s_load_dwordx4 s[4:7], s[0:1], 0x20
	s_mov_b32 s22, s3
	s_mov_b32 s23, 0
	s_waitcnt lgkmcnt(0)
	v_cmp_eq_f16_e64 s[8:9], s13, 0
	s_and_b64 vcc, exec, s[8:9]
	s_cbranch_vccnz .LBB220_3
; %bb.1:
	s_load_dwordx2 s[10:11], s[0:1], 0x10
	s_lshl_b64 s[14:15], s[22:23], 3
	s_waitcnt lgkmcnt(0)
	s_add_u32 s10, s10, s14
	s_addc_u32 s11, s11, s15
	s_load_dwordx2 s[10:11], s[10:11], 0x0
	s_lshl_b64 s[4:5], s[4:5], 1
	s_waitcnt lgkmcnt(0)
	s_add_u32 s14, s10, s4
	s_addc_u32 s15, s11, s5
	s_andn2_b64 vcc, exec, s[8:9]
	s_cbranch_vccnz .LBB220_4
.LBB220_2:
	s_mov_b64 s[16:17], 0
	s_cbranch_execz .LBB220_5
	s_branch .LBB220_6
.LBB220_3:
	s_mov_b64 s[14:15], 0
	s_andn2_b64 vcc, exec, s[8:9]
	s_cbranch_vccz .LBB220_2
.LBB220_4:
                                        ; implicit-def: $sgpr16_sgpr17
.LBB220_5:
	s_lshl_b64 s[8:9], s[22:23], 3
	s_add_u32 s6, s6, s8
	s_load_dwordx2 s[4:5], s[0:1], 0x38
	s_addc_u32 s7, s7, s9
	s_load_dwordx2 s[6:7], s[6:7], 0x0
	s_waitcnt lgkmcnt(0)
	s_lshl_b64 s[4:5], s[4:5], 1
	s_add_u32 s16, s6, s4
	s_addc_u32 s17, s7, s5
.LBB220_6:
	s_load_dword s13, s[0:1], 0x40
	s_load_dwordx4 s[8:11], s[0:1], 0x58
	s_waitcnt lgkmcnt(0)
	v_cmp_eq_f16_e64 s[4:5], s13, 0
	s_and_b64 s[4:5], exec, s[4:5]
	s_mov_b64 vcc, s[4:5]
	s_cbranch_vccnz .LBB220_8
; %bb.7:
	s_load_dwordx2 s[6:7], s[0:1], 0x48
	s_lshl_b64 s[18:19], s[22:23], 3
	s_waitcnt lgkmcnt(0)
	s_add_u32 s6, s6, s18
	s_addc_u32 s7, s7, s19
	s_load_dwordx2 s[6:7], s[6:7], 0x0
	s_lshl_b64 s[8:9], s[8:9], 1
	s_waitcnt lgkmcnt(0)
	s_add_u32 s6, s6, s8
	s_addc_u32 s7, s7, s9
	s_branch .LBB220_9
.LBB220_8:
	s_mov_b64 s[6:7], 0
.LBB220_9:
	s_load_dword s3, s[0:1], 0x0
	s_load_dword s20, s[0:1], 0x18
	;; [unrolled: 1-line block ×3, first 2 shown]
	s_lshl_b64 s[8:9], s[22:23], 3
	s_add_u32 s8, s10, s8
	s_addc_u32 s9, s11, s9
	s_waitcnt lgkmcnt(0)
	s_add_i32 s3, s3, -1
	s_ashr_i32 s10, s3, 31
	s_lshr_b32 s10, s10, 26
	s_add_i32 s3, s3, s10
	s_ashr_i32 s3, s3, 6
	s_add_i32 s10, s3, 1
	v_cvt_f32_u32_e32 v1, s10
	v_and_b32_e32 v45, 0x3ff, v0
	v_bfe_u32 v48, v0, 10, 10
	s_not_b32 s3, s3
	v_rcp_iflag_f32_e32 v1, v1
	v_lshlrev_b32_e32 v44, 3, v48
	v_lshlrev_b32_e32 v50, 3, v45
	v_add_u32_e32 v46, 0x1000, v50
	v_mul_f32_e32 v0, 0x4f7ffffe, v1
	v_cvt_u32_f32_e32 v0, v0
	v_add_u32_e32 v1, v44, v45
	v_and_b32_e32 v8, 63, v1
	v_lshrrev_b32_e32 v40, 6, v1
	v_readfirstlane_b32 s11, v0
	s_mul_i32 s3, s3, s11
	s_mul_hi_u32 s3, s11, s3
	s_add_i32 s11, s11, s3
	s_mul_hi_u32 s3, s2, s11
	s_mul_i32 s11, s3, s10
	s_sub_i32 s11, s2, s11
	s_add_i32 s19, s3, 1
	s_sub_i32 s21, s11, s10
	s_cmp_ge_u32 s11, s10
	s_cselect_b32 s3, s19, s3
	s_cselect_b32 s11, s21, s11
	s_add_i32 s19, s3, 1
	s_cmp_ge_u32 s11, s10
	s_cselect_b32 s3, s19, s3
	s_mul_i32 s10, s3, s10
	s_sub_i32 s2, s2, s10
	s_lshl_b32 s23, s3, 8
	s_lshl_b32 s22, s2, 6
	v_or_b32_e32 v34, s23, v8
	v_or_b32_e32 v32, s22, v8
	v_mad_i64_i32 v[4:5], s[2:3], s18, v40, 0
	v_ashrrev_i32_e32 v35, 31, v34
	v_mad_i64_i32 v[0:1], s[2:3], s20, v40, 0
	v_ashrrev_i32_e32 v33, 31, v32
	v_lshl_add_u64 v[4:5], v[4:5], 1, s[16:17]
	v_lshlrev_b64 v[6:7], 1, v[34:35]
	v_lshl_add_u64 v[0:1], v[0:1], 1, s[14:15]
	v_lshlrev_b64 v[2:3], 1, v[32:33]
	v_lshl_add_u64 v[4:5], v[4:5], 0, v[6:7]
	v_lshl_add_u64 v[0:1], v[0:1], 0, v[2:3]
	flat_load_ushort v9, v[4:5]
	flat_load_ushort v10, v[4:5] offset:128
	flat_load_ushort v11, v[4:5] offset:256
	;; [unrolled: 1-line block ×3, first 2 shown]
	flat_load_ushort v13, v[0:1]
	v_add_u32_e32 v4, 4, v40
	s_load_dwordx2 s[2:3], s[8:9], 0x0
	v_mad_i64_i32 v[0:1], s[8:9], s20, v4, 0
	v_mad_i64_i32 v[4:5], s[8:9], s18, v4, 0
	v_lshlrev_b32_e32 v14, 1, v40
	v_lshl_add_u64 v[0:1], v[0:1], 1, s[14:15]
	v_lshl_add_u64 v[4:5], v[4:5], 1, s[16:17]
	v_lshl_add_u32 v47, v8, 3, v14
	v_lshl_add_u64 v[4:5], v[4:5], 0, v[6:7]
	v_lshl_add_u64 v[0:1], v[0:1], 0, v[2:3]
	flat_load_ushort v36, v[4:5]
	flat_load_ushort v37, v[4:5] offset:128
	flat_load_ushort v38, v[4:5] offset:256
	;; [unrolled: 1-line block ×3, first 2 shown]
	flat_load_ushort v41, v[0:1]
	s_movk_i32 s10, 0x7c00
	s_cmp_lt_i32 s12, 9
	s_waitcnt vmcnt(0) lgkmcnt(0)
	ds_write_b16 v47, v9
	ds_write_b16 v47, v10 offset:512
	ds_write_b16 v47, v11 offset:1024
	;; [unrolled: 1-line block ×4, first 2 shown]
	s_waitcnt lgkmcnt(0)
	s_barrier
	ds_read2_b64 v[16:19], v46 offset1:8
	ds_read2_b64 v[12:15], v46 offset0:16 offset1:24
	ds_read2_b64 v[8:11], v46 offset0:32 offset1:40
	ds_read2_b64 v[28:31], v44 offset1:32
	ds_read2_b64 v[0:3], v46 offset0:48 offset1:56
	ds_read2_b64 v[24:27], v44 offset0:64 offset1:96
	;; [unrolled: 1-line block ×4, first 2 shown]
	s_waitcnt lgkmcnt(4)
	v_pk_add_f16 v51, v14, v28
	v_pk_add_f16 v42, v16, v28
	v_pk_min_f16 v63, v51, s10 op_sel_hi:[1,0]
	s_waitcnt lgkmcnt(2)
	v_pk_add_f16 v51, v18, v24
	v_pk_add_f16 v55, v16, v30
	v_pk_min_f16 v72, v51, s10 op_sel_hi:[1,0]
	v_pk_add_f16 v51, v12, v24
	v_pk_add_f16 v62, v16, v24
	v_pk_min_f16 v73, v51, s10 op_sel_hi:[1,0]
	;; [unrolled: 3-line block ×13, first 2 shown]
	s_waitcnt lgkmcnt(1)
	v_pk_add_f16 v51, v16, v20
	v_pk_add_f16 v60, v10, v30
	v_pk_min_f16 v86, v51, s10 op_sel_hi:[1,0]
	v_pk_add_f16 v51, v18, v20
	v_pk_add_f16 v30, v2, v30
	v_pk_min_f16 v87, v51, s10 op_sel_hi:[1,0]
	v_pk_add_f16 v51, v12, v20
	v_pk_min_f16 v42, v42, s10 op_sel_hi:[1,0]
	v_pk_min_f16 v88, v51, s10 op_sel_hi:[1,0]
	v_pk_add_f16 v51, v14, v20
	v_pk_add_f16 v24, v2, v24
	v_pk_min_f16 v89, v51, s10 op_sel_hi:[1,0]
	v_pk_add_f16 v51, v8, v20
	v_pk_add_f16 v26, v2, v26
	v_pk_min_f16 v90, v51, s10 op_sel_hi:[1,0]
	v_pk_add_f16 v51, v10, v20
	v_pk_min_f16 v43, v43, s10 op_sel_hi:[1,0]
	v_pk_min_f16 v91, v51, s10 op_sel_hi:[1,0]
	v_pk_add_f16 v51, v0, v20
	v_pk_add_f16 v20, v2, v20
	v_pk_min_f16 v92, v51, s10 op_sel_hi:[1,0]
	v_pk_add_f16 v51, v16, v22
	v_pk_min_f16 v49, v49, s10 op_sel_hi:[1,0]
	v_pk_min_f16 v93, v51, s10 op_sel_hi:[1,0]
	v_pk_add_f16 v51, v18, v22
	v_pk_min_f16 v64, v52, s10 op_sel_hi:[1,0]
	;; [unrolled: 3-line block ×6, first 2 shown]
	v_pk_min_f16 v99, v51, s10 op_sel_hi:[1,0]
	v_pk_add_f16 v51, v0, v22
	v_pk_add_f16 v22, v2, v22
	v_pk_min_f16 v100, v51, s10 op_sel_hi:[1,0]
	s_waitcnt lgkmcnt(0)
	v_pk_add_f16 v51, v16, v4
	v_pk_min_f16 v28, v28, s10 op_sel_hi:[1,0]
	v_pk_min_f16 v101, v51, s10 op_sel_hi:[1,0]
	v_pk_add_f16 v51, v18, v4
	v_pk_min_f16 v70, v58, s10 op_sel_hi:[1,0]
	v_pk_min_f16 v102, v51, s10 op_sel_hi:[1,0]
	;; [unrolled: 3-line block ×6, first 2 shown]
	v_pk_add_f16 v51, v0, v4
	v_pk_add_f16 v4, v2, v4
	;; [unrolled: 1-line block ×3, first 2 shown]
	v_pk_min_f16 v111, v4, s10 op_sel_hi:[1,0]
	v_pk_add_f16 v4, v16, v6
	v_pk_min_f16 v110, v51, s10 op_sel_hi:[1,0]
	v_pk_min_f16 v16, v4, s10 op_sel_hi:[1,0]
	v_pk_add_f16 v4, v18, v6
	v_pk_min_f16 v61, v61, s10 op_sel_hi:[1,0]
	;; [unrolled: 3-line block ×6, first 2 shown]
	v_pk_min_f16 v8, v4, s10 op_sel_hi:[1,0]
	v_pk_min_f16 v4, v0, s10 op_sel_hi:[1,0]
	v_pk_add_f16 v0, v2, v6
	v_pk_add_f16 v2, v17, v29
	v_pk_min_f16 v22, v22, s10 op_sel_hi:[1,0]
	v_pk_min_f16 v51, v42, v2
	v_pk_add_f16 v2, v19, v29
	v_pk_min_f16 v0, v0, s10 op_sel_hi:[1,0]
	v_pk_min_f16 v52, v43, v2
	v_pk_add_f16 v2, v13, v29
	ds_write_b16 v47, v41 offset:4608
	ds_write_b16 v47, v36 offset:2048
	;; [unrolled: 1-line block ×5, first 2 shown]
	v_pk_min_f16 v54, v49, v2
	v_pk_add_f16 v2, v15, v29
	s_waitcnt lgkmcnt(0)
	v_pk_min_f16 v53, v63, v2
	v_pk_add_f16 v2, v9, v29
	s_barrier
	v_pk_min_f16 v56, v64, v2
	v_pk_add_f16 v2, v11, v29
	s_nop 0
	v_pk_min_f16 v55, v65, v2
	v_pk_add_f16 v2, v1, v29
	s_nop 0
	;; [unrolled: 3-line block ×49, first 2 shown]
	v_pk_min_f16 v101, v109, v2
	v_pk_add_f16 v2, v1, v5
	v_pk_add_f16 v1, v1, v7
	v_pk_min_f16 v100, v110, v2
	v_pk_add_f16 v2, v3, v5
	v_pk_min_f16 v117, v4, v1
	v_pk_min_f16 v99, v111, v2
	v_pk_add_f16 v2, v17, v7
	v_pk_add_f16 v1, v3, v7
	v_pk_min_f16 v108, v16, v2
	v_pk_add_f16 v2, v19, v7
	v_pk_min_f16 v118, v0, v1
	v_pk_min_f16 v107, v18, v2
	v_pk_add_f16 v2, v13, v7
	s_nop 0
	v_pk_min_f16 v113, v112, v2
	v_pk_add_f16 v2, v15, v7
	s_nop 0
	;; [unrolled: 3-line block ×4, first 2 shown]
	v_pk_min_f16 v116, v8, v2
	s_cbranch_scc1 .LBB220_12
; %bb.10:
	v_mov_b32_e32 v0, 0x1200
	v_add_u32_e32 v2, 12, v40
	v_lshl_add_u32 v111, v45, 3, v0
	v_mad_i64_i32 v[0:1], s[8:9], v2, s20, 0
	v_lshlrev_b64 v[36:37], 1, v[0:1]
	v_mad_i64_i32 v[0:1], s[10:11], v2, s18, 0
	v_add_u32_e32 v2, 8, v40
	v_lshl_add_u64 v[32:33], v[32:33], 1, s[14:15]
	v_lshlrev_b64 v[38:39], 1, v[0:1]
	v_mad_i64_i32 v[0:1], s[14:15], v2, s20, 0
	s_ashr_i32 s21, s20, 31
	s_ashr_i32 s19, s18, 31
	v_lshlrev_b64 v[40:41], 1, v[0:1]
	v_mad_i64_i32 v[0:1], s[14:15], v2, s18, 0
	v_or_b32_e32 v49, 0x1000, v47
	v_add_u32_e32 v109, 0x1200, v47
	v_or_b32_e32 v110, 0x800, v47
	s_add_i32 s12, s12, -8
	v_add_u32_e32 v112, 0x800, v44
	v_lshl_add_u64 v[34:35], v[34:35], 1, s[16:17]
	s_lshl_b64 s[8:9], s[20:21], 4
	s_lshl_b64 s[10:11], s[18:19], 4
	v_lshlrev_b64 v[42:43], 1, v[0:1]
	s_mov_b32 s14, 0
.LBB220_11:                             ; =>This Inner Loop Header: Depth=1
	v_lshl_add_u64 v[0:1], v[34:35], 0, v[42:43]
	flat_load_ushort v119, v[0:1] offset:384
	flat_load_ushort v120, v[0:1] offset:256
	flat_load_ushort v121, v[0:1] offset:128
	flat_load_ushort v122, v[0:1]
	v_lshl_add_u64 v[0:1], v[32:33], 0, v[40:41]
	flat_load_ushort v123, v[0:1]
	ds_read2_b64 v[0:3], v111 offset1:8
	ds_read2_b64 v[4:7], v111 offset0:16 offset1:24
	ds_read2_b64 v[8:11], v111 offset0:32 offset1:40
	;; [unrolled: 1-line block ×3, first 2 shown]
	ds_read2_b64 v[12:15], v112 offset1:32
	ds_read2_b64 v[20:23], v112 offset0:64 offset1:96
	ds_read2_b64 v[24:27], v112 offset0:128 offset1:160
	;; [unrolled: 1-line block ×3, first 2 shown]
	v_lshl_add_u64 v[124:125], v[34:35], 0, v[38:39]
	v_pk_max_f16 v118, v118, v118
	v_pk_max_f16 v117, v117, v117
	;; [unrolled: 1-line block ×8, first 2 shown]
	s_add_i32 s14, s14, 8
	v_lshl_add_u64 v[34:35], v[34:35], 0, s[10:11]
	s_cmp_ge_i32 s14, s12
	s_waitcnt vmcnt(0) lgkmcnt(0)
	ds_write_b16 v49, v123
	ds_write_b16 v47, v122
	ds_write_b16 v47, v121 offset:512
	ds_write_b16 v47, v120 offset:1024
	ds_write_b16 v47, v119 offset:1536
	s_waitcnt lgkmcnt(0)
	s_barrier
	flat_load_ushort v119, v[124:125] offset:384
	flat_load_ushort v120, v[124:125] offset:256
	;; [unrolled: 1-line block ×3, first 2 shown]
	flat_load_ushort v122, v[124:125]
	v_lshl_add_u64 v[124:125], v[32:33], 0, v[36:37]
	flat_load_ushort v123, v[124:125]
	v_pk_add_f16 v124, v18, v30
	v_lshl_add_u64 v[32:33], v[32:33], 0, s[8:9]
	v_pk_min_f16 v118, v118, v124
	v_pk_add_f16 v124, v19, v31
	s_nop 0
	v_pk_min_f16 v118, v118, v124
	v_pk_add_f16 v124, v16, v30
	s_nop 0
	;; [unrolled: 3-line block ×11, first 2 shown]
	v_pk_min_f16 v113, v113, v124
	v_pk_add_f16 v124, v2, v30
	v_pk_add_f16 v30, v0, v30
	v_pk_min_f16 v107, v107, v124
	v_pk_add_f16 v124, v3, v31
	v_pk_min_f16 v30, v108, v30
	;; [unrolled: 2-line block ×3, first 2 shown]
	v_pk_min_f16 v108, v30, v31
	v_pk_add_f16 v30, v18, v28
	v_pk_max_f16 v31, v99, v99
	s_nop 0
	v_pk_min_f16 v30, v31, v30
	v_pk_add_f16 v31, v19, v29
	s_nop 0
	v_pk_min_f16 v99, v30, v31
	v_pk_add_f16 v30, v16, v28
	v_pk_max_f16 v31, v100, v100
	s_nop 0
	v_pk_min_f16 v30, v31, v30
	v_pk_add_f16 v31, v17, v29
	s_nop 0
	v_pk_min_f16 v100, v30, v31
	v_pk_add_f16 v30, v10, v28
	v_pk_max_f16 v31, v101, v101
	s_nop 0
	v_pk_min_f16 v30, v31, v30
	v_pk_add_f16 v31, v11, v29
	s_nop 0
	v_pk_min_f16 v101, v30, v31
	v_pk_add_f16 v30, v8, v28
	v_pk_max_f16 v31, v102, v102
	s_nop 0
	v_pk_min_f16 v30, v31, v30
	v_pk_add_f16 v31, v9, v29
	s_nop 0
	v_pk_min_f16 v102, v30, v31
	v_pk_add_f16 v30, v6, v28
	v_pk_max_f16 v31, v103, v103
	s_nop 0
	v_pk_min_f16 v30, v31, v30
	v_pk_add_f16 v31, v7, v29
	s_nop 0
	v_pk_min_f16 v103, v30, v31
	v_pk_add_f16 v30, v4, v28
	v_pk_max_f16 v31, v104, v104
	s_nop 0
	v_pk_min_f16 v30, v31, v30
	v_pk_add_f16 v31, v5, v29
	s_nop 0
	v_pk_min_f16 v104, v30, v31
	v_pk_add_f16 v30, v2, v28
	v_pk_max_f16 v31, v105, v105
	v_pk_add_f16 v28, v0, v28
	v_pk_min_f16 v30, v31, v30
	v_pk_add_f16 v31, v3, v29
	v_pk_add_f16 v29, v1, v29
	v_pk_min_f16 v105, v30, v31
	v_pk_max_f16 v30, v106, v106
	s_nop 0
	v_pk_min_f16 v28, v30, v28
	s_nop 0
	v_pk_min_f16 v106, v28, v29
	v_pk_add_f16 v28, v18, v26
	v_pk_max_f16 v29, v98, v98
	s_nop 0
	v_pk_min_f16 v28, v29, v28
	v_pk_add_f16 v29, v19, v27
	s_nop 0
	v_pk_min_f16 v98, v28, v29
	v_pk_add_f16 v28, v16, v26
	v_pk_max_f16 v29, v97, v97
	s_nop 0
	v_pk_min_f16 v28, v29, v28
	v_pk_add_f16 v29, v17, v27
	s_nop 0
	v_pk_min_f16 v97, v28, v29
	v_pk_add_f16 v28, v10, v26
	v_pk_max_f16 v29, v96, v96
	s_nop 0
	v_pk_min_f16 v28, v29, v28
	v_pk_add_f16 v29, v11, v27
	s_nop 0
	v_pk_min_f16 v96, v28, v29
	v_pk_add_f16 v28, v8, v26
	v_pk_max_f16 v29, v95, v95
	s_nop 0
	v_pk_min_f16 v28, v29, v28
	v_pk_add_f16 v29, v9, v27
	s_nop 0
	v_pk_min_f16 v95, v28, v29
	v_pk_add_f16 v28, v6, v26
	v_pk_max_f16 v29, v93, v93
	s_nop 0
	v_pk_min_f16 v28, v29, v28
	v_pk_add_f16 v29, v7, v27
	s_nop 0
	v_pk_min_f16 v93, v28, v29
	v_pk_add_f16 v28, v4, v26
	v_pk_max_f16 v29, v91, v91
	s_nop 0
	v_pk_min_f16 v28, v29, v28
	v_pk_add_f16 v29, v5, v27
	s_nop 0
	v_pk_min_f16 v91, v28, v29
	v_pk_add_f16 v28, v2, v26
	v_pk_max_f16 v29, v88, v88
	v_pk_add_f16 v26, v0, v26
	v_pk_min_f16 v28, v29, v28
	v_pk_add_f16 v29, v3, v27
	v_pk_add_f16 v27, v1, v27
	v_pk_min_f16 v88, v28, v29
	v_pk_max_f16 v28, v90, v90
	s_nop 0
	v_pk_min_f16 v26, v28, v26
	s_nop 0
	;; [unrolled: 54-line block ×5, first 2 shown]
	v_pk_min_f16 v68, v20, v21
	v_pk_add_f16 v20, v18, v14
	v_pk_max_f16 v21, v61, v61
	s_nop 0
	v_pk_min_f16 v20, v21, v20
	v_pk_add_f16 v21, v19, v15
	s_nop 0
	v_pk_min_f16 v61, v20, v21
	v_pk_add_f16 v20, v16, v14
	v_pk_max_f16 v21, v59, v59
	s_nop 0
	v_pk_min_f16 v20, v21, v20
	v_pk_add_f16 v21, v17, v15
	s_nop 0
	v_pk_min_f16 v59, v20, v21
	v_pk_add_f16 v20, v10, v14
	v_pk_max_f16 v21, v60, v60
	v_pk_add_f16 v10, v10, v12
	v_pk_min_f16 v20, v21, v20
	v_pk_add_f16 v21, v11, v15
	v_pk_add_f16 v11, v11, v13
	v_pk_min_f16 v60, v20, v21
	v_pk_add_f16 v20, v8, v14
	v_pk_max_f16 v21, v62, v62
	v_pk_add_f16 v8, v8, v12
	v_pk_min_f16 v20, v21, v20
	v_pk_add_f16 v21, v9, v15
	v_pk_add_f16 v9, v9, v13
	;; [unrolled: 7-line block ×5, first 2 shown]
	v_pk_min_f16 v65, v20, v21
	v_pk_max_f16 v20, v66, v66
	v_pk_add_f16 v2, v2, v12
	v_pk_min_f16 v14, v20, v14
	v_pk_add_f16 v3, v3, v13
	v_pk_min_f16 v66, v14, v15
	v_pk_add_f16 v14, v18, v12
	v_pk_max_f16 v15, v57, v57
	v_pk_add_f16 v0, v0, v12
	v_pk_min_f16 v14, v15, v14
	v_pk_add_f16 v15, v19, v13
	v_pk_add_f16 v1, v1, v13
	v_pk_min_f16 v57, v14, v15
	v_pk_add_f16 v14, v16, v12
	v_pk_max_f16 v15, v58, v58
	s_nop 0
	v_pk_min_f16 v14, v15, v14
	v_pk_add_f16 v15, v17, v13
	s_nop 0
	v_pk_min_f16 v58, v14, v15
	v_pk_max_f16 v14, v55, v55
	s_nop 0
	v_pk_min_f16 v10, v14, v10
	s_nop 0
	v_pk_min_f16 v55, v10, v11
	v_pk_max_f16 v10, v56, v56
	s_nop 0
	v_pk_min_f16 v8, v10, v8
	s_nop 0
	v_pk_min_f16 v56, v8, v9
	v_pk_max_f16 v8, v53, v53
	s_nop 0
	v_pk_min_f16 v6, v8, v6
	s_nop 0
	v_pk_min_f16 v53, v6, v7
	v_pk_max_f16 v6, v54, v54
	s_nop 0
	v_pk_min_f16 v4, v6, v4
	s_nop 0
	v_pk_min_f16 v54, v4, v5
	v_pk_max_f16 v4, v52, v52
	s_nop 0
	v_pk_min_f16 v2, v4, v2
	s_nop 0
	v_pk_min_f16 v52, v2, v3
	v_pk_max_f16 v2, v51, v51
	s_nop 0
	v_pk_min_f16 v0, v2, v0
	s_nop 0
	v_pk_min_f16 v51, v0, v1
	ds_read2_b64 v[16:19], v46 offset1:8
	ds_read2_b64 v[12:15], v46 offset0:16 offset1:24
	ds_read2_b64 v[8:11], v46 offset0:32 offset1:40
	ds_read2_b64 v[0:3], v46 offset0:48 offset1:56
	ds_read2_b64 v[28:31], v44 offset1:32
	ds_read2_b64 v[24:27], v44 offset0:64 offset1:96
	ds_read2_b64 v[20:23], v44 offset0:128 offset1:160
	ds_read2_b64 v[4:7], v44 offset0:192 offset1:224
	s_waitcnt vmcnt(0) lgkmcnt(0)
	ds_write_b16 v109, v123
	ds_write_b16 v110, v122
	ds_write_b16 v110, v121 offset:512
	ds_write_b16 v110, v120 offset:1024
	ds_write_b16 v110, v119 offset:1536
	v_pk_add_f16 v124, v16, v28
	s_waitcnt lgkmcnt(0)
	v_pk_min_f16 v51, v51, v124
	v_pk_add_f16 v124, v18, v28
	s_barrier
	v_pk_min_f16 v52, v52, v124
	v_pk_add_f16 v124, v12, v28
	s_nop 0
	v_pk_min_f16 v54, v54, v124
	v_pk_add_f16 v124, v14, v28
	s_nop 0
	v_pk_min_f16 v53, v53, v124
	v_pk_add_f16 v124, v8, v28
	s_nop 0
	v_pk_min_f16 v56, v56, v124
	v_pk_add_f16 v124, v10, v28
	s_nop 0
	v_pk_min_f16 v55, v55, v124
	v_pk_add_f16 v124, v0, v28
	v_pk_add_f16 v28, v2, v28
	v_pk_min_f16 v58, v58, v124
	v_pk_min_f16 v57, v57, v28
	v_pk_add_f16 v28, v16, v30
	s_nop 0
	v_pk_min_f16 v66, v66, v28
	v_pk_add_f16 v28, v18, v30
	s_nop 0
	v_pk_min_f16 v65, v65, v28
	v_pk_add_f16 v28, v12, v30
	s_nop 0
	v_pk_min_f16 v64, v64, v28
	v_pk_add_f16 v28, v14, v30
	s_nop 0
	v_pk_min_f16 v63, v63, v28
	v_pk_add_f16 v28, v8, v30
	s_nop 0
	v_pk_min_f16 v62, v62, v28
	v_pk_add_f16 v28, v10, v30
	s_nop 0
	v_pk_min_f16 v60, v60, v28
	v_pk_add_f16 v28, v0, v30
	s_nop 0
	v_pk_min_f16 v59, v59, v28
	v_pk_add_f16 v28, v2, v30
	s_nop 0
	v_pk_min_f16 v61, v61, v28
	v_pk_add_f16 v28, v16, v24
	s_nop 0
	v_pk_min_f16 v68, v68, v28
	v_pk_add_f16 v28, v18, v24
	s_nop 0
	v_pk_min_f16 v67, v67, v28
	v_pk_add_f16 v28, v12, v24
	s_nop 0
	v_pk_min_f16 v69, v69, v28
	v_pk_add_f16 v28, v14, v24
	s_nop 0
	v_pk_min_f16 v70, v70, v28
	v_pk_add_f16 v28, v8, v24
	s_nop 0
	v_pk_min_f16 v71, v71, v28
	v_pk_add_f16 v28, v10, v24
	s_nop 0
	v_pk_min_f16 v73, v73, v28
	v_pk_add_f16 v28, v0, v24
	v_pk_add_f16 v24, v2, v24
	v_pk_min_f16 v76, v76, v28
	v_pk_min_f16 v78, v78, v24
	v_pk_add_f16 v24, v16, v26
	s_nop 0
	v_pk_min_f16 v74, v74, v24
	v_pk_add_f16 v24, v18, v26
	s_nop 0
	v_pk_min_f16 v72, v72, v24
	v_pk_add_f16 v24, v12, v26
	s_nop 0
	v_pk_min_f16 v75, v75, v24
	v_pk_add_f16 v24, v14, v26
	s_nop 0
	v_pk_min_f16 v77, v77, v24
	v_pk_add_f16 v24, v8, v26
	s_nop 0
	v_pk_min_f16 v79, v79, v24
	v_pk_add_f16 v24, v10, v26
	s_nop 0
	v_pk_min_f16 v80, v80, v24
	v_pk_add_f16 v24, v0, v26
	s_nop 0
	v_pk_min_f16 v81, v81, v24
	v_pk_add_f16 v24, v2, v26
	s_nop 0
	v_pk_min_f16 v82, v82, v24
	v_pk_add_f16 v24, v16, v20
	s_nop 0
	v_pk_min_f16 v84, v84, v24
	v_pk_add_f16 v24, v18, v20
	s_nop 0
	;; [unrolled: 46-line block ×3, first 2 shown]
	v_pk_min_f16 v22, v105, v20
	v_pk_add_f16 v20, v12, v4
	s_nop 0
	v_pk_min_f16 v24, v104, v20
	v_pk_add_f16 v20, v14, v4
	s_nop 0
	;; [unrolled: 3-line block ×4, first 2 shown]
	v_pk_min_f16 v30, v101, v20
	v_pk_add_f16 v20, v0, v4
	v_pk_add_f16 v4, v2, v4
	v_pk_min_f16 v100, v100, v20
	v_pk_min_f16 v99, v99, v4
	v_pk_add_f16 v4, v16, v6
	v_pk_add_f16 v0, v0, v6
	v_pk_min_f16 v20, v108, v4
	v_pk_add_f16 v4, v18, v6
	s_nop 0
	v_pk_min_f16 v18, v107, v4
	v_pk_add_f16 v4, v12, v6
	s_nop 0
	;; [unrolled: 3-line block ×5, first 2 shown]
	v_pk_min_f16 v8, v116, v4
	v_pk_min_f16 v4, v117, v0
	v_pk_add_f16 v0, v2, v6
	v_pk_add_f16 v2, v17, v29
	v_pk_min_f16 v0, v118, v0
	v_pk_min_f16 v51, v51, v2
	v_pk_add_f16 v2, v19, v29
	s_nop 0
	v_pk_min_f16 v52, v52, v2
	v_pk_add_f16 v2, v13, v29
	s_nop 0
	;; [unrolled: 3-line block ×53, first 2 shown]
	v_pk_min_f16 v101, v30, v2
	v_pk_add_f16 v2, v1, v5
	v_pk_add_f16 v1, v1, v7
	v_pk_min_f16 v100, v100, v2
	v_pk_add_f16 v2, v3, v5
	v_pk_min_f16 v117, v4, v1
	v_pk_min_f16 v99, v99, v2
	v_pk_add_f16 v2, v17, v7
	v_pk_add_f16 v1, v3, v7
	v_pk_min_f16 v108, v20, v2
	v_pk_add_f16 v2, v19, v7
	v_pk_min_f16 v118, v0, v1
	v_pk_min_f16 v107, v18, v2
	v_pk_add_f16 v2, v13, v7
	s_nop 0
	v_pk_min_f16 v113, v16, v2
	v_pk_add_f16 v2, v15, v7
	s_nop 0
	;; [unrolled: 3-line block ×4, first 2 shown]
	v_pk_min_f16 v116, v8, v2
	s_cbranch_scc0 .LBB220_11
.LBB220_12:
	s_load_dword s10, s[0:1], 0x50
	ds_read_b64 v[30:31], v50 offset:4608
	ds_read_b64 v[46:47], v44 offset:2048
	v_add_u32_e32 v109, s23, v48
	v_cmp_neq_f16_e64 s[8:9], s13, 0
	v_add_u32_e32 v28, s22, v45
	s_waitcnt lgkmcnt(0)
	v_mad_i64_i32 v[0:1], s[14:15], v109, s10, 0
	v_ashrrev_i32_e32 v29, 31, v28
	v_lshl_add_u64 v[48:49], v[0:1], 1, s[6:7]
	s_and_b64 vcc, exec, s[8:9]
	v_mov_b32_e32 v36, 0
	v_mov_b32_e32 v34, 0
	s_cbranch_vccz .LBB220_14
; %bb.13:
	v_lshl_add_u64 v[0:1], v[28:29], 1, v[48:49]
	flat_load_ushort v0, v[0:1]
	s_waitcnt vmcnt(0) lgkmcnt(0)
	v_mul_f16_e32 v34, s13, v0
.LBB220_14:
	v_add_u32_e32 v0, 0x1000, v50
	ds_read2_b64 v[8:11], v0 offset0:72 offset1:80
	ds_read2_b64 v[4:7], v0 offset0:88 offset1:96
	;; [unrolled: 1-line block ×3, first 2 shown]
	ds_read_b64 v[24:25], v50 offset:5056
	s_load_dword s11, s[0:1], 0x68
	s_load_dwordx2 s[14:15], s[0:1], 0x70
	v_add_u32_e32 v12, 0x800, v44
	ds_read2_b64 v[20:23], v12 offset0:32 offset1:64
	ds_read2_b64 v[16:19], v12 offset0:96 offset1:128
	;; [unrolled: 1-line block ×3, first 2 shown]
	ds_read_b64 v[26:27], v44 offset:3840
	v_pk_add_f16 v32, v30, v46
	v_pk_max_f16 v33, v51, v51
	s_waitcnt lgkmcnt(0)
	s_lshl_b64 s[0:1], s[14:15], 1
	s_add_u32 s2, s2, s0
	v_pk_min_f16 v32, v33, v32
	v_pk_add_f16 v33, v31, v47
	s_addc_u32 s3, s3, s1
	v_pk_min_f16 v35, v32, v33
	v_mad_i64_i32 v[38:39], s[0:1], v109, s11, 0
	v_add_u32_e32 v32, 8, v28
	v_lshl_add_u64 v[50:51], v[38:39], 1, s[2:3]
	v_lshrrev_b32_e32 v37, 16, v35
	v_cndmask_b32_e64 v38, 0, 1, s[8:9]
	v_ashrrev_i32_e32 v33, 31, v32
	v_min3_f16 v37, v34, v35, v37
	v_lshl_add_u64 v[34:35], v[28:29], 1, v[50:51]
	v_cmp_ne_u32_e64 s[0:1], 1, v38
	s_andn2_b64 vcc, exec, s[8:9]
	global_store_short v[34:35], v37, off
	s_cbranch_vccnz .LBB220_16
; %bb.15:
	v_lshl_add_u64 v[34:35], v[32:33], 1, v[48:49]
	flat_load_ushort v34, v[34:35]
	s_waitcnt vmcnt(0) lgkmcnt(0)
	v_mul_f16_e32 v36, s13, v34
.LBB220_16:
	v_pk_add_f16 v34, v8, v46
	v_pk_max_f16 v35, v52, v52
	s_and_b64 vcc, exec, s[0:1]
	v_pk_min_f16 v34, v35, v34
	v_pk_add_f16 v35, v9, v47
	v_mov_b32_e32 v39, 0
	v_pk_min_f16 v37, v34, v35
	v_add_u32_e32 v34, 16, v28
	v_lshrrev_b32_e32 v38, 16, v37
	v_min3_f16 v38, v36, v37, v38
	v_lshl_add_u64 v[36:37], v[32:33], 1, v[50:51]
	v_ashrrev_i32_e32 v35, 31, v34
	global_store_short v[36:37], v38, off
	v_mov_b32_e32 v38, 0
	s_cbranch_vccnz .LBB220_18
; %bb.17:
	v_lshl_add_u64 v[36:37], v[34:35], 1, v[48:49]
	flat_load_ushort v36, v[36:37]
	s_waitcnt vmcnt(0) lgkmcnt(0)
	v_mul_f16_e32 v39, s13, v36
.LBB220_18:
	v_pk_add_f16 v36, v10, v46
	v_pk_max_f16 v37, v54, v54
	s_and_b64 vcc, exec, s[0:1]
	v_pk_min_f16 v36, v37, v36
	v_pk_add_f16 v37, v11, v47
	s_nop 0
	v_pk_min_f16 v40, v36, v37
	v_add_u32_e32 v36, 24, v28
	v_lshrrev_b32_e32 v41, 16, v40
	v_ashrrev_i32_e32 v37, 31, v36
	v_min3_f16 v39, v39, v40, v41
	v_lshl_add_u64 v[40:41], v[34:35], 1, v[50:51]
	global_store_short v[40:41], v39, off
	s_cbranch_vccnz .LBB220_20
; %bb.19:
	v_lshl_add_u64 v[38:39], v[36:37], 1, v[48:49]
	flat_load_ushort v38, v[38:39]
	s_waitcnt vmcnt(0) lgkmcnt(0)
	v_mul_f16_e32 v38, s13, v38
.LBB220_20:
	v_pk_add_f16 v39, v4, v46
	v_pk_max_f16 v40, v53, v53
	v_add_u32_e32 v44, 32, v28
	v_pk_min_f16 v39, v40, v39
	v_pk_add_f16 v40, v5, v47
	v_ashrrev_i32_e32 v45, 31, v44
	v_pk_min_f16 v39, v39, v40
	s_and_b64 vcc, exec, s[0:1]
	v_lshrrev_b32_e32 v40, 16, v39
	v_min3_f16 v40, v38, v39, v40
	v_lshl_add_u64 v[38:39], v[36:37], 1, v[50:51]
	global_store_short v[38:39], v40, off
	v_mov_b32_e32 v38, 0
	v_mov_b32_e32 v39, 0
	s_cbranch_vccnz .LBB220_22
; %bb.21:
	v_lshl_add_u64 v[40:41], v[44:45], 1, v[48:49]
	flat_load_ushort v39, v[40:41]
	s_waitcnt vmcnt(0) lgkmcnt(0)
	v_mul_f16_e32 v39, s13, v39
.LBB220_22:
	v_pk_add_f16 v40, v6, v46
	v_pk_max_f16 v41, v56, v56
	v_add_u32_e32 v42, 40, v28
	v_pk_min_f16 v40, v41, v40
	v_pk_add_f16 v41, v7, v47
	v_ashrrev_i32_e32 v43, 31, v42
	v_pk_min_f16 v40, v40, v41
	s_and_b64 vcc, exec, s[0:1]
	v_lshrrev_b32_e32 v41, 16, v40
	v_min3_f16 v39, v39, v40, v41
	v_lshl_add_u64 v[40:41], v[44:45], 1, v[50:51]
	global_store_short v[40:41], v39, off
	s_cbranch_vccnz .LBB220_24
; %bb.23:
	v_lshl_add_u64 v[38:39], v[42:43], 1, v[48:49]
	flat_load_ushort v38, v[38:39]
	s_waitcnt vmcnt(0) lgkmcnt(0)
	v_mul_f16_e32 v38, s13, v38
.LBB220_24:
	v_pk_add_f16 v39, v0, v46
	v_pk_max_f16 v40, v55, v55
	s_and_b64 vcc, exec, s[0:1]
	v_pk_min_f16 v39, v40, v39
	v_pk_add_f16 v40, v1, v47
	v_mov_b32_e32 v53, 0
	v_pk_min_f16 v39, v39, v40
	v_add_u32_e32 v40, 48, v28
	v_lshrrev_b32_e32 v52, 16, v39
	v_min3_f16 v52, v38, v39, v52
	v_lshl_add_u64 v[38:39], v[42:43], 1, v[50:51]
	v_ashrrev_i32_e32 v41, 31, v40
	global_store_short v[38:39], v52, off
	v_mov_b32_e32 v52, 0
	s_cbranch_vccnz .LBB220_26
; %bb.25:
	v_lshl_add_u64 v[38:39], v[40:41], 1, v[48:49]
	flat_load_ushort v38, v[38:39]
	s_waitcnt vmcnt(0) lgkmcnt(0)
	v_mul_f16_e32 v53, s13, v38
.LBB220_26:
	v_pk_add_f16 v38, v2, v46
	v_pk_max_f16 v39, v58, v58
	s_and_b64 vcc, exec, s[0:1]
	v_pk_min_f16 v38, v39, v38
	v_pk_add_f16 v39, v3, v47
	s_nop 0
	v_pk_min_f16 v54, v38, v39
	v_add_u32_e32 v38, 56, v28
	v_lshrrev_b32_e32 v55, 16, v54
	v_ashrrev_i32_e32 v39, 31, v38
	v_min3_f16 v53, v53, v54, v55
	v_lshl_add_u64 v[54:55], v[40:41], 1, v[50:51]
	global_store_short v[54:55], v53, off
	s_cbranch_vccnz .LBB220_28
; %bb.27:
	v_lshl_add_u64 v[48:49], v[38:39], 1, v[48:49]
	flat_load_ushort v48, v[48:49]
	s_waitcnt vmcnt(0) lgkmcnt(0)
	v_mul_f16_e32 v52, s13, v48
.LBB220_28:
	v_pk_add_f16 v46, v24, v46
	v_pk_max_f16 v48, v57, v57
	v_pk_add_f16 v47, v25, v47
	v_pk_min_f16 v46, v48, v46
	s_and_b64 vcc, exec, s[0:1]
	v_pk_min_f16 v46, v46, v47
	s_nop 0
	v_lshrrev_b32_e32 v47, 16, v46
	v_min3_f16 v48, v52, v46, v47
	v_lshl_add_u64 v[46:47], v[38:39], 1, v[50:51]
	global_store_short v[46:47], v48, off
	v_add_u32_e32 v48, 32, v109
	v_mad_i64_i32 v[46:47], s[8:9], v48, s10, 0
	v_lshl_add_u64 v[46:47], v[46:47], 1, s[6:7]
	v_mov_b32_e32 v50, 0
	v_mov_b32_e32 v51, 0
	s_cbranch_vccnz .LBB220_30
; %bb.29:
	v_lshl_add_u64 v[52:53], v[28:29], 1, v[46:47]
	flat_load_ushort v49, v[52:53]
	s_waitcnt vmcnt(0) lgkmcnt(0)
	v_mul_f16_e32 v51, s13, v49
.LBB220_30:
	v_pk_add_f16 v49, v30, v20
	v_pk_max_f16 v52, v66, v66
	s_and_b64 vcc, exec, s[0:1]
	v_pk_min_f16 v49, v52, v49
	v_pk_add_f16 v52, v31, v21
	s_nop 0
	v_pk_min_f16 v52, v49, v52
	v_mad_i64_i32 v[48:49], s[8:9], v48, s11, 0
	v_lshl_add_u64 v[48:49], v[48:49], 1, s[2:3]
	v_lshrrev_b32_e32 v53, 16, v52
	v_min3_f16 v51, v51, v52, v53
	v_lshl_add_u64 v[52:53], v[28:29], 1, v[48:49]
	global_store_short v[52:53], v51, off
	s_cbranch_vccnz .LBB220_32
; %bb.31:
	v_lshl_add_u64 v[50:51], v[32:33], 1, v[46:47]
	flat_load_ushort v50, v[50:51]
	s_waitcnt vmcnt(0) lgkmcnt(0)
	v_mul_f16_e32 v50, s13, v50
.LBB220_32:
	v_pk_add_f16 v51, v8, v20
	v_pk_max_f16 v52, v65, v65
	s_and_b64 vcc, exec, s[0:1]
	v_pk_min_f16 v51, v52, v51
	v_pk_add_f16 v52, v9, v21
	s_nop 0
	v_pk_min_f16 v51, v51, v52
	s_nop 0
	v_lshrrev_b32_e32 v52, 16, v51
	v_min3_f16 v52, v50, v51, v52
	v_lshl_add_u64 v[50:51], v[32:33], 1, v[48:49]
	global_store_short v[50:51], v52, off
	v_mov_b32_e32 v50, 0
	v_mov_b32_e32 v51, 0
	s_cbranch_vccnz .LBB220_34
; %bb.33:
	v_lshl_add_u64 v[52:53], v[34:35], 1, v[46:47]
	flat_load_ushort v51, v[52:53]
	s_waitcnt vmcnt(0) lgkmcnt(0)
	v_mul_f16_e32 v51, s13, v51
.LBB220_34:
	v_pk_add_f16 v52, v10, v20
	v_pk_max_f16 v53, v64, v64
	s_and_b64 vcc, exec, s[0:1]
	v_pk_min_f16 v52, v53, v52
	v_pk_add_f16 v53, v11, v21
	s_nop 0
	v_pk_min_f16 v52, v52, v53
	s_nop 0
	v_lshrrev_b32_e32 v53, 16, v52
	v_min3_f16 v51, v51, v52, v53
	v_lshl_add_u64 v[52:53], v[34:35], 1, v[48:49]
	global_store_short v[52:53], v51, off
	s_cbranch_vccnz .LBB220_36
; %bb.35:
	v_lshl_add_u64 v[50:51], v[36:37], 1, v[46:47]
	flat_load_ushort v50, v[50:51]
	s_waitcnt vmcnt(0) lgkmcnt(0)
	v_mul_f16_e32 v50, s13, v50
.LBB220_36:
	v_pk_add_f16 v51, v4, v20
	v_pk_max_f16 v52, v63, v63
	s_and_b64 vcc, exec, s[0:1]
	v_pk_min_f16 v51, v52, v51
	v_pk_add_f16 v52, v5, v21
	s_nop 0
	v_pk_min_f16 v51, v51, v52
	s_nop 0
	v_lshrrev_b32_e32 v52, 16, v51
	v_min3_f16 v52, v50, v51, v52
	v_lshl_add_u64 v[50:51], v[36:37], 1, v[48:49]
	global_store_short v[50:51], v52, off
	v_mov_b32_e32 v50, 0
	v_mov_b32_e32 v51, 0
	s_cbranch_vccnz .LBB220_38
; %bb.37:
	v_lshl_add_u64 v[52:53], v[44:45], 1, v[46:47]
	flat_load_ushort v51, v[52:53]
	s_waitcnt vmcnt(0) lgkmcnt(0)
	v_mul_f16_e32 v51, s13, v51
.LBB220_38:
	v_pk_add_f16 v52, v6, v20
	v_pk_max_f16 v53, v62, v62
	s_and_b64 vcc, exec, s[0:1]
	v_pk_min_f16 v52, v53, v52
	v_pk_add_f16 v53, v7, v21
	s_nop 0
	v_pk_min_f16 v52, v52, v53
	s_nop 0
	;; [unrolled: 40-line block ×3, first 2 shown]
	v_lshrrev_b32_e32 v53, 16, v52
	v_min3_f16 v51, v51, v52, v53
	v_lshl_add_u64 v[52:53], v[40:41], 1, v[48:49]
	global_store_short v[52:53], v51, off
	s_cbranch_vccnz .LBB220_44
; %bb.43:
	v_lshl_add_u64 v[46:47], v[38:39], 1, v[46:47]
	flat_load_ushort v46, v[46:47]
	s_waitcnt vmcnt(0) lgkmcnt(0)
	v_mul_f16_e32 v50, s13, v46
.LBB220_44:
	v_pk_add_f16 v20, v24, v20
	v_pk_max_f16 v46, v61, v61
	v_pk_add_f16 v21, v25, v21
	v_pk_min_f16 v20, v46, v20
	s_and_b64 vcc, exec, s[0:1]
	v_pk_min_f16 v20, v20, v21
	s_nop 0
	v_lshrrev_b32_e32 v21, 16, v20
	v_min3_f16 v46, v50, v20, v21
	v_lshl_add_u64 v[20:21], v[38:39], 1, v[48:49]
	global_store_short v[20:21], v46, off
	v_add_u32_e32 v46, 64, v109
	v_mad_i64_i32 v[20:21], s[8:9], v46, s10, 0
	v_lshl_add_u64 v[20:21], v[20:21], 1, s[6:7]
	v_mov_b32_e32 v48, 0
	v_mov_b32_e32 v49, 0
	s_cbranch_vccnz .LBB220_46
; %bb.45:
	v_lshl_add_u64 v[50:51], v[28:29], 1, v[20:21]
	flat_load_ushort v47, v[50:51]
	s_waitcnt vmcnt(0) lgkmcnt(0)
	v_mul_f16_e32 v49, s13, v47
.LBB220_46:
	v_pk_add_f16 v47, v30, v22
	v_pk_max_f16 v50, v68, v68
	s_and_b64 vcc, exec, s[0:1]
	v_pk_min_f16 v47, v50, v47
	v_pk_add_f16 v50, v31, v23
	s_nop 0
	v_pk_min_f16 v50, v47, v50
	v_mad_i64_i32 v[46:47], s[8:9], v46, s11, 0
	v_lshl_add_u64 v[46:47], v[46:47], 1, s[2:3]
	v_lshrrev_b32_e32 v51, 16, v50
	v_min3_f16 v49, v49, v50, v51
	v_lshl_add_u64 v[50:51], v[28:29], 1, v[46:47]
	global_store_short v[50:51], v49, off
	s_cbranch_vccnz .LBB220_48
; %bb.47:
	v_lshl_add_u64 v[48:49], v[32:33], 1, v[20:21]
	flat_load_ushort v48, v[48:49]
	s_waitcnt vmcnt(0) lgkmcnt(0)
	v_mul_f16_e32 v48, s13, v48
.LBB220_48:
	v_pk_add_f16 v49, v8, v22
	v_pk_max_f16 v50, v67, v67
	s_and_b64 vcc, exec, s[0:1]
	v_pk_min_f16 v49, v50, v49
	v_pk_add_f16 v50, v9, v23
	s_nop 0
	v_pk_min_f16 v49, v49, v50
	s_nop 0
	v_lshrrev_b32_e32 v50, 16, v49
	v_min3_f16 v50, v48, v49, v50
	v_lshl_add_u64 v[48:49], v[32:33], 1, v[46:47]
	global_store_short v[48:49], v50, off
	v_mov_b32_e32 v48, 0
	v_mov_b32_e32 v49, 0
	s_cbranch_vccnz .LBB220_50
; %bb.49:
	v_lshl_add_u64 v[50:51], v[34:35], 1, v[20:21]
	flat_load_ushort v49, v[50:51]
	s_waitcnt vmcnt(0) lgkmcnt(0)
	v_mul_f16_e32 v49, s13, v49
.LBB220_50:
	v_pk_add_f16 v50, v10, v22
	v_pk_max_f16 v51, v69, v69
	s_and_b64 vcc, exec, s[0:1]
	v_pk_min_f16 v50, v51, v50
	v_pk_add_f16 v51, v11, v23
	s_nop 0
	v_pk_min_f16 v50, v50, v51
	s_nop 0
	v_lshrrev_b32_e32 v51, 16, v50
	v_min3_f16 v49, v49, v50, v51
	v_lshl_add_u64 v[50:51], v[34:35], 1, v[46:47]
	global_store_short v[50:51], v49, off
	s_cbranch_vccnz .LBB220_52
; %bb.51:
	v_lshl_add_u64 v[48:49], v[36:37], 1, v[20:21]
	flat_load_ushort v48, v[48:49]
	s_waitcnt vmcnt(0) lgkmcnt(0)
	v_mul_f16_e32 v48, s13, v48
.LBB220_52:
	v_pk_add_f16 v49, v4, v22
	v_pk_max_f16 v50, v70, v70
	s_and_b64 vcc, exec, s[0:1]
	v_pk_min_f16 v49, v50, v49
	v_pk_add_f16 v50, v5, v23
	s_nop 0
	v_pk_min_f16 v49, v49, v50
	s_nop 0
	v_lshrrev_b32_e32 v50, 16, v49
	v_min3_f16 v50, v48, v49, v50
	v_lshl_add_u64 v[48:49], v[36:37], 1, v[46:47]
	global_store_short v[48:49], v50, off
	v_mov_b32_e32 v48, 0
	v_mov_b32_e32 v49, 0
	s_cbranch_vccnz .LBB220_54
; %bb.53:
	v_lshl_add_u64 v[50:51], v[44:45], 1, v[20:21]
	flat_load_ushort v49, v[50:51]
	s_waitcnt vmcnt(0) lgkmcnt(0)
	v_mul_f16_e32 v49, s13, v49
.LBB220_54:
	v_pk_add_f16 v50, v6, v22
	v_pk_max_f16 v51, v71, v71
	s_and_b64 vcc, exec, s[0:1]
	v_pk_min_f16 v50, v51, v50
	v_pk_add_f16 v51, v7, v23
	s_nop 0
	v_pk_min_f16 v50, v50, v51
	s_nop 0
	;; [unrolled: 40-line block ×3, first 2 shown]
	v_lshrrev_b32_e32 v51, 16, v50
	v_min3_f16 v49, v49, v50, v51
	v_lshl_add_u64 v[50:51], v[40:41], 1, v[46:47]
	global_store_short v[50:51], v49, off
	s_cbranch_vccnz .LBB220_60
; %bb.59:
	v_lshl_add_u64 v[20:21], v[38:39], 1, v[20:21]
	flat_load_ushort v20, v[20:21]
	s_waitcnt vmcnt(0) lgkmcnt(0)
	v_mul_f16_e32 v48, s13, v20
.LBB220_60:
	v_pk_add_f16 v20, v24, v22
	v_pk_max_f16 v21, v78, v78
	s_and_b64 vcc, exec, s[0:1]
	v_pk_min_f16 v20, v21, v20
	v_pk_add_f16 v21, v25, v23
	s_nop 0
	v_pk_min_f16 v20, v20, v21
	s_nop 0
	v_lshrrev_b32_e32 v21, 16, v20
	v_min3_f16 v22, v48, v20, v21
	v_lshl_add_u64 v[20:21], v[38:39], 1, v[46:47]
	global_store_short v[20:21], v22, off
	v_add_u32_e32 v22, 0x60, v109
	v_mad_i64_i32 v[20:21], s[8:9], v22, s10, 0
	v_lshl_add_u64 v[20:21], v[20:21], 1, s[6:7]
	v_mov_b32_e32 v46, 0
	v_mov_b32_e32 v47, 0
	s_cbranch_vccnz .LBB220_62
; %bb.61:
	v_lshl_add_u64 v[48:49], v[28:29], 1, v[20:21]
	flat_load_ushort v23, v[48:49]
	s_waitcnt vmcnt(0) lgkmcnt(0)
	v_mul_f16_e32 v47, s13, v23
.LBB220_62:
	v_pk_add_f16 v23, v30, v16
	v_pk_max_f16 v48, v74, v74
	s_and_b64 vcc, exec, s[0:1]
	v_pk_min_f16 v23, v48, v23
	v_pk_add_f16 v48, v31, v17
	s_nop 0
	v_pk_min_f16 v48, v23, v48
	v_mad_i64_i32 v[22:23], s[8:9], v22, s11, 0
	v_lshl_add_u64 v[22:23], v[22:23], 1, s[2:3]
	v_lshrrev_b32_e32 v49, 16, v48
	v_min3_f16 v47, v47, v48, v49
	v_lshl_add_u64 v[48:49], v[28:29], 1, v[22:23]
	global_store_short v[48:49], v47, off
	s_cbranch_vccnz .LBB220_64
; %bb.63:
	v_lshl_add_u64 v[46:47], v[32:33], 1, v[20:21]
	flat_load_ushort v46, v[46:47]
	s_waitcnt vmcnt(0) lgkmcnt(0)
	v_mul_f16_e32 v46, s13, v46
.LBB220_64:
	v_pk_add_f16 v47, v8, v16
	v_pk_max_f16 v48, v72, v72
	s_and_b64 vcc, exec, s[0:1]
	v_pk_min_f16 v47, v48, v47
	v_pk_add_f16 v48, v9, v17
	s_nop 0
	v_pk_min_f16 v47, v47, v48
	s_nop 0
	v_lshrrev_b32_e32 v48, 16, v47
	v_min3_f16 v48, v46, v47, v48
	v_lshl_add_u64 v[46:47], v[32:33], 1, v[22:23]
	global_store_short v[46:47], v48, off
	v_mov_b32_e32 v46, 0
	v_mov_b32_e32 v47, 0
	s_cbranch_vccnz .LBB220_66
; %bb.65:
	v_lshl_add_u64 v[48:49], v[34:35], 1, v[20:21]
	flat_load_ushort v47, v[48:49]
	s_waitcnt vmcnt(0) lgkmcnt(0)
	v_mul_f16_e32 v47, s13, v47
.LBB220_66:
	v_pk_add_f16 v48, v10, v16
	v_pk_max_f16 v49, v75, v75
	s_and_b64 vcc, exec, s[0:1]
	v_pk_min_f16 v48, v49, v48
	v_pk_add_f16 v49, v11, v17
	s_nop 0
	v_pk_min_f16 v48, v48, v49
	s_nop 0
	v_lshrrev_b32_e32 v49, 16, v48
	v_min3_f16 v47, v47, v48, v49
	v_lshl_add_u64 v[48:49], v[34:35], 1, v[22:23]
	global_store_short v[48:49], v47, off
	s_cbranch_vccnz .LBB220_68
; %bb.67:
	v_lshl_add_u64 v[46:47], v[36:37], 1, v[20:21]
	flat_load_ushort v46, v[46:47]
	s_waitcnt vmcnt(0) lgkmcnt(0)
	v_mul_f16_e32 v46, s13, v46
.LBB220_68:
	v_pk_add_f16 v47, v4, v16
	v_pk_max_f16 v48, v77, v77
	s_and_b64 vcc, exec, s[0:1]
	v_pk_min_f16 v47, v48, v47
	v_pk_add_f16 v48, v5, v17
	s_nop 0
	v_pk_min_f16 v47, v47, v48
	s_nop 0
	v_lshrrev_b32_e32 v48, 16, v47
	v_min3_f16 v48, v46, v47, v48
	v_lshl_add_u64 v[46:47], v[36:37], 1, v[22:23]
	global_store_short v[46:47], v48, off
	v_mov_b32_e32 v46, 0
	v_mov_b32_e32 v47, 0
	s_cbranch_vccnz .LBB220_70
; %bb.69:
	v_lshl_add_u64 v[48:49], v[44:45], 1, v[20:21]
	flat_load_ushort v47, v[48:49]
	s_waitcnt vmcnt(0) lgkmcnt(0)
	v_mul_f16_e32 v47, s13, v47
.LBB220_70:
	v_pk_add_f16 v48, v6, v16
	v_pk_max_f16 v49, v79, v79
	s_and_b64 vcc, exec, s[0:1]
	v_pk_min_f16 v48, v49, v48
	v_pk_add_f16 v49, v7, v17
	s_nop 0
	v_pk_min_f16 v48, v48, v49
	s_nop 0
	;; [unrolled: 40-line block ×3, first 2 shown]
	v_lshrrev_b32_e32 v49, 16, v48
	v_min3_f16 v47, v47, v48, v49
	v_lshl_add_u64 v[48:49], v[40:41], 1, v[22:23]
	global_store_short v[48:49], v47, off
	s_cbranch_vccnz .LBB220_76
; %bb.75:
	v_lshl_add_u64 v[20:21], v[38:39], 1, v[20:21]
	flat_load_ushort v20, v[20:21]
	s_waitcnt vmcnt(0) lgkmcnt(0)
	v_mul_f16_e32 v46, s13, v20
.LBB220_76:
	v_pk_add_f16 v16, v24, v16
	v_pk_max_f16 v20, v82, v82
	v_pk_add_f16 v17, v25, v17
	v_pk_min_f16 v16, v20, v16
	s_and_b64 vcc, exec, s[0:1]
	v_pk_min_f16 v16, v16, v17
	s_nop 0
	v_lshrrev_b32_e32 v17, 16, v16
	v_min3_f16 v20, v46, v16, v17
	v_lshl_add_u64 v[16:17], v[38:39], 1, v[22:23]
	global_store_short v[16:17], v20, off
	v_add_u32_e32 v20, 0x80, v109
	v_mad_i64_i32 v[16:17], s[8:9], v20, s10, 0
	v_lshl_add_u64 v[16:17], v[16:17], 1, s[6:7]
	v_mov_b32_e32 v22, 0
	v_mov_b32_e32 v23, 0
	s_cbranch_vccnz .LBB220_78
; %bb.77:
	v_lshl_add_u64 v[46:47], v[28:29], 1, v[16:17]
	flat_load_ushort v21, v[46:47]
	s_waitcnt vmcnt(0) lgkmcnt(0)
	v_mul_f16_e32 v23, s13, v21
.LBB220_78:
	v_pk_add_f16 v21, v30, v18
	v_pk_max_f16 v46, v84, v84
	s_and_b64 vcc, exec, s[0:1]
	v_pk_min_f16 v21, v46, v21
	v_pk_add_f16 v46, v31, v19
	s_nop 0
	v_pk_min_f16 v46, v21, v46
	v_mad_i64_i32 v[20:21], s[8:9], v20, s11, 0
	v_lshl_add_u64 v[20:21], v[20:21], 1, s[2:3]
	v_lshrrev_b32_e32 v47, 16, v46
	v_min3_f16 v23, v23, v46, v47
	v_lshl_add_u64 v[46:47], v[28:29], 1, v[20:21]
	global_store_short v[46:47], v23, off
	s_cbranch_vccnz .LBB220_80
; %bb.79:
	v_lshl_add_u64 v[22:23], v[32:33], 1, v[16:17]
	flat_load_ushort v22, v[22:23]
	s_waitcnt vmcnt(0) lgkmcnt(0)
	v_mul_f16_e32 v22, s13, v22
.LBB220_80:
	v_pk_add_f16 v23, v8, v18
	v_pk_max_f16 v46, v83, v83
	s_and_b64 vcc, exec, s[0:1]
	v_pk_min_f16 v23, v46, v23
	v_pk_add_f16 v46, v9, v19
	s_nop 0
	v_pk_min_f16 v23, v23, v46
	s_nop 0
	v_lshrrev_b32_e32 v46, 16, v23
	v_min3_f16 v46, v22, v23, v46
	v_lshl_add_u64 v[22:23], v[32:33], 1, v[20:21]
	global_store_short v[22:23], v46, off
	v_mov_b32_e32 v22, 0
	v_mov_b32_e32 v23, 0
	s_cbranch_vccnz .LBB220_82
; %bb.81:
	v_lshl_add_u64 v[46:47], v[34:35], 1, v[16:17]
	flat_load_ushort v23, v[46:47]
	s_waitcnt vmcnt(0) lgkmcnt(0)
	v_mul_f16_e32 v23, s13, v23
.LBB220_82:
	v_pk_add_f16 v46, v10, v18
	v_pk_max_f16 v47, v85, v85
	s_and_b64 vcc, exec, s[0:1]
	v_pk_min_f16 v46, v47, v46
	v_pk_add_f16 v47, v11, v19
	s_nop 0
	v_pk_min_f16 v46, v46, v47
	s_nop 0
	v_lshrrev_b32_e32 v47, 16, v46
	v_min3_f16 v23, v23, v46, v47
	v_lshl_add_u64 v[46:47], v[34:35], 1, v[20:21]
	global_store_short v[46:47], v23, off
	s_cbranch_vccnz .LBB220_84
; %bb.83:
	v_lshl_add_u64 v[22:23], v[36:37], 1, v[16:17]
	flat_load_ushort v22, v[22:23]
	s_waitcnt vmcnt(0) lgkmcnt(0)
	v_mul_f16_e32 v22, s13, v22
.LBB220_84:
	v_pk_add_f16 v23, v4, v18
	v_pk_max_f16 v46, v86, v86
	s_and_b64 vcc, exec, s[0:1]
	v_pk_min_f16 v23, v46, v23
	v_pk_add_f16 v46, v5, v19
	s_nop 0
	v_pk_min_f16 v23, v23, v46
	s_nop 0
	v_lshrrev_b32_e32 v46, 16, v23
	v_min3_f16 v46, v22, v23, v46
	v_lshl_add_u64 v[22:23], v[36:37], 1, v[20:21]
	global_store_short v[22:23], v46, off
	v_mov_b32_e32 v22, 0
	v_mov_b32_e32 v23, 0
	s_cbranch_vccnz .LBB220_86
; %bb.85:
	v_lshl_add_u64 v[46:47], v[44:45], 1, v[16:17]
	flat_load_ushort v23, v[46:47]
	s_waitcnt vmcnt(0) lgkmcnt(0)
	v_mul_f16_e32 v23, s13, v23
.LBB220_86:
	v_pk_add_f16 v46, v6, v18
	v_pk_max_f16 v47, v87, v87
	s_and_b64 vcc, exec, s[0:1]
	v_pk_min_f16 v46, v47, v46
	v_pk_add_f16 v47, v7, v19
	s_nop 0
	v_pk_min_f16 v46, v46, v47
	s_nop 0
	;; [unrolled: 40-line block ×3, first 2 shown]
	v_lshrrev_b32_e32 v47, 16, v46
	v_min3_f16 v23, v23, v46, v47
	v_lshl_add_u64 v[46:47], v[40:41], 1, v[20:21]
	global_store_short v[46:47], v23, off
	s_cbranch_vccnz .LBB220_92
; %bb.91:
	v_lshl_add_u64 v[16:17], v[38:39], 1, v[16:17]
	flat_load_ushort v16, v[16:17]
	s_waitcnt vmcnt(0) lgkmcnt(0)
	v_mul_f16_e32 v22, s13, v16
.LBB220_92:
	v_pk_add_f16 v16, v24, v18
	v_pk_max_f16 v17, v94, v94
	s_and_b64 vcc, exec, s[0:1]
	v_pk_min_f16 v16, v17, v16
	v_pk_add_f16 v17, v25, v19
	s_nop 0
	v_pk_min_f16 v16, v16, v17
	s_nop 0
	v_lshrrev_b32_e32 v17, 16, v16
	v_min3_f16 v18, v22, v16, v17
	v_lshl_add_u64 v[16:17], v[38:39], 1, v[20:21]
	global_store_short v[16:17], v18, off
	v_add_u32_e32 v18, 0xa0, v109
	v_mad_i64_i32 v[16:17], s[8:9], v18, s10, 0
	v_lshl_add_u64 v[16:17], v[16:17], 1, s[6:7]
	v_mov_b32_e32 v20, 0
	v_mov_b32_e32 v21, 0
	s_cbranch_vccnz .LBB220_94
; %bb.93:
	v_lshl_add_u64 v[22:23], v[28:29], 1, v[16:17]
	flat_load_ushort v19, v[22:23]
	s_waitcnt vmcnt(0) lgkmcnt(0)
	v_mul_f16_e32 v21, s13, v19
.LBB220_94:
	v_pk_add_f16 v19, v30, v12
	v_pk_max_f16 v22, v90, v90
	s_and_b64 vcc, exec, s[0:1]
	v_pk_min_f16 v19, v22, v19
	v_pk_add_f16 v22, v31, v13
	s_nop 0
	v_pk_min_f16 v22, v19, v22
	v_mad_i64_i32 v[18:19], s[8:9], v18, s11, 0
	v_lshl_add_u64 v[18:19], v[18:19], 1, s[2:3]
	v_lshrrev_b32_e32 v23, 16, v22
	v_min3_f16 v21, v21, v22, v23
	v_lshl_add_u64 v[22:23], v[28:29], 1, v[18:19]
	global_store_short v[22:23], v21, off
	s_cbranch_vccnz .LBB220_96
; %bb.95:
	v_lshl_add_u64 v[20:21], v[32:33], 1, v[16:17]
	flat_load_ushort v20, v[20:21]
	s_waitcnt vmcnt(0) lgkmcnt(0)
	v_mul_f16_e32 v20, s13, v20
.LBB220_96:
	v_pk_add_f16 v21, v8, v12
	v_pk_max_f16 v22, v88, v88
	s_and_b64 vcc, exec, s[0:1]
	v_pk_min_f16 v21, v22, v21
	v_pk_add_f16 v22, v9, v13
	s_nop 0
	v_pk_min_f16 v21, v21, v22
	s_nop 0
	v_lshrrev_b32_e32 v22, 16, v21
	v_min3_f16 v22, v20, v21, v22
	v_lshl_add_u64 v[20:21], v[32:33], 1, v[18:19]
	global_store_short v[20:21], v22, off
	v_mov_b32_e32 v20, 0
	v_mov_b32_e32 v21, 0
	s_cbranch_vccnz .LBB220_98
; %bb.97:
	v_lshl_add_u64 v[22:23], v[34:35], 1, v[16:17]
	flat_load_ushort v21, v[22:23]
	s_waitcnt vmcnt(0) lgkmcnt(0)
	v_mul_f16_e32 v21, s13, v21
.LBB220_98:
	v_pk_add_f16 v22, v10, v12
	v_pk_max_f16 v23, v91, v91
	s_and_b64 vcc, exec, s[0:1]
	v_pk_min_f16 v22, v23, v22
	v_pk_add_f16 v23, v11, v13
	s_nop 0
	v_pk_min_f16 v22, v22, v23
	s_nop 0
	v_lshrrev_b32_e32 v23, 16, v22
	v_min3_f16 v21, v21, v22, v23
	v_lshl_add_u64 v[22:23], v[34:35], 1, v[18:19]
	global_store_short v[22:23], v21, off
	s_cbranch_vccnz .LBB220_100
; %bb.99:
	v_lshl_add_u64 v[20:21], v[36:37], 1, v[16:17]
	flat_load_ushort v20, v[20:21]
	s_waitcnt vmcnt(0) lgkmcnt(0)
	v_mul_f16_e32 v20, s13, v20
.LBB220_100:
	v_pk_add_f16 v21, v4, v12
	v_pk_max_f16 v22, v93, v93
	s_and_b64 vcc, exec, s[0:1]
	v_pk_min_f16 v21, v22, v21
	v_pk_add_f16 v22, v5, v13
	s_nop 0
	v_pk_min_f16 v21, v21, v22
	s_nop 0
	v_lshrrev_b32_e32 v22, 16, v21
	v_min3_f16 v22, v20, v21, v22
	v_lshl_add_u64 v[20:21], v[36:37], 1, v[18:19]
	global_store_short v[20:21], v22, off
	v_mov_b32_e32 v20, 0
	v_mov_b32_e32 v21, 0
	s_cbranch_vccnz .LBB220_102
; %bb.101:
	v_lshl_add_u64 v[22:23], v[44:45], 1, v[16:17]
	flat_load_ushort v21, v[22:23]
	s_waitcnt vmcnt(0) lgkmcnt(0)
	v_mul_f16_e32 v21, s13, v21
.LBB220_102:
	v_pk_add_f16 v22, v6, v12
	v_pk_max_f16 v23, v95, v95
	s_and_b64 vcc, exec, s[0:1]
	v_pk_min_f16 v22, v23, v22
	v_pk_add_f16 v23, v7, v13
	s_nop 0
	v_pk_min_f16 v22, v22, v23
	s_nop 0
	;; [unrolled: 40-line block ×3, first 2 shown]
	v_lshrrev_b32_e32 v23, 16, v22
	v_min3_f16 v21, v21, v22, v23
	v_lshl_add_u64 v[22:23], v[40:41], 1, v[18:19]
	global_store_short v[22:23], v21, off
	s_cbranch_vccnz .LBB220_108
; %bb.107:
	v_lshl_add_u64 v[16:17], v[38:39], 1, v[16:17]
	flat_load_ushort v16, v[16:17]
	s_waitcnt vmcnt(0) lgkmcnt(0)
	v_mul_f16_e32 v20, s13, v16
.LBB220_108:
	v_pk_add_f16 v12, v24, v12
	v_pk_max_f16 v16, v98, v98
	v_pk_add_f16 v13, v25, v13
	v_pk_min_f16 v12, v16, v12
	s_and_b64 vcc, exec, s[0:1]
	v_pk_min_f16 v12, v12, v13
	s_nop 0
	v_lshrrev_b32_e32 v13, 16, v12
	v_min3_f16 v16, v20, v12, v13
	v_lshl_add_u64 v[12:13], v[38:39], 1, v[18:19]
	global_store_short v[12:13], v16, off
	v_add_u32_e32 v16, 0xc0, v109
	v_mad_i64_i32 v[12:13], s[8:9], v16, s10, 0
	v_lshl_add_u64 v[12:13], v[12:13], 1, s[6:7]
	v_mov_b32_e32 v18, 0
	v_mov_b32_e32 v19, 0
	s_cbranch_vccnz .LBB220_110
; %bb.109:
	v_lshl_add_u64 v[20:21], v[28:29], 1, v[12:13]
	flat_load_ushort v17, v[20:21]
	s_waitcnt vmcnt(0) lgkmcnt(0)
	v_mul_f16_e32 v19, s13, v17
.LBB220_110:
	v_pk_add_f16 v17, v30, v14
	v_pk_max_f16 v20, v106, v106
	s_and_b64 vcc, exec, s[0:1]
	v_pk_min_f16 v17, v20, v17
	v_pk_add_f16 v20, v31, v15
	s_nop 0
	v_pk_min_f16 v20, v17, v20
	v_mad_i64_i32 v[16:17], s[8:9], v16, s11, 0
	v_lshl_add_u64 v[16:17], v[16:17], 1, s[2:3]
	v_lshrrev_b32_e32 v21, 16, v20
	v_min3_f16 v19, v19, v20, v21
	v_lshl_add_u64 v[20:21], v[28:29], 1, v[16:17]
	global_store_short v[20:21], v19, off
	s_cbranch_vccnz .LBB220_112
; %bb.111:
	v_lshl_add_u64 v[18:19], v[32:33], 1, v[12:13]
	flat_load_ushort v18, v[18:19]
	s_waitcnt vmcnt(0) lgkmcnt(0)
	v_mul_f16_e32 v18, s13, v18
.LBB220_112:
	v_pk_add_f16 v19, v8, v14
	v_pk_max_f16 v20, v105, v105
	s_and_b64 vcc, exec, s[0:1]
	v_pk_min_f16 v19, v20, v19
	v_pk_add_f16 v20, v9, v15
	s_nop 0
	v_pk_min_f16 v19, v19, v20
	s_nop 0
	v_lshrrev_b32_e32 v20, 16, v19
	v_min3_f16 v20, v18, v19, v20
	v_lshl_add_u64 v[18:19], v[32:33], 1, v[16:17]
	global_store_short v[18:19], v20, off
	v_mov_b32_e32 v18, 0
	v_mov_b32_e32 v19, 0
	s_cbranch_vccnz .LBB220_114
; %bb.113:
	v_lshl_add_u64 v[20:21], v[34:35], 1, v[12:13]
	flat_load_ushort v19, v[20:21]
	s_waitcnt vmcnt(0) lgkmcnt(0)
	v_mul_f16_e32 v19, s13, v19
.LBB220_114:
	v_pk_add_f16 v20, v10, v14
	v_pk_max_f16 v21, v104, v104
	s_and_b64 vcc, exec, s[0:1]
	v_pk_min_f16 v20, v21, v20
	v_pk_add_f16 v21, v11, v15
	s_nop 0
	v_pk_min_f16 v20, v20, v21
	s_nop 0
	v_lshrrev_b32_e32 v21, 16, v20
	v_min3_f16 v19, v19, v20, v21
	v_lshl_add_u64 v[20:21], v[34:35], 1, v[16:17]
	global_store_short v[20:21], v19, off
	s_cbranch_vccnz .LBB220_116
; %bb.115:
	v_lshl_add_u64 v[18:19], v[36:37], 1, v[12:13]
	flat_load_ushort v18, v[18:19]
	s_waitcnt vmcnt(0) lgkmcnt(0)
	v_mul_f16_e32 v18, s13, v18
.LBB220_116:
	v_pk_add_f16 v19, v4, v14
	v_pk_max_f16 v20, v103, v103
	s_and_b64 vcc, exec, s[0:1]
	v_pk_min_f16 v19, v20, v19
	v_pk_add_f16 v20, v5, v15
	s_nop 0
	v_pk_min_f16 v19, v19, v20
	s_nop 0
	v_lshrrev_b32_e32 v20, 16, v19
	v_min3_f16 v20, v18, v19, v20
	v_lshl_add_u64 v[18:19], v[36:37], 1, v[16:17]
	global_store_short v[18:19], v20, off
	v_mov_b32_e32 v18, 0
	v_mov_b32_e32 v19, 0
	s_cbranch_vccnz .LBB220_118
; %bb.117:
	v_lshl_add_u64 v[20:21], v[44:45], 1, v[12:13]
	flat_load_ushort v19, v[20:21]
	s_waitcnt vmcnt(0) lgkmcnt(0)
	v_mul_f16_e32 v19, s13, v19
.LBB220_118:
	v_pk_add_f16 v20, v6, v14
	v_pk_max_f16 v21, v102, v102
	s_and_b64 vcc, exec, s[0:1]
	v_pk_min_f16 v20, v21, v20
	v_pk_add_f16 v21, v7, v15
	s_nop 0
	v_pk_min_f16 v20, v20, v21
	s_nop 0
	;; [unrolled: 40-line block ×3, first 2 shown]
	v_lshrrev_b32_e32 v21, 16, v20
	v_min3_f16 v19, v19, v20, v21
	v_lshl_add_u64 v[20:21], v[40:41], 1, v[16:17]
	global_store_short v[20:21], v19, off
	s_cbranch_vccnz .LBB220_124
; %bb.123:
	v_lshl_add_u64 v[12:13], v[38:39], 1, v[12:13]
	flat_load_ushort v12, v[12:13]
	s_waitcnt vmcnt(0) lgkmcnt(0)
	v_mul_f16_e32 v18, s13, v12
.LBB220_124:
	v_pk_add_f16 v12, v24, v14
	v_pk_max_f16 v13, v99, v99
	s_and_b64 vcc, exec, s[0:1]
	v_pk_min_f16 v12, v13, v12
	v_pk_add_f16 v13, v25, v15
	s_nop 0
	v_pk_min_f16 v12, v12, v13
	s_nop 0
	v_lshrrev_b32_e32 v13, 16, v12
	v_min3_f16 v14, v18, v12, v13
	v_lshl_add_u64 v[12:13], v[38:39], 1, v[16:17]
	global_store_short v[12:13], v14, off
	v_add_u32_e32 v14, 0xe0, v109
	v_mad_i64_i32 v[12:13], s[8:9], v14, s10, 0
	v_lshl_add_u64 v[12:13], v[12:13], 1, s[6:7]
	v_mov_b32_e32 v16, 0
	v_mov_b32_e32 v17, 0
	s_cbranch_vccnz .LBB220_126
; %bb.125:
	v_lshl_add_u64 v[18:19], v[28:29], 1, v[12:13]
	flat_load_ushort v15, v[18:19]
	s_waitcnt vmcnt(0) lgkmcnt(0)
	v_mul_f16_e32 v17, s13, v15
.LBB220_126:
	v_pk_add_f16 v15, v30, v26
	v_pk_max_f16 v18, v108, v108
	s_and_b64 vcc, exec, s[0:1]
	v_pk_min_f16 v15, v18, v15
	v_pk_add_f16 v18, v31, v27
	s_nop 0
	v_pk_min_f16 v18, v15, v18
	v_mad_i64_i32 v[14:15], s[6:7], v14, s11, 0
	v_lshl_add_u64 v[14:15], v[14:15], 1, s[2:3]
	v_lshrrev_b32_e32 v19, 16, v18
	v_min3_f16 v17, v17, v18, v19
	v_lshl_add_u64 v[18:19], v[28:29], 1, v[14:15]
	global_store_short v[18:19], v17, off
	s_cbranch_vccnz .LBB220_128
; %bb.127:
	v_lshl_add_u64 v[16:17], v[32:33], 1, v[12:13]
	flat_load_ushort v16, v[16:17]
	s_waitcnt vmcnt(0) lgkmcnt(0)
	v_mul_f16_e32 v16, s13, v16
.LBB220_128:
	v_pk_add_f16 v8, v8, v26
	v_pk_max_f16 v17, v107, v107
	v_pk_add_f16 v9, v9, v27
	v_pk_min_f16 v8, v17, v8
	s_and_b64 vcc, exec, s[0:1]
	v_pk_min_f16 v8, v8, v9
	s_nop 0
	v_lshrrev_b32_e32 v9, 16, v8
	v_min3_f16 v16, v16, v8, v9
	v_lshl_add_u64 v[8:9], v[32:33], 1, v[14:15]
	global_store_short v[8:9], v16, off
	v_mov_b32_e32 v8, 0
	v_mov_b32_e32 v9, 0
	s_cbranch_vccnz .LBB220_130
; %bb.129:
	v_lshl_add_u64 v[16:17], v[34:35], 1, v[12:13]
	flat_load_ushort v9, v[16:17]
	s_waitcnt vmcnt(0) lgkmcnt(0)
	v_mul_f16_e32 v9, s13, v9
.LBB220_130:
	v_pk_add_f16 v10, v10, v26
	v_pk_max_f16 v16, v113, v113
	v_pk_add_f16 v11, v11, v27
	v_pk_min_f16 v10, v16, v10
	s_and_b64 vcc, exec, s[0:1]
	v_pk_min_f16 v10, v10, v11
	s_nop 0
	v_lshrrev_b32_e32 v11, 16, v10
	v_min3_f16 v9, v9, v10, v11
	v_lshl_add_u64 v[10:11], v[34:35], 1, v[14:15]
	global_store_short v[10:11], v9, off
	s_cbranch_vccnz .LBB220_132
; %bb.131:
	v_lshl_add_u64 v[8:9], v[36:37], 1, v[12:13]
	flat_load_ushort v8, v[8:9]
	s_waitcnt vmcnt(0) lgkmcnt(0)
	v_mul_f16_e32 v8, s13, v8
.LBB220_132:
	v_pk_add_f16 v4, v4, v26
	v_pk_max_f16 v9, v114, v114
	v_pk_add_f16 v5, v5, v27
	v_pk_min_f16 v4, v9, v4
	s_and_b64 vcc, exec, s[0:1]
	v_pk_min_f16 v4, v4, v5
	s_nop 0
	v_lshrrev_b32_e32 v5, 16, v4
	v_min3_f16 v8, v8, v4, v5
	v_lshl_add_u64 v[4:5], v[36:37], 1, v[14:15]
	global_store_short v[4:5], v8, off
	v_mov_b32_e32 v4, 0
	v_mov_b32_e32 v5, 0
	s_cbranch_vccnz .LBB220_134
; %bb.133:
	v_lshl_add_u64 v[8:9], v[44:45], 1, v[12:13]
	flat_load_ushort v5, v[8:9]
	s_waitcnt vmcnt(0) lgkmcnt(0)
	v_mul_f16_e32 v5, s13, v5
.LBB220_134:
	v_pk_add_f16 v6, v6, v26
	v_pk_max_f16 v8, v115, v115
	v_pk_add_f16 v7, v7, v27
	v_pk_min_f16 v6, v8, v6
	s_and_b64 vcc, exec, s[0:1]
	v_pk_min_f16 v6, v6, v7
	s_nop 0
	v_lshrrev_b32_e32 v7, 16, v6
	v_min3_f16 v5, v5, v6, v7
	v_lshl_add_u64 v[6:7], v[44:45], 1, v[14:15]
	global_store_short v[6:7], v5, off
	s_cbranch_vccnz .LBB220_136
; %bb.135:
	v_lshl_add_u64 v[4:5], v[42:43], 1, v[12:13]
	flat_load_ushort v4, v[4:5]
	s_waitcnt vmcnt(0) lgkmcnt(0)
	v_mul_f16_e32 v4, s13, v4
.LBB220_136:
	v_pk_add_f16 v0, v0, v26
	v_pk_max_f16 v5, v116, v116
	v_pk_add_f16 v2, v2, v26
	v_pk_min_f16 v0, v5, v0
	v_pk_max_f16 v5, v117, v117
	v_pk_add_f16 v1, v1, v27
	v_pk_min_f16 v2, v5, v2
	v_pk_min_f16 v0, v0, v1
	v_pk_add_f16 v1, v3, v27
	s_mov_b64 vcc, s[4:5]
	v_pk_min_f16 v2, v2, v1
	v_lshrrev_b32_e32 v1, 16, v0
	v_min3_f16 v3, v4, v0, v1
	v_lshl_add_u64 v[0:1], v[42:43], 1, v[14:15]
	global_store_short v[0:1], v3, off
	v_min_f16_sdwa v0, v2, v2 dst_sel:DWORD dst_unused:UNUSED_PAD src0_sel:DWORD src1_sel:WORD_1
	v_max_f16_e32 v0, v0, v0
	s_cbranch_vccz .LBB220_139
; %bb.137:
	v_min_f16_e32 v1, 0, v0
	v_lshl_add_u64 v[2:3], v[40:41], 1, v[14:15]
	s_mov_b32 s2, 0
	global_store_short v[2:3], v1, off
	s_cbranch_execz .LBB220_140
; %bb.138:
	v_mov_b32_e32 v0, s2
	s_branch .LBB220_141
.LBB220_139:
                                        ; implicit-def: $sgpr2
.LBB220_140:
	v_lshlrev_b64 v[2:3], 1, v[40:41]
	v_lshl_add_u64 v[4:5], v[12:13], 0, v[2:3]
	flat_load_ushort v1, v[4:5]
	v_lshl_add_u64 v[2:3], v[14:15], 0, v[2:3]
	s_waitcnt vmcnt(0) lgkmcnt(0)
	v_mul_f16_e32 v1, s13, v1
	v_min_f16_e32 v0, v1, v0
	global_store_short v[2:3], v0, off
	v_lshl_add_u64 v[0:1], v[38:39], 1, v[12:13]
	flat_load_ushort v0, v[0:1]
	s_waitcnt vmcnt(0) lgkmcnt(0)
	v_mul_f16_e32 v0, s13, v0
.LBB220_141:
	v_pk_add_f16 v1, v24, v26
	v_pk_max_f16 v2, v118, v118
	s_nop 0
	v_pk_min_f16 v1, v2, v1
	v_pk_add_f16 v2, v25, v27
	s_nop 0
	v_pk_min_f16 v1, v1, v2
	s_nop 0
	v_lshrrev_b32_e32 v2, 16, v1
	v_min3_f16 v2, v0, v1, v2
	v_lshl_add_u64 v[0:1], v[38:39], 1, v[14:15]
	global_store_short v[0:1], v2, off
	s_endpgm
	.section	.rodata,"a",@progbits
	.p2align	6, 0x0
	.amdhsa_kernel _ZN12_GLOBAL__N_120geam_min_plus_kernelIDF16_Dv2_DF16_S1_Li8ELi32ELi64ELi256ELi4ELi64ELi4ELi64ELi4ELc78ELc84ELb1ELb0ELb1EDF16_KPKDF16_KPDF16_EEviiiT16_PT17_ilS9_ilS7_S9_ilPT18_ili26rocblas_geam_ex_operation_
		.amdhsa_group_segment_fixed_size 5120
		.amdhsa_private_segment_fixed_size 0
		.amdhsa_kernarg_size 128
		.amdhsa_user_sgpr_count 2
		.amdhsa_user_sgpr_dispatch_ptr 0
		.amdhsa_user_sgpr_queue_ptr 0
		.amdhsa_user_sgpr_kernarg_segment_ptr 1
		.amdhsa_user_sgpr_dispatch_id 0
		.amdhsa_user_sgpr_kernarg_preload_length 0
		.amdhsa_user_sgpr_kernarg_preload_offset 0
		.amdhsa_user_sgpr_private_segment_size 0
		.amdhsa_uses_dynamic_stack 0
		.amdhsa_enable_private_segment 0
		.amdhsa_system_sgpr_workgroup_id_x 1
		.amdhsa_system_sgpr_workgroup_id_y 0
		.amdhsa_system_sgpr_workgroup_id_z 1
		.amdhsa_system_sgpr_workgroup_info 0
		.amdhsa_system_vgpr_workitem_id 1
		.amdhsa_next_free_vgpr 126
		.amdhsa_next_free_sgpr 24
		.amdhsa_accum_offset 128
		.amdhsa_reserve_vcc 1
		.amdhsa_float_round_mode_32 0
		.amdhsa_float_round_mode_16_64 0
		.amdhsa_float_denorm_mode_32 3
		.amdhsa_float_denorm_mode_16_64 3
		.amdhsa_dx10_clamp 1
		.amdhsa_ieee_mode 1
		.amdhsa_fp16_overflow 0
		.amdhsa_tg_split 0
		.amdhsa_exception_fp_ieee_invalid_op 0
		.amdhsa_exception_fp_denorm_src 0
		.amdhsa_exception_fp_ieee_div_zero 0
		.amdhsa_exception_fp_ieee_overflow 0
		.amdhsa_exception_fp_ieee_underflow 0
		.amdhsa_exception_fp_ieee_inexact 0
		.amdhsa_exception_int_div_zero 0
	.end_amdhsa_kernel
	.section	.text._ZN12_GLOBAL__N_120geam_min_plus_kernelIDF16_Dv2_DF16_S1_Li8ELi32ELi64ELi256ELi4ELi64ELi4ELi64ELi4ELc78ELc84ELb1ELb0ELb1EDF16_KPKDF16_KPDF16_EEviiiT16_PT17_ilS9_ilS7_S9_ilPT18_ili26rocblas_geam_ex_operation_,"axG",@progbits,_ZN12_GLOBAL__N_120geam_min_plus_kernelIDF16_Dv2_DF16_S1_Li8ELi32ELi64ELi256ELi4ELi64ELi4ELi64ELi4ELc78ELc84ELb1ELb0ELb1EDF16_KPKDF16_KPDF16_EEviiiT16_PT17_ilS9_ilS7_S9_ilPT18_ili26rocblas_geam_ex_operation_,comdat
.Lfunc_end220:
	.size	_ZN12_GLOBAL__N_120geam_min_plus_kernelIDF16_Dv2_DF16_S1_Li8ELi32ELi64ELi256ELi4ELi64ELi4ELi64ELi4ELc78ELc84ELb1ELb0ELb1EDF16_KPKDF16_KPDF16_EEviiiT16_PT17_ilS9_ilS7_S9_ilPT18_ili26rocblas_geam_ex_operation_, .Lfunc_end220-_ZN12_GLOBAL__N_120geam_min_plus_kernelIDF16_Dv2_DF16_S1_Li8ELi32ELi64ELi256ELi4ELi64ELi4ELi64ELi4ELc78ELc84ELb1ELb0ELb1EDF16_KPKDF16_KPDF16_EEviiiT16_PT17_ilS9_ilS7_S9_ilPT18_ili26rocblas_geam_ex_operation_
                                        ; -- End function
	.section	.AMDGPU.csdata,"",@progbits
; Kernel info:
; codeLenInByte = 16744
; NumSgprs: 30
; NumVgprs: 126
; NumAgprs: 0
; TotalNumVgprs: 126
; ScratchSize: 0
; MemoryBound: 0
; FloatMode: 240
; IeeeMode: 1
; LDSByteSize: 5120 bytes/workgroup (compile time only)
; SGPRBlocks: 3
; VGPRBlocks: 15
; NumSGPRsForWavesPerEU: 30
; NumVGPRsForWavesPerEU: 126
; AccumOffset: 128
; Occupancy: 4
; WaveLimiterHint : 1
; COMPUTE_PGM_RSRC2:SCRATCH_EN: 0
; COMPUTE_PGM_RSRC2:USER_SGPR: 2
; COMPUTE_PGM_RSRC2:TRAP_HANDLER: 0
; COMPUTE_PGM_RSRC2:TGID_X_EN: 1
; COMPUTE_PGM_RSRC2:TGID_Y_EN: 0
; COMPUTE_PGM_RSRC2:TGID_Z_EN: 1
; COMPUTE_PGM_RSRC2:TIDIG_COMP_CNT: 1
; COMPUTE_PGM_RSRC3_GFX90A:ACCUM_OFFSET: 31
; COMPUTE_PGM_RSRC3_GFX90A:TG_SPLIT: 0
	.section	.text._ZN12_GLOBAL__N_120geam_min_plus_kernelIDF16_Dv2_DF16_S1_Li8ELi32ELi64ELi256ELi4ELi64ELi4ELi64ELi4ELc78ELc84ELb0ELb0ELb1EDF16_KPKDF16_KPDF16_EEviiiT16_PT17_ilS9_ilS7_S9_ilPT18_ili26rocblas_geam_ex_operation_,"axG",@progbits,_ZN12_GLOBAL__N_120geam_min_plus_kernelIDF16_Dv2_DF16_S1_Li8ELi32ELi64ELi256ELi4ELi64ELi4ELi64ELi4ELc78ELc84ELb0ELb0ELb1EDF16_KPKDF16_KPDF16_EEviiiT16_PT17_ilS9_ilS7_S9_ilPT18_ili26rocblas_geam_ex_operation_,comdat
	.globl	_ZN12_GLOBAL__N_120geam_min_plus_kernelIDF16_Dv2_DF16_S1_Li8ELi32ELi64ELi256ELi4ELi64ELi4ELi64ELi4ELc78ELc84ELb0ELb0ELb1EDF16_KPKDF16_KPDF16_EEviiiT16_PT17_ilS9_ilS7_S9_ilPT18_ili26rocblas_geam_ex_operation_ ; -- Begin function _ZN12_GLOBAL__N_120geam_min_plus_kernelIDF16_Dv2_DF16_S1_Li8ELi32ELi64ELi256ELi4ELi64ELi4ELi64ELi4ELc78ELc84ELb0ELb0ELb1EDF16_KPKDF16_KPDF16_EEviiiT16_PT17_ilS9_ilS7_S9_ilPT18_ili26rocblas_geam_ex_operation_
	.p2align	8
	.type	_ZN12_GLOBAL__N_120geam_min_plus_kernelIDF16_Dv2_DF16_S1_Li8ELi32ELi64ELi256ELi4ELi64ELi4ELi64ELi4ELc78ELc84ELb0ELb0ELb1EDF16_KPKDF16_KPDF16_EEviiiT16_PT17_ilS9_ilS7_S9_ilPT18_ili26rocblas_geam_ex_operation_,@function
_ZN12_GLOBAL__N_120geam_min_plus_kernelIDF16_Dv2_DF16_S1_Li8ELi32ELi64ELi256ELi4ELi64ELi4ELi64ELi4ELc78ELc84ELb0ELb0ELb1EDF16_KPKDF16_KPDF16_EEviiiT16_PT17_ilS9_ilS7_S9_ilPT18_ili26rocblas_geam_ex_operation_: ; @_ZN12_GLOBAL__N_120geam_min_plus_kernelIDF16_Dv2_DF16_S1_Li8ELi32ELi64ELi256ELi4ELi64ELi4ELi64ELi4ELc78ELc84ELb0ELb0ELb1EDF16_KPKDF16_KPDF16_EEviiiT16_PT17_ilS9_ilS7_S9_ilPT18_ili26rocblas_geam_ex_operation_
; %bb.0:
	s_load_dwordx2 s[16:17], s[0:1], 0x8
	s_load_dwordx4 s[8:11], s[0:1], 0x20
	s_mov_b32 s4, s3
	s_mov_b32 s5, 0
	s_waitcnt lgkmcnt(0)
	v_cmp_eq_f16_e64 s[12:13], s17, 0
	s_and_b64 vcc, exec, s[12:13]
	s_cbranch_vccnz .LBB221_3
; %bb.1:
	s_load_dwordx2 s[6:7], s[0:1], 0x10
	s_lshl_b64 s[14:15], s[4:5], 3
	s_waitcnt lgkmcnt(0)
	s_add_u32 s6, s6, s14
	s_addc_u32 s7, s7, s15
	s_load_dwordx2 s[6:7], s[6:7], 0x0
	s_lshl_b64 s[8:9], s[8:9], 1
	s_waitcnt lgkmcnt(0)
	s_add_u32 s18, s6, s8
	s_addc_u32 s19, s7, s9
	v_cndmask_b32_e64 v1, 0, 1, s[12:13]
	v_cmp_ne_u32_e64 s[6:7], 1, v1
	s_andn2_b64 vcc, exec, s[12:13]
	s_cbranch_vccnz .LBB221_4
.LBB221_2:
	s_mov_b64 s[20:21], 0
	s_cbranch_execz .LBB221_5
	s_branch .LBB221_6
.LBB221_3:
	s_mov_b64 s[18:19], 0
	v_cndmask_b32_e64 v1, 0, 1, s[12:13]
	v_cmp_ne_u32_e64 s[6:7], 1, v1
	s_andn2_b64 vcc, exec, s[12:13]
	s_cbranch_vccz .LBB221_2
.LBB221_4:
                                        ; implicit-def: $sgpr20_sgpr21
.LBB221_5:
	s_lshl_b64 s[12:13], s[4:5], 3
	s_add_u32 s10, s10, s12
	s_load_dwordx2 s[8:9], s[0:1], 0x38
	s_addc_u32 s11, s11, s13
	s_load_dwordx2 s[10:11], s[10:11], 0x0
	s_waitcnt lgkmcnt(0)
	s_lshl_b64 s[8:9], s[8:9], 1
	s_add_u32 s20, s10, s8
	s_addc_u32 s21, s11, s9
.LBB221_6:
	s_load_dword s28, s[0:1], 0x40
	s_load_dwordx4 s[12:15], s[0:1], 0x58
	s_waitcnt lgkmcnt(0)
	v_cmp_eq_f16_e64 s[8:9], s28, 0
	s_and_b64 s[8:9], exec, s[8:9]
	s_mov_b64 vcc, s[8:9]
	s_cbranch_vccnz .LBB221_8
; %bb.7:
	s_load_dwordx2 s[10:11], s[0:1], 0x48
	s_lshl_b64 s[22:23], s[4:5], 3
	s_waitcnt lgkmcnt(0)
	s_add_u32 s10, s10, s22
	s_addc_u32 s11, s11, s23
	s_load_dwordx2 s[10:11], s[10:11], 0x0
	s_lshl_b64 s[12:13], s[12:13], 1
	s_waitcnt lgkmcnt(0)
	s_add_u32 s10, s10, s12
	s_addc_u32 s11, s11, s13
	s_branch .LBB221_9
.LBB221_8:
	s_mov_b64 s[10:11], 0
.LBB221_9:
	s_load_dword s22, s[0:1], 0x18
	s_load_dword s3, s[0:1], 0x0
	s_lshl_b64 s[4:5], s[4:5], 3
	v_and_b32_e32 v48, 0x3ff, v0
	v_bfe_u32 v49, v0, 10, 10
	s_waitcnt lgkmcnt(0)
	s_ashr_i32 s23, s22, 31
	s_add_u32 s12, s14, s4
	s_addc_u32 s13, s15, s5
	s_add_i32 s3, s3, -1
	s_ashr_i32 s4, s3, 31
	s_lshr_b32 s4, s4, 26
	s_add_i32 s3, s3, s4
	s_ashr_i32 s3, s3, 6
	s_add_i32 s4, s3, 1
	v_cvt_f32_u32_e32 v1, s4
	s_not_b32 s3, s3
	v_lshl_add_u32 v0, v49, 3, v48
	v_and_b32_e32 v38, 63, v0
	v_rcp_iflag_f32_e32 v1, v1
	v_lshrrev_b32_e32 v40, 6, v0
	v_mul_f32_e32 v1, 0x4f7ffffe, v1
	v_cvt_u32_f32_e32 v1, v1
	s_nop 0
	v_readfirstlane_b32 s5, v1
	s_mul_i32 s3, s3, s5
	s_mul_hi_u32 s3, s5, s3
	s_add_i32 s5, s5, s3
	s_mul_hi_u32 s3, s2, s5
	s_mul_i32 s5, s3, s4
	s_sub_i32 s5, s2, s5
	s_add_i32 s14, s3, 1
	s_sub_i32 s15, s5, s4
	s_cmp_ge_u32 s5, s4
	s_cselect_b32 s3, s14, s3
	s_cselect_b32 s5, s15, s5
	s_add_i32 s14, s3, 1
	s_cmp_ge_u32 s5, s4
	s_cselect_b32 s14, s14, s3
	s_mul_i32 s3, s14, s4
	s_sub_i32 s4, s2, s3
	s_and_b64 vcc, exec, s[6:7]
	s_lshl_b32 s29, s4, 6
	s_cbranch_vccnz .LBB221_11
; %bb.10:
	v_mov_b32_e32 v1, 0
	s_mov_b64 s[4:5], 0
	s_mov_b32 s15, 0
	s_branch .LBB221_12
.LBB221_11:
	s_mov_b64 s[4:5], -1
                                        ; implicit-def: $sgpr15
                                        ; implicit-def: $vgpr0_vgpr1
.LBB221_12:
	v_or_b32_e32 v2, s29, v38
	v_cmp_neq_f16_e64 s[24:25], s17, 0
	s_andn2_b64 vcc, exec, s[4:5]
	v_ashrrev_i32_e32 v3, 31, v2
	s_cbranch_vccnz .LBB221_14
; %bb.13:
	v_mad_i64_i32 v[0:1], s[4:5], s22, v40, 0
	v_lshl_add_u64 v[0:1], v[0:1], 1, s[18:19]
	v_lshl_add_u64 v[0:1], v[2:3], 1, v[0:1]
	flat_load_ushort v0, v[0:1]
	v_mov_b32_e32 v1, 0
	s_waitcnt vmcnt(0) lgkmcnt(0)
	v_mul_f16_e32 v8, s17, v0
	s_branch .LBB221_15
.LBB221_14:
	v_mov_b32_e32 v8, s15
.LBB221_15:
	s_load_dword s26, s[0:1], 0x30
	s_lshl_b32 s30, s14, 8
	v_or_b32_e32 v0, s30, v38
	s_andn2_b64 vcc, exec, s[24:25]
	s_waitcnt lgkmcnt(0)
	s_ashr_i32 s27, s26, 31
	v_mul_lo_u32 v1, v1, s26
	v_mul_lo_u32 v6, v40, s27
	v_mad_u64_u32 v[4:5], s[4:5], v40, s26, 0
	v_add3_u32 v5, v5, v6, v1
	v_cndmask_b32_e64 v1, 0, 1, s[24:25]
	v_lshl_add_u64 v[4:5], v[4:5], 1, s[20:21]
	v_cmp_ne_u32_e64 s[4:5], 1, v1
	v_ashrrev_i32_e32 v1, 31, v0
	s_cbranch_vccnz .LBB221_20
; %bb.16:
	v_lshl_add_u64 v[6:7], v[0:1], 1, v[4:5]
	flat_load_ushort v9, v[6:7]
	flat_load_ushort v10, v[6:7] offset:128
	s_waitcnt vmcnt(0) lgkmcnt(0)
	v_mul_f16_e32 v9, s17, v9
	v_mul_f16_e32 v10, s17, v10
	s_and_b64 vcc, exec, s[4:5]
	s_cbranch_vccnz .LBB221_21
.LBB221_17:
	v_lshl_add_u64 v[4:5], v[0:1], 1, v[4:5]
	flat_load_ushort v6, v[4:5] offset:256
	flat_load_ushort v7, v[4:5] offset:384
	s_waitcnt vmcnt(0) lgkmcnt(0)
	v_mul_f16_e32 v5, s17, v6
	v_mul_f16_e32 v11, s17, v7
	s_and_b64 vcc, exec, s[6:7]
	v_add_u32_e32 v4, 4, v40
	s_cbranch_vccnz .LBB221_22
.LBB221_18:
	v_mov_b32_e32 v7, 0
	s_mov_b32 s14, 0
	s_cbranch_execz .LBB221_23
; %bb.19:
	v_mov_b32_e32 v32, s14
	s_branch .LBB221_24
.LBB221_20:
	v_mov_b32_e32 v9, 0
	v_mov_b32_e32 v10, 0
	s_and_b64 vcc, exec, s[4:5]
	s_cbranch_vccz .LBB221_17
.LBB221_21:
	v_mov_b32_e32 v5, 0
	v_mov_b32_e32 v11, 0
	s_and_b64 vcc, exec, s[6:7]
	v_add_u32_e32 v4, 4, v40
	s_cbranch_vccz .LBB221_18
.LBB221_22:
                                        ; implicit-def: $sgpr14
                                        ; implicit-def: $vgpr6_vgpr7
.LBB221_23:
	v_mad_i64_i32 v[6:7], s[6:7], s22, v4, 0
	v_lshl_add_u64 v[6:7], v[6:7], 1, s[18:19]
	v_lshl_add_u64 v[2:3], v[2:3], 1, v[6:7]
	flat_load_ushort v2, v[2:3]
	v_mov_b32_e32 v7, 0
	s_waitcnt vmcnt(0) lgkmcnt(0)
	v_mul_f16_e32 v32, s17, v2
.LBB221_24:
	v_mul_lo_u32 v6, v7, s26
	v_mul_lo_u32 v7, v4, s27
	v_mad_u64_u32 v[2:3], s[6:7], v4, s26, 0
	v_add3_u32 v3, v3, v7, v6
	s_and_b64 vcc, exec, s[4:5]
	v_lshl_add_u64 v[2:3], v[2:3], 1, s[20:21]
	s_cbranch_vccnz .LBB221_27
; %bb.25:
	v_lshl_add_u64 v[6:7], v[0:1], 1, v[2:3]
	flat_load_ushort v4, v[6:7]
	flat_load_ushort v12, v[6:7] offset:128
	s_waitcnt vmcnt(0) lgkmcnt(0)
	v_mul_f16_e32 v33, s17, v4
	v_mul_f16_e32 v34, s17, v12
	s_and_b64 vcc, exec, s[4:5]
	s_cbranch_vccnz .LBB221_28
.LBB221_26:
	v_lshl_add_u64 v[0:1], v[0:1], 1, v[2:3]
	flat_load_ushort v2, v[0:1] offset:256
	flat_load_ushort v3, v[0:1] offset:384
	s_waitcnt vmcnt(0) lgkmcnt(0)
	v_mul_f16_e32 v35, s17, v2
	v_mul_f16_e32 v36, s17, v3
	s_branch .LBB221_29
.LBB221_27:
	v_mov_b32_e32 v33, 0
	v_mov_b32_e32 v34, 0
	s_and_b64 vcc, exec, s[4:5]
	s_cbranch_vccz .LBB221_26
.LBB221_28:
	v_mov_b32_e32 v35, 0
	v_mov_b32_e32 v36, 0
.LBB221_29:
	v_lshlrev_b32_e32 v0, 1, v40
	v_lshlrev_b32_e32 v51, 3, v48
	v_lshl_add_u32 v46, v38, 3, v0
	v_add_u32_e32 v47, 0x1000, v51
	v_lshlrev_b32_e32 v50, 3, v49
	s_load_dwordx2 s[12:13], s[12:13], 0x0
	ds_write_b16 v46, v8 offset:4096
	ds_write_b16 v46, v9
	ds_write_b16 v46, v10 offset:512
	ds_write_b16 v46, v5 offset:1024
	;; [unrolled: 1-line block ×3, first 2 shown]
	s_waitcnt lgkmcnt(0)
	s_barrier
	ds_read2_b64 v[16:19], v47 offset1:8
	ds_read2_b64 v[12:15], v47 offset0:16 offset1:24
	ds_read2_b64 v[0:3], v47 offset0:32 offset1:40
	ds_read2_b64 v[28:31], v50 offset1:32
	ds_read2_b64 v[4:7], v47 offset0:48 offset1:56
	ds_read2_b64 v[24:27], v50 offset0:64 offset1:96
	;; [unrolled: 1-line block ×4, first 2 shown]
	s_movk_i32 s6, 0x7c00
	s_waitcnt lgkmcnt(4)
	v_pk_add_f16 v37, v16, v28
	v_pk_add_f16 v39, v18, v28
	s_waitcnt lgkmcnt(1)
	v_pk_add_f16 v79, v4, v20
	v_pk_min_f16 v37, v37, s6 op_sel_hi:[1,0]
	v_pk_min_f16 v109, v79, s6 op_sel_hi:[1,0]
	v_pk_add_f16 v79, v16, v22
	v_pk_add_f16 v41, v12, v28
	v_pk_min_f16 v117, v79, s6 op_sel_hi:[1,0]
	v_pk_add_f16 v79, v18, v22
	v_pk_add_f16 v42, v14, v28
	;; [unrolled: 3-line block ×7, first 2 shown]
	v_pk_min_f16 v123, v79, s6 op_sel_hi:[1,0]
	s_waitcnt lgkmcnt(0)
	v_pk_add_f16 v79, v16, v8
	v_pk_add_f16 v53, v18, v30
	v_pk_min_f16 v124, v79, s6 op_sel_hi:[1,0]
	v_pk_add_f16 v79, v18, v8
	v_pk_add_f16 v54, v12, v30
	v_pk_min_f16 v125, v79, s6 op_sel_hi:[1,0]
	;; [unrolled: 3-line block ×5, first 2 shown]
	v_pk_add_f16 v79, v2, v8
	v_pk_add_f16 v58, v4, v30
	;; [unrolled: 1-line block ×27, first 2 shown]
	v_pk_min_f16 v129, v79, s6 op_sel_hi:[1,0]
	v_pk_add_f16 v79, v4, v8
	v_pk_add_f16 v8, v6, v8
	;; [unrolled: 1-line block ×11, first 2 shown]
	v_pk_min_f16 v39, v39, s6 op_sel_hi:[1,0]
	v_pk_min_f16 v116, v37, v10
	v_pk_add_f16 v10, v19, v29
	v_pk_min_f16 v41, v41, s6 op_sel_hi:[1,0]
	v_pk_min_f16 v115, v39, v10
	v_pk_add_f16 v10, v13, v29
	;; [unrolled: 3-line block ×36, first 2 shown]
	v_pk_min_f16 v78, v78, s6 op_sel_hi:[1,0]
	v_pk_min_f16 v130, v79, s6 op_sel_hi:[1,0]
	v_pk_min_f16 v79, v77, v10
	v_pk_add_f16 v10, v3, v21
	v_pk_min_f16 v20, v20, s6 op_sel_hi:[1,0]
	v_pk_min_f16 v78, v78, v10
	v_pk_add_f16 v10, v5, v21
	;; [unrolled: 3-line block ×12, first 2 shown]
	s_cmp_lt_i32 s16, 9
	v_pk_min_f16 v67, v124, v10
	v_pk_add_f16 v10, v19, v9
	ds_write_b16 v46, v32 offset:4608
	ds_write_b16 v46, v33 offset:2048
	;; [unrolled: 1-line block ×5, first 2 shown]
	v_pk_min_f16 v66, v125, v10
	v_pk_add_f16 v10, v13, v9
	s_waitcnt lgkmcnt(0)
	v_pk_min_f16 v65, v126, v10
	v_pk_add_f16 v10, v15, v9
	s_barrier
	v_pk_min_f16 v64, v127, v10
	v_pk_add_f16 v10, v1, v9
	v_pk_add_f16 v1, v1, v11
	v_pk_min_f16 v63, v128, v10
	v_pk_add_f16 v10, v3, v9
	v_pk_min_f16 v54, v0, v1
	v_pk_min_f16 v62, v129, v10
	v_pk_add_f16 v10, v5, v9
	v_pk_add_f16 v9, v7, v9
	;; [unrolled: 1-line block ×3, first 2 shown]
	v_pk_min_f16 v60, v8, v9
	v_pk_add_f16 v8, v17, v11
	v_pk_min_f16 v52, v2, v0
	v_pk_min_f16 v59, v16, v8
	v_pk_add_f16 v8, v19, v11
	v_pk_add_f16 v0, v5, v11
	v_pk_min_f16 v57, v18, v8
	v_pk_add_f16 v8, v13, v11
	v_pk_min_f16 v53, v4, v0
	v_pk_min_f16 v56, v12, v8
	v_pk_add_f16 v8, v15, v11
	v_pk_add_f16 v0, v7, v11
	v_pk_min_f16 v61, v130, v10
	v_pk_min_f16 v55, v14, v8
	v_pk_min_f16 v58, v6, v0
	s_cbranch_scc1 .LBB221_47
; %bb.30:
	v_mov_b32_e32 v0, 0x1200
	v_lshl_add_u32 v119, v48, 3, v0
	v_mov_b32_e32 v0, 0x800
	v_add_u32_e32 v2, 12, v40
	v_lshl_add_u32 v120, v49, 3, v0
	v_mad_i64_i32 v[0:1], s[6:7], v2, s22, 0
	v_lshlrev_b64 v[32:33], 1, v[0:1]
	v_lshl_or_b32 v0, s2, 6, v38
	s_lshl_b32 s2, s3, 6
	v_subrev_u32_e32 v0, s2, v0
	v_ashrrev_i32_e32 v1, 31, v0
	v_lshl_add_u64 v[34:35], v[0:1], 1, s[18:19]
	v_mad_i64_i32 v[0:1], s[6:7], v2, s26, 0
	v_lshlrev_b64 v[36:37], 1, v[0:1]
	v_add_u32_e32 v0, s30, v38
	v_ashrrev_i32_e32 v1, 31, v0
	v_add_u32_e32 v2, 8, v40
	v_lshl_add_u64 v[38:39], v[0:1], 1, s[20:21]
	v_mad_i64_i32 v[0:1], s[6:7], v2, s26, 0
	v_lshlrev_b64 v[40:41], 1, v[0:1]
	v_mad_i64_i32 v[0:1], s[6:7], v2, s22, 0
	v_or_b32_e32 v109, 0x1000, v46
	v_add_u32_e32 v117, 0x1200, v46
	v_or_b32_e32 v118, 0x800, v46
	s_add_i32 s16, s16, -8
	s_lshl_b64 s[2:3], s[22:23], 4
	s_lshl_b64 s[14:15], s[26:27], 4
	v_lshlrev_b64 v[42:43], 1, v[0:1]
	s_mov_b32 s18, 0
	s_and_b64 s[6:7], exec, s[24:25]
	s_branch .LBB221_33
.LBB221_31:                             ;   in Loop: Header=BB221_33 Depth=1
	flat_load_ushort v0, v[44:45] offset:256
	flat_load_ushort v1, v[44:45] offset:384
	s_waitcnt vmcnt(0) lgkmcnt(0)
	v_mul_f16_e32 v28, s17, v0
	v_mul_f16_e32 v29, s17, v1
.LBB221_32:                             ;   in Loop: Header=BB221_33 Depth=1
	ds_read2_b64 v[8:11], v47 offset1:8
	ds_read2_b64 v[4:7], v47 offset0:16 offset1:24
	ds_read2_b64 v[0:3], v47 offset0:32 offset1:40
	ds_read2_b64 v[124:127], v50 offset1:32
	ds_read2_b64 v[12:15], v47 offset0:48 offset1:56
	ds_read2_b64 v[24:27], v50 offset0:64 offset1:96
	ds_read2_b64 v[20:23], v50 offset0:128 offset1:160
	ds_read2_b64 v[16:19], v50 offset0:192 offset1:224
	s_waitcnt lgkmcnt(4)
	v_pk_add_f16 v44, v8, v124
	v_pk_max_f16 v45, v114, v114
	v_pk_max_f16 v113, v113, v113
	v_pk_min_f16 v44, v45, v44
	v_pk_add_f16 v45, v10, v124
	v_pk_max_f16 v112, v112, v112
	v_pk_min_f16 v45, v113, v45
	v_pk_add_f16 v113, v4, v124
	;; [unrolled: 3-line block ×5, first 2 shown]
	v_pk_max_f16 v107, v107, v107
	v_pk_min_f16 v108, v108, v113
	s_waitcnt lgkmcnt(3)
	v_pk_add_f16 v113, v12, v124
	v_pk_max_f16 v106, v106, v106
	v_pk_min_f16 v107, v107, v113
	v_pk_add_f16 v113, v14, v124
	v_pk_max_f16 v105, v105, v105
	v_pk_min_f16 v106, v106, v113
	;; [unrolled: 3-line block ×10, first 2 shown]
	s_waitcnt lgkmcnt(2)
	v_pk_add_f16 v113, v8, v24
	v_pk_max_f16 v96, v96, v96
	v_pk_min_f16 v97, v97, v113
	v_pk_add_f16 v113, v10, v24
	v_pk_max_f16 v95, v95, v95
	v_pk_min_f16 v96, v96, v113
	;; [unrolled: 3-line block ×6, first 2 shown]
	v_pk_add_f16 v113, v12, v24
	v_pk_add_f16 v24, v14, v24
	v_pk_max_f16 v89, v89, v89
	v_pk_min_f16 v24, v90, v24
	v_pk_add_f16 v90, v8, v26
	v_pk_max_f16 v88, v88, v88
	v_pk_min_f16 v89, v89, v90
	;; [unrolled: 3-line block ×7, first 2 shown]
	v_pk_add_f16 v90, v12, v26
	v_pk_add_f16 v26, v14, v26
	v_pk_max_f16 v81, v81, v81
	v_pk_min_f16 v26, v82, v26
	s_waitcnt lgkmcnt(1)
	v_pk_add_f16 v82, v8, v20
	v_pk_max_f16 v80, v80, v80
	v_pk_min_f16 v81, v81, v82
	v_pk_add_f16 v82, v10, v20
	v_pk_max_f16 v79, v79, v79
	v_pk_min_f16 v80, v80, v82
	;; [unrolled: 3-line block ×6, first 2 shown]
	v_pk_add_f16 v82, v12, v20
	v_pk_add_f16 v20, v14, v20
	v_pk_max_f16 v73, v73, v73
	v_pk_min_f16 v20, v74, v20
	v_pk_add_f16 v74, v8, v22
	v_pk_max_f16 v72, v72, v72
	v_pk_min_f16 v73, v73, v74
	;; [unrolled: 3-line block ×7, first 2 shown]
	v_pk_add_f16 v74, v12, v22
	v_pk_add_f16 v22, v14, v22
	v_pk_max_f16 v65, v65, v65
	v_pk_min_f16 v22, v66, v22
	s_waitcnt lgkmcnt(0)
	v_pk_add_f16 v66, v8, v16
	v_pk_max_f16 v64, v64, v64
	v_pk_min_f16 v65, v65, v66
	v_pk_add_f16 v66, v10, v16
	v_pk_max_f16 v63, v63, v63
	v_pk_min_f16 v64, v64, v66
	;; [unrolled: 3-line block ×5, first 2 shown]
	v_pk_add_f16 v66, v2, v16
	v_pk_add_f16 v8, v8, v18
	v_pk_min_f16 v60, v60, v66
	v_pk_add_f16 v66, v12, v16
	v_pk_add_f16 v16, v14, v16
	;; [unrolled: 1-line block ×9, first 2 shown]
	v_pk_max_f16 v18, v52, v52
	v_pk_max_f16 v91, v91, v91
	v_pk_min_f16 v14, v18, v14
	v_pk_add_f16 v18, v9, v125
	v_pk_min_f16 v91, v91, v113
	v_pk_min_f16 v116, v44, v18
	v_pk_add_f16 v18, v11, v125
	v_pk_max_f16 v83, v83, v83
	v_pk_min_f16 v115, v45, v18
	v_pk_add_f16 v18, v5, v125
	v_pk_min_f16 v83, v83, v90
	v_pk_min_f16 v114, v112, v18
	v_pk_add_f16 v18, v7, v125
	;; [unrolled: 6-line block ×5, first 2 shown]
	v_pk_max_f16 v53, v53, v53
	v_pk_min_f16 v106, v104, v18
	v_pk_add_f16 v18, v5, v127
	v_pk_max_f16 v54, v54, v54
	v_pk_min_f16 v105, v103, v18
	v_pk_add_f16 v18, v7, v127
	v_pk_min_f16 v0, v53, v0
	v_pk_min_f16 v104, v102, v18
	v_pk_add_f16 v18, v1, v127
	v_pk_max_f16 v31, v31, v31
	v_pk_min_f16 v103, v101, v18
	v_pk_add_f16 v18, v3, v127
	v_pk_max_f16 v57, v57, v57
	v_pk_min_f16 v102, v100, v18
	v_pk_add_f16 v18, v13, v127
	v_pk_max_f16 v55, v55, v55
	v_pk_min_f16 v101, v99, v18
	v_pk_add_f16 v18, v15, v127
	v_pk_min_f16 v6, v54, v6
	v_pk_min_f16 v100, v98, v18
	v_pk_add_f16 v18, v9, v25
	v_pk_min_f16 v2, v31, v2
	v_pk_min_f16 v99, v97, v18
	v_pk_add_f16 v18, v11, v25
	v_pk_max_f16 v30, v30, v30
	v_pk_min_f16 v98, v96, v18
	v_pk_add_f16 v18, v5, v25
	v_pk_max_f16 v58, v58, v58
	v_pk_min_f16 v97, v95, v18
	v_pk_add_f16 v18, v7, v25
	v_pk_min_f16 v8, v57, v8
	v_pk_min_f16 v96, v94, v18
	v_pk_add_f16 v18, v1, v25
	v_pk_max_f16 v56, v56, v56
	v_pk_min_f16 v95, v93, v18
	v_pk_add_f16 v18, v3, v25
	v_pk_min_f16 v4, v55, v4
	v_pk_min_f16 v94, v92, v18
	v_pk_add_f16 v18, v13, v25
	v_pk_min_f16 v12, v30, v12
	v_pk_min_f16 v93, v91, v18
	v_pk_add_f16 v18, v15, v25
	v_pk_min_f16 v16, v58, v16
	v_pk_min_f16 v92, v24, v18
	v_pk_add_f16 v18, v9, v27
	v_pk_min_f16 v10, v56, v10
	v_pk_min_f16 v91, v89, v18
	v_pk_add_f16 v18, v11, v27
	s_add_i32 s18, s18, 8
	v_pk_min_f16 v90, v88, v18
	v_pk_add_f16 v18, v5, v27
	v_lshl_add_u64 v[34:35], v[34:35], 0, s[2:3]
	v_pk_min_f16 v89, v87, v18
	v_pk_add_f16 v18, v7, v27
	s_cmp_ge_i32 s18, s16
	v_pk_min_f16 v88, v86, v18
	v_pk_add_f16 v18, v1, v27
	v_lshl_add_u64 v[38:39], v[38:39], 0, s[14:15]
	v_pk_min_f16 v87, v85, v18
	v_pk_add_f16 v18, v3, v27
	ds_write_b16 v117, v121
	ds_write_b16 v118, v122
	ds_write_b16 v118, v123 offset:512
	ds_write_b16 v118, v28 offset:1024
	;; [unrolled: 1-line block ×3, first 2 shown]
	v_pk_min_f16 v86, v84, v18
	v_pk_add_f16 v18, v13, v27
	s_waitcnt lgkmcnt(0)
	v_pk_min_f16 v85, v83, v18
	v_pk_add_f16 v18, v15, v27
	s_barrier
	v_pk_min_f16 v84, v26, v18
	v_pk_add_f16 v18, v9, v21
	s_nop 0
	v_pk_min_f16 v83, v81, v18
	v_pk_add_f16 v18, v11, v21
	s_nop 0
	;; [unrolled: 3-line block ×16, first 2 shown]
	v_pk_min_f16 v68, v22, v18
	v_pk_add_f16 v18, v9, v17
	v_pk_add_f16 v9, v9, v19
	v_pk_min_f16 v67, v65, v18
	v_pk_add_f16 v18, v11, v17
	s_nop 0
	v_pk_min_f16 v66, v64, v18
	v_pk_add_f16 v18, v5, v17
	v_pk_add_f16 v5, v5, v19
	v_pk_min_f16 v65, v63, v18
	v_pk_add_f16 v18, v7, v17
	v_pk_min_f16 v56, v4, v5
	v_pk_min_f16 v64, v62, v18
	v_pk_add_f16 v18, v1, v17
	v_pk_add_f16 v1, v1, v19
	v_pk_min_f16 v63, v61, v18
	v_pk_add_f16 v18, v3, v17
	v_pk_min_f16 v54, v0, v1
	;; [unrolled: 2-line block ×6, first 2 shown]
	v_pk_add_f16 v8, v11, v19
	v_pk_add_f16 v4, v7, v19
	v_pk_min_f16 v53, v12, v0
	v_pk_add_f16 v0, v15, v19
	v_pk_min_f16 v60, v16, v17
	v_pk_min_f16 v57, v10, v8
	;; [unrolled: 1-line block ×4, first 2 shown]
	s_cbranch_scc1 .LBB221_47
.LBB221_33:                             ; =>This Inner Loop Header: Depth=1
	s_and_b64 vcc, exec, s[4:5]
	s_cbranch_vccnz .LBB221_37
; %bb.34:                               ;   in Loop: Header=BB221_33 Depth=1
	v_lshl_add_u64 v[0:1], v[34:35], 0, v[42:43]
	flat_load_ushort v0, v[0:1]
	s_waitcnt vmcnt(0) lgkmcnt(0)
	v_mul_f16_e32 v44, s17, v0
	s_and_b64 vcc, exec, s[4:5]
	v_lshl_add_u64 v[0:1], v[38:39], 0, v[40:41]
	s_cbranch_vccnz .LBB221_38
.LBB221_35:                             ;   in Loop: Header=BB221_33 Depth=1
	flat_load_ushort v2, v[0:1]
	flat_load_ushort v3, v[0:1] offset:128
	s_waitcnt vmcnt(0) lgkmcnt(0)
	v_mul_f16_e32 v45, s17, v2
	v_mul_f16_e32 v121, s17, v3
	s_and_b64 vcc, exec, s[4:5]
	s_cbranch_vccnz .LBB221_39
.LBB221_36:                             ;   in Loop: Header=BB221_33 Depth=1
	flat_load_ushort v2, v[0:1] offset:256
	flat_load_ushort v3, v[0:1] offset:384
	s_waitcnt vmcnt(0) lgkmcnt(0)
	v_mul_f16_e32 v122, s17, v2
	v_mul_f16_e32 v123, s17, v3
	s_branch .LBB221_40
.LBB221_37:                             ;   in Loop: Header=BB221_33 Depth=1
	v_mov_b32_e32 v44, 0
	s_and_b64 vcc, exec, s[4:5]
	v_lshl_add_u64 v[0:1], v[38:39], 0, v[40:41]
	s_cbranch_vccz .LBB221_35
.LBB221_38:                             ;   in Loop: Header=BB221_33 Depth=1
	v_mov_b32_e32 v45, 0
	v_mov_b32_e32 v121, 0
	s_and_b64 vcc, exec, s[4:5]
	s_cbranch_vccz .LBB221_36
.LBB221_39:                             ;   in Loop: Header=BB221_33 Depth=1
	v_mov_b32_e32 v122, 0
	v_mov_b32_e32 v123, 0
.LBB221_40:                             ;   in Loop: Header=BB221_33 Depth=1
	ds_read2_b64 v[12:15], v119 offset1:8
	ds_read2_b64 v[8:11], v119 offset0:16 offset1:24
	ds_read2_b64 v[4:7], v119 offset0:32 offset1:40
	;; [unrolled: 1-line block ×3, first 2 shown]
	ds_read2_b64 v[28:31], v120 offset1:32
	ds_read2_b64 v[24:27], v120 offset0:64 offset1:96
	ds_read2_b64 v[20:23], v120 offset0:128 offset1:160
	;; [unrolled: 1-line block ×3, first 2 shown]
	s_mov_b64 vcc, s[6:7]
	ds_write_b16 v109, v44
	ds_write_b16 v46, v45
	ds_write_b16 v46, v121 offset:512
	ds_write_b16 v46, v122 offset:1024
	;; [unrolled: 1-line block ×3, first 2 shown]
	s_waitcnt lgkmcnt(0)
	s_barrier
	s_cbranch_vccz .LBB221_43
; %bb.41:                               ;   in Loop: Header=BB221_33 Depth=1
	v_lshl_add_u64 v[44:45], v[34:35], 0, v[32:33]
	flat_load_ushort v44, v[44:45]
	s_waitcnt vmcnt(0) lgkmcnt(0)
	v_mul_f16_e32 v121, s17, v44
	s_and_b64 vcc, exec, s[4:5]
	v_lshl_add_u64 v[44:45], v[38:39], 0, v[36:37]
	s_cbranch_vccnz .LBB221_44
.LBB221_42:                             ;   in Loop: Header=BB221_33 Depth=1
	flat_load_ushort v122, v[44:45]
	flat_load_ushort v123, v[44:45] offset:128
	s_waitcnt vmcnt(0) lgkmcnt(0)
	v_mul_f16_e32 v122, s17, v122
	v_mul_f16_e32 v123, s17, v123
	s_branch .LBB221_45
.LBB221_43:                             ;   in Loop: Header=BB221_33 Depth=1
	v_mov_b32_e32 v121, 0
	s_and_b64 vcc, exec, s[4:5]
	v_lshl_add_u64 v[44:45], v[38:39], 0, v[36:37]
	s_cbranch_vccz .LBB221_42
.LBB221_44:                             ;   in Loop: Header=BB221_33 Depth=1
	v_mov_b32_e32 v122, 0
	v_mov_b32_e32 v123, 0
.LBB221_45:                             ;   in Loop: Header=BB221_33 Depth=1
	v_pk_add_f16 v124, v12, v28
	v_pk_max_f16 v116, v116, v116
	v_pk_max_f16 v115, v115, v115
	v_pk_min_f16 v116, v116, v124
	v_pk_add_f16 v124, v14, v28
	v_pk_max_f16 v114, v114, v114
	v_pk_min_f16 v115, v115, v124
	v_pk_add_f16 v124, v8, v28
	v_pk_max_f16 v113, v113, v113
	v_pk_min_f16 v124, v114, v124
	v_pk_add_f16 v114, v10, v28
	v_pk_max_f16 v112, v112, v112
	v_pk_min_f16 v125, v113, v114
	v_pk_add_f16 v113, v4, v28
	v_pk_max_f16 v111, v111, v111
	v_pk_min_f16 v126, v112, v113
	v_pk_add_f16 v112, v6, v28
	v_pk_max_f16 v108, v108, v108
	v_pk_min_f16 v127, v111, v112
	v_pk_add_f16 v111, v0, v28
	v_pk_add_f16 v28, v2, v28
	v_pk_max_f16 v107, v107, v107
	v_pk_min_f16 v28, v108, v28
	v_pk_add_f16 v108, v12, v30
	v_pk_max_f16 v106, v106, v106
	v_pk_min_f16 v129, v107, v108
	v_pk_add_f16 v107, v14, v30
	v_pk_max_f16 v105, v105, v105
	v_pk_min_f16 v130, v106, v107
	v_pk_add_f16 v106, v8, v30
	v_pk_max_f16 v104, v104, v104
	v_pk_min_f16 v131, v105, v106
	v_pk_add_f16 v105, v10, v30
	v_pk_max_f16 v103, v103, v103
	v_pk_min_f16 v132, v104, v105
	v_pk_add_f16 v104, v4, v30
	v_pk_max_f16 v102, v102, v102
	v_pk_min_f16 v133, v103, v104
	v_pk_add_f16 v103, v6, v30
	v_pk_max_f16 v100, v100, v100
	v_pk_min_f16 v134, v102, v103
	v_pk_add_f16 v102, v0, v30
	v_pk_add_f16 v30, v2, v30
	v_pk_max_f16 v99, v99, v99
	v_pk_min_f16 v30, v100, v30
	v_pk_add_f16 v100, v12, v24
	;; [unrolled: 22-line block ×6, first 2 shown]
	v_pk_max_f16 v66, v66, v66
	v_pk_min_f16 v164, v67, v68
	v_pk_add_f16 v67, v14, v16
	v_pk_max_f16 v65, v65, v65
	v_pk_min_f16 v165, v66, v67
	v_pk_add_f16 v66, v8, v16
	;; [unrolled: 3-line block ×5, first 2 shown]
	v_pk_add_f16 v12, v12, v18
	v_pk_min_f16 v169, v62, v63
	v_pk_add_f16 v62, v0, v16
	v_pk_add_f16 v16, v2, v16
	;; [unrolled: 1-line block ×9, first 2 shown]
	v_pk_max_f16 v18, v58, v58
	v_pk_max_f16 v110, v110, v110
	v_pk_min_f16 v2, v18, v2
	v_pk_add_f16 v18, v13, v29
	v_pk_min_f16 v128, v110, v111
	v_pk_min_f16 v114, v116, v18
	v_pk_add_f16 v18, v15, v29
	v_pk_max_f16 v101, v101, v101
	v_pk_min_f16 v113, v115, v18
	v_pk_add_f16 v18, v9, v29
	v_pk_min_f16 v135, v101, v102
	v_pk_min_f16 v112, v124, v18
	v_pk_add_f16 v18, v11, v29
	;; [unrolled: 6-line block ×7, first 2 shown]
	v_pk_max_f16 v52, v52, v52
	v_pk_min_f16 v100, v134, v18
	v_pk_add_f16 v18, v1, v31
	v_pk_max_f16 v60, v60, v60
	v_pk_min_f16 v99, v135, v18
	v_pk_add_f16 v18, v3, v31
	;; [unrolled: 3-line block ×5, first 2 shown]
	v_pk_min_f16 v6, v52, v6
	v_pk_min_f16 v95, v138, v18
	v_pk_add_f16 v18, v11, v25
	v_pk_max_f16 v52, v53, v53
	v_pk_min_f16 v94, v139, v18
	v_pk_add_f16 v18, v5, v25
	v_pk_min_f16 v16, v60, v16
	v_pk_min_f16 v93, v140, v18
	v_pk_add_f16 v18, v7, v25
	v_pk_min_f16 v12, v59, v12
	v_pk_min_f16 v92, v141, v18
	v_pk_add_f16 v18, v1, v25
	v_pk_max_f16 v57, v57, v57
	v_pk_min_f16 v91, v142, v18
	v_pk_add_f16 v18, v3, v25
	v_pk_min_f16 v8, v56, v8
	v_pk_min_f16 v90, v24, v18
	v_pk_add_f16 v18, v13, v27
	v_pk_max_f16 v55, v55, v55
	v_pk_min_f16 v89, v143, v18
	v_pk_add_f16 v18, v15, v27
	v_pk_min_f16 v4, v54, v4
	v_pk_min_f16 v88, v144, v18
	v_pk_add_f16 v18, v9, v27
	v_pk_min_f16 v0, v52, v0
	;; [unrolled: 3-line block ×4, first 2 shown]
	v_pk_min_f16 v85, v147, v18
	v_pk_add_f16 v18, v7, v27
	s_and_b64 vcc, exec, s[4:5]
	v_pk_min_f16 v84, v148, v18
	v_pk_add_f16 v18, v1, v27
	s_nop 0
	v_pk_min_f16 v83, v149, v18
	v_pk_add_f16 v18, v3, v27
	s_nop 0
	;; [unrolled: 3-line block ×18, first 2 shown]
	v_pk_min_f16 v66, v22, v18
	v_pk_add_f16 v18, v13, v17
	v_pk_add_f16 v13, v13, v19
	v_pk_min_f16 v65, v164, v18
	v_pk_add_f16 v18, v15, v17
	v_pk_min_f16 v57, v12, v13
	v_pk_min_f16 v64, v165, v18
	v_pk_add_f16 v18, v9, v17
	v_pk_add_f16 v9, v9, v19
	v_pk_min_f16 v63, v166, v18
	v_pk_add_f16 v18, v11, v17
	v_pk_add_f16 v12, v15, v19
	;; [unrolled: 3-line block ×3, first 2 shown]
	v_pk_min_f16 v61, v168, v18
	v_pk_add_f16 v18, v7, v17
	v_pk_min_f16 v55, v8, v9
	v_pk_min_f16 v60, v169, v18
	v_pk_add_f16 v18, v1, v17
	v_pk_add_f16 v1, v1, v19
	;; [unrolled: 1-line block ×4, first 2 shown]
	v_pk_min_f16 v53, v4, v5
	v_pk_add_f16 v4, v7, v19
	v_pk_min_f16 v30, v0, v1
	v_pk_add_f16 v0, v3, v19
	v_pk_min_f16 v59, v170, v18
	v_pk_min_f16 v58, v16, v17
	;; [unrolled: 1-line block ×6, first 2 shown]
	s_cbranch_vccz .LBB221_31
; %bb.46:                               ;   in Loop: Header=BB221_33 Depth=1
	v_mov_b32_e32 v28, 0
	v_mov_b32_e32 v29, 0
	s_branch .LBB221_32
.LBB221_47:
	s_load_dword s6, s[0:1], 0x50
	ds_read_b64 v[30:31], v51 offset:4608
	ds_read_b64 v[46:47], v50 offset:2048
	v_add_u32_e32 v109, s30, v49
	v_cmp_neq_f16_e64 s[4:5], s28, 0
	v_add_u32_e32 v28, s29, v48
	s_waitcnt lgkmcnt(0)
	v_mad_i64_i32 v[0:1], s[2:3], v109, s6, 0
	v_ashrrev_i32_e32 v29, 31, v28
	v_lshl_add_u64 v[48:49], v[0:1], 1, s[10:11]
	s_and_b64 vcc, exec, s[4:5]
	v_mov_b32_e32 v36, 0
	v_mov_b32_e32 v34, 0
	s_cbranch_vccz .LBB221_49
; %bb.48:
	v_lshl_add_u64 v[0:1], v[28:29], 1, v[48:49]
	flat_load_ushort v0, v[0:1]
	s_waitcnt vmcnt(0) lgkmcnt(0)
	v_mul_f16_e32 v34, s28, v0
.LBB221_49:
	v_add_u32_e32 v0, 0x1000, v51
	ds_read2_b64 v[8:11], v0 offset0:72 offset1:80
	ds_read2_b64 v[4:7], v0 offset0:88 offset1:96
	;; [unrolled: 1-line block ×3, first 2 shown]
	ds_read_b64 v[24:25], v51 offset:5056
	s_load_dword s7, s[0:1], 0x68
	s_load_dwordx2 s[2:3], s[0:1], 0x70
	v_add_u32_e32 v12, 0x800, v50
	ds_read2_b64 v[20:23], v12 offset0:32 offset1:64
	ds_read2_b64 v[16:19], v12 offset0:96 offset1:128
	;; [unrolled: 1-line block ×3, first 2 shown]
	ds_read_b64 v[26:27], v50 offset:3840
	v_pk_add_f16 v32, v30, v46
	v_pk_max_f16 v33, v116, v116
	s_waitcnt lgkmcnt(0)
	s_lshl_b64 s[0:1], s[2:3], 1
	s_add_u32 s2, s12, s0
	v_pk_min_f16 v32, v33, v32
	v_pk_add_f16 v33, v31, v47
	s_addc_u32 s3, s13, s1
	v_pk_min_f16 v35, v32, v33
	v_mad_i64_i32 v[38:39], s[0:1], v109, s7, 0
	v_add_u32_e32 v32, 8, v28
	v_lshl_add_u64 v[50:51], v[38:39], 1, s[2:3]
	v_lshrrev_b32_e32 v37, 16, v35
	v_cndmask_b32_e64 v38, 0, 1, s[4:5]
	v_ashrrev_i32_e32 v33, 31, v32
	v_min3_f16 v37, v34, v35, v37
	v_lshl_add_u64 v[34:35], v[28:29], 1, v[50:51]
	v_cmp_ne_u32_e64 s[0:1], 1, v38
	s_andn2_b64 vcc, exec, s[4:5]
	global_store_short v[34:35], v37, off
	s_cbranch_vccnz .LBB221_51
; %bb.50:
	v_lshl_add_u64 v[34:35], v[32:33], 1, v[48:49]
	flat_load_ushort v34, v[34:35]
	s_waitcnt vmcnt(0) lgkmcnt(0)
	v_mul_f16_e32 v36, s28, v34
.LBB221_51:
	v_pk_add_f16 v34, v8, v46
	v_pk_max_f16 v35, v115, v115
	s_and_b64 vcc, exec, s[0:1]
	v_pk_min_f16 v34, v35, v34
	v_pk_add_f16 v35, v9, v47
	v_mov_b32_e32 v39, 0
	v_pk_min_f16 v37, v34, v35
	v_add_u32_e32 v34, 16, v28
	v_lshrrev_b32_e32 v38, 16, v37
	v_min3_f16 v38, v36, v37, v38
	v_lshl_add_u64 v[36:37], v[32:33], 1, v[50:51]
	v_ashrrev_i32_e32 v35, 31, v34
	global_store_short v[36:37], v38, off
	v_mov_b32_e32 v38, 0
	s_cbranch_vccnz .LBB221_53
; %bb.52:
	v_lshl_add_u64 v[36:37], v[34:35], 1, v[48:49]
	flat_load_ushort v36, v[36:37]
	s_waitcnt vmcnt(0) lgkmcnt(0)
	v_mul_f16_e32 v39, s28, v36
.LBB221_53:
	v_pk_add_f16 v36, v10, v46
	v_pk_max_f16 v37, v114, v114
	s_and_b64 vcc, exec, s[0:1]
	v_pk_min_f16 v36, v37, v36
	v_pk_add_f16 v37, v11, v47
	s_nop 0
	v_pk_min_f16 v40, v36, v37
	v_add_u32_e32 v36, 24, v28
	v_lshrrev_b32_e32 v41, 16, v40
	v_ashrrev_i32_e32 v37, 31, v36
	v_min3_f16 v39, v39, v40, v41
	v_lshl_add_u64 v[40:41], v[34:35], 1, v[50:51]
	global_store_short v[40:41], v39, off
	s_cbranch_vccnz .LBB221_55
; %bb.54:
	v_lshl_add_u64 v[38:39], v[36:37], 1, v[48:49]
	flat_load_ushort v38, v[38:39]
	s_waitcnt vmcnt(0) lgkmcnt(0)
	v_mul_f16_e32 v38, s28, v38
.LBB221_55:
	v_pk_add_f16 v39, v4, v46
	v_pk_max_f16 v40, v113, v113
	v_add_u32_e32 v44, 32, v28
	v_pk_min_f16 v39, v40, v39
	v_pk_add_f16 v40, v5, v47
	v_ashrrev_i32_e32 v45, 31, v44
	v_pk_min_f16 v39, v39, v40
	s_and_b64 vcc, exec, s[0:1]
	v_lshrrev_b32_e32 v40, 16, v39
	v_min3_f16 v40, v38, v39, v40
	v_lshl_add_u64 v[38:39], v[36:37], 1, v[50:51]
	global_store_short v[38:39], v40, off
	v_mov_b32_e32 v38, 0
	v_mov_b32_e32 v39, 0
	s_cbranch_vccnz .LBB221_57
; %bb.56:
	v_lshl_add_u64 v[40:41], v[44:45], 1, v[48:49]
	flat_load_ushort v39, v[40:41]
	s_waitcnt vmcnt(0) lgkmcnt(0)
	v_mul_f16_e32 v39, s28, v39
.LBB221_57:
	v_pk_add_f16 v40, v6, v46
	v_pk_max_f16 v41, v112, v112
	v_add_u32_e32 v42, 40, v28
	v_pk_min_f16 v40, v41, v40
	v_pk_add_f16 v41, v7, v47
	v_ashrrev_i32_e32 v43, 31, v42
	v_pk_min_f16 v40, v40, v41
	s_and_b64 vcc, exec, s[0:1]
	v_lshrrev_b32_e32 v41, 16, v40
	v_min3_f16 v39, v39, v40, v41
	v_lshl_add_u64 v[40:41], v[44:45], 1, v[50:51]
	global_store_short v[40:41], v39, off
	s_cbranch_vccnz .LBB221_59
; %bb.58:
	v_lshl_add_u64 v[38:39], v[42:43], 1, v[48:49]
	flat_load_ushort v38, v[38:39]
	s_waitcnt vmcnt(0) lgkmcnt(0)
	v_mul_f16_e32 v38, s28, v38
.LBB221_59:
	v_pk_add_f16 v39, v0, v46
	v_pk_max_f16 v40, v111, v111
	s_and_b64 vcc, exec, s[0:1]
	v_pk_min_f16 v39, v40, v39
	v_pk_add_f16 v40, v1, v47
	v_mov_b32_e32 v112, 0
	v_pk_min_f16 v39, v39, v40
	v_add_u32_e32 v40, 48, v28
	v_lshrrev_b32_e32 v111, 16, v39
	v_min3_f16 v111, v38, v39, v111
	v_lshl_add_u64 v[38:39], v[42:43], 1, v[50:51]
	v_ashrrev_i32_e32 v41, 31, v40
	global_store_short v[38:39], v111, off
	v_mov_b32_e32 v111, 0
	s_cbranch_vccnz .LBB221_61
; %bb.60:
	v_lshl_add_u64 v[38:39], v[40:41], 1, v[48:49]
	flat_load_ushort v38, v[38:39]
	s_waitcnt vmcnt(0) lgkmcnt(0)
	v_mul_f16_e32 v112, s28, v38
.LBB221_61:
	v_pk_add_f16 v38, v2, v46
	v_pk_max_f16 v39, v110, v110
	s_and_b64 vcc, exec, s[0:1]
	v_pk_min_f16 v38, v39, v38
	v_pk_add_f16 v39, v3, v47
	s_nop 0
	v_pk_min_f16 v110, v38, v39
	v_add_u32_e32 v38, 56, v28
	v_lshrrev_b32_e32 v113, 16, v110
	v_ashrrev_i32_e32 v39, 31, v38
	v_min3_f16 v110, v112, v110, v113
	v_lshl_add_u64 v[112:113], v[40:41], 1, v[50:51]
	global_store_short v[112:113], v110, off
	s_cbranch_vccnz .LBB221_63
; %bb.62:
	v_lshl_add_u64 v[48:49], v[38:39], 1, v[48:49]
	flat_load_ushort v48, v[48:49]
	s_waitcnt vmcnt(0) lgkmcnt(0)
	v_mul_f16_e32 v111, s28, v48
.LBB221_63:
	v_pk_add_f16 v46, v24, v46
	v_pk_max_f16 v48, v108, v108
	v_pk_add_f16 v47, v25, v47
	v_pk_min_f16 v46, v48, v46
	s_and_b64 vcc, exec, s[0:1]
	v_pk_min_f16 v46, v46, v47
	s_nop 0
	v_lshrrev_b32_e32 v47, 16, v46
	v_min3_f16 v48, v111, v46, v47
	v_lshl_add_u64 v[46:47], v[38:39], 1, v[50:51]
	global_store_short v[46:47], v48, off
	v_add_u32_e32 v48, 32, v109
	v_mad_i64_i32 v[46:47], s[4:5], v48, s6, 0
	v_lshl_add_u64 v[46:47], v[46:47], 1, s[10:11]
	v_mov_b32_e32 v50, 0
	v_mov_b32_e32 v51, 0
	s_cbranch_vccnz .LBB221_65
; %bb.64:
	v_lshl_add_u64 v[110:111], v[28:29], 1, v[46:47]
	flat_load_ushort v49, v[110:111]
	s_waitcnt vmcnt(0) lgkmcnt(0)
	v_mul_f16_e32 v51, s28, v49
.LBB221_65:
	v_pk_add_f16 v49, v30, v20
	v_pk_max_f16 v107, v107, v107
	s_and_b64 vcc, exec, s[0:1]
	v_pk_min_f16 v49, v107, v49
	v_pk_add_f16 v107, v31, v21
	s_nop 0
	v_pk_min_f16 v107, v49, v107
	v_mad_i64_i32 v[48:49], s[4:5], v48, s7, 0
	v_lshl_add_u64 v[48:49], v[48:49], 1, s[2:3]
	v_lshrrev_b32_e32 v108, 16, v107
	v_min3_f16 v51, v51, v107, v108
	v_lshl_add_u64 v[110:111], v[28:29], 1, v[48:49]
	global_store_short v[110:111], v51, off
	s_cbranch_vccnz .LBB221_67
; %bb.66:
	v_lshl_add_u64 v[50:51], v[32:33], 1, v[46:47]
	flat_load_ushort v50, v[50:51]
	s_waitcnt vmcnt(0) lgkmcnt(0)
	v_mul_f16_e32 v50, s28, v50
.LBB221_67:
	v_pk_add_f16 v51, v8, v20
	v_pk_max_f16 v106, v106, v106
	s_and_b64 vcc, exec, s[0:1]
	v_pk_min_f16 v51, v106, v51
	v_pk_add_f16 v106, v9, v21
	s_nop 0
	v_pk_min_f16 v51, v51, v106
	s_nop 0
	v_lshrrev_b32_e32 v106, 16, v51
	v_min3_f16 v106, v50, v51, v106
	v_lshl_add_u64 v[50:51], v[32:33], 1, v[48:49]
	global_store_short v[50:51], v106, off
	v_mov_b32_e32 v50, 0
	v_mov_b32_e32 v51, 0
	s_cbranch_vccnz .LBB221_69
; %bb.68:
	v_lshl_add_u64 v[106:107], v[34:35], 1, v[46:47]
	flat_load_ushort v51, v[106:107]
	s_waitcnt vmcnt(0) lgkmcnt(0)
	v_mul_f16_e32 v51, s28, v51
.LBB221_69:
	v_pk_add_f16 v106, v10, v20
	v_pk_max_f16 v105, v105, v105
	s_and_b64 vcc, exec, s[0:1]
	v_pk_min_f16 v105, v105, v106
	v_pk_add_f16 v106, v11, v21
	s_nop 0
	v_pk_min_f16 v105, v105, v106
	s_nop 0
	v_lshrrev_b32_e32 v106, 16, v105
	v_min3_f16 v51, v51, v105, v106
	v_lshl_add_u64 v[106:107], v[34:35], 1, v[48:49]
	global_store_short v[106:107], v51, off
	s_cbranch_vccnz .LBB221_71
; %bb.70:
	v_lshl_add_u64 v[50:51], v[36:37], 1, v[46:47]
	flat_load_ushort v50, v[50:51]
	s_waitcnt vmcnt(0) lgkmcnt(0)
	v_mul_f16_e32 v50, s28, v50
.LBB221_71:
	v_pk_add_f16 v51, v4, v20
	v_pk_max_f16 v104, v104, v104
	s_and_b64 vcc, exec, s[0:1]
	v_pk_min_f16 v51, v104, v51
	v_pk_add_f16 v104, v5, v21
	s_nop 0
	v_pk_min_f16 v51, v51, v104
	s_nop 0
	v_lshrrev_b32_e32 v104, 16, v51
	v_min3_f16 v104, v50, v51, v104
	v_lshl_add_u64 v[50:51], v[36:37], 1, v[48:49]
	global_store_short v[50:51], v104, off
	v_mov_b32_e32 v50, 0
	v_mov_b32_e32 v51, 0
	s_cbranch_vccnz .LBB221_73
; %bb.72:
	v_lshl_add_u64 v[104:105], v[44:45], 1, v[46:47]
	flat_load_ushort v51, v[104:105]
	s_waitcnt vmcnt(0) lgkmcnt(0)
	v_mul_f16_e32 v51, s28, v51
.LBB221_73:
	v_pk_add_f16 v104, v6, v20
	v_pk_max_f16 v103, v103, v103
	s_and_b64 vcc, exec, s[0:1]
	v_pk_min_f16 v103, v103, v104
	v_pk_add_f16 v104, v7, v21
	s_nop 0
	v_pk_min_f16 v103, v103, v104
	s_nop 0
	;; [unrolled: 40-line block ×3, first 2 shown]
	v_lshrrev_b32_e32 v102, 16, v101
	v_min3_f16 v51, v51, v101, v102
	v_lshl_add_u64 v[102:103], v[40:41], 1, v[48:49]
	global_store_short v[102:103], v51, off
	s_cbranch_vccnz .LBB221_79
; %bb.78:
	v_lshl_add_u64 v[46:47], v[38:39], 1, v[46:47]
	flat_load_ushort v46, v[46:47]
	s_waitcnt vmcnt(0) lgkmcnt(0)
	v_mul_f16_e32 v50, s28, v46
.LBB221_79:
	v_pk_add_f16 v20, v24, v20
	v_pk_max_f16 v46, v100, v100
	v_pk_add_f16 v21, v25, v21
	v_pk_min_f16 v20, v46, v20
	s_and_b64 vcc, exec, s[0:1]
	v_pk_min_f16 v20, v20, v21
	s_nop 0
	v_lshrrev_b32_e32 v21, 16, v20
	v_min3_f16 v46, v50, v20, v21
	v_lshl_add_u64 v[20:21], v[38:39], 1, v[48:49]
	global_store_short v[20:21], v46, off
	v_add_u32_e32 v46, 64, v109
	v_mad_i64_i32 v[20:21], s[4:5], v46, s6, 0
	v_lshl_add_u64 v[20:21], v[20:21], 1, s[10:11]
	v_mov_b32_e32 v48, 0
	v_mov_b32_e32 v49, 0
	s_cbranch_vccnz .LBB221_81
; %bb.80:
	v_lshl_add_u64 v[50:51], v[28:29], 1, v[20:21]
	flat_load_ushort v47, v[50:51]
	s_waitcnt vmcnt(0) lgkmcnt(0)
	v_mul_f16_e32 v49, s28, v47
.LBB221_81:
	v_pk_add_f16 v47, v30, v22
	v_pk_max_f16 v50, v99, v99
	s_and_b64 vcc, exec, s[0:1]
	v_pk_min_f16 v47, v50, v47
	v_pk_add_f16 v50, v31, v23
	s_nop 0
	v_pk_min_f16 v50, v47, v50
	v_mad_i64_i32 v[46:47], s[4:5], v46, s7, 0
	v_lshl_add_u64 v[46:47], v[46:47], 1, s[2:3]
	v_lshrrev_b32_e32 v51, 16, v50
	v_min3_f16 v49, v49, v50, v51
	v_lshl_add_u64 v[50:51], v[28:29], 1, v[46:47]
	global_store_short v[50:51], v49, off
	s_cbranch_vccnz .LBB221_83
; %bb.82:
	v_lshl_add_u64 v[48:49], v[32:33], 1, v[20:21]
	flat_load_ushort v48, v[48:49]
	s_waitcnt vmcnt(0) lgkmcnt(0)
	v_mul_f16_e32 v48, s28, v48
.LBB221_83:
	v_pk_add_f16 v49, v8, v22
	v_pk_max_f16 v50, v98, v98
	s_and_b64 vcc, exec, s[0:1]
	v_pk_min_f16 v49, v50, v49
	v_pk_add_f16 v50, v9, v23
	s_nop 0
	v_pk_min_f16 v49, v49, v50
	s_nop 0
	v_lshrrev_b32_e32 v50, 16, v49
	v_min3_f16 v50, v48, v49, v50
	v_lshl_add_u64 v[48:49], v[32:33], 1, v[46:47]
	global_store_short v[48:49], v50, off
	v_mov_b32_e32 v48, 0
	v_mov_b32_e32 v49, 0
	s_cbranch_vccnz .LBB221_85
; %bb.84:
	v_lshl_add_u64 v[50:51], v[34:35], 1, v[20:21]
	flat_load_ushort v49, v[50:51]
	s_waitcnt vmcnt(0) lgkmcnt(0)
	v_mul_f16_e32 v49, s28, v49
.LBB221_85:
	v_pk_add_f16 v50, v10, v22
	v_pk_max_f16 v51, v97, v97
	s_and_b64 vcc, exec, s[0:1]
	v_pk_min_f16 v50, v51, v50
	v_pk_add_f16 v51, v11, v23
	s_nop 0
	v_pk_min_f16 v50, v50, v51
	s_nop 0
	v_lshrrev_b32_e32 v51, 16, v50
	v_min3_f16 v49, v49, v50, v51
	v_lshl_add_u64 v[50:51], v[34:35], 1, v[46:47]
	global_store_short v[50:51], v49, off
	s_cbranch_vccnz .LBB221_87
; %bb.86:
	v_lshl_add_u64 v[48:49], v[36:37], 1, v[20:21]
	flat_load_ushort v48, v[48:49]
	s_waitcnt vmcnt(0) lgkmcnt(0)
	v_mul_f16_e32 v48, s28, v48
.LBB221_87:
	v_pk_add_f16 v49, v4, v22
	v_pk_max_f16 v50, v96, v96
	s_and_b64 vcc, exec, s[0:1]
	v_pk_min_f16 v49, v50, v49
	v_pk_add_f16 v50, v5, v23
	s_nop 0
	v_pk_min_f16 v49, v49, v50
	s_nop 0
	v_lshrrev_b32_e32 v50, 16, v49
	v_min3_f16 v50, v48, v49, v50
	v_lshl_add_u64 v[48:49], v[36:37], 1, v[46:47]
	global_store_short v[48:49], v50, off
	v_mov_b32_e32 v48, 0
	v_mov_b32_e32 v49, 0
	s_cbranch_vccnz .LBB221_89
; %bb.88:
	v_lshl_add_u64 v[50:51], v[44:45], 1, v[20:21]
	flat_load_ushort v49, v[50:51]
	s_waitcnt vmcnt(0) lgkmcnt(0)
	v_mul_f16_e32 v49, s28, v49
.LBB221_89:
	v_pk_add_f16 v50, v6, v22
	v_pk_max_f16 v51, v95, v95
	s_and_b64 vcc, exec, s[0:1]
	v_pk_min_f16 v50, v51, v50
	v_pk_add_f16 v51, v7, v23
	s_nop 0
	v_pk_min_f16 v50, v50, v51
	s_nop 0
	;; [unrolled: 40-line block ×3, first 2 shown]
	v_lshrrev_b32_e32 v51, 16, v50
	v_min3_f16 v49, v49, v50, v51
	v_lshl_add_u64 v[50:51], v[40:41], 1, v[46:47]
	global_store_short v[50:51], v49, off
	s_cbranch_vccnz .LBB221_95
; %bb.94:
	v_lshl_add_u64 v[20:21], v[38:39], 1, v[20:21]
	flat_load_ushort v20, v[20:21]
	s_waitcnt vmcnt(0) lgkmcnt(0)
	v_mul_f16_e32 v48, s28, v20
.LBB221_95:
	v_pk_add_f16 v20, v24, v22
	v_pk_max_f16 v21, v92, v92
	s_and_b64 vcc, exec, s[0:1]
	v_pk_min_f16 v20, v21, v20
	v_pk_add_f16 v21, v25, v23
	s_nop 0
	v_pk_min_f16 v20, v20, v21
	s_nop 0
	v_lshrrev_b32_e32 v21, 16, v20
	v_min3_f16 v22, v48, v20, v21
	v_lshl_add_u64 v[20:21], v[38:39], 1, v[46:47]
	global_store_short v[20:21], v22, off
	v_add_u32_e32 v22, 0x60, v109
	v_mad_i64_i32 v[20:21], s[4:5], v22, s6, 0
	v_lshl_add_u64 v[20:21], v[20:21], 1, s[10:11]
	v_mov_b32_e32 v46, 0
	v_mov_b32_e32 v47, 0
	s_cbranch_vccnz .LBB221_97
; %bb.96:
	v_lshl_add_u64 v[48:49], v[28:29], 1, v[20:21]
	flat_load_ushort v23, v[48:49]
	s_waitcnt vmcnt(0) lgkmcnt(0)
	v_mul_f16_e32 v47, s28, v23
.LBB221_97:
	v_pk_add_f16 v23, v30, v16
	v_pk_max_f16 v48, v91, v91
	s_and_b64 vcc, exec, s[0:1]
	v_pk_min_f16 v23, v48, v23
	v_pk_add_f16 v48, v31, v17
	s_nop 0
	v_pk_min_f16 v48, v23, v48
	v_mad_i64_i32 v[22:23], s[4:5], v22, s7, 0
	v_lshl_add_u64 v[22:23], v[22:23], 1, s[2:3]
	v_lshrrev_b32_e32 v49, 16, v48
	v_min3_f16 v47, v47, v48, v49
	v_lshl_add_u64 v[48:49], v[28:29], 1, v[22:23]
	global_store_short v[48:49], v47, off
	s_cbranch_vccnz .LBB221_99
; %bb.98:
	v_lshl_add_u64 v[46:47], v[32:33], 1, v[20:21]
	flat_load_ushort v46, v[46:47]
	s_waitcnt vmcnt(0) lgkmcnt(0)
	v_mul_f16_e32 v46, s28, v46
.LBB221_99:
	v_pk_add_f16 v47, v8, v16
	v_pk_max_f16 v48, v90, v90
	s_and_b64 vcc, exec, s[0:1]
	v_pk_min_f16 v47, v48, v47
	v_pk_add_f16 v48, v9, v17
	s_nop 0
	v_pk_min_f16 v47, v47, v48
	s_nop 0
	v_lshrrev_b32_e32 v48, 16, v47
	v_min3_f16 v48, v46, v47, v48
	v_lshl_add_u64 v[46:47], v[32:33], 1, v[22:23]
	global_store_short v[46:47], v48, off
	v_mov_b32_e32 v46, 0
	v_mov_b32_e32 v47, 0
	s_cbranch_vccnz .LBB221_101
; %bb.100:
	v_lshl_add_u64 v[48:49], v[34:35], 1, v[20:21]
	flat_load_ushort v47, v[48:49]
	s_waitcnt vmcnt(0) lgkmcnt(0)
	v_mul_f16_e32 v47, s28, v47
.LBB221_101:
	v_pk_add_f16 v48, v10, v16
	v_pk_max_f16 v49, v89, v89
	s_and_b64 vcc, exec, s[0:1]
	v_pk_min_f16 v48, v49, v48
	v_pk_add_f16 v49, v11, v17
	s_nop 0
	v_pk_min_f16 v48, v48, v49
	s_nop 0
	v_lshrrev_b32_e32 v49, 16, v48
	v_min3_f16 v47, v47, v48, v49
	v_lshl_add_u64 v[48:49], v[34:35], 1, v[22:23]
	global_store_short v[48:49], v47, off
	s_cbranch_vccnz .LBB221_103
; %bb.102:
	v_lshl_add_u64 v[46:47], v[36:37], 1, v[20:21]
	flat_load_ushort v46, v[46:47]
	s_waitcnt vmcnt(0) lgkmcnt(0)
	v_mul_f16_e32 v46, s28, v46
.LBB221_103:
	v_pk_add_f16 v47, v4, v16
	v_pk_max_f16 v48, v88, v88
	s_and_b64 vcc, exec, s[0:1]
	v_pk_min_f16 v47, v48, v47
	v_pk_add_f16 v48, v5, v17
	s_nop 0
	v_pk_min_f16 v47, v47, v48
	s_nop 0
	v_lshrrev_b32_e32 v48, 16, v47
	v_min3_f16 v48, v46, v47, v48
	v_lshl_add_u64 v[46:47], v[36:37], 1, v[22:23]
	global_store_short v[46:47], v48, off
	v_mov_b32_e32 v46, 0
	v_mov_b32_e32 v47, 0
	s_cbranch_vccnz .LBB221_105
; %bb.104:
	v_lshl_add_u64 v[48:49], v[44:45], 1, v[20:21]
	flat_load_ushort v47, v[48:49]
	s_waitcnt vmcnt(0) lgkmcnt(0)
	v_mul_f16_e32 v47, s28, v47
.LBB221_105:
	v_pk_add_f16 v48, v6, v16
	v_pk_max_f16 v49, v87, v87
	s_and_b64 vcc, exec, s[0:1]
	v_pk_min_f16 v48, v49, v48
	v_pk_add_f16 v49, v7, v17
	s_nop 0
	v_pk_min_f16 v48, v48, v49
	s_nop 0
	;; [unrolled: 40-line block ×3, first 2 shown]
	v_lshrrev_b32_e32 v49, 16, v48
	v_min3_f16 v47, v47, v48, v49
	v_lshl_add_u64 v[48:49], v[40:41], 1, v[22:23]
	global_store_short v[48:49], v47, off
	s_cbranch_vccnz .LBB221_111
; %bb.110:
	v_lshl_add_u64 v[20:21], v[38:39], 1, v[20:21]
	flat_load_ushort v20, v[20:21]
	s_waitcnt vmcnt(0) lgkmcnt(0)
	v_mul_f16_e32 v46, s28, v20
.LBB221_111:
	v_pk_add_f16 v16, v24, v16
	v_pk_max_f16 v20, v84, v84
	v_pk_add_f16 v17, v25, v17
	v_pk_min_f16 v16, v20, v16
	s_and_b64 vcc, exec, s[0:1]
	v_pk_min_f16 v16, v16, v17
	s_nop 0
	v_lshrrev_b32_e32 v17, 16, v16
	v_min3_f16 v20, v46, v16, v17
	v_lshl_add_u64 v[16:17], v[38:39], 1, v[22:23]
	global_store_short v[16:17], v20, off
	v_add_u32_e32 v20, 0x80, v109
	v_mad_i64_i32 v[16:17], s[4:5], v20, s6, 0
	v_lshl_add_u64 v[16:17], v[16:17], 1, s[10:11]
	v_mov_b32_e32 v22, 0
	v_mov_b32_e32 v23, 0
	s_cbranch_vccnz .LBB221_113
; %bb.112:
	v_lshl_add_u64 v[46:47], v[28:29], 1, v[16:17]
	flat_load_ushort v21, v[46:47]
	s_waitcnt vmcnt(0) lgkmcnt(0)
	v_mul_f16_e32 v23, s28, v21
.LBB221_113:
	v_pk_add_f16 v21, v30, v18
	v_pk_max_f16 v46, v83, v83
	s_and_b64 vcc, exec, s[0:1]
	v_pk_min_f16 v21, v46, v21
	v_pk_add_f16 v46, v31, v19
	s_nop 0
	v_pk_min_f16 v46, v21, v46
	v_mad_i64_i32 v[20:21], s[4:5], v20, s7, 0
	v_lshl_add_u64 v[20:21], v[20:21], 1, s[2:3]
	v_lshrrev_b32_e32 v47, 16, v46
	v_min3_f16 v23, v23, v46, v47
	v_lshl_add_u64 v[46:47], v[28:29], 1, v[20:21]
	global_store_short v[46:47], v23, off
	s_cbranch_vccnz .LBB221_115
; %bb.114:
	v_lshl_add_u64 v[22:23], v[32:33], 1, v[16:17]
	flat_load_ushort v22, v[22:23]
	s_waitcnt vmcnt(0) lgkmcnt(0)
	v_mul_f16_e32 v22, s28, v22
.LBB221_115:
	v_pk_add_f16 v23, v8, v18
	v_pk_max_f16 v46, v82, v82
	s_and_b64 vcc, exec, s[0:1]
	v_pk_min_f16 v23, v46, v23
	v_pk_add_f16 v46, v9, v19
	s_nop 0
	v_pk_min_f16 v23, v23, v46
	s_nop 0
	v_lshrrev_b32_e32 v46, 16, v23
	v_min3_f16 v46, v22, v23, v46
	v_lshl_add_u64 v[22:23], v[32:33], 1, v[20:21]
	global_store_short v[22:23], v46, off
	v_mov_b32_e32 v22, 0
	v_mov_b32_e32 v23, 0
	s_cbranch_vccnz .LBB221_117
; %bb.116:
	v_lshl_add_u64 v[46:47], v[34:35], 1, v[16:17]
	flat_load_ushort v23, v[46:47]
	s_waitcnt vmcnt(0) lgkmcnt(0)
	v_mul_f16_e32 v23, s28, v23
.LBB221_117:
	v_pk_add_f16 v46, v10, v18
	v_pk_max_f16 v47, v81, v81
	s_and_b64 vcc, exec, s[0:1]
	v_pk_min_f16 v46, v47, v46
	v_pk_add_f16 v47, v11, v19
	s_nop 0
	v_pk_min_f16 v46, v46, v47
	s_nop 0
	v_lshrrev_b32_e32 v47, 16, v46
	v_min3_f16 v23, v23, v46, v47
	v_lshl_add_u64 v[46:47], v[34:35], 1, v[20:21]
	global_store_short v[46:47], v23, off
	s_cbranch_vccnz .LBB221_119
; %bb.118:
	v_lshl_add_u64 v[22:23], v[36:37], 1, v[16:17]
	flat_load_ushort v22, v[22:23]
	s_waitcnt vmcnt(0) lgkmcnt(0)
	v_mul_f16_e32 v22, s28, v22
.LBB221_119:
	v_pk_add_f16 v23, v4, v18
	v_pk_max_f16 v46, v80, v80
	s_and_b64 vcc, exec, s[0:1]
	v_pk_min_f16 v23, v46, v23
	v_pk_add_f16 v46, v5, v19
	s_nop 0
	v_pk_min_f16 v23, v23, v46
	s_nop 0
	v_lshrrev_b32_e32 v46, 16, v23
	v_min3_f16 v46, v22, v23, v46
	v_lshl_add_u64 v[22:23], v[36:37], 1, v[20:21]
	global_store_short v[22:23], v46, off
	v_mov_b32_e32 v22, 0
	v_mov_b32_e32 v23, 0
	s_cbranch_vccnz .LBB221_121
; %bb.120:
	v_lshl_add_u64 v[46:47], v[44:45], 1, v[16:17]
	flat_load_ushort v23, v[46:47]
	s_waitcnt vmcnt(0) lgkmcnt(0)
	v_mul_f16_e32 v23, s28, v23
.LBB221_121:
	v_pk_add_f16 v46, v6, v18
	v_pk_max_f16 v47, v79, v79
	s_and_b64 vcc, exec, s[0:1]
	v_pk_min_f16 v46, v47, v46
	v_pk_add_f16 v47, v7, v19
	s_nop 0
	v_pk_min_f16 v46, v46, v47
	s_nop 0
	;; [unrolled: 40-line block ×3, first 2 shown]
	v_lshrrev_b32_e32 v47, 16, v46
	v_min3_f16 v23, v23, v46, v47
	v_lshl_add_u64 v[46:47], v[40:41], 1, v[20:21]
	global_store_short v[46:47], v23, off
	s_cbranch_vccnz .LBB221_127
; %bb.126:
	v_lshl_add_u64 v[16:17], v[38:39], 1, v[16:17]
	flat_load_ushort v16, v[16:17]
	s_waitcnt vmcnt(0) lgkmcnt(0)
	v_mul_f16_e32 v22, s28, v16
.LBB221_127:
	v_pk_add_f16 v16, v24, v18
	v_pk_max_f16 v17, v76, v76
	s_and_b64 vcc, exec, s[0:1]
	v_pk_min_f16 v16, v17, v16
	v_pk_add_f16 v17, v25, v19
	s_nop 0
	v_pk_min_f16 v16, v16, v17
	s_nop 0
	v_lshrrev_b32_e32 v17, 16, v16
	v_min3_f16 v18, v22, v16, v17
	v_lshl_add_u64 v[16:17], v[38:39], 1, v[20:21]
	global_store_short v[16:17], v18, off
	v_add_u32_e32 v18, 0xa0, v109
	v_mad_i64_i32 v[16:17], s[4:5], v18, s6, 0
	v_lshl_add_u64 v[16:17], v[16:17], 1, s[10:11]
	v_mov_b32_e32 v20, 0
	v_mov_b32_e32 v21, 0
	s_cbranch_vccnz .LBB221_129
; %bb.128:
	v_lshl_add_u64 v[22:23], v[28:29], 1, v[16:17]
	flat_load_ushort v19, v[22:23]
	s_waitcnt vmcnt(0) lgkmcnt(0)
	v_mul_f16_e32 v21, s28, v19
.LBB221_129:
	v_pk_add_f16 v19, v30, v12
	v_pk_max_f16 v22, v75, v75
	s_and_b64 vcc, exec, s[0:1]
	v_pk_min_f16 v19, v22, v19
	v_pk_add_f16 v22, v31, v13
	s_nop 0
	v_pk_min_f16 v22, v19, v22
	v_mad_i64_i32 v[18:19], s[4:5], v18, s7, 0
	v_lshl_add_u64 v[18:19], v[18:19], 1, s[2:3]
	v_lshrrev_b32_e32 v23, 16, v22
	v_min3_f16 v21, v21, v22, v23
	v_lshl_add_u64 v[22:23], v[28:29], 1, v[18:19]
	global_store_short v[22:23], v21, off
	s_cbranch_vccnz .LBB221_131
; %bb.130:
	v_lshl_add_u64 v[20:21], v[32:33], 1, v[16:17]
	flat_load_ushort v20, v[20:21]
	s_waitcnt vmcnt(0) lgkmcnt(0)
	v_mul_f16_e32 v20, s28, v20
.LBB221_131:
	v_pk_add_f16 v21, v8, v12
	v_pk_max_f16 v22, v74, v74
	s_and_b64 vcc, exec, s[0:1]
	v_pk_min_f16 v21, v22, v21
	v_pk_add_f16 v22, v9, v13
	s_nop 0
	v_pk_min_f16 v21, v21, v22
	s_nop 0
	v_lshrrev_b32_e32 v22, 16, v21
	v_min3_f16 v22, v20, v21, v22
	v_lshl_add_u64 v[20:21], v[32:33], 1, v[18:19]
	global_store_short v[20:21], v22, off
	v_mov_b32_e32 v20, 0
	v_mov_b32_e32 v21, 0
	s_cbranch_vccnz .LBB221_133
; %bb.132:
	v_lshl_add_u64 v[22:23], v[34:35], 1, v[16:17]
	flat_load_ushort v21, v[22:23]
	s_waitcnt vmcnt(0) lgkmcnt(0)
	v_mul_f16_e32 v21, s28, v21
.LBB221_133:
	v_pk_add_f16 v22, v10, v12
	v_pk_max_f16 v23, v73, v73
	s_and_b64 vcc, exec, s[0:1]
	v_pk_min_f16 v22, v23, v22
	v_pk_add_f16 v23, v11, v13
	s_nop 0
	v_pk_min_f16 v22, v22, v23
	s_nop 0
	v_lshrrev_b32_e32 v23, 16, v22
	v_min3_f16 v21, v21, v22, v23
	v_lshl_add_u64 v[22:23], v[34:35], 1, v[18:19]
	global_store_short v[22:23], v21, off
	s_cbranch_vccnz .LBB221_135
; %bb.134:
	v_lshl_add_u64 v[20:21], v[36:37], 1, v[16:17]
	flat_load_ushort v20, v[20:21]
	s_waitcnt vmcnt(0) lgkmcnt(0)
	v_mul_f16_e32 v20, s28, v20
.LBB221_135:
	v_pk_add_f16 v21, v4, v12
	v_pk_max_f16 v22, v72, v72
	s_and_b64 vcc, exec, s[0:1]
	v_pk_min_f16 v21, v22, v21
	v_pk_add_f16 v22, v5, v13
	s_nop 0
	v_pk_min_f16 v21, v21, v22
	s_nop 0
	v_lshrrev_b32_e32 v22, 16, v21
	v_min3_f16 v22, v20, v21, v22
	v_lshl_add_u64 v[20:21], v[36:37], 1, v[18:19]
	global_store_short v[20:21], v22, off
	v_mov_b32_e32 v20, 0
	v_mov_b32_e32 v21, 0
	s_cbranch_vccnz .LBB221_137
; %bb.136:
	v_lshl_add_u64 v[22:23], v[44:45], 1, v[16:17]
	flat_load_ushort v21, v[22:23]
	s_waitcnt vmcnt(0) lgkmcnt(0)
	v_mul_f16_e32 v21, s28, v21
.LBB221_137:
	v_pk_add_f16 v22, v6, v12
	v_pk_max_f16 v23, v71, v71
	s_and_b64 vcc, exec, s[0:1]
	v_pk_min_f16 v22, v23, v22
	v_pk_add_f16 v23, v7, v13
	s_nop 0
	v_pk_min_f16 v22, v22, v23
	s_nop 0
	;; [unrolled: 40-line block ×3, first 2 shown]
	v_lshrrev_b32_e32 v23, 16, v22
	v_min3_f16 v21, v21, v22, v23
	v_lshl_add_u64 v[22:23], v[40:41], 1, v[18:19]
	global_store_short v[22:23], v21, off
	s_cbranch_vccnz .LBB221_143
; %bb.142:
	v_lshl_add_u64 v[16:17], v[38:39], 1, v[16:17]
	flat_load_ushort v16, v[16:17]
	s_waitcnt vmcnt(0) lgkmcnt(0)
	v_mul_f16_e32 v20, s28, v16
.LBB221_143:
	v_pk_add_f16 v12, v24, v12
	v_pk_max_f16 v16, v68, v68
	v_pk_add_f16 v13, v25, v13
	v_pk_min_f16 v12, v16, v12
	s_and_b64 vcc, exec, s[0:1]
	v_pk_min_f16 v12, v12, v13
	s_nop 0
	v_lshrrev_b32_e32 v13, 16, v12
	v_min3_f16 v16, v20, v12, v13
	v_lshl_add_u64 v[12:13], v[38:39], 1, v[18:19]
	global_store_short v[12:13], v16, off
	v_add_u32_e32 v16, 0xc0, v109
	v_mad_i64_i32 v[12:13], s[4:5], v16, s6, 0
	v_lshl_add_u64 v[12:13], v[12:13], 1, s[10:11]
	v_mov_b32_e32 v18, 0
	v_mov_b32_e32 v19, 0
	s_cbranch_vccnz .LBB221_145
; %bb.144:
	v_lshl_add_u64 v[20:21], v[28:29], 1, v[12:13]
	flat_load_ushort v17, v[20:21]
	s_waitcnt vmcnt(0) lgkmcnt(0)
	v_mul_f16_e32 v19, s28, v17
.LBB221_145:
	v_pk_add_f16 v17, v30, v14
	v_pk_max_f16 v20, v67, v67
	s_and_b64 vcc, exec, s[0:1]
	v_pk_min_f16 v17, v20, v17
	v_pk_add_f16 v20, v31, v15
	s_nop 0
	v_pk_min_f16 v20, v17, v20
	v_mad_i64_i32 v[16:17], s[4:5], v16, s7, 0
	v_lshl_add_u64 v[16:17], v[16:17], 1, s[2:3]
	v_lshrrev_b32_e32 v21, 16, v20
	v_min3_f16 v19, v19, v20, v21
	v_lshl_add_u64 v[20:21], v[28:29], 1, v[16:17]
	global_store_short v[20:21], v19, off
	s_cbranch_vccnz .LBB221_147
; %bb.146:
	v_lshl_add_u64 v[18:19], v[32:33], 1, v[12:13]
	flat_load_ushort v18, v[18:19]
	s_waitcnt vmcnt(0) lgkmcnt(0)
	v_mul_f16_e32 v18, s28, v18
.LBB221_147:
	v_pk_add_f16 v19, v8, v14
	v_pk_max_f16 v20, v66, v66
	s_and_b64 vcc, exec, s[0:1]
	v_pk_min_f16 v19, v20, v19
	v_pk_add_f16 v20, v9, v15
	s_nop 0
	v_pk_min_f16 v19, v19, v20
	s_nop 0
	v_lshrrev_b32_e32 v20, 16, v19
	v_min3_f16 v20, v18, v19, v20
	v_lshl_add_u64 v[18:19], v[32:33], 1, v[16:17]
	global_store_short v[18:19], v20, off
	v_mov_b32_e32 v18, 0
	v_mov_b32_e32 v19, 0
	s_cbranch_vccnz .LBB221_149
; %bb.148:
	v_lshl_add_u64 v[20:21], v[34:35], 1, v[12:13]
	flat_load_ushort v19, v[20:21]
	s_waitcnt vmcnt(0) lgkmcnt(0)
	v_mul_f16_e32 v19, s28, v19
.LBB221_149:
	v_pk_add_f16 v20, v10, v14
	v_pk_max_f16 v21, v65, v65
	s_and_b64 vcc, exec, s[0:1]
	v_pk_min_f16 v20, v21, v20
	v_pk_add_f16 v21, v11, v15
	s_nop 0
	v_pk_min_f16 v20, v20, v21
	s_nop 0
	v_lshrrev_b32_e32 v21, 16, v20
	v_min3_f16 v19, v19, v20, v21
	v_lshl_add_u64 v[20:21], v[34:35], 1, v[16:17]
	global_store_short v[20:21], v19, off
	s_cbranch_vccnz .LBB221_151
; %bb.150:
	v_lshl_add_u64 v[18:19], v[36:37], 1, v[12:13]
	flat_load_ushort v18, v[18:19]
	s_waitcnt vmcnt(0) lgkmcnt(0)
	v_mul_f16_e32 v18, s28, v18
.LBB221_151:
	v_pk_add_f16 v19, v4, v14
	v_pk_max_f16 v20, v64, v64
	s_and_b64 vcc, exec, s[0:1]
	v_pk_min_f16 v19, v20, v19
	v_pk_add_f16 v20, v5, v15
	s_nop 0
	v_pk_min_f16 v19, v19, v20
	s_nop 0
	v_lshrrev_b32_e32 v20, 16, v19
	v_min3_f16 v20, v18, v19, v20
	v_lshl_add_u64 v[18:19], v[36:37], 1, v[16:17]
	global_store_short v[18:19], v20, off
	v_mov_b32_e32 v18, 0
	v_mov_b32_e32 v19, 0
	s_cbranch_vccnz .LBB221_153
; %bb.152:
	v_lshl_add_u64 v[20:21], v[44:45], 1, v[12:13]
	flat_load_ushort v19, v[20:21]
	s_waitcnt vmcnt(0) lgkmcnt(0)
	v_mul_f16_e32 v19, s28, v19
.LBB221_153:
	v_pk_add_f16 v20, v6, v14
	v_pk_max_f16 v21, v63, v63
	s_and_b64 vcc, exec, s[0:1]
	v_pk_min_f16 v20, v21, v20
	v_pk_add_f16 v21, v7, v15
	s_nop 0
	v_pk_min_f16 v20, v20, v21
	s_nop 0
	;; [unrolled: 40-line block ×3, first 2 shown]
	v_lshrrev_b32_e32 v21, 16, v20
	v_min3_f16 v19, v19, v20, v21
	v_lshl_add_u64 v[20:21], v[40:41], 1, v[16:17]
	global_store_short v[20:21], v19, off
	s_cbranch_vccnz .LBB221_159
; %bb.158:
	v_lshl_add_u64 v[12:13], v[38:39], 1, v[12:13]
	flat_load_ushort v12, v[12:13]
	s_waitcnt vmcnt(0) lgkmcnt(0)
	v_mul_f16_e32 v18, s28, v12
.LBB221_159:
	v_pk_add_f16 v12, v24, v14
	v_pk_max_f16 v13, v60, v60
	s_and_b64 vcc, exec, s[0:1]
	v_pk_min_f16 v12, v13, v12
	v_pk_add_f16 v13, v25, v15
	s_nop 0
	v_pk_min_f16 v12, v12, v13
	s_nop 0
	v_lshrrev_b32_e32 v13, 16, v12
	v_min3_f16 v14, v18, v12, v13
	v_lshl_add_u64 v[12:13], v[38:39], 1, v[16:17]
	global_store_short v[12:13], v14, off
	v_add_u32_e32 v14, 0xe0, v109
	v_mad_i64_i32 v[12:13], s[4:5], v14, s6, 0
	v_lshl_add_u64 v[12:13], v[12:13], 1, s[10:11]
	v_mov_b32_e32 v16, 0
	v_mov_b32_e32 v17, 0
	s_cbranch_vccnz .LBB221_161
; %bb.160:
	v_lshl_add_u64 v[18:19], v[28:29], 1, v[12:13]
	flat_load_ushort v15, v[18:19]
	s_waitcnt vmcnt(0) lgkmcnt(0)
	v_mul_f16_e32 v17, s28, v15
.LBB221_161:
	v_pk_add_f16 v15, v30, v26
	v_pk_max_f16 v18, v59, v59
	s_and_b64 vcc, exec, s[0:1]
	v_pk_min_f16 v15, v18, v15
	v_pk_add_f16 v18, v31, v27
	s_nop 0
	v_pk_min_f16 v18, v15, v18
	v_mad_i64_i32 v[14:15], s[4:5], v14, s7, 0
	v_lshl_add_u64 v[14:15], v[14:15], 1, s[2:3]
	v_lshrrev_b32_e32 v19, 16, v18
	v_min3_f16 v17, v17, v18, v19
	v_lshl_add_u64 v[18:19], v[28:29], 1, v[14:15]
	global_store_short v[18:19], v17, off
	s_cbranch_vccnz .LBB221_163
; %bb.162:
	v_lshl_add_u64 v[16:17], v[32:33], 1, v[12:13]
	flat_load_ushort v16, v[16:17]
	s_waitcnt vmcnt(0) lgkmcnt(0)
	v_mul_f16_e32 v16, s28, v16
.LBB221_163:
	v_pk_add_f16 v8, v8, v26
	v_pk_max_f16 v17, v57, v57
	v_pk_add_f16 v9, v9, v27
	v_pk_min_f16 v8, v17, v8
	s_and_b64 vcc, exec, s[0:1]
	v_pk_min_f16 v8, v8, v9
	s_nop 0
	v_lshrrev_b32_e32 v9, 16, v8
	v_min3_f16 v16, v16, v8, v9
	v_lshl_add_u64 v[8:9], v[32:33], 1, v[14:15]
	global_store_short v[8:9], v16, off
	v_mov_b32_e32 v8, 0
	v_mov_b32_e32 v9, 0
	s_cbranch_vccnz .LBB221_165
; %bb.164:
	v_lshl_add_u64 v[16:17], v[34:35], 1, v[12:13]
	flat_load_ushort v9, v[16:17]
	s_waitcnt vmcnt(0) lgkmcnt(0)
	v_mul_f16_e32 v9, s28, v9
.LBB221_165:
	v_pk_add_f16 v10, v10, v26
	v_pk_max_f16 v16, v56, v56
	v_pk_add_f16 v11, v11, v27
	v_pk_min_f16 v10, v16, v10
	s_and_b64 vcc, exec, s[0:1]
	v_pk_min_f16 v10, v10, v11
	s_nop 0
	v_lshrrev_b32_e32 v11, 16, v10
	v_min3_f16 v9, v9, v10, v11
	v_lshl_add_u64 v[10:11], v[34:35], 1, v[14:15]
	global_store_short v[10:11], v9, off
	s_cbranch_vccnz .LBB221_167
; %bb.166:
	v_lshl_add_u64 v[8:9], v[36:37], 1, v[12:13]
	flat_load_ushort v8, v[8:9]
	s_waitcnt vmcnt(0) lgkmcnt(0)
	v_mul_f16_e32 v8, s28, v8
.LBB221_167:
	v_pk_add_f16 v4, v4, v26
	v_pk_max_f16 v9, v55, v55
	v_pk_add_f16 v5, v5, v27
	v_pk_min_f16 v4, v9, v4
	s_and_b64 vcc, exec, s[0:1]
	v_pk_min_f16 v4, v4, v5
	s_nop 0
	v_lshrrev_b32_e32 v5, 16, v4
	v_min3_f16 v8, v8, v4, v5
	v_lshl_add_u64 v[4:5], v[36:37], 1, v[14:15]
	global_store_short v[4:5], v8, off
	v_mov_b32_e32 v4, 0
	v_mov_b32_e32 v5, 0
	s_cbranch_vccnz .LBB221_169
; %bb.168:
	v_lshl_add_u64 v[8:9], v[44:45], 1, v[12:13]
	flat_load_ushort v5, v[8:9]
	s_waitcnt vmcnt(0) lgkmcnt(0)
	v_mul_f16_e32 v5, s28, v5
.LBB221_169:
	v_pk_add_f16 v6, v6, v26
	v_pk_max_f16 v8, v54, v54
	v_pk_add_f16 v7, v7, v27
	v_pk_min_f16 v6, v8, v6
	s_and_b64 vcc, exec, s[0:1]
	v_pk_min_f16 v6, v6, v7
	s_nop 0
	v_lshrrev_b32_e32 v7, 16, v6
	v_min3_f16 v5, v5, v6, v7
	v_lshl_add_u64 v[6:7], v[44:45], 1, v[14:15]
	global_store_short v[6:7], v5, off
	s_cbranch_vccnz .LBB221_171
; %bb.170:
	v_lshl_add_u64 v[4:5], v[42:43], 1, v[12:13]
	flat_load_ushort v4, v[4:5]
	s_waitcnt vmcnt(0) lgkmcnt(0)
	v_mul_f16_e32 v4, s28, v4
.LBB221_171:
	v_pk_add_f16 v0, v0, v26
	v_pk_max_f16 v5, v52, v52
	v_pk_add_f16 v2, v2, v26
	v_pk_min_f16 v0, v5, v0
	v_pk_max_f16 v5, v53, v53
	v_pk_add_f16 v1, v1, v27
	v_pk_min_f16 v2, v5, v2
	v_pk_min_f16 v0, v0, v1
	v_pk_add_f16 v1, v3, v27
	s_mov_b64 vcc, s[8:9]
	v_pk_min_f16 v2, v2, v1
	v_lshrrev_b32_e32 v1, 16, v0
	v_min3_f16 v3, v4, v0, v1
	v_lshl_add_u64 v[0:1], v[42:43], 1, v[14:15]
	global_store_short v[0:1], v3, off
	v_min_f16_sdwa v0, v2, v2 dst_sel:DWORD dst_unused:UNUSED_PAD src0_sel:DWORD src1_sel:WORD_1
	v_max_f16_e32 v0, v0, v0
	s_cbranch_vccz .LBB221_174
; %bb.172:
	v_min_f16_e32 v1, 0, v0
	v_lshl_add_u64 v[2:3], v[40:41], 1, v[14:15]
	s_mov_b32 s2, 0
	global_store_short v[2:3], v1, off
	s_cbranch_execz .LBB221_175
; %bb.173:
	v_mov_b32_e32 v0, s2
	s_branch .LBB221_176
.LBB221_174:
                                        ; implicit-def: $sgpr2
.LBB221_175:
	v_lshlrev_b64 v[2:3], 1, v[40:41]
	v_lshl_add_u64 v[4:5], v[12:13], 0, v[2:3]
	flat_load_ushort v1, v[4:5]
	v_lshl_add_u64 v[2:3], v[14:15], 0, v[2:3]
	s_waitcnt vmcnt(0) lgkmcnt(0)
	v_mul_f16_e32 v1, s28, v1
	v_min_f16_e32 v0, v1, v0
	global_store_short v[2:3], v0, off
	v_lshl_add_u64 v[0:1], v[38:39], 1, v[12:13]
	flat_load_ushort v0, v[0:1]
	s_waitcnt vmcnt(0) lgkmcnt(0)
	v_mul_f16_e32 v0, s28, v0
.LBB221_176:
	v_pk_add_f16 v1, v24, v26
	v_pk_max_f16 v2, v58, v58
	s_nop 0
	v_pk_min_f16 v1, v2, v1
	v_pk_add_f16 v2, v25, v27
	s_nop 0
	v_pk_min_f16 v1, v1, v2
	s_nop 0
	v_lshrrev_b32_e32 v2, 16, v1
	v_min3_f16 v2, v0, v1, v2
	v_lshl_add_u64 v[0:1], v[38:39], 1, v[14:15]
	global_store_short v[0:1], v2, off
	s_endpgm
	.section	.rodata,"a",@progbits
	.p2align	6, 0x0
	.amdhsa_kernel _ZN12_GLOBAL__N_120geam_min_plus_kernelIDF16_Dv2_DF16_S1_Li8ELi32ELi64ELi256ELi4ELi64ELi4ELi64ELi4ELc78ELc84ELb0ELb0ELb1EDF16_KPKDF16_KPDF16_EEviiiT16_PT17_ilS9_ilS7_S9_ilPT18_ili26rocblas_geam_ex_operation_
		.amdhsa_group_segment_fixed_size 5120
		.amdhsa_private_segment_fixed_size 0
		.amdhsa_kernarg_size 128
		.amdhsa_user_sgpr_count 2
		.amdhsa_user_sgpr_dispatch_ptr 0
		.amdhsa_user_sgpr_queue_ptr 0
		.amdhsa_user_sgpr_kernarg_segment_ptr 1
		.amdhsa_user_sgpr_dispatch_id 0
		.amdhsa_user_sgpr_kernarg_preload_length 0
		.amdhsa_user_sgpr_kernarg_preload_offset 0
		.amdhsa_user_sgpr_private_segment_size 0
		.amdhsa_uses_dynamic_stack 0
		.amdhsa_enable_private_segment 0
		.amdhsa_system_sgpr_workgroup_id_x 1
		.amdhsa_system_sgpr_workgroup_id_y 0
		.amdhsa_system_sgpr_workgroup_id_z 1
		.amdhsa_system_sgpr_workgroup_info 0
		.amdhsa_system_vgpr_workitem_id 1
		.amdhsa_next_free_vgpr 171
		.amdhsa_next_free_sgpr 31
		.amdhsa_accum_offset 172
		.amdhsa_reserve_vcc 1
		.amdhsa_float_round_mode_32 0
		.amdhsa_float_round_mode_16_64 0
		.amdhsa_float_denorm_mode_32 3
		.amdhsa_float_denorm_mode_16_64 3
		.amdhsa_dx10_clamp 1
		.amdhsa_ieee_mode 1
		.amdhsa_fp16_overflow 0
		.amdhsa_tg_split 0
		.amdhsa_exception_fp_ieee_invalid_op 0
		.amdhsa_exception_fp_denorm_src 0
		.amdhsa_exception_fp_ieee_div_zero 0
		.amdhsa_exception_fp_ieee_overflow 0
		.amdhsa_exception_fp_ieee_underflow 0
		.amdhsa_exception_fp_ieee_inexact 0
		.amdhsa_exception_int_div_zero 0
	.end_amdhsa_kernel
	.section	.text._ZN12_GLOBAL__N_120geam_min_plus_kernelIDF16_Dv2_DF16_S1_Li8ELi32ELi64ELi256ELi4ELi64ELi4ELi64ELi4ELc78ELc84ELb0ELb0ELb1EDF16_KPKDF16_KPDF16_EEviiiT16_PT17_ilS9_ilS7_S9_ilPT18_ili26rocblas_geam_ex_operation_,"axG",@progbits,_ZN12_GLOBAL__N_120geam_min_plus_kernelIDF16_Dv2_DF16_S1_Li8ELi32ELi64ELi256ELi4ELi64ELi4ELi64ELi4ELc78ELc84ELb0ELb0ELb1EDF16_KPKDF16_KPDF16_EEviiiT16_PT17_ilS9_ilS7_S9_ilPT18_ili26rocblas_geam_ex_operation_,comdat
.Lfunc_end221:
	.size	_ZN12_GLOBAL__N_120geam_min_plus_kernelIDF16_Dv2_DF16_S1_Li8ELi32ELi64ELi256ELi4ELi64ELi4ELi64ELi4ELc78ELc84ELb0ELb0ELb1EDF16_KPKDF16_KPDF16_EEviiiT16_PT17_ilS9_ilS7_S9_ilPT18_ili26rocblas_geam_ex_operation_, .Lfunc_end221-_ZN12_GLOBAL__N_120geam_min_plus_kernelIDF16_Dv2_DF16_S1_Li8ELi32ELi64ELi256ELi4ELi64ELi4ELi64ELi4ELc78ELc84ELb0ELb0ELb1EDF16_KPKDF16_KPDF16_EEviiiT16_PT17_ilS9_ilS7_S9_ilPT18_ili26rocblas_geam_ex_operation_
                                        ; -- End function
	.section	.AMDGPU.csdata,"",@progbits
; Kernel info:
; codeLenInByte = 16964
; NumSgprs: 37
; NumVgprs: 171
; NumAgprs: 0
; TotalNumVgprs: 171
; ScratchSize: 0
; MemoryBound: 0
; FloatMode: 240
; IeeeMode: 1
; LDSByteSize: 5120 bytes/workgroup (compile time only)
; SGPRBlocks: 4
; VGPRBlocks: 21
; NumSGPRsForWavesPerEU: 37
; NumVGPRsForWavesPerEU: 171
; AccumOffset: 172
; Occupancy: 2
; WaveLimiterHint : 1
; COMPUTE_PGM_RSRC2:SCRATCH_EN: 0
; COMPUTE_PGM_RSRC2:USER_SGPR: 2
; COMPUTE_PGM_RSRC2:TRAP_HANDLER: 0
; COMPUTE_PGM_RSRC2:TGID_X_EN: 1
; COMPUTE_PGM_RSRC2:TGID_Y_EN: 0
; COMPUTE_PGM_RSRC2:TGID_Z_EN: 1
; COMPUTE_PGM_RSRC2:TIDIG_COMP_CNT: 1
; COMPUTE_PGM_RSRC3_GFX90A:ACCUM_OFFSET: 42
; COMPUTE_PGM_RSRC3_GFX90A:TG_SPLIT: 0
	.section	.text._ZN12_GLOBAL__N_120geam_min_plus_kernelIDF16_Dv2_DF16_S1_Li8ELi32ELi64ELi256ELi4ELi64ELi4ELi64ELi4ELc78ELc84ELb0ELb1ELb1EPKDF16_KS3_KPDF16_EEviiiT16_PT17_ilS9_ilS7_S9_ilPT18_ili26rocblas_geam_ex_operation_,"axG",@progbits,_ZN12_GLOBAL__N_120geam_min_plus_kernelIDF16_Dv2_DF16_S1_Li8ELi32ELi64ELi256ELi4ELi64ELi4ELi64ELi4ELc78ELc84ELb0ELb1ELb1EPKDF16_KS3_KPDF16_EEviiiT16_PT17_ilS9_ilS7_S9_ilPT18_ili26rocblas_geam_ex_operation_,comdat
	.globl	_ZN12_GLOBAL__N_120geam_min_plus_kernelIDF16_Dv2_DF16_S1_Li8ELi32ELi64ELi256ELi4ELi64ELi4ELi64ELi4ELc78ELc84ELb0ELb1ELb1EPKDF16_KS3_KPDF16_EEviiiT16_PT17_ilS9_ilS7_S9_ilPT18_ili26rocblas_geam_ex_operation_ ; -- Begin function _ZN12_GLOBAL__N_120geam_min_plus_kernelIDF16_Dv2_DF16_S1_Li8ELi32ELi64ELi256ELi4ELi64ELi4ELi64ELi4ELc78ELc84ELb0ELb1ELb1EPKDF16_KS3_KPDF16_EEviiiT16_PT17_ilS9_ilS7_S9_ilPT18_ili26rocblas_geam_ex_operation_
	.p2align	8
	.type	_ZN12_GLOBAL__N_120geam_min_plus_kernelIDF16_Dv2_DF16_S1_Li8ELi32ELi64ELi256ELi4ELi64ELi4ELi64ELi4ELc78ELc84ELb0ELb1ELb1EPKDF16_KS3_KPDF16_EEviiiT16_PT17_ilS9_ilS7_S9_ilPT18_ili26rocblas_geam_ex_operation_,@function
_ZN12_GLOBAL__N_120geam_min_plus_kernelIDF16_Dv2_DF16_S1_Li8ELi32ELi64ELi256ELi4ELi64ELi4ELi64ELi4ELc78ELc84ELb0ELb1ELb1EPKDF16_KS3_KPDF16_EEviiiT16_PT17_ilS9_ilS7_S9_ilPT18_ili26rocblas_geam_ex_operation_: ; @_ZN12_GLOBAL__N_120geam_min_plus_kernelIDF16_Dv2_DF16_S1_Li8ELi32ELi64ELi256ELi4ELi64ELi4ELi64ELi4ELc78ELc84ELb0ELb1ELb1EPKDF16_KS3_KPDF16_EEviiiT16_PT17_ilS9_ilS7_S9_ilPT18_ili26rocblas_geam_ex_operation_
; %bb.0:
	s_load_dwordx4 s[16:19], s[0:1], 0x10
	s_load_dwordx4 s[8:11], s[0:1], 0x28
	;; [unrolled: 1-line block ×3, first 2 shown]
	s_mov_b32 s36, s3
	s_mov_b32 s37, 0
	s_lshl_b64 s[4:5], s[36:37], 1
	s_waitcnt lgkmcnt(0)
	s_add_u32 s6, s16, s4
	s_addc_u32 s7, s17, s5
	s_load_dwordx2 s[16:17], s[0:1], 0x50
	v_mov_b32_e32 v1, 0
	global_load_ushort v50, v1, s[6:7]
	s_add_u32 s4, s14, s4
	s_addc_u32 s5, s15, s5
	global_load_ushort v52, v1, s[4:5]
	s_mov_b64 s[28:29], 0
	s_mov_b64 s[30:31], 0
	s_waitcnt vmcnt(1)
	v_cmp_eq_f16_e64 s[4:5], 0, v50
	v_cmp_neq_f16_e64 s[6:7], 0, v50
	s_and_b64 vcc, exec, s[4:5]
	s_cbranch_vccnz .LBB222_2
; %bb.1:
	s_lshl_b64 s[14:15], s[36:37], 3
	s_add_u32 s14, s18, s14
	s_addc_u32 s15, s19, s15
	s_load_dwordx2 s[14:15], s[14:15], 0x0
	s_lshl_b64 s[8:9], s[8:9], 1
	s_waitcnt lgkmcnt(0)
	s_add_u32 s30, s14, s8
	s_addc_u32 s31, s15, s9
.LBB222_2:
	s_andn2_b64 vcc, exec, s[6:7]
	s_cbranch_vccnz .LBB222_4
; %bb.3:
	s_lshl_b64 s[6:7], s[36:37], 3
	s_add_u32 s6, s10, s6
	s_addc_u32 s7, s11, s7
	s_load_dwordx2 s[6:7], s[6:7], 0x0
	s_lshl_b64 s[8:9], s[12:13], 1
	s_waitcnt lgkmcnt(0)
	s_add_u32 s28, s6, s8
	s_addc_u32 s29, s7, s9
.LBB222_4:
	s_load_dwordx4 s[8:11], s[0:1], 0x60
	s_waitcnt vmcnt(0)
	v_cmp_eq_f16_e32 vcc, 0, v52
	v_cmp_neq_f16_e64 s[20:21], 0, v52
	s_cbranch_vccnz .LBB222_6
; %bb.5:
	s_lshl_b64 s[6:7], s[36:37], 3
	s_waitcnt lgkmcnt(0)
	s_add_u32 s6, s16, s6
	s_addc_u32 s7, s17, s7
	s_load_dwordx2 s[6:7], s[6:7], 0x0
	s_lshl_b64 s[8:9], s[8:9], 1
	s_waitcnt lgkmcnt(0)
	s_add_u32 s22, s6, s8
	s_addc_u32 s23, s7, s9
	s_branch .LBB222_7
.LBB222_6:
	s_mov_b64 s[22:23], 0
.LBB222_7:
	s_load_dword s34, s[0:1], 0x20
	s_load_dwordx4 s[24:27], s[0:1], 0x0
	s_lshl_b64 s[6:7], s[36:37], 3
	v_and_b32_e32 v48, 0x3ff, v0
	v_bfe_u32 v49, v0, 10, 10
	s_waitcnt lgkmcnt(0)
	s_ashr_i32 s35, s34, 31
	s_add_u32 s6, s10, s6
	s_addc_u32 s7, s11, s7
	s_add_i32 s3, s24, -1
	s_ashr_i32 s8, s3, 31
	s_lshr_b32 s8, s8, 26
	s_add_i32 s8, s3, s8
	s_ashr_i32 s8, s8, 6
	s_add_i32 s9, s8, 1
	v_cvt_f32_u32_e32 v1, s9
	s_load_dwordx2 s[18:19], s[6:7], 0x0
	s_not_b32 s6, s8
                                        ; implicit-def: $vgpr3
	v_rcp_iflag_f32_e32 v0, v1
	v_lshl_add_u32 v1, v49, 3, v48
	v_and_b32_e32 v2, 63, v1
	v_lshrrev_b32_e32 v51, 6, v1
	v_mul_f32_e32 v0, 0x4f7ffffe, v0
	v_cvt_u32_f32_e32 v0, v0
	v_cmp_le_i32_e64 s[14:15], s26, v51
	v_readfirstlane_b32 s7, v0
	s_mul_i32 s6, s6, s7
	s_mul_hi_u32 s6, s7, s6
	s_add_i32 s7, s7, s6
	s_mul_hi_u32 s6, s2, s7
	s_mul_i32 s7, s6, s9
	s_sub_i32 s7, s2, s7
	s_add_i32 s8, s6, 1
	s_sub_i32 s10, s7, s9
	s_cmp_ge_u32 s7, s9
	s_cselect_b32 s6, s8, s6
	s_cselect_b32 s7, s10, s7
	s_add_i32 s8, s6, 1
	s_cmp_ge_u32 s7, s9
	s_cselect_b32 s8, s8, s6
	s_mul_i32 s6, s8, s9
	s_sub_i32 s2, s2, s6
	s_lshl_b32 s33, s2, 6
	v_or_b32_e32 v0, s33, v2
	v_cmp_le_i32_e32 vcc, s24, v0
	s_or_b64 s[6:7], vcc, s[14:15]
	s_add_i32 s27, s26, -1
	v_min_i32_e32 v40, s3, v0
	v_min_i32_e32 v0, s27, v51
	s_or_b64 s[2:3], s[4:5], s[6:7]
	s_xor_b64 s[2:3], s[2:3], -1
	v_ashrrev_i32_e32 v1, 31, v0
	v_ashrrev_i32_e32 v41, 31, v40
	s_and_saveexec_b64 s[10:11], s[2:3]
	s_xor_b64 s[2:3], exec, s[10:11]
	s_cbranch_execz .LBB222_9
; %bb.8:
	v_mad_i64_i32 v[4:5], s[10:11], s34, v0, 0
	v_lshl_add_u64 v[4:5], v[4:5], 1, s[30:31]
	v_lshl_add_u64 v[4:5], v[40:41], 1, v[4:5]
	flat_load_ushort v3, v[4:5]
	s_waitcnt vmcnt(0) lgkmcnt(0)
	v_mul_f16_e32 v3, v50, v3
.LBB222_9:
	s_andn2_saveexec_b64 s[2:3], s[2:3]
; %bb.10:
	v_mov_b32_e32 v3, 0x7c00
	v_cndmask_b32_e64 v3, 0, v3, s[6:7]
; %bb.11:
	s_or_b64 exec, exec, s[2:3]
	s_load_dword s37, s[0:1], 0x38
	s_lshl_b32 s36, s8, 8
	v_or_b32_e32 v32, s36, v2
	v_cmp_le_i32_e64 s[6:7], s25, v32
	v_ashrrev_i32_e32 v33, 31, v32
	s_waitcnt lgkmcnt(0)
	s_ashr_i32 s38, s37, 31
	v_mul_lo_u32 v4, v1, s37
	v_mul_lo_u32 v5, v0, s38
	v_mad_u64_u32 v[0:1], s[2:3], v0, s37, 0
	v_add3_u32 v1, v1, v5, v4
	v_mov_b32_e32 v5, 0x7c00
	s_or_b64 s[2:3], s[6:7], s[14:15]
	v_cndmask_b32_e64 v4, 0, v5, s[2:3]
	s_or_b64 s[2:3], s[4:5], s[2:3]
	v_lshl_add_u64 v[0:1], v[0:1], 1, s[28:29]
	s_xor_b64 s[8:9], s[2:3], -1
	s_and_saveexec_b64 s[2:3], s[8:9]
	s_cbranch_execz .LBB222_13
; %bb.12:
	v_lshl_add_u64 v[6:7], v[32:33], 1, v[0:1]
	flat_load_ushort v4, v[6:7]
	s_waitcnt vmcnt(0) lgkmcnt(0)
	v_mul_f16_e32 v4, v50, v4
.LBB222_13:
	s_or_b64 exec, exec, s[2:3]
	v_or_b32_e32 v6, 64, v32
	v_cmp_le_i32_e64 s[8:9], s25, v6
	s_add_i32 s16, s25, -1
	s_or_b64 s[2:3], s[8:9], s[14:15]
	v_min_i32_e32 v34, s16, v6
	v_cndmask_b32_e64 v5, 0, v5, s[2:3]
	s_or_b64 s[2:3], s[4:5], s[2:3]
	s_xor_b64 s[10:11], s[2:3], -1
	v_ashrrev_i32_e32 v35, 31, v34
	s_and_saveexec_b64 s[2:3], s[10:11]
	s_cbranch_execz .LBB222_15
; %bb.14:
	v_lshl_add_u64 v[6:7], v[34:35], 1, v[0:1]
	flat_load_ushort v5, v[6:7]
	s_waitcnt vmcnt(0) lgkmcnt(0)
	v_mul_f16_e32 v5, v50, v5
.LBB222_15:
	s_or_b64 exec, exec, s[2:3]
	v_or_b32_e32 v6, 0x80, v32
	v_cmp_le_i32_e64 s[10:11], s25, v6
	v_mov_b32_e32 v7, 0x7c00
	s_or_b64 s[2:3], s[10:11], s[14:15]
	v_min_i32_e32 v36, s16, v6
	v_cndmask_b32_e64 v6, 0, v7, s[2:3]
	s_or_b64 s[2:3], s[4:5], s[2:3]
	s_xor_b64 s[12:13], s[2:3], -1
	v_ashrrev_i32_e32 v37, 31, v36
	s_and_saveexec_b64 s[2:3], s[12:13]
	s_cbranch_execz .LBB222_17
; %bb.16:
	v_lshl_add_u64 v[8:9], v[36:37], 1, v[0:1]
	flat_load_ushort v6, v[8:9]
	s_waitcnt vmcnt(0) lgkmcnt(0)
	v_mul_f16_e32 v6, v50, v6
.LBB222_17:
	s_or_b64 exec, exec, s[2:3]
	v_or_b32_e32 v8, 0xc0, v32
	v_cmp_le_i32_e64 s[12:13], s25, v8
	s_or_b64 s[2:3], s[12:13], s[14:15]
	v_min_i32_e32 v38, s16, v8
	v_cndmask_b32_e64 v7, 0, v7, s[2:3]
	s_or_b64 s[2:3], s[4:5], s[2:3]
	s_xor_b64 s[14:15], s[2:3], -1
	v_ashrrev_i32_e32 v39, 31, v38
	s_and_saveexec_b64 s[2:3], s[14:15]
	s_cbranch_execz .LBB222_19
; %bb.18:
	v_lshl_add_u64 v[0:1], v[38:39], 1, v[0:1]
	flat_load_ushort v0, v[0:1]
	s_waitcnt vmcnt(0) lgkmcnt(0)
	v_mul_f16_e32 v7, v50, v0
.LBB222_19:
	s_or_b64 exec, exec, s[2:3]
	v_add_u32_e32 v0, 4, v51
	v_cmp_le_i32_e64 s[14:15], s26, v0
	s_or_b64 s[16:17], vcc, s[14:15]
	v_min_i32_e32 v0, s27, v0
	s_or_b64 s[2:3], s[4:5], s[16:17]
	s_xor_b64 s[2:3], s[2:3], -1
	v_ashrrev_i32_e32 v1, 31, v0
                                        ; implicit-def: $vgpr42
	s_and_saveexec_b64 s[40:41], s[2:3]
	s_xor_b64 s[2:3], exec, s[40:41]
	s_cbranch_execz .LBB222_21
; %bb.20:
	v_mad_i64_i32 v[8:9], s[40:41], s34, v0, 0
	v_lshl_add_u64 v[8:9], v[8:9], 1, s[30:31]
	v_lshl_add_u64 v[8:9], v[40:41], 1, v[8:9]
	flat_load_ushort v8, v[8:9]
	s_waitcnt vmcnt(0) lgkmcnt(0)
	v_mul_f16_e32 v42, v50, v8
.LBB222_21:
	s_andn2_saveexec_b64 s[2:3], s[2:3]
; %bb.22:
	v_mov_b32_e32 v8, 0x7c00
	v_cndmask_b32_e64 v42, 0, v8, s[16:17]
; %bb.23:
	s_or_b64 exec, exec, s[2:3]
	v_mul_lo_u32 v8, v1, s37
	v_mul_lo_u32 v9, v0, s38
	v_mad_u64_u32 v[0:1], s[2:3], v0, s37, 0
	v_add3_u32 v1, v1, v9, v8
	v_mov_b32_e32 v8, 0x7c00
	s_or_b64 s[2:3], s[6:7], s[14:15]
	v_cndmask_b32_e64 v43, 0, v8, s[2:3]
	s_or_b64 s[2:3], s[4:5], s[2:3]
	v_lshl_add_u64 v[0:1], v[0:1], 1, s[28:29]
	s_xor_b64 s[16:17], s[2:3], -1
	s_and_saveexec_b64 s[2:3], s[16:17]
	s_cbranch_execz .LBB222_25
; %bb.24:
	v_lshl_add_u64 v[10:11], v[32:33], 1, v[0:1]
	flat_load_ushort v9, v[10:11]
	s_waitcnt vmcnt(0) lgkmcnt(0)
	v_mul_f16_e32 v43, v50, v9
.LBB222_25:
	s_or_b64 exec, exec, s[2:3]
	s_or_b64 s[2:3], s[8:9], s[14:15]
	v_cndmask_b32_e64 v44, 0, v8, s[2:3]
	s_or_b64 s[2:3], s[4:5], s[2:3]
	s_xor_b64 s[16:17], s[2:3], -1
	s_and_saveexec_b64 s[2:3], s[16:17]
	s_cbranch_execz .LBB222_27
; %bb.26:
	v_lshl_add_u64 v[8:9], v[34:35], 1, v[0:1]
	flat_load_ushort v8, v[8:9]
	s_waitcnt vmcnt(0) lgkmcnt(0)
	v_mul_f16_e32 v44, v50, v8
.LBB222_27:
	s_or_b64 exec, exec, s[2:3]
	v_mov_b32_e32 v8, 0x7c00
	s_or_b64 s[2:3], s[10:11], s[14:15]
	v_cndmask_b32_e64 v45, 0, v8, s[2:3]
	s_or_b64 s[2:3], s[4:5], s[2:3]
	s_xor_b64 s[16:17], s[2:3], -1
	s_and_saveexec_b64 s[2:3], s[16:17]
	s_cbranch_execz .LBB222_29
; %bb.28:
	v_lshl_add_u64 v[10:11], v[36:37], 1, v[0:1]
	flat_load_ushort v9, v[10:11]
	s_waitcnt vmcnt(0) lgkmcnt(0)
	v_mul_f16_e32 v45, v50, v9
.LBB222_29:
	s_or_b64 exec, exec, s[2:3]
	s_or_b64 s[2:3], s[12:13], s[14:15]
	v_cndmask_b32_e64 v46, 0, v8, s[2:3]
	s_or_b64 s[2:3], s[4:5], s[2:3]
	s_xor_b64 s[16:17], s[2:3], -1
	s_movk_i32 s14, 0x7c00
	s_and_saveexec_b64 s[2:3], s[16:17]
	s_cbranch_execz .LBB222_31
; %bb.30:
	v_lshl_add_u64 v[0:1], v[38:39], 1, v[0:1]
	flat_load_ushort v0, v[0:1]
	s_waitcnt vmcnt(0) lgkmcnt(0)
	v_mul_f16_e32 v46, v50, v0
.LBB222_31:
	s_or_b64 exec, exec, s[2:3]
	v_lshlrev_b32_e32 v0, 1, v51
	v_lshlrev_b32_e32 v94, 3, v48
	v_lshl_add_u32 v103, v2, 3, v0
	v_add_u32_e32 v104, 0x1000, v94
	v_lshlrev_b32_e32 v95, 3, v49
	ds_write_b16 v103, v3 offset:4096
	ds_write_b16 v103, v4
	ds_write_b16 v103, v5 offset:512
	ds_write_b16 v103, v6 offset:1024
	;; [unrolled: 1-line block ×3, first 2 shown]
	s_waitcnt lgkmcnt(0)
	s_barrier
	ds_read2_b64 v[16:19], v104 offset1:8
	ds_read2_b64 v[12:15], v104 offset0:16 offset1:24
	ds_read2_b64 v[0:3], v104 offset0:32 offset1:40
	ds_read2_b64 v[28:31], v95 offset1:32
	ds_read2_b64 v[4:7], v104 offset0:48 offset1:56
	ds_read2_b64 v[24:27], v95 offset0:64 offset1:96
	;; [unrolled: 1-line block ×4, first 2 shown]
	s_cmp_lt_i32 s26, 9
	s_waitcnt lgkmcnt(4)
	v_pk_add_f16 v47, v16, v28
	v_pk_add_f16 v53, v18, v28
	s_waitcnt lgkmcnt(1)
	v_pk_add_f16 v83, v14, v20
	v_pk_min_f16 v47, v47, s14 op_sel_hi:[1,0]
	v_pk_min_f16 v121, v83, s14 op_sel_hi:[1,0]
	v_pk_add_f16 v83, v0, v20
	v_pk_add_f16 v54, v12, v28
	v_pk_min_f16 v122, v83, s14 op_sel_hi:[1,0]
	v_pk_add_f16 v83, v2, v20
	v_pk_add_f16 v55, v14, v28
	;; [unrolled: 3-line block ×10, first 2 shown]
	v_pk_min_f16 v131, v83, s14 op_sel_hi:[1,0]
	s_waitcnt lgkmcnt(0)
	v_pk_add_f16 v83, v16, v8
	v_pk_add_f16 v63, v0, v30
	v_pk_min_f16 v132, v83, s14 op_sel_hi:[1,0]
	v_pk_add_f16 v83, v18, v8
	v_pk_add_f16 v64, v2, v30
	v_pk_min_f16 v133, v83, s14 op_sel_hi:[1,0]
	;; [unrolled: 3-line block ×5, first 2 shown]
	v_pk_add_f16 v83, v2, v8
	v_pk_add_f16 v67, v18, v24
	;; [unrolled: 1-line block ×21, first 2 shown]
	v_pk_min_f16 v137, v83, s14 op_sel_hi:[1,0]
	v_pk_add_f16 v83, v4, v8
	v_pk_add_f16 v8, v6, v8
	;; [unrolled: 1-line block ×11, first 2 shown]
	v_pk_min_f16 v53, v53, s14 op_sel_hi:[1,0]
	v_pk_min_f16 v120, v47, v10
	v_pk_add_f16 v10, v19, v29
	v_pk_min_f16 v54, v54, s14 op_sel_hi:[1,0]
	v_pk_min_f16 v119, v53, v10
	v_pk_add_f16 v10, v13, v29
	;; [unrolled: 3-line block ×33, first 2 shown]
	v_pk_min_f16 v82, v82, s14 op_sel_hi:[1,0]
	v_pk_min_f16 v138, v83, s14 op_sel_hi:[1,0]
	v_pk_min_f16 v83, v81, v10
	v_pk_add_f16 v10, v13, v21
	v_pk_min_f16 v20, v20, s14 op_sel_hi:[1,0]
	v_pk_min_f16 v82, v82, v10
	v_pk_add_f16 v10, v15, v21
	;; [unrolled: 3-line block ×12, first 2 shown]
	ds_write_b16 v103, v42 offset:4608
	ds_write_b16 v103, v43 offset:2048
	;; [unrolled: 1-line block ×5, first 2 shown]
	v_pk_min_f16 v71, v130, v10
	v_pk_add_f16 v10, v5, v23
	s_waitcnt lgkmcnt(0)
	v_pk_min_f16 v70, v131, v10
	v_pk_add_f16 v10, v7, v23
	s_barrier
	v_pk_min_f16 v69, v22, v10
	v_pk_add_f16 v10, v17, v9
	s_nop 0
	v_pk_min_f16 v68, v132, v10
	v_pk_add_f16 v10, v19, v9
	s_nop 0
	v_pk_min_f16 v67, v133, v10
	v_pk_add_f16 v10, v13, v9
	s_nop 0
	v_pk_min_f16 v66, v134, v10
	v_pk_add_f16 v10, v15, v9
	s_nop 0
	v_pk_min_f16 v65, v135, v10
	v_pk_add_f16 v10, v1, v9
	v_pk_add_f16 v1, v1, v11
	v_pk_min_f16 v64, v136, v10
	v_pk_add_f16 v10, v3, v9
	v_pk_min_f16 v55, v0, v1
	v_pk_min_f16 v63, v137, v10
	v_pk_add_f16 v10, v5, v9
	v_pk_add_f16 v9, v7, v9
	;; [unrolled: 1-line block ×3, first 2 shown]
	v_pk_min_f16 v61, v8, v9
	v_pk_add_f16 v8, v17, v11
	v_pk_min_f16 v54, v2, v0
	v_pk_min_f16 v60, v16, v8
	v_pk_add_f16 v8, v19, v11
	v_pk_add_f16 v0, v5, v11
	v_pk_min_f16 v59, v18, v8
	v_pk_add_f16 v8, v13, v11
	v_pk_min_f16 v53, v4, v0
	v_pk_min_f16 v58, v12, v8
	v_pk_add_f16 v8, v15, v11
	v_pk_add_f16 v0, v7, v11
	v_pk_min_f16 v62, v138, v10
	v_pk_min_f16 v56, v14, v8
	v_pk_min_f16 v57, v6, v0
	s_cbranch_scc1 .LBB222_54
; %bb.32:
	v_mov_b32_e32 v0, 0x1200
	v_lshl_add_u32 v124, v48, 3, v0
	v_add_u32_e32 v0, v95, v48
	v_lshrrev_b32_e32 v2, 6, v0
	v_add_u32_e32 v0, 12, v2
	v_mad_i64_i32 v[0:1], s[2:3], v0, s34, 0
	v_lshlrev_b64 v[42:43], 1, v[0:1]
	v_add_u32_e32 v0, 8, v2
	v_mad_i64_i32 v[0:1], s[2:3], v0, s34, 0
	v_or_b32_e32 v121, 0x1000, v103
	v_add_u32_e32 v122, 0x1200, v103
	v_or_b32_e32 v123, 0x800, v103
	s_add_i32 s38, s26, -8
	v_lshl_add_u64 v[40:41], v[40:41], 1, s[30:31]
	v_add_u32_e32 v125, 0x800, v95
	s_lshl_b64 s[16:17], s[34:35], 4
	v_lshlrev_b64 v[44:45], 1, v[0:1]
	s_mov_b32 s30, 0
	v_mov_b32_e32 v126, 0x7c00
	s_branch .LBB222_34
.LBB222_33:                             ;   in Loop: Header=BB222_34 Depth=1
	s_or_b64 exec, exec, s[2:3]
	ds_read2_b64 v[8:11], v104 offset1:8
	ds_read2_b64 v[4:7], v104 offset0:16 offset1:24
	ds_read2_b64 v[0:3], v104 offset0:32 offset1:40
	ds_read2_b64 v[132:135], v95 offset1:32
	ds_read2_b64 v[12:15], v104 offset0:48 offset1:56
	ds_read2_b64 v[24:27], v95 offset0:64 offset1:96
	;; [unrolled: 1-line block ×4, first 2 shown]
	s_waitcnt lgkmcnt(4)
	v_pk_add_f16 v46, v8, v132
	v_pk_max_f16 v47, v117, v117
	v_pk_max_f16 v116, v116, v116
	v_pk_min_f16 v46, v47, v46
	v_pk_add_f16 v47, v10, v132
	v_pk_max_f16 v115, v115, v115
	v_pk_min_f16 v47, v116, v47
	v_pk_add_f16 v116, v4, v132
	;; [unrolled: 3-line block ×5, first 2 shown]
	v_pk_max_f16 v111, v111, v111
	v_pk_min_f16 v112, v112, v116
	s_waitcnt lgkmcnt(3)
	v_pk_add_f16 v116, v12, v132
	v_pk_max_f16 v110, v110, v110
	v_pk_min_f16 v111, v111, v116
	v_pk_add_f16 v116, v14, v132
	v_pk_max_f16 v109, v109, v109
	v_pk_min_f16 v110, v110, v116
	;; [unrolled: 3-line block ×10, first 2 shown]
	s_waitcnt lgkmcnt(2)
	v_pk_add_f16 v116, v8, v24
	v_pk_max_f16 v98, v98, v98
	v_pk_min_f16 v99, v99, v116
	v_pk_add_f16 v116, v10, v24
	v_pk_max_f16 v97, v97, v97
	v_pk_min_f16 v98, v98, v116
	;; [unrolled: 3-line block ×6, first 2 shown]
	v_pk_add_f16 v116, v12, v24
	v_pk_add_f16 v24, v14, v24
	v_pk_max_f16 v89, v89, v89
	v_pk_min_f16 v24, v90, v24
	v_pk_add_f16 v90, v8, v26
	v_pk_max_f16 v88, v88, v88
	v_pk_min_f16 v89, v89, v90
	;; [unrolled: 3-line block ×7, first 2 shown]
	v_pk_add_f16 v90, v12, v26
	v_pk_add_f16 v26, v14, v26
	v_pk_max_f16 v81, v81, v81
	v_pk_min_f16 v26, v82, v26
	s_waitcnt lgkmcnt(1)
	v_pk_add_f16 v82, v8, v20
	v_pk_max_f16 v80, v80, v80
	v_pk_min_f16 v81, v81, v82
	v_pk_add_f16 v82, v10, v20
	v_pk_max_f16 v79, v79, v79
	v_pk_min_f16 v80, v80, v82
	;; [unrolled: 3-line block ×6, first 2 shown]
	v_pk_add_f16 v82, v12, v20
	v_pk_add_f16 v20, v14, v20
	v_pk_max_f16 v73, v73, v73
	v_pk_min_f16 v20, v74, v20
	v_pk_add_f16 v74, v8, v22
	v_pk_max_f16 v72, v72, v72
	v_pk_min_f16 v73, v73, v74
	;; [unrolled: 3-line block ×7, first 2 shown]
	v_pk_add_f16 v74, v12, v22
	v_pk_add_f16 v22, v14, v22
	v_pk_max_f16 v65, v65, v65
	v_pk_min_f16 v22, v66, v22
	s_waitcnt lgkmcnt(0)
	v_pk_add_f16 v66, v8, v16
	v_pk_max_f16 v64, v64, v64
	v_pk_min_f16 v65, v65, v66
	v_pk_add_f16 v66, v10, v16
	v_pk_max_f16 v63, v63, v63
	v_pk_min_f16 v64, v64, v66
	;; [unrolled: 3-line block ×5, first 2 shown]
	v_pk_add_f16 v66, v2, v16
	v_pk_add_f16 v8, v8, v18
	v_pk_min_f16 v60, v60, v66
	v_pk_add_f16 v66, v12, v16
	v_pk_add_f16 v16, v14, v16
	;; [unrolled: 1-line block ×9, first 2 shown]
	v_pk_max_f16 v18, v29, v29
	v_pk_max_f16 v91, v91, v91
	v_pk_min_f16 v14, v18, v14
	v_pk_add_f16 v18, v9, v133
	v_pk_min_f16 v91, v91, v116
	v_pk_min_f16 v120, v46, v18
	v_pk_add_f16 v18, v11, v133
	v_pk_max_f16 v83, v83, v83
	v_pk_min_f16 v119, v47, v18
	v_pk_add_f16 v18, v5, v133
	v_pk_min_f16 v83, v83, v90
	v_pk_min_f16 v118, v115, v18
	v_pk_add_f16 v18, v7, v133
	;; [unrolled: 6-line block ×5, first 2 shown]
	v_pk_max_f16 v53, v53, v53
	v_pk_min_f16 v111, v108, v18
	v_pk_add_f16 v18, v5, v135
	v_pk_max_f16 v55, v55, v55
	v_pk_min_f16 v110, v107, v18
	v_pk_add_f16 v18, v7, v135
	v_pk_min_f16 v0, v53, v0
	v_pk_min_f16 v109, v106, v18
	v_pk_add_f16 v18, v1, v135
	v_pk_max_f16 v31, v31, v31
	v_pk_min_f16 v108, v105, v18
	v_pk_add_f16 v18, v3, v135
	v_pk_max_f16 v57, v57, v57
	v_pk_min_f16 v107, v102, v18
	v_pk_add_f16 v18, v13, v135
	v_pk_min_f16 v4, v55, v4
	v_pk_min_f16 v106, v101, v18
	v_pk_add_f16 v18, v15, v135
	v_pk_max_f16 v54, v54, v54
	v_pk_min_f16 v105, v100, v18
	v_pk_add_f16 v18, v9, v25
	v_pk_min_f16 v2, v31, v2
	v_pk_min_f16 v102, v99, v18
	v_pk_add_f16 v18, v11, v25
	v_pk_max_f16 v30, v30, v30
	v_pk_min_f16 v101, v98, v18
	v_pk_add_f16 v18, v5, v25
	v_pk_max_f16 v58, v58, v58
	v_pk_min_f16 v100, v97, v18
	v_pk_add_f16 v18, v7, v25
	v_pk_min_f16 v8, v57, v8
	v_pk_min_f16 v99, v96, v18
	v_pk_add_f16 v18, v1, v25
	v_pk_max_f16 v56, v56, v56
	v_pk_min_f16 v98, v93, v18
	v_pk_add_f16 v18, v3, v25
	v_pk_min_f16 v6, v54, v6
	v_pk_min_f16 v97, v92, v18
	v_pk_add_f16 v18, v13, v25
	v_pk_min_f16 v12, v30, v12
	;; [unrolled: 3-line block ×4, first 2 shown]
	v_pk_min_f16 v92, v89, v18
	v_pk_add_f16 v18, v11, v27
	s_add_i32 s30, s30, 8
	v_pk_min_f16 v91, v88, v18
	v_pk_add_f16 v18, v5, v27
	s_cmp_ge_i32 s30, s38
	v_pk_min_f16 v90, v87, v18
	v_pk_add_f16 v18, v7, v27
	v_lshl_add_u64 v[40:41], v[40:41], 0, s[16:17]
	v_pk_min_f16 v89, v86, v18
	v_pk_add_f16 v18, v1, v27
	ds_write_b16 v122, v127
	ds_write_b16 v123, v128
	ds_write_b16 v123, v129 offset:512
	ds_write_b16 v123, v130 offset:1024
	;; [unrolled: 1-line block ×3, first 2 shown]
	v_pk_min_f16 v88, v85, v18
	v_pk_add_f16 v18, v3, v27
	s_waitcnt lgkmcnt(0)
	v_pk_min_f16 v87, v84, v18
	v_pk_add_f16 v18, v13, v27
	s_barrier
	v_pk_min_f16 v86, v83, v18
	v_pk_add_f16 v18, v15, v27
	s_nop 0
	v_pk_min_f16 v85, v26, v18
	v_pk_add_f16 v18, v9, v21
	s_nop 0
	;; [unrolled: 3-line block ×17, first 2 shown]
	v_pk_min_f16 v69, v22, v18
	v_pk_add_f16 v18, v9, v17
	v_pk_add_f16 v9, v9, v19
	v_pk_min_f16 v68, v65, v18
	v_pk_add_f16 v18, v11, v17
	s_nop 0
	v_pk_min_f16 v67, v64, v18
	v_pk_add_f16 v18, v5, v17
	v_pk_add_f16 v5, v5, v19
	v_pk_min_f16 v66, v63, v18
	v_pk_add_f16 v18, v7, v17
	v_pk_min_f16 v58, v4, v5
	v_pk_min_f16 v65, v62, v18
	v_pk_add_f16 v18, v1, v17
	v_pk_add_f16 v1, v1, v19
	v_pk_min_f16 v64, v61, v18
	v_pk_min_f16 v55, v0, v1
	v_pk_add_f16 v0, v3, v19
	v_pk_add_f16 v18, v3, v17
	v_pk_min_f16 v54, v2, v0
	v_pk_add_f16 v0, v13, v19
	v_pk_min_f16 v63, v60, v18
	v_pk_add_f16 v18, v13, v17
	v_pk_add_f16 v17, v15, v17
	v_pk_min_f16 v60, v8, v9
	v_pk_add_f16 v8, v11, v19
	;; [unrolled: 3-line block ×3, first 2 shown]
	v_pk_min_f16 v62, v59, v18
	v_pk_min_f16 v61, v16, v17
	;; [unrolled: 1-line block ×5, first 2 shown]
	s_cbranch_scc1 .LBB222_54
.LBB222_34:                             ; =>This Inner Loop Header: Depth=1
	v_add_u32_e32 v46, s30, v51
	v_add_u32_e32 v0, 8, v46
	v_cmp_le_i32_e64 s[14:15], s26, v0
	s_or_b64 s[2:3], vcc, s[14:15]
	v_cndmask_b32_e64 v47, 0, v126, s[2:3]
	s_or_b64 s[2:3], s[4:5], s[2:3]
	s_xor_b64 s[34:35], s[2:3], -1
	s_and_saveexec_b64 s[2:3], s[34:35]
	s_cbranch_execz .LBB222_36
; %bb.35:                               ;   in Loop: Header=BB222_34 Depth=1
	v_lshl_add_u64 v[2:3], v[40:41], 0, v[44:45]
	flat_load_ushort v1, v[2:3]
	s_waitcnt vmcnt(0) lgkmcnt(0)
	v_mul_f16_e32 v47, v50, v1
.LBB222_36:                             ;   in Loop: Header=BB222_34 Depth=1
	s_or_b64 exec, exec, s[2:3]
	v_min_i32_e32 v0, s27, v0
	v_mad_i64_i32 v[0:1], s[2:3], v0, s37, 0
	s_or_b64 s[2:3], s[6:7], s[14:15]
	s_nop 0
	v_cndmask_b32_e64 v127, 0, v126, s[2:3]
	s_or_b64 s[2:3], s[4:5], s[2:3]
	v_lshl_add_u64 v[0:1], v[0:1], 1, s[28:29]
	s_xor_b64 s[34:35], s[2:3], -1
	s_and_saveexec_b64 s[2:3], s[34:35]
	s_cbranch_execz .LBB222_38
; %bb.37:                               ;   in Loop: Header=BB222_34 Depth=1
	v_lshl_add_u64 v[2:3], v[32:33], 1, v[0:1]
	flat_load_ushort v2, v[2:3]
	s_waitcnt vmcnt(0) lgkmcnt(0)
	v_mul_f16_e32 v127, v50, v2
.LBB222_38:                             ;   in Loop: Header=BB222_34 Depth=1
	s_or_b64 exec, exec, s[2:3]
	s_or_b64 s[2:3], s[8:9], s[14:15]
	v_cndmask_b32_e64 v128, 0, v126, s[2:3]
	s_or_b64 s[2:3], s[4:5], s[2:3]
	s_xor_b64 s[34:35], s[2:3], -1
	s_and_saveexec_b64 s[2:3], s[34:35]
	s_cbranch_execz .LBB222_40
; %bb.39:                               ;   in Loop: Header=BB222_34 Depth=1
	v_lshl_add_u64 v[2:3], v[34:35], 1, v[0:1]
	flat_load_ushort v2, v[2:3]
	s_waitcnt vmcnt(0) lgkmcnt(0)
	v_mul_f16_e32 v128, v50, v2
.LBB222_40:                             ;   in Loop: Header=BB222_34 Depth=1
	s_or_b64 exec, exec, s[2:3]
	s_or_b64 s[2:3], s[10:11], s[14:15]
	v_cndmask_b32_e64 v129, 0, v126, s[2:3]
	s_or_b64 s[2:3], s[4:5], s[2:3]
	;; [unrolled: 13-line block ×3, first 2 shown]
	s_xor_b64 s[14:15], s[2:3], -1
	s_and_saveexec_b64 s[2:3], s[14:15]
	s_cbranch_execz .LBB222_44
; %bb.43:                               ;   in Loop: Header=BB222_34 Depth=1
	v_lshl_add_u64 v[0:1], v[38:39], 1, v[0:1]
	flat_load_ushort v0, v[0:1]
	s_waitcnt vmcnt(0) lgkmcnt(0)
	v_mul_f16_e32 v130, v50, v0
.LBB222_44:                             ;   in Loop: Header=BB222_34 Depth=1
	s_or_b64 exec, exec, s[2:3]
	ds_read2_b64 v[12:15], v124 offset1:8
	ds_read2_b64 v[8:11], v124 offset0:16 offset1:24
	ds_read2_b64 v[4:7], v124 offset0:32 offset1:40
	;; [unrolled: 1-line block ×3, first 2 shown]
	ds_read2_b64 v[28:31], v125 offset1:32
	ds_read2_b64 v[24:27], v125 offset0:64 offset1:96
	ds_read2_b64 v[20:23], v125 offset0:128 offset1:160
	;; [unrolled: 1-line block ×3, first 2 shown]
	v_add_u32_e32 v46, 12, v46
	v_cmp_le_i32_e64 s[14:15], s26, v46
	s_or_b64 s[2:3], vcc, s[14:15]
	ds_write_b16 v121, v47
	ds_write_b16 v103, v127
	ds_write_b16 v103, v128 offset:512
	ds_write_b16 v103, v129 offset:1024
	;; [unrolled: 1-line block ×3, first 2 shown]
	v_cndmask_b32_e64 v127, 0, v126, s[2:3]
	s_or_b64 s[2:3], s[4:5], s[2:3]
	s_xor_b64 s[2:3], s[2:3], -1
	s_waitcnt lgkmcnt(0)
	s_barrier
	s_and_saveexec_b64 s[34:35], s[2:3]
	s_xor_b64 s[2:3], exec, s[34:35]
	s_cbranch_execz .LBB222_46
; %bb.45:                               ;   in Loop: Header=BB222_34 Depth=1
	v_lshl_add_u64 v[128:129], v[40:41], 0, v[42:43]
	flat_load_ushort v47, v[128:129]
	s_waitcnt vmcnt(0) lgkmcnt(0)
	v_mul_f16_e32 v127, v50, v47
.LBB222_46:                             ;   in Loop: Header=BB222_34 Depth=1
	s_or_b64 exec, exec, s[2:3]
	v_min_i32_e32 v46, s27, v46
	v_mad_i64_i32 v[46:47], s[2:3], v46, s37, 0
	s_or_b64 s[2:3], s[6:7], s[14:15]
	s_nop 0
	v_cndmask_b32_e64 v128, 0, v126, s[2:3]
	s_or_b64 s[2:3], s[4:5], s[2:3]
	v_lshl_add_u64 v[46:47], v[46:47], 1, s[28:29]
	s_xor_b64 s[34:35], s[2:3], -1
	s_and_saveexec_b64 s[2:3], s[34:35]
	s_cbranch_execz .LBB222_48
; %bb.47:                               ;   in Loop: Header=BB222_34 Depth=1
	v_lshl_add_u64 v[128:129], v[32:33], 1, v[46:47]
	flat_load_ushort v128, v[128:129]
	s_waitcnt vmcnt(0) lgkmcnt(0)
	v_mul_f16_e32 v128, v50, v128
.LBB222_48:                             ;   in Loop: Header=BB222_34 Depth=1
	s_or_b64 exec, exec, s[2:3]
	s_or_b64 s[2:3], s[8:9], s[14:15]
	v_cndmask_b32_e64 v129, 0, v126, s[2:3]
	s_or_b64 s[2:3], s[4:5], s[2:3]
	s_xor_b64 s[34:35], s[2:3], -1
	s_and_saveexec_b64 s[2:3], s[34:35]
	s_cbranch_execz .LBB222_50
; %bb.49:                               ;   in Loop: Header=BB222_34 Depth=1
	v_lshl_add_u64 v[130:131], v[34:35], 1, v[46:47]
	flat_load_ushort v129, v[130:131]
	s_waitcnt vmcnt(0) lgkmcnt(0)
	v_mul_f16_e32 v129, v50, v129
.LBB222_50:                             ;   in Loop: Header=BB222_34 Depth=1
	s_or_b64 exec, exec, s[2:3]
	s_or_b64 s[2:3], s[10:11], s[14:15]
	v_cndmask_b32_e64 v130, 0, v126, s[2:3]
	s_or_b64 s[2:3], s[4:5], s[2:3]
	s_xor_b64 s[34:35], s[2:3], -1
	s_and_saveexec_b64 s[2:3], s[34:35]
	s_cbranch_execz .LBB222_52
; %bb.51:                               ;   in Loop: Header=BB222_34 Depth=1
	v_lshl_add_u64 v[130:131], v[36:37], 1, v[46:47]
	flat_load_ushort v130, v[130:131]
	s_waitcnt vmcnt(0) lgkmcnt(0)
	v_mul_f16_e32 v130, v50, v130
.LBB222_52:                             ;   in Loop: Header=BB222_34 Depth=1
	s_or_b64 exec, exec, s[2:3]
	v_pk_add_f16 v131, v12, v28
	v_pk_max_f16 v120, v120, v120
	v_pk_max_f16 v119, v119, v119
	v_pk_min_f16 v120, v120, v131
	v_pk_add_f16 v131, v14, v28
	v_pk_max_f16 v118, v118, v118
	v_pk_min_f16 v119, v119, v131
	v_pk_add_f16 v131, v8, v28
	v_pk_max_f16 v117, v117, v117
	v_pk_min_f16 v118, v118, v131
	v_pk_add_f16 v131, v10, v28
	v_pk_max_f16 v116, v116, v116
	v_pk_min_f16 v131, v117, v131
	v_pk_add_f16 v117, v4, v28
	v_pk_max_f16 v115, v115, v115
	v_pk_min_f16 v132, v116, v117
	v_pk_add_f16 v116, v6, v28
	v_pk_max_f16 v113, v113, v113
	v_pk_min_f16 v133, v115, v116
	v_pk_add_f16 v115, v0, v28
	v_pk_add_f16 v28, v2, v28
	v_pk_max_f16 v112, v112, v112
	v_pk_min_f16 v28, v113, v28
	v_pk_add_f16 v113, v12, v30
	v_pk_max_f16 v111, v111, v111
	v_pk_min_f16 v135, v112, v113
	v_pk_add_f16 v112, v14, v30
	v_pk_max_f16 v110, v110, v110
	v_pk_min_f16 v136, v111, v112
	v_pk_add_f16 v111, v8, v30
	v_pk_max_f16 v109, v109, v109
	v_pk_min_f16 v137, v110, v111
	v_pk_add_f16 v110, v10, v30
	v_pk_max_f16 v108, v108, v108
	v_pk_min_f16 v138, v109, v110
	v_pk_add_f16 v109, v4, v30
	v_pk_max_f16 v107, v107, v107
	v_pk_min_f16 v139, v108, v109
	v_pk_add_f16 v108, v6, v30
	v_pk_max_f16 v105, v105, v105
	v_pk_min_f16 v140, v107, v108
	v_pk_add_f16 v107, v0, v30
	v_pk_add_f16 v30, v2, v30
	v_pk_max_f16 v102, v102, v102
	v_pk_min_f16 v30, v105, v30
	v_pk_add_f16 v105, v12, v24
	;; [unrolled: 22-line block ×6, first 2 shown]
	v_pk_max_f16 v67, v67, v67
	v_pk_min_f16 v170, v68, v69
	v_pk_add_f16 v68, v14, v16
	v_pk_max_f16 v66, v66, v66
	v_pk_min_f16 v171, v67, v68
	v_pk_add_f16 v67, v8, v16
	;; [unrolled: 3-line block ×5, first 2 shown]
	v_pk_add_f16 v12, v12, v18
	v_pk_min_f16 v175, v63, v64
	v_pk_add_f16 v63, v0, v16
	v_pk_add_f16 v16, v2, v16
	;; [unrolled: 1-line block ×9, first 2 shown]
	v_pk_max_f16 v18, v57, v57
	v_pk_max_f16 v114, v114, v114
	v_pk_min_f16 v2, v18, v2
	v_pk_add_f16 v18, v13, v29
	v_pk_min_f16 v134, v114, v115
	v_pk_min_f16 v117, v120, v18
	v_pk_add_f16 v18, v15, v29
	v_pk_max_f16 v106, v106, v106
	v_pk_min_f16 v116, v119, v18
	v_pk_add_f16 v18, v9, v29
	v_pk_min_f16 v141, v106, v107
	v_pk_min_f16 v115, v118, v18
	v_pk_add_f16 v18, v11, v29
	;; [unrolled: 6-line block ×8, first 2 shown]
	v_pk_max_f16 v60, v60, v60
	v_pk_min_f16 v100, v30, v18
	v_pk_add_f16 v18, v13, v25
	v_pk_max_f16 v58, v58, v58
	v_pk_min_f16 v99, v142, v18
	v_pk_add_f16 v18, v15, v25
	;; [unrolled: 3-line block ×4, first 2 shown]
	v_pk_min_f16 v12, v60, v12
	v_pk_min_f16 v96, v145, v18
	v_pk_add_f16 v18, v5, v25
	v_pk_max_f16 v59, v59, v59
	v_pk_min_f16 v93, v146, v18
	v_pk_add_f16 v18, v7, v25
	v_pk_min_f16 v8, v58, v8
	v_pk_min_f16 v92, v147, v18
	v_pk_add_f16 v18, v1, v25
	v_pk_max_f16 v56, v56, v56
	v_pk_min_f16 v91, v148, v18
	v_pk_add_f16 v18, v3, v25
	v_pk_min_f16 v4, v55, v4
	v_pk_min_f16 v90, v24, v18
	v_pk_add_f16 v18, v13, v27
	v_pk_max_f16 v54, v54, v54
	v_pk_min_f16 v89, v149, v18
	v_pk_add_f16 v18, v15, v27
	v_pk_min_f16 v0, v53, v0
	v_pk_min_f16 v88, v150, v18
	v_pk_add_f16 v18, v9, v27
	s_or_b64 s[2:3], s[12:13], s[14:15]
	v_pk_min_f16 v87, v151, v18
	v_pk_add_f16 v18, v11, v27
	v_pk_min_f16 v14, v59, v14
	v_pk_min_f16 v86, v152, v18
	v_pk_add_f16 v18, v5, v27
	v_pk_min_f16 v10, v56, v10
	;; [unrolled: 3-line block ×3, first 2 shown]
	v_pk_min_f16 v84, v154, v18
	v_pk_add_f16 v18, v1, v27
	v_cndmask_b32_e64 v28, 0, v126, s[2:3]
	v_pk_min_f16 v83, v155, v18
	v_pk_add_f16 v18, v3, v27
	s_or_b64 s[2:3], s[4:5], s[2:3]
	v_pk_min_f16 v82, v26, v18
	v_pk_add_f16 v18, v13, v21
	s_xor_b64 s[14:15], s[2:3], -1
	v_pk_min_f16 v81, v156, v18
	v_pk_add_f16 v18, v15, v21
	s_nop 0
	v_pk_min_f16 v80, v157, v18
	v_pk_add_f16 v18, v9, v21
	s_nop 0
	;; [unrolled: 3-line block ×15, first 2 shown]
	v_pk_min_f16 v66, v22, v18
	v_pk_add_f16 v18, v13, v17
	v_pk_add_f16 v13, v13, v19
	v_pk_min_f16 v65, v170, v18
	v_pk_add_f16 v18, v15, v17
	v_pk_min_f16 v57, v12, v13
	v_pk_min_f16 v64, v171, v18
	v_pk_add_f16 v18, v9, v17
	v_pk_add_f16 v9, v9, v19
	v_pk_min_f16 v63, v172, v18
	v_pk_add_f16 v18, v11, v17
	v_pk_add_f16 v12, v15, v19
	;; [unrolled: 3-line block ×3, first 2 shown]
	v_pk_min_f16 v61, v174, v18
	v_pk_add_f16 v18, v7, v17
	v_pk_min_f16 v55, v8, v9
	v_pk_min_f16 v60, v175, v18
	v_pk_add_f16 v18, v1, v17
	v_pk_add_f16 v1, v1, v19
	;; [unrolled: 1-line block ×4, first 2 shown]
	v_pk_min_f16 v53, v4, v5
	v_pk_add_f16 v4, v7, v19
	v_pk_min_f16 v30, v0, v1
	v_pk_add_f16 v0, v3, v19
	v_pk_min_f16 v59, v176, v18
	v_pk_min_f16 v58, v16, v17
	v_pk_min_f16 v56, v14, v12
	v_pk_min_f16 v54, v10, v8
	v_pk_min_f16 v31, v6, v4
	v_pk_min_f16 v29, v2, v0
	s_and_saveexec_b64 s[2:3], s[14:15]
	s_cbranch_execz .LBB222_33
; %bb.53:                               ;   in Loop: Header=BB222_34 Depth=1
	v_lshl_add_u64 v[0:1], v[38:39], 1, v[46:47]
	flat_load_ushort v0, v[0:1]
	s_waitcnt vmcnt(0) lgkmcnt(0)
	v_mul_f16_e32 v28, v50, v0
	s_branch .LBB222_33
.LBB222_54:
	s_load_dwordx2 s[2:3], s[0:1], 0x78
	s_load_dword s29, s[0:1], 0x58
	s_load_dword s28, s[0:1], 0x70
	v_add_u32_e32 v0, 0x1000, v94
	v_add_u32_e32 v4, 0x800, v95
	ds_read2_b64 v[16:19], v0 offset0:64 offset1:72
	ds_read2_b64 v[12:15], v0 offset0:80 offset1:88
	;; [unrolled: 1-line block ×4, first 2 shown]
	ds_read2_b64 v[28:31], v4 offset1:32
	ds_read2_b64 v[24:27], v4 offset0:64 offset1:96
	ds_read2_b64 v[20:23], v4 offset0:128 offset1:160
	;; [unrolled: 1-line block ×3, first 2 shown]
	s_waitcnt lgkmcnt(0)
	s_lshl_b64 s[0:1], s[2:3], 1
	s_add_u32 s26, s18, s0
	v_add_u32_e32 v94, s36, v49
	s_addc_u32 s27, s19, s1
	v_mad_i64_i32 v[34:35], s[0:1], v94, s29, 0
	v_add_u32_e32 v32, s33, v48
	v_lshl_add_u64 v[50:51], v[34:35], 1, s[22:23]
	v_mad_i64_i32 v[34:35], s[0:1], v94, s28, 0
	v_cmp_gt_i32_e64 s[4:5], s24, v32
	v_cmp_gt_i32_e64 s[18:19], s25, v94
	v_lshl_add_u64 v[48:49], v[34:35], 1, s[26:27]
	v_cndmask_b32_e64 v34, 0, 1, s[20:21]
	v_ashrrev_i32_e32 v33, 31, v32
	s_and_b64 s[2:3], s[4:5], s[18:19]
	v_cmp_ne_u32_e64 s[0:1], 1, v34
	s_and_saveexec_b64 s[6:7], s[2:3]
	s_xor_b64 s[2:3], exec, s[6:7]
	s_cbranch_execz .LBB222_59
; %bb.55:
	s_and_b64 vcc, exec, s[0:1]
	s_cbranch_vccnz .LBB222_57
; %bb.56:
	v_lshl_add_u64 v[34:35], v[32:33], 1, v[50:51]
	flat_load_ushort v34, v[34:35]
	s_waitcnt vmcnt(0) lgkmcnt(0)
	v_mul_f16_e32 v34, v52, v34
	s_branch .LBB222_58
.LBB222_57:
	v_mov_b32_e32 v34, 0
.LBB222_58:
	v_pk_add_f16 v35, v16, v28
	v_pk_max_f16 v36, v120, v120
	s_nop 0
	v_pk_min_f16 v35, v36, v35
	v_pk_add_f16 v36, v17, v29
	s_nop 0
	v_pk_min_f16 v35, v35, v36
	s_nop 0
	v_lshrrev_b32_e32 v36, 16, v35
	v_min3_f16 v36, v34, v35, v36
	v_lshl_add_u64 v[34:35], v[32:33], 1, v[48:49]
	global_store_short v[34:35], v36, off
.LBB222_59:
	s_or_b64 exec, exec, s[2:3]
	v_add_u32_e32 v34, 8, v32
	v_cmp_gt_i32_e64 s[2:3], s24, v34
	v_ashrrev_i32_e32 v35, 31, v34
	s_and_b64 s[8:9], s[2:3], s[18:19]
	s_and_saveexec_b64 s[6:7], s[8:9]
	s_cbranch_execz .LBB222_64
; %bb.60:
	s_and_b64 vcc, exec, s[0:1]
	s_cbranch_vccnz .LBB222_62
; %bb.61:
	v_lshl_add_u64 v[36:37], v[34:35], 1, v[50:51]
	flat_load_ushort v36, v[36:37]
	s_waitcnt vmcnt(0) lgkmcnt(0)
	v_mul_f16_e32 v36, v52, v36
	s_branch .LBB222_63
.LBB222_62:
	v_mov_b32_e32 v36, 0
.LBB222_63:
	v_pk_add_f16 v37, v18, v28
	v_pk_max_f16 v38, v119, v119
	s_nop 0
	v_pk_min_f16 v37, v38, v37
	v_pk_add_f16 v38, v19, v29
	s_nop 0
	v_pk_min_f16 v37, v37, v38
	s_nop 0
	v_lshrrev_b32_e32 v38, 16, v37
	v_min3_f16 v38, v36, v37, v38
	v_lshl_add_u64 v[36:37], v[34:35], 1, v[48:49]
	global_store_short v[36:37], v38, off
.LBB222_64:
	s_or_b64 exec, exec, s[6:7]
	v_add_u32_e32 v36, 16, v32
	v_cmp_gt_i32_e64 s[6:7], s24, v36
	v_ashrrev_i32_e32 v37, 31, v36
	s_and_b64 s[10:11], s[6:7], s[18:19]
	s_and_saveexec_b64 s[8:9], s[10:11]
	s_cbranch_execz .LBB222_69
; %bb.65:
	s_and_b64 vcc, exec, s[0:1]
	s_cbranch_vccnz .LBB222_67
; %bb.66:
	v_lshl_add_u64 v[38:39], v[36:37], 1, v[50:51]
	flat_load_ushort v38, v[38:39]
	s_waitcnt vmcnt(0) lgkmcnt(0)
	v_mul_f16_e32 v38, v52, v38
	s_branch .LBB222_68
.LBB222_67:
	v_mov_b32_e32 v38, 0
.LBB222_68:
	v_pk_add_f16 v39, v12, v28
	v_pk_max_f16 v40, v118, v118
	s_nop 0
	v_pk_min_f16 v39, v40, v39
	v_pk_add_f16 v40, v13, v29
	s_nop 0
	v_pk_min_f16 v39, v39, v40
	s_nop 0
	v_lshrrev_b32_e32 v40, 16, v39
	v_min3_f16 v40, v38, v39, v40
	v_lshl_add_u64 v[38:39], v[36:37], 1, v[48:49]
	global_store_short v[38:39], v40, off
.LBB222_69:
	s_or_b64 exec, exec, s[8:9]
	v_add_u32_e32 v38, 24, v32
	v_cmp_gt_i32_e64 s[8:9], s24, v38
	v_ashrrev_i32_e32 v39, 31, v38
	s_and_b64 s[12:13], s[8:9], s[18:19]
	s_and_saveexec_b64 s[10:11], s[12:13]
	s_cbranch_execz .LBB222_74
; %bb.70:
	s_and_b64 vcc, exec, s[0:1]
	s_cbranch_vccnz .LBB222_72
; %bb.71:
	v_lshl_add_u64 v[40:41], v[38:39], 1, v[50:51]
	flat_load_ushort v40, v[40:41]
	s_waitcnt vmcnt(0) lgkmcnt(0)
	v_mul_f16_e32 v40, v52, v40
	s_branch .LBB222_73
.LBB222_72:
	v_mov_b32_e32 v40, 0
.LBB222_73:
	v_pk_add_f16 v41, v14, v28
	v_pk_max_f16 v42, v117, v117
	s_nop 0
	v_pk_min_f16 v41, v42, v41
	v_pk_add_f16 v42, v15, v29
	s_nop 0
	v_pk_min_f16 v41, v41, v42
	s_nop 0
	v_lshrrev_b32_e32 v42, 16, v41
	v_min3_f16 v42, v40, v41, v42
	v_lshl_add_u64 v[40:41], v[38:39], 1, v[48:49]
	global_store_short v[40:41], v42, off
.LBB222_74:
	s_or_b64 exec, exec, s[10:11]
	v_add_u32_e32 v40, 32, v32
	v_cmp_gt_i32_e64 s[10:11], s24, v40
	v_ashrrev_i32_e32 v41, 31, v40
	s_and_b64 s[14:15], s[10:11], s[18:19]
	s_and_saveexec_b64 s[12:13], s[14:15]
	s_cbranch_execz .LBB222_79
; %bb.75:
	s_and_b64 vcc, exec, s[0:1]
	s_cbranch_vccnz .LBB222_77
; %bb.76:
	v_lshl_add_u64 v[42:43], v[40:41], 1, v[50:51]
	flat_load_ushort v42, v[42:43]
	s_waitcnt vmcnt(0) lgkmcnt(0)
	v_mul_f16_e32 v42, v52, v42
	s_branch .LBB222_78
.LBB222_77:
	v_mov_b32_e32 v42, 0
.LBB222_78:
	v_pk_add_f16 v43, v8, v28
	v_pk_max_f16 v44, v116, v116
	s_nop 0
	v_pk_min_f16 v43, v44, v43
	v_pk_add_f16 v44, v9, v29
	s_nop 0
	v_pk_min_f16 v43, v43, v44
	s_nop 0
	v_lshrrev_b32_e32 v44, 16, v43
	v_min3_f16 v44, v42, v43, v44
	v_lshl_add_u64 v[42:43], v[40:41], 1, v[48:49]
	global_store_short v[42:43], v44, off
.LBB222_79:
	s_or_b64 exec, exec, s[12:13]
	v_add_u32_e32 v42, 40, v32
	v_cmp_gt_i32_e64 s[12:13], s24, v42
	v_ashrrev_i32_e32 v43, 31, v42
	s_and_b64 s[16:17], s[12:13], s[18:19]
	s_and_saveexec_b64 s[14:15], s[16:17]
	s_cbranch_execz .LBB222_84
; %bb.80:
	s_and_b64 vcc, exec, s[0:1]
	s_cbranch_vccnz .LBB222_82
; %bb.81:
	v_lshl_add_u64 v[44:45], v[42:43], 1, v[50:51]
	flat_load_ushort v44, v[44:45]
	s_waitcnt vmcnt(0) lgkmcnt(0)
	v_mul_f16_e32 v44, v52, v44
	s_branch .LBB222_83
.LBB222_82:
	v_mov_b32_e32 v44, 0
.LBB222_83:
	v_pk_add_f16 v45, v10, v28
	v_pk_max_f16 v46, v115, v115
	s_nop 0
	v_pk_min_f16 v45, v46, v45
	v_pk_add_f16 v46, v11, v29
	s_nop 0
	v_pk_min_f16 v45, v45, v46
	s_nop 0
	v_lshrrev_b32_e32 v46, 16, v45
	v_min3_f16 v46, v44, v45, v46
	v_lshl_add_u64 v[44:45], v[42:43], 1, v[48:49]
	global_store_short v[44:45], v46, off
.LBB222_84:
	s_or_b64 exec, exec, s[14:15]
	v_add_u32_e32 v44, 48, v32
	v_cmp_gt_i32_e64 s[14:15], s24, v44
	v_ashrrev_i32_e32 v45, 31, v44
	s_and_b64 s[20:21], s[14:15], s[18:19]
	s_and_saveexec_b64 s[16:17], s[20:21]
	s_cbranch_execz .LBB222_89
; %bb.85:
	s_and_b64 vcc, exec, s[0:1]
	s_cbranch_vccnz .LBB222_87
; %bb.86:
	v_lshl_add_u64 v[46:47], v[44:45], 1, v[50:51]
	flat_load_ushort v46, v[46:47]
	s_waitcnt vmcnt(0) lgkmcnt(0)
	v_mul_f16_e32 v46, v52, v46
	s_branch .LBB222_88
.LBB222_87:
	v_mov_b32_e32 v46, 0
.LBB222_88:
	v_pk_add_f16 v47, v0, v28
	v_pk_max_f16 v95, v114, v114
	s_nop 0
	v_pk_min_f16 v47, v95, v47
	v_pk_add_f16 v95, v1, v29
	s_nop 0
	v_pk_min_f16 v47, v47, v95
	s_nop 0
	v_lshrrev_b32_e32 v95, 16, v47
	v_min3_f16 v95, v46, v47, v95
	v_lshl_add_u64 v[46:47], v[44:45], 1, v[48:49]
	global_store_short v[46:47], v95, off
.LBB222_89:
	s_or_b64 exec, exec, s[16:17]
	v_add_u32_e32 v46, 56, v32
	v_cmp_gt_i32_e64 s[16:17], s24, v46
	v_ashrrev_i32_e32 v47, 31, v46
	s_and_b64 s[20:21], s[16:17], s[18:19]
	s_and_saveexec_b64 s[18:19], s[20:21]
	s_cbranch_execz .LBB222_94
; %bb.90:
	s_and_b64 vcc, exec, s[0:1]
	s_cbranch_vccnz .LBB222_92
; %bb.91:
	v_lshl_add_u64 v[50:51], v[46:47], 1, v[50:51]
	flat_load_ushort v50, v[50:51]
	s_waitcnt vmcnt(0) lgkmcnt(0)
	v_mul_f16_e32 v50, v52, v50
	s_branch .LBB222_93
.LBB222_92:
	v_mov_b32_e32 v50, 0
.LBB222_93:
	v_pk_add_f16 v28, v2, v28
	v_pk_max_f16 v51, v113, v113
	v_pk_add_f16 v29, v3, v29
	v_pk_min_f16 v28, v51, v28
	s_nop 0
	v_pk_min_f16 v28, v28, v29
	s_nop 0
	v_lshrrev_b32_e32 v29, 16, v28
	v_min3_f16 v50, v50, v28, v29
	v_lshl_add_u64 v[28:29], v[46:47], 1, v[48:49]
	global_store_short v[28:29], v50, off
.LBB222_94:
	s_or_b64 exec, exec, s[18:19]
	v_add_u32_e32 v50, 32, v94
	v_mad_i64_i32 v[28:29], s[20:21], v50, s29, 0
	v_cmp_gt_i32_e64 s[18:19], s25, v50
	v_lshl_add_u64 v[48:49], v[28:29], 1, s[22:23]
	v_mad_i64_i32 v[28:29], s[20:21], v50, s28, 0
	v_lshl_add_u64 v[28:29], v[28:29], 1, s[26:27]
	s_and_b64 s[30:31], s[4:5], s[18:19]
	s_and_saveexec_b64 s[20:21], s[30:31]
	s_cbranch_execnz .LBB222_102
; %bb.95:
	s_or_b64 exec, exec, s[20:21]
	s_and_b64 s[30:31], s[2:3], s[18:19]
	s_and_saveexec_b64 s[20:21], s[30:31]
	s_cbranch_execnz .LBB222_106
.LBB222_96:
	s_or_b64 exec, exec, s[20:21]
	s_and_b64 s[30:31], s[6:7], s[18:19]
	s_and_saveexec_b64 s[20:21], s[30:31]
	s_cbranch_execnz .LBB222_110
.LBB222_97:
	s_or_b64 exec, exec, s[20:21]
	s_and_b64 s[30:31], s[8:9], s[18:19]
	s_and_saveexec_b64 s[20:21], s[30:31]
	s_cbranch_execnz .LBB222_114
.LBB222_98:
	s_or_b64 exec, exec, s[20:21]
	s_and_b64 s[30:31], s[10:11], s[18:19]
	s_and_saveexec_b64 s[20:21], s[30:31]
	s_cbranch_execnz .LBB222_118
.LBB222_99:
	s_or_b64 exec, exec, s[20:21]
	s_and_b64 s[30:31], s[12:13], s[18:19]
	s_and_saveexec_b64 s[20:21], s[30:31]
	s_cbranch_execnz .LBB222_122
.LBB222_100:
	s_or_b64 exec, exec, s[20:21]
	s_and_b64 s[30:31], s[14:15], s[18:19]
	s_and_saveexec_b64 s[20:21], s[30:31]
	s_cbranch_execnz .LBB222_126
.LBB222_101:
	s_or_b64 exec, exec, s[20:21]
	s_and_b64 s[20:21], s[16:17], s[18:19]
	s_and_saveexec_b64 s[18:19], s[20:21]
	s_cbranch_execnz .LBB222_130
	s_branch .LBB222_134
.LBB222_102:
	s_and_b64 vcc, exec, s[0:1]
	s_cbranch_vccnz .LBB222_104
; %bb.103:
	v_lshl_add_u64 v[50:51], v[32:33], 1, v[48:49]
	flat_load_ushort v50, v[50:51]
	s_waitcnt vmcnt(0) lgkmcnt(0)
	v_mul_f16_e32 v50, v52, v50
	s_branch .LBB222_105
.LBB222_104:
	v_mov_b32_e32 v50, 0
.LBB222_105:
	v_pk_add_f16 v51, v16, v30
	v_pk_max_f16 v95, v112, v112
	s_nop 0
	v_pk_min_f16 v51, v95, v51
	v_pk_add_f16 v95, v17, v31
	s_nop 0
	v_pk_min_f16 v51, v51, v95
	s_nop 0
	v_lshrrev_b32_e32 v95, 16, v51
	v_min3_f16 v95, v50, v51, v95
	v_lshl_add_u64 v[50:51], v[32:33], 1, v[28:29]
	global_store_short v[50:51], v95, off
	s_or_b64 exec, exec, s[20:21]
	s_and_b64 s[30:31], s[2:3], s[18:19]
	s_and_saveexec_b64 s[20:21], s[30:31]
	s_cbranch_execz .LBB222_96
.LBB222_106:
	s_and_b64 vcc, exec, s[0:1]
	s_cbranch_vccnz .LBB222_108
; %bb.107:
	v_lshl_add_u64 v[50:51], v[34:35], 1, v[48:49]
	flat_load_ushort v50, v[50:51]
	s_waitcnt vmcnt(0) lgkmcnt(0)
	v_mul_f16_e32 v50, v52, v50
	s_branch .LBB222_109
.LBB222_108:
	v_mov_b32_e32 v50, 0
.LBB222_109:
	v_pk_add_f16 v51, v18, v30
	v_pk_max_f16 v95, v111, v111
	s_nop 0
	v_pk_min_f16 v51, v95, v51
	v_pk_add_f16 v95, v19, v31
	s_nop 0
	v_pk_min_f16 v51, v51, v95
	s_nop 0
	v_lshrrev_b32_e32 v95, 16, v51
	v_min3_f16 v95, v50, v51, v95
	v_lshl_add_u64 v[50:51], v[34:35], 1, v[28:29]
	global_store_short v[50:51], v95, off
	s_or_b64 exec, exec, s[20:21]
	s_and_b64 s[30:31], s[6:7], s[18:19]
	s_and_saveexec_b64 s[20:21], s[30:31]
	s_cbranch_execz .LBB222_97
.LBB222_110:
	s_and_b64 vcc, exec, s[0:1]
	s_cbranch_vccnz .LBB222_112
; %bb.111:
	v_lshl_add_u64 v[50:51], v[36:37], 1, v[48:49]
	flat_load_ushort v50, v[50:51]
	s_waitcnt vmcnt(0) lgkmcnt(0)
	v_mul_f16_e32 v50, v52, v50
	s_branch .LBB222_113
.LBB222_112:
	v_mov_b32_e32 v50, 0
.LBB222_113:
	v_pk_add_f16 v51, v12, v30
	v_pk_max_f16 v95, v110, v110
	s_nop 0
	v_pk_min_f16 v51, v95, v51
	v_pk_add_f16 v95, v13, v31
	s_nop 0
	v_pk_min_f16 v51, v51, v95
	s_nop 0
	v_lshrrev_b32_e32 v95, 16, v51
	v_min3_f16 v95, v50, v51, v95
	v_lshl_add_u64 v[50:51], v[36:37], 1, v[28:29]
	global_store_short v[50:51], v95, off
	s_or_b64 exec, exec, s[20:21]
	s_and_b64 s[30:31], s[8:9], s[18:19]
	s_and_saveexec_b64 s[20:21], s[30:31]
	s_cbranch_execz .LBB222_98
.LBB222_114:
	s_and_b64 vcc, exec, s[0:1]
	s_cbranch_vccnz .LBB222_116
; %bb.115:
	v_lshl_add_u64 v[50:51], v[38:39], 1, v[48:49]
	flat_load_ushort v50, v[50:51]
	s_waitcnt vmcnt(0) lgkmcnt(0)
	v_mul_f16_e32 v50, v52, v50
	s_branch .LBB222_117
.LBB222_116:
	v_mov_b32_e32 v50, 0
.LBB222_117:
	v_pk_add_f16 v51, v14, v30
	v_pk_max_f16 v95, v109, v109
	s_nop 0
	v_pk_min_f16 v51, v95, v51
	v_pk_add_f16 v95, v15, v31
	s_nop 0
	v_pk_min_f16 v51, v51, v95
	s_nop 0
	v_lshrrev_b32_e32 v95, 16, v51
	v_min3_f16 v95, v50, v51, v95
	v_lshl_add_u64 v[50:51], v[38:39], 1, v[28:29]
	global_store_short v[50:51], v95, off
	s_or_b64 exec, exec, s[20:21]
	s_and_b64 s[30:31], s[10:11], s[18:19]
	s_and_saveexec_b64 s[20:21], s[30:31]
	s_cbranch_execz .LBB222_99
.LBB222_118:
	s_and_b64 vcc, exec, s[0:1]
	s_cbranch_vccnz .LBB222_120
; %bb.119:
	v_lshl_add_u64 v[50:51], v[40:41], 1, v[48:49]
	flat_load_ushort v50, v[50:51]
	s_waitcnt vmcnt(0) lgkmcnt(0)
	v_mul_f16_e32 v50, v52, v50
	s_branch .LBB222_121
.LBB222_120:
	v_mov_b32_e32 v50, 0
.LBB222_121:
	v_pk_add_f16 v51, v8, v30
	v_pk_max_f16 v95, v108, v108
	s_nop 0
	v_pk_min_f16 v51, v95, v51
	v_pk_add_f16 v95, v9, v31
	s_nop 0
	v_pk_min_f16 v51, v51, v95
	s_nop 0
	v_lshrrev_b32_e32 v95, 16, v51
	v_min3_f16 v95, v50, v51, v95
	v_lshl_add_u64 v[50:51], v[40:41], 1, v[28:29]
	global_store_short v[50:51], v95, off
	s_or_b64 exec, exec, s[20:21]
	s_and_b64 s[30:31], s[12:13], s[18:19]
	s_and_saveexec_b64 s[20:21], s[30:31]
	s_cbranch_execz .LBB222_100
.LBB222_122:
	s_and_b64 vcc, exec, s[0:1]
	s_cbranch_vccnz .LBB222_124
; %bb.123:
	v_lshl_add_u64 v[50:51], v[42:43], 1, v[48:49]
	flat_load_ushort v50, v[50:51]
	s_waitcnt vmcnt(0) lgkmcnt(0)
	v_mul_f16_e32 v50, v52, v50
	s_branch .LBB222_125
.LBB222_124:
	v_mov_b32_e32 v50, 0
.LBB222_125:
	v_pk_add_f16 v51, v10, v30
	v_pk_max_f16 v95, v107, v107
	s_nop 0
	v_pk_min_f16 v51, v95, v51
	v_pk_add_f16 v95, v11, v31
	s_nop 0
	v_pk_min_f16 v51, v51, v95
	s_nop 0
	v_lshrrev_b32_e32 v95, 16, v51
	v_min3_f16 v95, v50, v51, v95
	v_lshl_add_u64 v[50:51], v[42:43], 1, v[28:29]
	global_store_short v[50:51], v95, off
	s_or_b64 exec, exec, s[20:21]
	s_and_b64 s[30:31], s[14:15], s[18:19]
	s_and_saveexec_b64 s[20:21], s[30:31]
	s_cbranch_execz .LBB222_101
.LBB222_126:
	s_and_b64 vcc, exec, s[0:1]
	s_cbranch_vccnz .LBB222_128
; %bb.127:
	v_lshl_add_u64 v[50:51], v[44:45], 1, v[48:49]
	flat_load_ushort v50, v[50:51]
	s_waitcnt vmcnt(0) lgkmcnt(0)
	v_mul_f16_e32 v50, v52, v50
	s_branch .LBB222_129
.LBB222_128:
	v_mov_b32_e32 v50, 0
.LBB222_129:
	v_pk_add_f16 v51, v0, v30
	v_pk_max_f16 v95, v106, v106
	s_nop 0
	v_pk_min_f16 v51, v95, v51
	v_pk_add_f16 v95, v1, v31
	s_nop 0
	v_pk_min_f16 v51, v51, v95
	s_nop 0
	v_lshrrev_b32_e32 v95, 16, v51
	v_min3_f16 v95, v50, v51, v95
	v_lshl_add_u64 v[50:51], v[44:45], 1, v[28:29]
	global_store_short v[50:51], v95, off
	s_or_b64 exec, exec, s[20:21]
	s_and_b64 s[20:21], s[16:17], s[18:19]
	s_and_saveexec_b64 s[18:19], s[20:21]
	s_cbranch_execz .LBB222_134
.LBB222_130:
	s_and_b64 vcc, exec, s[0:1]
	s_cbranch_vccnz .LBB222_132
; %bb.131:
	v_lshl_add_u64 v[48:49], v[46:47], 1, v[48:49]
	flat_load_ushort v48, v[48:49]
	s_waitcnt vmcnt(0) lgkmcnt(0)
	v_mul_f16_e32 v48, v52, v48
	s_branch .LBB222_133
.LBB222_132:
	v_mov_b32_e32 v48, 0
.LBB222_133:
	v_pk_add_f16 v30, v2, v30
	v_pk_max_f16 v49, v105, v105
	v_pk_add_f16 v31, v3, v31
	v_pk_min_f16 v30, v49, v30
	v_lshl_add_u64 v[28:29], v[46:47], 1, v[28:29]
	v_pk_min_f16 v30, v30, v31
	s_nop 0
	v_lshrrev_b32_e32 v31, 16, v30
	v_min3_f16 v30, v48, v30, v31
	global_store_short v[28:29], v30, off
.LBB222_134:
	s_or_b64 exec, exec, s[18:19]
	v_add_u32_e32 v48, 64, v94
	v_mad_i64_i32 v[28:29], s[20:21], v48, s29, 0
	v_cmp_gt_i32_e64 s[18:19], s25, v48
	v_lshl_add_u64 v[30:31], v[28:29], 1, s[22:23]
	v_mad_i64_i32 v[28:29], s[20:21], v48, s28, 0
	v_lshl_add_u64 v[28:29], v[28:29], 1, s[26:27]
	s_and_b64 s[30:31], s[4:5], s[18:19]
	s_and_saveexec_b64 s[20:21], s[30:31]
	s_cbranch_execnz .LBB222_142
; %bb.135:
	s_or_b64 exec, exec, s[20:21]
	s_and_b64 s[30:31], s[2:3], s[18:19]
	s_and_saveexec_b64 s[20:21], s[30:31]
	s_cbranch_execnz .LBB222_146
.LBB222_136:
	s_or_b64 exec, exec, s[20:21]
	s_and_b64 s[30:31], s[6:7], s[18:19]
	s_and_saveexec_b64 s[20:21], s[30:31]
	s_cbranch_execnz .LBB222_150
.LBB222_137:
	s_or_b64 exec, exec, s[20:21]
	s_and_b64 s[30:31], s[8:9], s[18:19]
	s_and_saveexec_b64 s[20:21], s[30:31]
	s_cbranch_execnz .LBB222_154
.LBB222_138:
	s_or_b64 exec, exec, s[20:21]
	s_and_b64 s[30:31], s[10:11], s[18:19]
	s_and_saveexec_b64 s[20:21], s[30:31]
	s_cbranch_execnz .LBB222_158
.LBB222_139:
	s_or_b64 exec, exec, s[20:21]
	s_and_b64 s[30:31], s[12:13], s[18:19]
	s_and_saveexec_b64 s[20:21], s[30:31]
	s_cbranch_execnz .LBB222_162
.LBB222_140:
	s_or_b64 exec, exec, s[20:21]
	s_and_b64 s[30:31], s[14:15], s[18:19]
	s_and_saveexec_b64 s[20:21], s[30:31]
	s_cbranch_execnz .LBB222_166
.LBB222_141:
	s_or_b64 exec, exec, s[20:21]
	s_and_b64 s[20:21], s[16:17], s[18:19]
	s_and_saveexec_b64 s[18:19], s[20:21]
	s_cbranch_execnz .LBB222_170
	s_branch .LBB222_174
.LBB222_142:
	s_and_b64 vcc, exec, s[0:1]
	s_cbranch_vccnz .LBB222_144
; %bb.143:
	v_lshl_add_u64 v[48:49], v[32:33], 1, v[30:31]
	flat_load_ushort v48, v[48:49]
	s_waitcnt vmcnt(0) lgkmcnt(0)
	v_mul_f16_e32 v48, v52, v48
	s_branch .LBB222_145
.LBB222_144:
	v_mov_b32_e32 v48, 0
.LBB222_145:
	v_pk_add_f16 v49, v16, v24
	v_pk_max_f16 v50, v102, v102
	s_nop 0
	v_pk_min_f16 v49, v50, v49
	v_pk_add_f16 v50, v17, v25
	s_nop 0
	v_pk_min_f16 v49, v49, v50
	s_nop 0
	v_lshrrev_b32_e32 v50, 16, v49
	v_min3_f16 v50, v48, v49, v50
	v_lshl_add_u64 v[48:49], v[32:33], 1, v[28:29]
	global_store_short v[48:49], v50, off
	s_or_b64 exec, exec, s[20:21]
	s_and_b64 s[30:31], s[2:3], s[18:19]
	s_and_saveexec_b64 s[20:21], s[30:31]
	s_cbranch_execz .LBB222_136
.LBB222_146:
	s_and_b64 vcc, exec, s[0:1]
	s_cbranch_vccnz .LBB222_148
; %bb.147:
	v_lshl_add_u64 v[48:49], v[34:35], 1, v[30:31]
	flat_load_ushort v48, v[48:49]
	s_waitcnt vmcnt(0) lgkmcnt(0)
	v_mul_f16_e32 v48, v52, v48
	s_branch .LBB222_149
.LBB222_148:
	v_mov_b32_e32 v48, 0
.LBB222_149:
	v_pk_add_f16 v49, v18, v24
	v_pk_max_f16 v50, v101, v101
	s_nop 0
	v_pk_min_f16 v49, v50, v49
	v_pk_add_f16 v50, v19, v25
	s_nop 0
	v_pk_min_f16 v49, v49, v50
	s_nop 0
	v_lshrrev_b32_e32 v50, 16, v49
	v_min3_f16 v50, v48, v49, v50
	v_lshl_add_u64 v[48:49], v[34:35], 1, v[28:29]
	global_store_short v[48:49], v50, off
	s_or_b64 exec, exec, s[20:21]
	s_and_b64 s[30:31], s[6:7], s[18:19]
	s_and_saveexec_b64 s[20:21], s[30:31]
	s_cbranch_execz .LBB222_137
.LBB222_150:
	s_and_b64 vcc, exec, s[0:1]
	s_cbranch_vccnz .LBB222_152
; %bb.151:
	v_lshl_add_u64 v[48:49], v[36:37], 1, v[30:31]
	flat_load_ushort v48, v[48:49]
	s_waitcnt vmcnt(0) lgkmcnt(0)
	v_mul_f16_e32 v48, v52, v48
	s_branch .LBB222_153
.LBB222_152:
	v_mov_b32_e32 v48, 0
.LBB222_153:
	v_pk_add_f16 v49, v12, v24
	v_pk_max_f16 v50, v100, v100
	s_nop 0
	v_pk_min_f16 v49, v50, v49
	v_pk_add_f16 v50, v13, v25
	s_nop 0
	v_pk_min_f16 v49, v49, v50
	s_nop 0
	v_lshrrev_b32_e32 v50, 16, v49
	v_min3_f16 v50, v48, v49, v50
	v_lshl_add_u64 v[48:49], v[36:37], 1, v[28:29]
	global_store_short v[48:49], v50, off
	s_or_b64 exec, exec, s[20:21]
	s_and_b64 s[30:31], s[8:9], s[18:19]
	s_and_saveexec_b64 s[20:21], s[30:31]
	s_cbranch_execz .LBB222_138
.LBB222_154:
	s_and_b64 vcc, exec, s[0:1]
	s_cbranch_vccnz .LBB222_156
; %bb.155:
	v_lshl_add_u64 v[48:49], v[38:39], 1, v[30:31]
	flat_load_ushort v48, v[48:49]
	s_waitcnt vmcnt(0) lgkmcnt(0)
	v_mul_f16_e32 v48, v52, v48
	s_branch .LBB222_157
.LBB222_156:
	v_mov_b32_e32 v48, 0
.LBB222_157:
	v_pk_add_f16 v49, v14, v24
	v_pk_max_f16 v50, v99, v99
	s_nop 0
	v_pk_min_f16 v49, v50, v49
	v_pk_add_f16 v50, v15, v25
	s_nop 0
	v_pk_min_f16 v49, v49, v50
	s_nop 0
	v_lshrrev_b32_e32 v50, 16, v49
	v_min3_f16 v50, v48, v49, v50
	v_lshl_add_u64 v[48:49], v[38:39], 1, v[28:29]
	global_store_short v[48:49], v50, off
	s_or_b64 exec, exec, s[20:21]
	s_and_b64 s[30:31], s[10:11], s[18:19]
	s_and_saveexec_b64 s[20:21], s[30:31]
	s_cbranch_execz .LBB222_139
.LBB222_158:
	s_and_b64 vcc, exec, s[0:1]
	s_cbranch_vccnz .LBB222_160
; %bb.159:
	v_lshl_add_u64 v[48:49], v[40:41], 1, v[30:31]
	flat_load_ushort v48, v[48:49]
	s_waitcnt vmcnt(0) lgkmcnt(0)
	v_mul_f16_e32 v48, v52, v48
	s_branch .LBB222_161
.LBB222_160:
	v_mov_b32_e32 v48, 0
.LBB222_161:
	v_pk_add_f16 v49, v8, v24
	v_pk_max_f16 v50, v98, v98
	s_nop 0
	v_pk_min_f16 v49, v50, v49
	v_pk_add_f16 v50, v9, v25
	s_nop 0
	v_pk_min_f16 v49, v49, v50
	s_nop 0
	v_lshrrev_b32_e32 v50, 16, v49
	v_min3_f16 v50, v48, v49, v50
	v_lshl_add_u64 v[48:49], v[40:41], 1, v[28:29]
	global_store_short v[48:49], v50, off
	s_or_b64 exec, exec, s[20:21]
	s_and_b64 s[30:31], s[12:13], s[18:19]
	s_and_saveexec_b64 s[20:21], s[30:31]
	s_cbranch_execz .LBB222_140
.LBB222_162:
	s_and_b64 vcc, exec, s[0:1]
	s_cbranch_vccnz .LBB222_164
; %bb.163:
	v_lshl_add_u64 v[48:49], v[42:43], 1, v[30:31]
	flat_load_ushort v48, v[48:49]
	s_waitcnt vmcnt(0) lgkmcnt(0)
	v_mul_f16_e32 v48, v52, v48
	s_branch .LBB222_165
.LBB222_164:
	v_mov_b32_e32 v48, 0
.LBB222_165:
	v_pk_add_f16 v49, v10, v24
	v_pk_max_f16 v50, v97, v97
	s_nop 0
	v_pk_min_f16 v49, v50, v49
	v_pk_add_f16 v50, v11, v25
	s_nop 0
	v_pk_min_f16 v49, v49, v50
	s_nop 0
	v_lshrrev_b32_e32 v50, 16, v49
	v_min3_f16 v50, v48, v49, v50
	v_lshl_add_u64 v[48:49], v[42:43], 1, v[28:29]
	global_store_short v[48:49], v50, off
	s_or_b64 exec, exec, s[20:21]
	s_and_b64 s[30:31], s[14:15], s[18:19]
	s_and_saveexec_b64 s[20:21], s[30:31]
	s_cbranch_execz .LBB222_141
.LBB222_166:
	s_and_b64 vcc, exec, s[0:1]
	s_cbranch_vccnz .LBB222_168
; %bb.167:
	v_lshl_add_u64 v[48:49], v[44:45], 1, v[30:31]
	flat_load_ushort v48, v[48:49]
	s_waitcnt vmcnt(0) lgkmcnt(0)
	v_mul_f16_e32 v48, v52, v48
	s_branch .LBB222_169
.LBB222_168:
	v_mov_b32_e32 v48, 0
.LBB222_169:
	v_pk_add_f16 v49, v0, v24
	v_pk_max_f16 v50, v96, v96
	s_nop 0
	v_pk_min_f16 v49, v50, v49
	v_pk_add_f16 v50, v1, v25
	s_nop 0
	v_pk_min_f16 v49, v49, v50
	s_nop 0
	v_lshrrev_b32_e32 v50, 16, v49
	v_min3_f16 v50, v48, v49, v50
	v_lshl_add_u64 v[48:49], v[44:45], 1, v[28:29]
	global_store_short v[48:49], v50, off
	s_or_b64 exec, exec, s[20:21]
	s_and_b64 s[20:21], s[16:17], s[18:19]
	s_and_saveexec_b64 s[18:19], s[20:21]
	s_cbranch_execz .LBB222_174
.LBB222_170:
	s_and_b64 vcc, exec, s[0:1]
	s_cbranch_vccnz .LBB222_172
; %bb.171:
	v_lshl_add_u64 v[30:31], v[46:47], 1, v[30:31]
	flat_load_ushort v30, v[30:31]
	s_waitcnt vmcnt(0) lgkmcnt(0)
	v_mul_f16_e32 v30, v52, v30
	s_branch .LBB222_173
.LBB222_172:
	v_mov_b32_e32 v30, 0
.LBB222_173:
	v_pk_add_f16 v24, v2, v24
	v_pk_max_f16 v31, v93, v93
	v_pk_add_f16 v25, v3, v25
	v_pk_min_f16 v24, v31, v24
	s_nop 0
	v_pk_min_f16 v24, v24, v25
	s_nop 0
	v_lshrrev_b32_e32 v25, 16, v24
	v_min3_f16 v30, v30, v24, v25
	v_lshl_add_u64 v[24:25], v[46:47], 1, v[28:29]
	global_store_short v[24:25], v30, off
.LBB222_174:
	s_or_b64 exec, exec, s[18:19]
	v_add_u32_e32 v30, 0x60, v94
	v_mad_i64_i32 v[24:25], s[20:21], v30, s29, 0
	v_cmp_gt_i32_e64 s[18:19], s25, v30
	v_lshl_add_u64 v[28:29], v[24:25], 1, s[22:23]
	v_mad_i64_i32 v[24:25], s[20:21], v30, s28, 0
	v_lshl_add_u64 v[24:25], v[24:25], 1, s[26:27]
	s_and_b64 s[30:31], s[4:5], s[18:19]
	s_and_saveexec_b64 s[20:21], s[30:31]
	s_cbranch_execnz .LBB222_182
; %bb.175:
	s_or_b64 exec, exec, s[20:21]
	s_and_b64 s[30:31], s[2:3], s[18:19]
	s_and_saveexec_b64 s[20:21], s[30:31]
	s_cbranch_execnz .LBB222_186
.LBB222_176:
	s_or_b64 exec, exec, s[20:21]
	s_and_b64 s[30:31], s[6:7], s[18:19]
	s_and_saveexec_b64 s[20:21], s[30:31]
	s_cbranch_execnz .LBB222_190
.LBB222_177:
	s_or_b64 exec, exec, s[20:21]
	s_and_b64 s[30:31], s[8:9], s[18:19]
	s_and_saveexec_b64 s[20:21], s[30:31]
	s_cbranch_execnz .LBB222_194
.LBB222_178:
	s_or_b64 exec, exec, s[20:21]
	s_and_b64 s[30:31], s[10:11], s[18:19]
	s_and_saveexec_b64 s[20:21], s[30:31]
	s_cbranch_execnz .LBB222_198
.LBB222_179:
	s_or_b64 exec, exec, s[20:21]
	s_and_b64 s[30:31], s[12:13], s[18:19]
	s_and_saveexec_b64 s[20:21], s[30:31]
	s_cbranch_execnz .LBB222_202
.LBB222_180:
	s_or_b64 exec, exec, s[20:21]
	s_and_b64 s[30:31], s[14:15], s[18:19]
	s_and_saveexec_b64 s[20:21], s[30:31]
	s_cbranch_execnz .LBB222_206
.LBB222_181:
	s_or_b64 exec, exec, s[20:21]
	s_and_b64 s[20:21], s[16:17], s[18:19]
	s_and_saveexec_b64 s[18:19], s[20:21]
	s_cbranch_execnz .LBB222_210
	s_branch .LBB222_214
.LBB222_182:
	s_and_b64 vcc, exec, s[0:1]
	s_cbranch_vccnz .LBB222_184
; %bb.183:
	v_lshl_add_u64 v[30:31], v[32:33], 1, v[28:29]
	flat_load_ushort v30, v[30:31]
	s_waitcnt vmcnt(0) lgkmcnt(0)
	v_mul_f16_e32 v30, v52, v30
	s_branch .LBB222_185
.LBB222_184:
	v_mov_b32_e32 v30, 0
.LBB222_185:
	v_pk_add_f16 v31, v16, v26
	v_pk_max_f16 v48, v92, v92
	s_nop 0
	v_pk_min_f16 v31, v48, v31
	v_pk_add_f16 v48, v17, v27
	s_nop 0
	v_pk_min_f16 v31, v31, v48
	s_nop 0
	v_lshrrev_b32_e32 v48, 16, v31
	v_min3_f16 v48, v30, v31, v48
	v_lshl_add_u64 v[30:31], v[32:33], 1, v[24:25]
	global_store_short v[30:31], v48, off
	s_or_b64 exec, exec, s[20:21]
	s_and_b64 s[30:31], s[2:3], s[18:19]
	s_and_saveexec_b64 s[20:21], s[30:31]
	s_cbranch_execz .LBB222_176
.LBB222_186:
	s_and_b64 vcc, exec, s[0:1]
	s_cbranch_vccnz .LBB222_188
; %bb.187:
	v_lshl_add_u64 v[30:31], v[34:35], 1, v[28:29]
	flat_load_ushort v30, v[30:31]
	s_waitcnt vmcnt(0) lgkmcnt(0)
	v_mul_f16_e32 v30, v52, v30
	s_branch .LBB222_189
.LBB222_188:
	v_mov_b32_e32 v30, 0
.LBB222_189:
	v_pk_add_f16 v31, v18, v26
	v_pk_max_f16 v48, v91, v91
	s_nop 0
	v_pk_min_f16 v31, v48, v31
	v_pk_add_f16 v48, v19, v27
	s_nop 0
	v_pk_min_f16 v31, v31, v48
	s_nop 0
	v_lshrrev_b32_e32 v48, 16, v31
	v_min3_f16 v48, v30, v31, v48
	v_lshl_add_u64 v[30:31], v[34:35], 1, v[24:25]
	global_store_short v[30:31], v48, off
	s_or_b64 exec, exec, s[20:21]
	s_and_b64 s[30:31], s[6:7], s[18:19]
	s_and_saveexec_b64 s[20:21], s[30:31]
	s_cbranch_execz .LBB222_177
.LBB222_190:
	s_and_b64 vcc, exec, s[0:1]
	s_cbranch_vccnz .LBB222_192
; %bb.191:
	v_lshl_add_u64 v[30:31], v[36:37], 1, v[28:29]
	flat_load_ushort v30, v[30:31]
	s_waitcnt vmcnt(0) lgkmcnt(0)
	v_mul_f16_e32 v30, v52, v30
	s_branch .LBB222_193
.LBB222_192:
	v_mov_b32_e32 v30, 0
.LBB222_193:
	v_pk_add_f16 v31, v12, v26
	v_pk_max_f16 v48, v90, v90
	s_nop 0
	v_pk_min_f16 v31, v48, v31
	v_pk_add_f16 v48, v13, v27
	s_nop 0
	v_pk_min_f16 v31, v31, v48
	s_nop 0
	v_lshrrev_b32_e32 v48, 16, v31
	v_min3_f16 v48, v30, v31, v48
	v_lshl_add_u64 v[30:31], v[36:37], 1, v[24:25]
	global_store_short v[30:31], v48, off
	s_or_b64 exec, exec, s[20:21]
	s_and_b64 s[30:31], s[8:9], s[18:19]
	s_and_saveexec_b64 s[20:21], s[30:31]
	s_cbranch_execz .LBB222_178
.LBB222_194:
	s_and_b64 vcc, exec, s[0:1]
	s_cbranch_vccnz .LBB222_196
; %bb.195:
	v_lshl_add_u64 v[30:31], v[38:39], 1, v[28:29]
	flat_load_ushort v30, v[30:31]
	s_waitcnt vmcnt(0) lgkmcnt(0)
	v_mul_f16_e32 v30, v52, v30
	s_branch .LBB222_197
.LBB222_196:
	v_mov_b32_e32 v30, 0
.LBB222_197:
	v_pk_add_f16 v31, v14, v26
	v_pk_max_f16 v48, v89, v89
	s_nop 0
	v_pk_min_f16 v31, v48, v31
	v_pk_add_f16 v48, v15, v27
	s_nop 0
	v_pk_min_f16 v31, v31, v48
	s_nop 0
	v_lshrrev_b32_e32 v48, 16, v31
	v_min3_f16 v48, v30, v31, v48
	v_lshl_add_u64 v[30:31], v[38:39], 1, v[24:25]
	global_store_short v[30:31], v48, off
	s_or_b64 exec, exec, s[20:21]
	s_and_b64 s[30:31], s[10:11], s[18:19]
	s_and_saveexec_b64 s[20:21], s[30:31]
	s_cbranch_execz .LBB222_179
.LBB222_198:
	s_and_b64 vcc, exec, s[0:1]
	s_cbranch_vccnz .LBB222_200
; %bb.199:
	v_lshl_add_u64 v[30:31], v[40:41], 1, v[28:29]
	flat_load_ushort v30, v[30:31]
	s_waitcnt vmcnt(0) lgkmcnt(0)
	v_mul_f16_e32 v30, v52, v30
	s_branch .LBB222_201
.LBB222_200:
	v_mov_b32_e32 v30, 0
.LBB222_201:
	v_pk_add_f16 v31, v8, v26
	v_pk_max_f16 v48, v88, v88
	s_nop 0
	v_pk_min_f16 v31, v48, v31
	v_pk_add_f16 v48, v9, v27
	s_nop 0
	v_pk_min_f16 v31, v31, v48
	s_nop 0
	v_lshrrev_b32_e32 v48, 16, v31
	v_min3_f16 v48, v30, v31, v48
	v_lshl_add_u64 v[30:31], v[40:41], 1, v[24:25]
	global_store_short v[30:31], v48, off
	s_or_b64 exec, exec, s[20:21]
	s_and_b64 s[30:31], s[12:13], s[18:19]
	s_and_saveexec_b64 s[20:21], s[30:31]
	s_cbranch_execz .LBB222_180
.LBB222_202:
	s_and_b64 vcc, exec, s[0:1]
	s_cbranch_vccnz .LBB222_204
; %bb.203:
	v_lshl_add_u64 v[30:31], v[42:43], 1, v[28:29]
	flat_load_ushort v30, v[30:31]
	s_waitcnt vmcnt(0) lgkmcnt(0)
	v_mul_f16_e32 v30, v52, v30
	s_branch .LBB222_205
.LBB222_204:
	v_mov_b32_e32 v30, 0
.LBB222_205:
	v_pk_add_f16 v31, v10, v26
	v_pk_max_f16 v48, v87, v87
	s_nop 0
	v_pk_min_f16 v31, v48, v31
	v_pk_add_f16 v48, v11, v27
	s_nop 0
	v_pk_min_f16 v31, v31, v48
	s_nop 0
	v_lshrrev_b32_e32 v48, 16, v31
	v_min3_f16 v48, v30, v31, v48
	v_lshl_add_u64 v[30:31], v[42:43], 1, v[24:25]
	global_store_short v[30:31], v48, off
	s_or_b64 exec, exec, s[20:21]
	s_and_b64 s[30:31], s[14:15], s[18:19]
	s_and_saveexec_b64 s[20:21], s[30:31]
	s_cbranch_execz .LBB222_181
.LBB222_206:
	s_and_b64 vcc, exec, s[0:1]
	s_cbranch_vccnz .LBB222_208
; %bb.207:
	v_lshl_add_u64 v[30:31], v[44:45], 1, v[28:29]
	flat_load_ushort v30, v[30:31]
	s_waitcnt vmcnt(0) lgkmcnt(0)
	v_mul_f16_e32 v30, v52, v30
	s_branch .LBB222_209
.LBB222_208:
	v_mov_b32_e32 v30, 0
.LBB222_209:
	v_pk_add_f16 v31, v0, v26
	v_pk_max_f16 v48, v86, v86
	s_nop 0
	v_pk_min_f16 v31, v48, v31
	v_pk_add_f16 v48, v1, v27
	s_nop 0
	v_pk_min_f16 v31, v31, v48
	s_nop 0
	v_lshrrev_b32_e32 v48, 16, v31
	v_min3_f16 v48, v30, v31, v48
	v_lshl_add_u64 v[30:31], v[44:45], 1, v[24:25]
	global_store_short v[30:31], v48, off
	s_or_b64 exec, exec, s[20:21]
	s_and_b64 s[20:21], s[16:17], s[18:19]
	s_and_saveexec_b64 s[18:19], s[20:21]
	s_cbranch_execz .LBB222_214
.LBB222_210:
	s_and_b64 vcc, exec, s[0:1]
	s_cbranch_vccnz .LBB222_212
; %bb.211:
	v_lshl_add_u64 v[28:29], v[46:47], 1, v[28:29]
	flat_load_ushort v28, v[28:29]
	s_waitcnt vmcnt(0) lgkmcnt(0)
	v_mul_f16_e32 v28, v52, v28
	s_branch .LBB222_213
.LBB222_212:
	v_mov_b32_e32 v28, 0
.LBB222_213:
	v_pk_add_f16 v26, v2, v26
	v_pk_max_f16 v29, v85, v85
	v_pk_add_f16 v27, v3, v27
	v_pk_min_f16 v26, v29, v26
	v_lshl_add_u64 v[24:25], v[46:47], 1, v[24:25]
	v_pk_min_f16 v26, v26, v27
	s_nop 0
	v_lshrrev_b32_e32 v27, 16, v26
	v_min3_f16 v26, v28, v26, v27
	global_store_short v[24:25], v26, off
.LBB222_214:
	s_or_b64 exec, exec, s[18:19]
	v_add_u32_e32 v28, 0x80, v94
	v_mad_i64_i32 v[24:25], s[20:21], v28, s29, 0
	v_cmp_gt_i32_e64 s[18:19], s25, v28
	v_lshl_add_u64 v[26:27], v[24:25], 1, s[22:23]
	v_mad_i64_i32 v[24:25], s[20:21], v28, s28, 0
	v_lshl_add_u64 v[24:25], v[24:25], 1, s[26:27]
	s_and_b64 s[30:31], s[4:5], s[18:19]
	s_and_saveexec_b64 s[20:21], s[30:31]
	s_cbranch_execnz .LBB222_222
; %bb.215:
	s_or_b64 exec, exec, s[20:21]
	s_and_b64 s[30:31], s[2:3], s[18:19]
	s_and_saveexec_b64 s[20:21], s[30:31]
	s_cbranch_execnz .LBB222_226
.LBB222_216:
	s_or_b64 exec, exec, s[20:21]
	s_and_b64 s[30:31], s[6:7], s[18:19]
	s_and_saveexec_b64 s[20:21], s[30:31]
	s_cbranch_execnz .LBB222_230
.LBB222_217:
	s_or_b64 exec, exec, s[20:21]
	s_and_b64 s[30:31], s[8:9], s[18:19]
	s_and_saveexec_b64 s[20:21], s[30:31]
	s_cbranch_execnz .LBB222_234
.LBB222_218:
	s_or_b64 exec, exec, s[20:21]
	s_and_b64 s[30:31], s[10:11], s[18:19]
	s_and_saveexec_b64 s[20:21], s[30:31]
	s_cbranch_execnz .LBB222_238
.LBB222_219:
	s_or_b64 exec, exec, s[20:21]
	s_and_b64 s[30:31], s[12:13], s[18:19]
	s_and_saveexec_b64 s[20:21], s[30:31]
	s_cbranch_execnz .LBB222_242
.LBB222_220:
	s_or_b64 exec, exec, s[20:21]
	s_and_b64 s[30:31], s[14:15], s[18:19]
	s_and_saveexec_b64 s[20:21], s[30:31]
	s_cbranch_execnz .LBB222_246
.LBB222_221:
	s_or_b64 exec, exec, s[20:21]
	s_and_b64 s[20:21], s[16:17], s[18:19]
	s_and_saveexec_b64 s[18:19], s[20:21]
	s_cbranch_execnz .LBB222_250
	s_branch .LBB222_254
.LBB222_222:
	s_and_b64 vcc, exec, s[0:1]
	s_cbranch_vccnz .LBB222_224
; %bb.223:
	v_lshl_add_u64 v[28:29], v[32:33], 1, v[26:27]
	flat_load_ushort v28, v[28:29]
	s_waitcnt vmcnt(0) lgkmcnt(0)
	v_mul_f16_e32 v28, v52, v28
	s_branch .LBB222_225
.LBB222_224:
	v_mov_b32_e32 v28, 0
.LBB222_225:
	v_pk_add_f16 v29, v16, v20
	v_pk_max_f16 v30, v84, v84
	s_nop 0
	v_pk_min_f16 v29, v30, v29
	v_pk_add_f16 v30, v17, v21
	s_nop 0
	v_pk_min_f16 v29, v29, v30
	s_nop 0
	v_lshrrev_b32_e32 v30, 16, v29
	v_min3_f16 v30, v28, v29, v30
	v_lshl_add_u64 v[28:29], v[32:33], 1, v[24:25]
	global_store_short v[28:29], v30, off
	s_or_b64 exec, exec, s[20:21]
	s_and_b64 s[30:31], s[2:3], s[18:19]
	s_and_saveexec_b64 s[20:21], s[30:31]
	s_cbranch_execz .LBB222_216
.LBB222_226:
	s_and_b64 vcc, exec, s[0:1]
	s_cbranch_vccnz .LBB222_228
; %bb.227:
	v_lshl_add_u64 v[28:29], v[34:35], 1, v[26:27]
	flat_load_ushort v28, v[28:29]
	s_waitcnt vmcnt(0) lgkmcnt(0)
	v_mul_f16_e32 v28, v52, v28
	s_branch .LBB222_229
.LBB222_228:
	v_mov_b32_e32 v28, 0
.LBB222_229:
	v_pk_add_f16 v29, v18, v20
	v_pk_max_f16 v30, v83, v83
	s_nop 0
	v_pk_min_f16 v29, v30, v29
	v_pk_add_f16 v30, v19, v21
	s_nop 0
	v_pk_min_f16 v29, v29, v30
	s_nop 0
	v_lshrrev_b32_e32 v30, 16, v29
	v_min3_f16 v30, v28, v29, v30
	v_lshl_add_u64 v[28:29], v[34:35], 1, v[24:25]
	global_store_short v[28:29], v30, off
	s_or_b64 exec, exec, s[20:21]
	s_and_b64 s[30:31], s[6:7], s[18:19]
	s_and_saveexec_b64 s[20:21], s[30:31]
	s_cbranch_execz .LBB222_217
.LBB222_230:
	s_and_b64 vcc, exec, s[0:1]
	s_cbranch_vccnz .LBB222_232
; %bb.231:
	v_lshl_add_u64 v[28:29], v[36:37], 1, v[26:27]
	flat_load_ushort v28, v[28:29]
	s_waitcnt vmcnt(0) lgkmcnt(0)
	v_mul_f16_e32 v28, v52, v28
	s_branch .LBB222_233
.LBB222_232:
	v_mov_b32_e32 v28, 0
.LBB222_233:
	v_pk_add_f16 v29, v12, v20
	v_pk_max_f16 v30, v82, v82
	s_nop 0
	v_pk_min_f16 v29, v30, v29
	v_pk_add_f16 v30, v13, v21
	s_nop 0
	v_pk_min_f16 v29, v29, v30
	s_nop 0
	v_lshrrev_b32_e32 v30, 16, v29
	v_min3_f16 v30, v28, v29, v30
	v_lshl_add_u64 v[28:29], v[36:37], 1, v[24:25]
	global_store_short v[28:29], v30, off
	s_or_b64 exec, exec, s[20:21]
	s_and_b64 s[30:31], s[8:9], s[18:19]
	s_and_saveexec_b64 s[20:21], s[30:31]
	s_cbranch_execz .LBB222_218
.LBB222_234:
	s_and_b64 vcc, exec, s[0:1]
	s_cbranch_vccnz .LBB222_236
; %bb.235:
	v_lshl_add_u64 v[28:29], v[38:39], 1, v[26:27]
	flat_load_ushort v28, v[28:29]
	s_waitcnt vmcnt(0) lgkmcnt(0)
	v_mul_f16_e32 v28, v52, v28
	s_branch .LBB222_237
.LBB222_236:
	v_mov_b32_e32 v28, 0
.LBB222_237:
	v_pk_add_f16 v29, v14, v20
	v_pk_max_f16 v30, v81, v81
	s_nop 0
	v_pk_min_f16 v29, v30, v29
	v_pk_add_f16 v30, v15, v21
	s_nop 0
	v_pk_min_f16 v29, v29, v30
	s_nop 0
	v_lshrrev_b32_e32 v30, 16, v29
	v_min3_f16 v30, v28, v29, v30
	v_lshl_add_u64 v[28:29], v[38:39], 1, v[24:25]
	global_store_short v[28:29], v30, off
	s_or_b64 exec, exec, s[20:21]
	s_and_b64 s[30:31], s[10:11], s[18:19]
	s_and_saveexec_b64 s[20:21], s[30:31]
	s_cbranch_execz .LBB222_219
.LBB222_238:
	s_and_b64 vcc, exec, s[0:1]
	s_cbranch_vccnz .LBB222_240
; %bb.239:
	v_lshl_add_u64 v[28:29], v[40:41], 1, v[26:27]
	flat_load_ushort v28, v[28:29]
	s_waitcnt vmcnt(0) lgkmcnt(0)
	v_mul_f16_e32 v28, v52, v28
	s_branch .LBB222_241
.LBB222_240:
	v_mov_b32_e32 v28, 0
.LBB222_241:
	v_pk_add_f16 v29, v8, v20
	v_pk_max_f16 v30, v80, v80
	s_nop 0
	v_pk_min_f16 v29, v30, v29
	v_pk_add_f16 v30, v9, v21
	s_nop 0
	v_pk_min_f16 v29, v29, v30
	s_nop 0
	v_lshrrev_b32_e32 v30, 16, v29
	v_min3_f16 v30, v28, v29, v30
	v_lshl_add_u64 v[28:29], v[40:41], 1, v[24:25]
	global_store_short v[28:29], v30, off
	s_or_b64 exec, exec, s[20:21]
	s_and_b64 s[30:31], s[12:13], s[18:19]
	s_and_saveexec_b64 s[20:21], s[30:31]
	s_cbranch_execz .LBB222_220
.LBB222_242:
	s_and_b64 vcc, exec, s[0:1]
	s_cbranch_vccnz .LBB222_244
; %bb.243:
	v_lshl_add_u64 v[28:29], v[42:43], 1, v[26:27]
	flat_load_ushort v28, v[28:29]
	s_waitcnt vmcnt(0) lgkmcnt(0)
	v_mul_f16_e32 v28, v52, v28
	s_branch .LBB222_245
.LBB222_244:
	v_mov_b32_e32 v28, 0
.LBB222_245:
	v_pk_add_f16 v29, v10, v20
	v_pk_max_f16 v30, v79, v79
	s_nop 0
	v_pk_min_f16 v29, v30, v29
	v_pk_add_f16 v30, v11, v21
	s_nop 0
	v_pk_min_f16 v29, v29, v30
	s_nop 0
	v_lshrrev_b32_e32 v30, 16, v29
	v_min3_f16 v30, v28, v29, v30
	v_lshl_add_u64 v[28:29], v[42:43], 1, v[24:25]
	global_store_short v[28:29], v30, off
	s_or_b64 exec, exec, s[20:21]
	s_and_b64 s[30:31], s[14:15], s[18:19]
	s_and_saveexec_b64 s[20:21], s[30:31]
	s_cbranch_execz .LBB222_221
.LBB222_246:
	s_and_b64 vcc, exec, s[0:1]
	s_cbranch_vccnz .LBB222_248
; %bb.247:
	v_lshl_add_u64 v[28:29], v[44:45], 1, v[26:27]
	flat_load_ushort v28, v[28:29]
	s_waitcnt vmcnt(0) lgkmcnt(0)
	v_mul_f16_e32 v28, v52, v28
	s_branch .LBB222_249
.LBB222_248:
	v_mov_b32_e32 v28, 0
.LBB222_249:
	v_pk_add_f16 v29, v0, v20
	v_pk_max_f16 v30, v78, v78
	s_nop 0
	v_pk_min_f16 v29, v30, v29
	v_pk_add_f16 v30, v1, v21
	s_nop 0
	v_pk_min_f16 v29, v29, v30
	s_nop 0
	v_lshrrev_b32_e32 v30, 16, v29
	v_min3_f16 v30, v28, v29, v30
	v_lshl_add_u64 v[28:29], v[44:45], 1, v[24:25]
	global_store_short v[28:29], v30, off
	s_or_b64 exec, exec, s[20:21]
	s_and_b64 s[20:21], s[16:17], s[18:19]
	s_and_saveexec_b64 s[18:19], s[20:21]
	s_cbranch_execz .LBB222_254
.LBB222_250:
	s_and_b64 vcc, exec, s[0:1]
	s_cbranch_vccnz .LBB222_252
; %bb.251:
	v_lshl_add_u64 v[26:27], v[46:47], 1, v[26:27]
	flat_load_ushort v26, v[26:27]
	s_waitcnt vmcnt(0) lgkmcnt(0)
	v_mul_f16_e32 v26, v52, v26
	s_branch .LBB222_253
.LBB222_252:
	v_mov_b32_e32 v26, 0
.LBB222_253:
	v_pk_add_f16 v20, v2, v20
	v_pk_max_f16 v27, v77, v77
	v_pk_add_f16 v21, v3, v21
	v_pk_min_f16 v20, v27, v20
	s_nop 0
	v_pk_min_f16 v20, v20, v21
	s_nop 0
	v_lshrrev_b32_e32 v21, 16, v20
	v_min3_f16 v26, v26, v20, v21
	v_lshl_add_u64 v[20:21], v[46:47], 1, v[24:25]
	global_store_short v[20:21], v26, off
.LBB222_254:
	s_or_b64 exec, exec, s[18:19]
	v_add_u32_e32 v26, 0xa0, v94
	v_mad_i64_i32 v[20:21], s[20:21], v26, s29, 0
	v_cmp_gt_i32_e64 s[18:19], s25, v26
	v_lshl_add_u64 v[24:25], v[20:21], 1, s[22:23]
	v_mad_i64_i32 v[20:21], s[20:21], v26, s28, 0
	v_lshl_add_u64 v[20:21], v[20:21], 1, s[26:27]
	s_and_b64 s[30:31], s[4:5], s[18:19]
	s_and_saveexec_b64 s[20:21], s[30:31]
	s_cbranch_execnz .LBB222_262
; %bb.255:
	s_or_b64 exec, exec, s[20:21]
	s_and_b64 s[30:31], s[2:3], s[18:19]
	s_and_saveexec_b64 s[20:21], s[30:31]
	s_cbranch_execnz .LBB222_266
.LBB222_256:
	s_or_b64 exec, exec, s[20:21]
	s_and_b64 s[30:31], s[6:7], s[18:19]
	s_and_saveexec_b64 s[20:21], s[30:31]
	s_cbranch_execnz .LBB222_270
.LBB222_257:
	s_or_b64 exec, exec, s[20:21]
	s_and_b64 s[30:31], s[8:9], s[18:19]
	s_and_saveexec_b64 s[20:21], s[30:31]
	s_cbranch_execnz .LBB222_274
.LBB222_258:
	s_or_b64 exec, exec, s[20:21]
	s_and_b64 s[30:31], s[10:11], s[18:19]
	s_and_saveexec_b64 s[20:21], s[30:31]
	s_cbranch_execnz .LBB222_278
.LBB222_259:
	s_or_b64 exec, exec, s[20:21]
	s_and_b64 s[30:31], s[12:13], s[18:19]
	s_and_saveexec_b64 s[20:21], s[30:31]
	s_cbranch_execnz .LBB222_282
.LBB222_260:
	s_or_b64 exec, exec, s[20:21]
	s_and_b64 s[30:31], s[14:15], s[18:19]
	s_and_saveexec_b64 s[20:21], s[30:31]
	s_cbranch_execnz .LBB222_286
.LBB222_261:
	s_or_b64 exec, exec, s[20:21]
	s_and_b64 s[20:21], s[16:17], s[18:19]
	s_and_saveexec_b64 s[18:19], s[20:21]
	s_cbranch_execnz .LBB222_290
	s_branch .LBB222_294
.LBB222_262:
	s_and_b64 vcc, exec, s[0:1]
	s_cbranch_vccnz .LBB222_264
; %bb.263:
	v_lshl_add_u64 v[26:27], v[32:33], 1, v[24:25]
	flat_load_ushort v26, v[26:27]
	s_waitcnt vmcnt(0) lgkmcnt(0)
	v_mul_f16_e32 v26, v52, v26
	s_branch .LBB222_265
.LBB222_264:
	v_mov_b32_e32 v26, 0
.LBB222_265:
	v_pk_add_f16 v27, v16, v22
	v_pk_max_f16 v28, v76, v76
	s_nop 0
	v_pk_min_f16 v27, v28, v27
	v_pk_add_f16 v28, v17, v23
	s_nop 0
	v_pk_min_f16 v27, v27, v28
	s_nop 0
	v_lshrrev_b32_e32 v28, 16, v27
	v_min3_f16 v28, v26, v27, v28
	v_lshl_add_u64 v[26:27], v[32:33], 1, v[20:21]
	global_store_short v[26:27], v28, off
	s_or_b64 exec, exec, s[20:21]
	s_and_b64 s[30:31], s[2:3], s[18:19]
	s_and_saveexec_b64 s[20:21], s[30:31]
	s_cbranch_execz .LBB222_256
.LBB222_266:
	s_and_b64 vcc, exec, s[0:1]
	s_cbranch_vccnz .LBB222_268
; %bb.267:
	v_lshl_add_u64 v[26:27], v[34:35], 1, v[24:25]
	flat_load_ushort v26, v[26:27]
	s_waitcnt vmcnt(0) lgkmcnt(0)
	v_mul_f16_e32 v26, v52, v26
	s_branch .LBB222_269
.LBB222_268:
	v_mov_b32_e32 v26, 0
.LBB222_269:
	v_pk_add_f16 v27, v18, v22
	v_pk_max_f16 v28, v75, v75
	s_nop 0
	v_pk_min_f16 v27, v28, v27
	v_pk_add_f16 v28, v19, v23
	s_nop 0
	v_pk_min_f16 v27, v27, v28
	s_nop 0
	v_lshrrev_b32_e32 v28, 16, v27
	v_min3_f16 v28, v26, v27, v28
	v_lshl_add_u64 v[26:27], v[34:35], 1, v[20:21]
	global_store_short v[26:27], v28, off
	s_or_b64 exec, exec, s[20:21]
	s_and_b64 s[30:31], s[6:7], s[18:19]
	s_and_saveexec_b64 s[20:21], s[30:31]
	s_cbranch_execz .LBB222_257
.LBB222_270:
	s_and_b64 vcc, exec, s[0:1]
	s_cbranch_vccnz .LBB222_272
; %bb.271:
	v_lshl_add_u64 v[26:27], v[36:37], 1, v[24:25]
	flat_load_ushort v26, v[26:27]
	s_waitcnt vmcnt(0) lgkmcnt(0)
	v_mul_f16_e32 v26, v52, v26
	s_branch .LBB222_273
.LBB222_272:
	v_mov_b32_e32 v26, 0
.LBB222_273:
	v_pk_add_f16 v27, v12, v22
	v_pk_max_f16 v28, v74, v74
	s_nop 0
	v_pk_min_f16 v27, v28, v27
	v_pk_add_f16 v28, v13, v23
	s_nop 0
	v_pk_min_f16 v27, v27, v28
	s_nop 0
	v_lshrrev_b32_e32 v28, 16, v27
	v_min3_f16 v28, v26, v27, v28
	v_lshl_add_u64 v[26:27], v[36:37], 1, v[20:21]
	global_store_short v[26:27], v28, off
	s_or_b64 exec, exec, s[20:21]
	s_and_b64 s[30:31], s[8:9], s[18:19]
	s_and_saveexec_b64 s[20:21], s[30:31]
	s_cbranch_execz .LBB222_258
.LBB222_274:
	s_and_b64 vcc, exec, s[0:1]
	s_cbranch_vccnz .LBB222_276
; %bb.275:
	v_lshl_add_u64 v[26:27], v[38:39], 1, v[24:25]
	flat_load_ushort v26, v[26:27]
	s_waitcnt vmcnt(0) lgkmcnt(0)
	v_mul_f16_e32 v26, v52, v26
	s_branch .LBB222_277
.LBB222_276:
	v_mov_b32_e32 v26, 0
.LBB222_277:
	v_pk_add_f16 v27, v14, v22
	v_pk_max_f16 v28, v73, v73
	s_nop 0
	v_pk_min_f16 v27, v28, v27
	v_pk_add_f16 v28, v15, v23
	s_nop 0
	v_pk_min_f16 v27, v27, v28
	s_nop 0
	v_lshrrev_b32_e32 v28, 16, v27
	v_min3_f16 v28, v26, v27, v28
	v_lshl_add_u64 v[26:27], v[38:39], 1, v[20:21]
	global_store_short v[26:27], v28, off
	s_or_b64 exec, exec, s[20:21]
	s_and_b64 s[30:31], s[10:11], s[18:19]
	s_and_saveexec_b64 s[20:21], s[30:31]
	s_cbranch_execz .LBB222_259
.LBB222_278:
	s_and_b64 vcc, exec, s[0:1]
	s_cbranch_vccnz .LBB222_280
; %bb.279:
	v_lshl_add_u64 v[26:27], v[40:41], 1, v[24:25]
	flat_load_ushort v26, v[26:27]
	s_waitcnt vmcnt(0) lgkmcnt(0)
	v_mul_f16_e32 v26, v52, v26
	s_branch .LBB222_281
.LBB222_280:
	v_mov_b32_e32 v26, 0
.LBB222_281:
	v_pk_add_f16 v27, v8, v22
	v_pk_max_f16 v28, v72, v72
	s_nop 0
	v_pk_min_f16 v27, v28, v27
	v_pk_add_f16 v28, v9, v23
	s_nop 0
	v_pk_min_f16 v27, v27, v28
	s_nop 0
	v_lshrrev_b32_e32 v28, 16, v27
	v_min3_f16 v28, v26, v27, v28
	v_lshl_add_u64 v[26:27], v[40:41], 1, v[20:21]
	global_store_short v[26:27], v28, off
	s_or_b64 exec, exec, s[20:21]
	s_and_b64 s[30:31], s[12:13], s[18:19]
	s_and_saveexec_b64 s[20:21], s[30:31]
	s_cbranch_execz .LBB222_260
.LBB222_282:
	s_and_b64 vcc, exec, s[0:1]
	s_cbranch_vccnz .LBB222_284
; %bb.283:
	v_lshl_add_u64 v[26:27], v[42:43], 1, v[24:25]
	flat_load_ushort v26, v[26:27]
	s_waitcnt vmcnt(0) lgkmcnt(0)
	v_mul_f16_e32 v26, v52, v26
	s_branch .LBB222_285
.LBB222_284:
	v_mov_b32_e32 v26, 0
.LBB222_285:
	v_pk_add_f16 v27, v10, v22
	v_pk_max_f16 v28, v71, v71
	s_nop 0
	v_pk_min_f16 v27, v28, v27
	v_pk_add_f16 v28, v11, v23
	s_nop 0
	v_pk_min_f16 v27, v27, v28
	s_nop 0
	v_lshrrev_b32_e32 v28, 16, v27
	v_min3_f16 v28, v26, v27, v28
	v_lshl_add_u64 v[26:27], v[42:43], 1, v[20:21]
	global_store_short v[26:27], v28, off
	s_or_b64 exec, exec, s[20:21]
	s_and_b64 s[30:31], s[14:15], s[18:19]
	s_and_saveexec_b64 s[20:21], s[30:31]
	s_cbranch_execz .LBB222_261
.LBB222_286:
	s_and_b64 vcc, exec, s[0:1]
	s_cbranch_vccnz .LBB222_288
; %bb.287:
	v_lshl_add_u64 v[26:27], v[44:45], 1, v[24:25]
	flat_load_ushort v26, v[26:27]
	s_waitcnt vmcnt(0) lgkmcnt(0)
	v_mul_f16_e32 v26, v52, v26
	s_branch .LBB222_289
.LBB222_288:
	v_mov_b32_e32 v26, 0
.LBB222_289:
	v_pk_add_f16 v27, v0, v22
	v_pk_max_f16 v28, v70, v70
	s_nop 0
	v_pk_min_f16 v27, v28, v27
	v_pk_add_f16 v28, v1, v23
	s_nop 0
	v_pk_min_f16 v27, v27, v28
	s_nop 0
	v_lshrrev_b32_e32 v28, 16, v27
	v_min3_f16 v28, v26, v27, v28
	v_lshl_add_u64 v[26:27], v[44:45], 1, v[20:21]
	global_store_short v[26:27], v28, off
	s_or_b64 exec, exec, s[20:21]
	s_and_b64 s[20:21], s[16:17], s[18:19]
	s_and_saveexec_b64 s[18:19], s[20:21]
	s_cbranch_execz .LBB222_294
.LBB222_290:
	s_and_b64 vcc, exec, s[0:1]
	s_cbranch_vccnz .LBB222_292
; %bb.291:
	v_lshl_add_u64 v[24:25], v[46:47], 1, v[24:25]
	flat_load_ushort v24, v[24:25]
	s_waitcnt vmcnt(0) lgkmcnt(0)
	v_mul_f16_e32 v24, v52, v24
	s_branch .LBB222_293
.LBB222_292:
	v_mov_b32_e32 v24, 0
.LBB222_293:
	v_pk_add_f16 v22, v2, v22
	v_pk_max_f16 v25, v69, v69
	v_pk_add_f16 v23, v3, v23
	v_pk_min_f16 v22, v25, v22
	v_lshl_add_u64 v[20:21], v[46:47], 1, v[20:21]
	v_pk_min_f16 v22, v22, v23
	s_nop 0
	v_lshrrev_b32_e32 v23, 16, v22
	v_min3_f16 v22, v24, v22, v23
	global_store_short v[20:21], v22, off
.LBB222_294:
	s_or_b64 exec, exec, s[18:19]
	v_add_u32_e32 v24, 0xc0, v94
	v_mad_i64_i32 v[20:21], s[20:21], v24, s29, 0
	v_cmp_gt_i32_e64 s[18:19], s25, v24
	v_lshl_add_u64 v[22:23], v[20:21], 1, s[22:23]
	v_mad_i64_i32 v[20:21], s[20:21], v24, s28, 0
	v_lshl_add_u64 v[20:21], v[20:21], 1, s[26:27]
	s_and_b64 s[30:31], s[4:5], s[18:19]
	s_and_saveexec_b64 s[20:21], s[30:31]
	s_cbranch_execnz .LBB222_302
; %bb.295:
	s_or_b64 exec, exec, s[20:21]
	s_and_b64 s[30:31], s[2:3], s[18:19]
	s_and_saveexec_b64 s[20:21], s[30:31]
	s_cbranch_execnz .LBB222_306
.LBB222_296:
	s_or_b64 exec, exec, s[20:21]
	s_and_b64 s[30:31], s[6:7], s[18:19]
	s_and_saveexec_b64 s[20:21], s[30:31]
	s_cbranch_execnz .LBB222_310
.LBB222_297:
	s_or_b64 exec, exec, s[20:21]
	s_and_b64 s[30:31], s[8:9], s[18:19]
	s_and_saveexec_b64 s[20:21], s[30:31]
	s_cbranch_execnz .LBB222_314
.LBB222_298:
	s_or_b64 exec, exec, s[20:21]
	s_and_b64 s[30:31], s[10:11], s[18:19]
	s_and_saveexec_b64 s[20:21], s[30:31]
	s_cbranch_execnz .LBB222_318
.LBB222_299:
	s_or_b64 exec, exec, s[20:21]
	s_and_b64 s[30:31], s[12:13], s[18:19]
	s_and_saveexec_b64 s[20:21], s[30:31]
	s_cbranch_execnz .LBB222_322
.LBB222_300:
	s_or_b64 exec, exec, s[20:21]
	s_and_b64 s[30:31], s[14:15], s[18:19]
	s_and_saveexec_b64 s[20:21], s[30:31]
	s_cbranch_execnz .LBB222_326
.LBB222_301:
	s_or_b64 exec, exec, s[20:21]
	s_and_b64 s[20:21], s[16:17], s[18:19]
	s_and_saveexec_b64 s[18:19], s[20:21]
	s_cbranch_execnz .LBB222_330
	s_branch .LBB222_334
.LBB222_302:
	s_and_b64 vcc, exec, s[0:1]
	s_cbranch_vccnz .LBB222_304
; %bb.303:
	v_lshl_add_u64 v[24:25], v[32:33], 1, v[22:23]
	flat_load_ushort v24, v[24:25]
	s_waitcnt vmcnt(0) lgkmcnt(0)
	v_mul_f16_e32 v24, v52, v24
	s_branch .LBB222_305
.LBB222_304:
	v_mov_b32_e32 v24, 0
.LBB222_305:
	v_pk_add_f16 v25, v16, v4
	v_pk_max_f16 v26, v68, v68
	s_nop 0
	v_pk_min_f16 v25, v26, v25
	v_pk_add_f16 v26, v17, v5
	s_nop 0
	v_pk_min_f16 v25, v25, v26
	s_nop 0
	v_lshrrev_b32_e32 v26, 16, v25
	v_min3_f16 v26, v24, v25, v26
	v_lshl_add_u64 v[24:25], v[32:33], 1, v[20:21]
	global_store_short v[24:25], v26, off
	s_or_b64 exec, exec, s[20:21]
	s_and_b64 s[30:31], s[2:3], s[18:19]
	s_and_saveexec_b64 s[20:21], s[30:31]
	s_cbranch_execz .LBB222_296
.LBB222_306:
	s_and_b64 vcc, exec, s[0:1]
	s_cbranch_vccnz .LBB222_308
; %bb.307:
	v_lshl_add_u64 v[24:25], v[34:35], 1, v[22:23]
	flat_load_ushort v24, v[24:25]
	s_waitcnt vmcnt(0) lgkmcnt(0)
	v_mul_f16_e32 v24, v52, v24
	s_branch .LBB222_309
.LBB222_308:
	v_mov_b32_e32 v24, 0
.LBB222_309:
	v_pk_add_f16 v25, v18, v4
	v_pk_max_f16 v26, v67, v67
	s_nop 0
	v_pk_min_f16 v25, v26, v25
	v_pk_add_f16 v26, v19, v5
	s_nop 0
	v_pk_min_f16 v25, v25, v26
	s_nop 0
	v_lshrrev_b32_e32 v26, 16, v25
	v_min3_f16 v26, v24, v25, v26
	v_lshl_add_u64 v[24:25], v[34:35], 1, v[20:21]
	global_store_short v[24:25], v26, off
	s_or_b64 exec, exec, s[20:21]
	s_and_b64 s[30:31], s[6:7], s[18:19]
	s_and_saveexec_b64 s[20:21], s[30:31]
	s_cbranch_execz .LBB222_297
.LBB222_310:
	s_and_b64 vcc, exec, s[0:1]
	s_cbranch_vccnz .LBB222_312
; %bb.311:
	v_lshl_add_u64 v[24:25], v[36:37], 1, v[22:23]
	flat_load_ushort v24, v[24:25]
	s_waitcnt vmcnt(0) lgkmcnt(0)
	v_mul_f16_e32 v24, v52, v24
	s_branch .LBB222_313
.LBB222_312:
	v_mov_b32_e32 v24, 0
.LBB222_313:
	v_pk_add_f16 v25, v12, v4
	v_pk_max_f16 v26, v66, v66
	s_nop 0
	v_pk_min_f16 v25, v26, v25
	v_pk_add_f16 v26, v13, v5
	s_nop 0
	v_pk_min_f16 v25, v25, v26
	s_nop 0
	v_lshrrev_b32_e32 v26, 16, v25
	v_min3_f16 v26, v24, v25, v26
	v_lshl_add_u64 v[24:25], v[36:37], 1, v[20:21]
	global_store_short v[24:25], v26, off
	s_or_b64 exec, exec, s[20:21]
	s_and_b64 s[30:31], s[8:9], s[18:19]
	s_and_saveexec_b64 s[20:21], s[30:31]
	s_cbranch_execz .LBB222_298
.LBB222_314:
	s_and_b64 vcc, exec, s[0:1]
	s_cbranch_vccnz .LBB222_316
; %bb.315:
	v_lshl_add_u64 v[24:25], v[38:39], 1, v[22:23]
	flat_load_ushort v24, v[24:25]
	s_waitcnt vmcnt(0) lgkmcnt(0)
	v_mul_f16_e32 v24, v52, v24
	s_branch .LBB222_317
.LBB222_316:
	v_mov_b32_e32 v24, 0
.LBB222_317:
	v_pk_add_f16 v25, v14, v4
	v_pk_max_f16 v26, v65, v65
	s_nop 0
	v_pk_min_f16 v25, v26, v25
	v_pk_add_f16 v26, v15, v5
	s_nop 0
	v_pk_min_f16 v25, v25, v26
	s_nop 0
	v_lshrrev_b32_e32 v26, 16, v25
	v_min3_f16 v26, v24, v25, v26
	v_lshl_add_u64 v[24:25], v[38:39], 1, v[20:21]
	global_store_short v[24:25], v26, off
	s_or_b64 exec, exec, s[20:21]
	s_and_b64 s[30:31], s[10:11], s[18:19]
	s_and_saveexec_b64 s[20:21], s[30:31]
	s_cbranch_execz .LBB222_299
.LBB222_318:
	s_and_b64 vcc, exec, s[0:1]
	s_cbranch_vccnz .LBB222_320
; %bb.319:
	v_lshl_add_u64 v[24:25], v[40:41], 1, v[22:23]
	flat_load_ushort v24, v[24:25]
	s_waitcnt vmcnt(0) lgkmcnt(0)
	v_mul_f16_e32 v24, v52, v24
	s_branch .LBB222_321
.LBB222_320:
	v_mov_b32_e32 v24, 0
.LBB222_321:
	v_pk_add_f16 v25, v8, v4
	v_pk_max_f16 v26, v64, v64
	s_nop 0
	v_pk_min_f16 v25, v26, v25
	v_pk_add_f16 v26, v9, v5
	s_nop 0
	v_pk_min_f16 v25, v25, v26
	s_nop 0
	v_lshrrev_b32_e32 v26, 16, v25
	v_min3_f16 v26, v24, v25, v26
	v_lshl_add_u64 v[24:25], v[40:41], 1, v[20:21]
	global_store_short v[24:25], v26, off
	s_or_b64 exec, exec, s[20:21]
	s_and_b64 s[30:31], s[12:13], s[18:19]
	s_and_saveexec_b64 s[20:21], s[30:31]
	s_cbranch_execz .LBB222_300
.LBB222_322:
	s_and_b64 vcc, exec, s[0:1]
	s_cbranch_vccnz .LBB222_324
; %bb.323:
	v_lshl_add_u64 v[24:25], v[42:43], 1, v[22:23]
	flat_load_ushort v24, v[24:25]
	s_waitcnt vmcnt(0) lgkmcnt(0)
	v_mul_f16_e32 v24, v52, v24
	s_branch .LBB222_325
.LBB222_324:
	v_mov_b32_e32 v24, 0
.LBB222_325:
	v_pk_add_f16 v25, v10, v4
	v_pk_max_f16 v26, v63, v63
	s_nop 0
	v_pk_min_f16 v25, v26, v25
	v_pk_add_f16 v26, v11, v5
	s_nop 0
	v_pk_min_f16 v25, v25, v26
	s_nop 0
	v_lshrrev_b32_e32 v26, 16, v25
	v_min3_f16 v26, v24, v25, v26
	v_lshl_add_u64 v[24:25], v[42:43], 1, v[20:21]
	global_store_short v[24:25], v26, off
	s_or_b64 exec, exec, s[20:21]
	s_and_b64 s[30:31], s[14:15], s[18:19]
	s_and_saveexec_b64 s[20:21], s[30:31]
	s_cbranch_execz .LBB222_301
.LBB222_326:
	s_and_b64 vcc, exec, s[0:1]
	s_cbranch_vccnz .LBB222_328
; %bb.327:
	v_lshl_add_u64 v[24:25], v[44:45], 1, v[22:23]
	flat_load_ushort v24, v[24:25]
	s_waitcnt vmcnt(0) lgkmcnt(0)
	v_mul_f16_e32 v24, v52, v24
	s_branch .LBB222_329
.LBB222_328:
	v_mov_b32_e32 v24, 0
.LBB222_329:
	v_pk_add_f16 v25, v0, v4
	v_pk_max_f16 v26, v62, v62
	s_nop 0
	v_pk_min_f16 v25, v26, v25
	v_pk_add_f16 v26, v1, v5
	s_nop 0
	v_pk_min_f16 v25, v25, v26
	s_nop 0
	v_lshrrev_b32_e32 v26, 16, v25
	v_min3_f16 v26, v24, v25, v26
	v_lshl_add_u64 v[24:25], v[44:45], 1, v[20:21]
	global_store_short v[24:25], v26, off
	s_or_b64 exec, exec, s[20:21]
	s_and_b64 s[20:21], s[16:17], s[18:19]
	s_and_saveexec_b64 s[18:19], s[20:21]
	s_cbranch_execz .LBB222_334
.LBB222_330:
	s_and_b64 vcc, exec, s[0:1]
	s_cbranch_vccnz .LBB222_332
; %bb.331:
	v_lshl_add_u64 v[22:23], v[46:47], 1, v[22:23]
	flat_load_ushort v22, v[22:23]
	s_waitcnt vmcnt(0) lgkmcnt(0)
	v_mul_f16_e32 v22, v52, v22
	s_branch .LBB222_333
.LBB222_332:
	v_mov_b32_e32 v22, 0
.LBB222_333:
	v_pk_add_f16 v4, v2, v4
	v_pk_max_f16 v23, v61, v61
	v_pk_add_f16 v5, v3, v5
	v_pk_min_f16 v4, v23, v4
	s_nop 0
	v_pk_min_f16 v4, v4, v5
	s_nop 0
	v_lshrrev_b32_e32 v5, 16, v4
	v_min3_f16 v22, v22, v4, v5
	v_lshl_add_u64 v[4:5], v[46:47], 1, v[20:21]
	global_store_short v[4:5], v22, off
.LBB222_334:
	s_or_b64 exec, exec, s[18:19]
	v_add_u32_e32 v22, 0xe0, v94
	v_mad_i64_i32 v[4:5], s[20:21], v22, s29, 0
	v_cmp_gt_i32_e64 s[18:19], s25, v22
	v_lshl_add_u64 v[20:21], v[4:5], 1, s[22:23]
	v_mad_i64_i32 v[4:5], s[20:21], v22, s28, 0
	v_lshl_add_u64 v[4:5], v[4:5], 1, s[26:27]
	s_and_b64 s[20:21], s[4:5], s[18:19]
	s_and_saveexec_b64 s[4:5], s[20:21]
	s_cbranch_execnz .LBB222_343
; %bb.335:
	s_or_b64 exec, exec, s[4:5]
	s_and_b64 s[4:5], s[2:3], s[18:19]
	s_and_saveexec_b64 s[2:3], s[4:5]
	s_cbranch_execnz .LBB222_347
.LBB222_336:
	s_or_b64 exec, exec, s[2:3]
	s_and_b64 s[4:5], s[6:7], s[18:19]
	s_and_saveexec_b64 s[2:3], s[4:5]
	s_cbranch_execnz .LBB222_351
.LBB222_337:
	s_or_b64 exec, exec, s[2:3]
	s_and_b64 s[4:5], s[8:9], s[18:19]
	s_and_saveexec_b64 s[2:3], s[4:5]
	s_cbranch_execnz .LBB222_355
.LBB222_338:
	s_or_b64 exec, exec, s[2:3]
	s_and_b64 s[4:5], s[10:11], s[18:19]
	s_and_saveexec_b64 s[2:3], s[4:5]
	s_cbranch_execnz .LBB222_359
.LBB222_339:
	s_or_b64 exec, exec, s[2:3]
	s_and_b64 s[4:5], s[12:13], s[18:19]
	s_and_saveexec_b64 s[2:3], s[4:5]
	s_cbranch_execnz .LBB222_363
.LBB222_340:
	s_or_b64 exec, exec, s[2:3]
	s_and_b64 s[4:5], s[14:15], s[18:19]
	s_and_saveexec_b64 s[2:3], s[4:5]
	s_cbranch_execnz .LBB222_367
.LBB222_341:
	s_or_b64 exec, exec, s[2:3]
	s_and_b64 s[2:3], s[16:17], s[18:19]
	s_and_saveexec_b64 s[4:5], s[2:3]
	s_cbranch_execnz .LBB222_371
.LBB222_342:
	s_endpgm
.LBB222_343:
	s_and_b64 vcc, exec, s[0:1]
	s_cbranch_vccnz .LBB222_345
; %bb.344:
	v_lshl_add_u64 v[22:23], v[32:33], 1, v[20:21]
	flat_load_ushort v22, v[22:23]
	s_waitcnt vmcnt(0) lgkmcnt(0)
	v_mul_f16_e32 v22, v52, v22
	s_branch .LBB222_346
.LBB222_345:
	v_mov_b32_e32 v22, 0
.LBB222_346:
	v_pk_add_f16 v16, v16, v6
	v_pk_max_f16 v23, v60, v60
	v_pk_add_f16 v17, v17, v7
	v_pk_min_f16 v16, v23, v16
	s_nop 0
	v_pk_min_f16 v16, v16, v17
	s_nop 0
	v_lshrrev_b32_e32 v17, 16, v16
	v_min3_f16 v22, v22, v16, v17
	v_lshl_add_u64 v[16:17], v[32:33], 1, v[4:5]
	global_store_short v[16:17], v22, off
	s_or_b64 exec, exec, s[4:5]
	s_and_b64 s[4:5], s[2:3], s[18:19]
	s_and_saveexec_b64 s[2:3], s[4:5]
	s_cbranch_execz .LBB222_336
.LBB222_347:
	s_and_b64 vcc, exec, s[0:1]
	s_cbranch_vccnz .LBB222_349
; %bb.348:
	v_lshl_add_u64 v[16:17], v[34:35], 1, v[20:21]
	flat_load_ushort v16, v[16:17]
	s_waitcnt vmcnt(0) lgkmcnt(0)
	v_mul_f16_e32 v16, v52, v16
	s_branch .LBB222_350
.LBB222_349:
	v_mov_b32_e32 v16, 0
.LBB222_350:
	v_pk_add_f16 v17, v18, v6
	v_pk_max_f16 v18, v59, v59
	s_nop 0
	v_pk_min_f16 v17, v18, v17
	v_pk_add_f16 v18, v19, v7
	s_nop 0
	v_pk_min_f16 v17, v17, v18
	s_nop 0
	v_lshrrev_b32_e32 v18, 16, v17
	v_min3_f16 v18, v16, v17, v18
	v_lshl_add_u64 v[16:17], v[34:35], 1, v[4:5]
	global_store_short v[16:17], v18, off
	s_or_b64 exec, exec, s[2:3]
	s_and_b64 s[4:5], s[6:7], s[18:19]
	s_and_saveexec_b64 s[2:3], s[4:5]
	s_cbranch_execz .LBB222_337
.LBB222_351:
	s_and_b64 vcc, exec, s[0:1]
	s_cbranch_vccnz .LBB222_353
; %bb.352:
	v_lshl_add_u64 v[16:17], v[36:37], 1, v[20:21]
	flat_load_ushort v16, v[16:17]
	s_waitcnt vmcnt(0) lgkmcnt(0)
	v_mul_f16_e32 v16, v52, v16
	s_branch .LBB222_354
.LBB222_353:
	v_mov_b32_e32 v16, 0
.LBB222_354:
	v_pk_add_f16 v12, v12, v6
	v_pk_max_f16 v17, v58, v58
	v_pk_add_f16 v13, v13, v7
	v_pk_min_f16 v12, v17, v12
	s_nop 0
	v_pk_min_f16 v12, v12, v13
	s_nop 0
	v_lshrrev_b32_e32 v13, 16, v12
	v_min3_f16 v16, v16, v12, v13
	v_lshl_add_u64 v[12:13], v[36:37], 1, v[4:5]
	global_store_short v[12:13], v16, off
	s_or_b64 exec, exec, s[2:3]
	s_and_b64 s[4:5], s[8:9], s[18:19]
	s_and_saveexec_b64 s[2:3], s[4:5]
	s_cbranch_execz .LBB222_338
.LBB222_355:
	s_and_b64 vcc, exec, s[0:1]
	s_cbranch_vccnz .LBB222_357
; %bb.356:
	v_lshl_add_u64 v[12:13], v[38:39], 1, v[20:21]
	flat_load_ushort v12, v[12:13]
	s_waitcnt vmcnt(0) lgkmcnt(0)
	v_mul_f16_e32 v12, v52, v12
	s_branch .LBB222_358
.LBB222_357:
	v_mov_b32_e32 v12, 0
.LBB222_358:
	v_pk_add_f16 v13, v14, v6
	v_pk_max_f16 v14, v56, v56
	s_nop 0
	v_pk_min_f16 v13, v14, v13
	v_pk_add_f16 v14, v15, v7
	s_nop 0
	v_pk_min_f16 v13, v13, v14
	s_nop 0
	v_lshrrev_b32_e32 v14, 16, v13
	v_min3_f16 v14, v12, v13, v14
	v_lshl_add_u64 v[12:13], v[38:39], 1, v[4:5]
	global_store_short v[12:13], v14, off
	s_or_b64 exec, exec, s[2:3]
	s_and_b64 s[4:5], s[10:11], s[18:19]
	s_and_saveexec_b64 s[2:3], s[4:5]
	s_cbranch_execz .LBB222_339
.LBB222_359:
	s_and_b64 vcc, exec, s[0:1]
	s_cbranch_vccnz .LBB222_361
; %bb.360:
	v_lshl_add_u64 v[12:13], v[40:41], 1, v[20:21]
	flat_load_ushort v12, v[12:13]
	s_waitcnt vmcnt(0) lgkmcnt(0)
	v_mul_f16_e32 v12, v52, v12
	s_branch .LBB222_362
.LBB222_361:
	v_mov_b32_e32 v12, 0
.LBB222_362:
	v_pk_add_f16 v8, v8, v6
	v_pk_max_f16 v13, v55, v55
	v_pk_add_f16 v9, v9, v7
	v_pk_min_f16 v8, v13, v8
	s_nop 0
	v_pk_min_f16 v8, v8, v9
	s_nop 0
	v_lshrrev_b32_e32 v9, 16, v8
	v_min3_f16 v12, v12, v8, v9
	v_lshl_add_u64 v[8:9], v[40:41], 1, v[4:5]
	global_store_short v[8:9], v12, off
	s_or_b64 exec, exec, s[2:3]
	s_and_b64 s[4:5], s[12:13], s[18:19]
	s_and_saveexec_b64 s[2:3], s[4:5]
	s_cbranch_execz .LBB222_340
.LBB222_363:
	s_and_b64 vcc, exec, s[0:1]
	s_cbranch_vccnz .LBB222_365
; %bb.364:
	v_lshl_add_u64 v[8:9], v[42:43], 1, v[20:21]
	flat_load_ushort v8, v[8:9]
	s_waitcnt vmcnt(0) lgkmcnt(0)
	v_mul_f16_e32 v8, v52, v8
	s_branch .LBB222_366
.LBB222_365:
	v_mov_b32_e32 v8, 0
.LBB222_366:
	v_pk_add_f16 v9, v10, v6
	v_pk_max_f16 v10, v54, v54
	s_nop 0
	v_pk_min_f16 v9, v10, v9
	v_pk_add_f16 v10, v11, v7
	s_nop 0
	v_pk_min_f16 v9, v9, v10
	s_nop 0
	v_lshrrev_b32_e32 v10, 16, v9
	v_min3_f16 v10, v8, v9, v10
	v_lshl_add_u64 v[8:9], v[42:43], 1, v[4:5]
	global_store_short v[8:9], v10, off
	s_or_b64 exec, exec, s[2:3]
	s_and_b64 s[4:5], s[14:15], s[18:19]
	s_and_saveexec_b64 s[2:3], s[4:5]
	s_cbranch_execz .LBB222_341
.LBB222_367:
	s_and_b64 vcc, exec, s[0:1]
	s_cbranch_vccnz .LBB222_369
; %bb.368:
	v_lshl_add_u64 v[8:9], v[44:45], 1, v[20:21]
	flat_load_ushort v8, v[8:9]
	s_waitcnt vmcnt(0) lgkmcnt(0)
	v_mul_f16_e32 v8, v52, v8
	s_branch .LBB222_370
.LBB222_369:
	v_mov_b32_e32 v8, 0
.LBB222_370:
	v_pk_add_f16 v0, v0, v6
	v_pk_max_f16 v9, v53, v53
	v_pk_add_f16 v1, v1, v7
	v_pk_min_f16 v0, v9, v0
	s_nop 0
	v_pk_min_f16 v0, v0, v1
	s_nop 0
	v_lshrrev_b32_e32 v1, 16, v0
	v_min3_f16 v8, v8, v0, v1
	v_lshl_add_u64 v[0:1], v[44:45], 1, v[4:5]
	global_store_short v[0:1], v8, off
	s_or_b64 exec, exec, s[2:3]
	s_and_b64 s[2:3], s[16:17], s[18:19]
	s_and_saveexec_b64 s[4:5], s[2:3]
	s_cbranch_execz .LBB222_342
.LBB222_371:
	s_and_b64 vcc, exec, s[0:1]
	s_cbranch_vccnz .LBB222_373
; %bb.372:
	v_lshl_add_u64 v[0:1], v[46:47], 1, v[20:21]
	flat_load_ushort v0, v[0:1]
	s_waitcnt vmcnt(0) lgkmcnt(0)
	v_mul_f16_e32 v0, v52, v0
	s_branch .LBB222_374
.LBB222_373:
	v_mov_b32_e32 v0, 0
.LBB222_374:
	v_pk_add_f16 v1, v2, v6
	v_pk_max_f16 v2, v57, v57
	s_nop 0
	v_pk_min_f16 v1, v2, v1
	v_pk_add_f16 v2, v3, v7
	s_nop 0
	v_pk_min_f16 v1, v1, v2
	s_nop 0
	v_lshrrev_b32_e32 v2, 16, v1
	v_min3_f16 v2, v0, v1, v2
	v_lshl_add_u64 v[0:1], v[46:47], 1, v[4:5]
	global_store_short v[0:1], v2, off
	s_endpgm
	.section	.rodata,"a",@progbits
	.p2align	6, 0x0
	.amdhsa_kernel _ZN12_GLOBAL__N_120geam_min_plus_kernelIDF16_Dv2_DF16_S1_Li8ELi32ELi64ELi256ELi4ELi64ELi4ELi64ELi4ELc78ELc84ELb0ELb1ELb1EPKDF16_KS3_KPDF16_EEviiiT16_PT17_ilS9_ilS7_S9_ilPT18_ili26rocblas_geam_ex_operation_
		.amdhsa_group_segment_fixed_size 5120
		.amdhsa_private_segment_fixed_size 0
		.amdhsa_kernarg_size 136
		.amdhsa_user_sgpr_count 2
		.amdhsa_user_sgpr_dispatch_ptr 0
		.amdhsa_user_sgpr_queue_ptr 0
		.amdhsa_user_sgpr_kernarg_segment_ptr 1
		.amdhsa_user_sgpr_dispatch_id 0
		.amdhsa_user_sgpr_kernarg_preload_length 0
		.amdhsa_user_sgpr_kernarg_preload_offset 0
		.amdhsa_user_sgpr_private_segment_size 0
		.amdhsa_uses_dynamic_stack 0
		.amdhsa_enable_private_segment 0
		.amdhsa_system_sgpr_workgroup_id_x 1
		.amdhsa_system_sgpr_workgroup_id_y 0
		.amdhsa_system_sgpr_workgroup_id_z 1
		.amdhsa_system_sgpr_workgroup_info 0
		.amdhsa_system_vgpr_workitem_id 1
		.amdhsa_next_free_vgpr 177
		.amdhsa_next_free_sgpr 42
		.amdhsa_accum_offset 180
		.amdhsa_reserve_vcc 1
		.amdhsa_float_round_mode_32 0
		.amdhsa_float_round_mode_16_64 0
		.amdhsa_float_denorm_mode_32 3
		.amdhsa_float_denorm_mode_16_64 3
		.amdhsa_dx10_clamp 1
		.amdhsa_ieee_mode 1
		.amdhsa_fp16_overflow 0
		.amdhsa_tg_split 0
		.amdhsa_exception_fp_ieee_invalid_op 0
		.amdhsa_exception_fp_denorm_src 0
		.amdhsa_exception_fp_ieee_div_zero 0
		.amdhsa_exception_fp_ieee_overflow 0
		.amdhsa_exception_fp_ieee_underflow 0
		.amdhsa_exception_fp_ieee_inexact 0
		.amdhsa_exception_int_div_zero 0
	.end_amdhsa_kernel
	.section	.text._ZN12_GLOBAL__N_120geam_min_plus_kernelIDF16_Dv2_DF16_S1_Li8ELi32ELi64ELi256ELi4ELi64ELi4ELi64ELi4ELc78ELc84ELb0ELb1ELb1EPKDF16_KS3_KPDF16_EEviiiT16_PT17_ilS9_ilS7_S9_ilPT18_ili26rocblas_geam_ex_operation_,"axG",@progbits,_ZN12_GLOBAL__N_120geam_min_plus_kernelIDF16_Dv2_DF16_S1_Li8ELi32ELi64ELi256ELi4ELi64ELi4ELi64ELi4ELc78ELc84ELb0ELb1ELb1EPKDF16_KS3_KPDF16_EEviiiT16_PT17_ilS9_ilS7_S9_ilPT18_ili26rocblas_geam_ex_operation_,comdat
.Lfunc_end222:
	.size	_ZN12_GLOBAL__N_120geam_min_plus_kernelIDF16_Dv2_DF16_S1_Li8ELi32ELi64ELi256ELi4ELi64ELi4ELi64ELi4ELc78ELc84ELb0ELb1ELb1EPKDF16_KS3_KPDF16_EEviiiT16_PT17_ilS9_ilS7_S9_ilPT18_ili26rocblas_geam_ex_operation_, .Lfunc_end222-_ZN12_GLOBAL__N_120geam_min_plus_kernelIDF16_Dv2_DF16_S1_Li8ELi32ELi64ELi256ELi4ELi64ELi4ELi64ELi4ELc78ELc84ELb0ELb1ELb1EPKDF16_KS3_KPDF16_EEviiiT16_PT17_ilS9_ilS7_S9_ilPT18_ili26rocblas_geam_ex_operation_
                                        ; -- End function
	.section	.AMDGPU.csdata,"",@progbits
; Kernel info:
; codeLenInByte = 20036
; NumSgprs: 48
; NumVgprs: 177
; NumAgprs: 0
; TotalNumVgprs: 177
; ScratchSize: 0
; MemoryBound: 0
; FloatMode: 240
; IeeeMode: 1
; LDSByteSize: 5120 bytes/workgroup (compile time only)
; SGPRBlocks: 5
; VGPRBlocks: 22
; NumSGPRsForWavesPerEU: 48
; NumVGPRsForWavesPerEU: 177
; AccumOffset: 180
; Occupancy: 2
; WaveLimiterHint : 1
; COMPUTE_PGM_RSRC2:SCRATCH_EN: 0
; COMPUTE_PGM_RSRC2:USER_SGPR: 2
; COMPUTE_PGM_RSRC2:TRAP_HANDLER: 0
; COMPUTE_PGM_RSRC2:TGID_X_EN: 1
; COMPUTE_PGM_RSRC2:TGID_Y_EN: 0
; COMPUTE_PGM_RSRC2:TGID_Z_EN: 1
; COMPUTE_PGM_RSRC2:TIDIG_COMP_CNT: 1
; COMPUTE_PGM_RSRC3_GFX90A:ACCUM_OFFSET: 44
; COMPUTE_PGM_RSRC3_GFX90A:TG_SPLIT: 0
	.section	.text._ZN12_GLOBAL__N_120geam_min_plus_kernelIDF16_Dv2_DF16_S1_Li8ELi32ELi64ELi256ELi4ELi64ELi4ELi64ELi4ELc78ELc84ELb1ELb1ELb1EDF16_KPKDF16_KPDF16_EEviiiT16_PT17_ilS9_ilS7_S9_ilPT18_ili26rocblas_geam_ex_operation_,"axG",@progbits,_ZN12_GLOBAL__N_120geam_min_plus_kernelIDF16_Dv2_DF16_S1_Li8ELi32ELi64ELi256ELi4ELi64ELi4ELi64ELi4ELc78ELc84ELb1ELb1ELb1EDF16_KPKDF16_KPDF16_EEviiiT16_PT17_ilS9_ilS7_S9_ilPT18_ili26rocblas_geam_ex_operation_,comdat
	.globl	_ZN12_GLOBAL__N_120geam_min_plus_kernelIDF16_Dv2_DF16_S1_Li8ELi32ELi64ELi256ELi4ELi64ELi4ELi64ELi4ELc78ELc84ELb1ELb1ELb1EDF16_KPKDF16_KPDF16_EEviiiT16_PT17_ilS9_ilS7_S9_ilPT18_ili26rocblas_geam_ex_operation_ ; -- Begin function _ZN12_GLOBAL__N_120geam_min_plus_kernelIDF16_Dv2_DF16_S1_Li8ELi32ELi64ELi256ELi4ELi64ELi4ELi64ELi4ELc78ELc84ELb1ELb1ELb1EDF16_KPKDF16_KPDF16_EEviiiT16_PT17_ilS9_ilS7_S9_ilPT18_ili26rocblas_geam_ex_operation_
	.p2align	8
	.type	_ZN12_GLOBAL__N_120geam_min_plus_kernelIDF16_Dv2_DF16_S1_Li8ELi32ELi64ELi256ELi4ELi64ELi4ELi64ELi4ELc78ELc84ELb1ELb1ELb1EDF16_KPKDF16_KPDF16_EEviiiT16_PT17_ilS9_ilS7_S9_ilPT18_ili26rocblas_geam_ex_operation_,@function
_ZN12_GLOBAL__N_120geam_min_plus_kernelIDF16_Dv2_DF16_S1_Li8ELi32ELi64ELi256ELi4ELi64ELi4ELi64ELi4ELc78ELc84ELb1ELb1ELb1EDF16_KPKDF16_KPDF16_EEviiiT16_PT17_ilS9_ilS7_S9_ilPT18_ili26rocblas_geam_ex_operation_: ; @_ZN12_GLOBAL__N_120geam_min_plus_kernelIDF16_Dv2_DF16_S1_Li8ELi32ELi64ELi256ELi4ELi64ELi4ELi64ELi4ELc78ELc84ELb1ELb1ELb1EDF16_KPKDF16_KPDF16_EEviiiT16_PT17_ilS9_ilS7_S9_ilPT18_ili26rocblas_geam_ex_operation_
; %bb.0:
	s_load_dwordx4 s[20:23], s[0:1], 0x0
	s_load_dwordx4 s[4:7], s[0:1], 0x20
	s_mov_b32 s8, s3
	s_mov_b32 s9, 0
	s_waitcnt lgkmcnt(0)
	v_cmp_eq_f16_e64 s[10:11], s23, 0
	s_and_b64 vcc, exec, s[10:11]
	s_cbranch_vccnz .LBB223_3
; %bb.1:
	s_load_dwordx2 s[12:13], s[0:1], 0x10
	s_lshl_b64 s[14:15], s[8:9], 3
	s_waitcnt lgkmcnt(0)
	s_add_u32 s12, s12, s14
	s_addc_u32 s13, s13, s15
	s_load_dwordx2 s[12:13], s[12:13], 0x0
	s_lshl_b64 s[4:5], s[4:5], 1
	s_waitcnt lgkmcnt(0)
	s_add_u32 s16, s12, s4
	s_addc_u32 s17, s13, s5
	s_andn2_b64 vcc, exec, s[10:11]
	s_cbranch_vccnz .LBB223_4
.LBB223_2:
	s_mov_b64 s[18:19], 0
	s_cbranch_execz .LBB223_5
	s_branch .LBB223_6
.LBB223_3:
	s_mov_b64 s[16:17], 0
	s_andn2_b64 vcc, exec, s[10:11]
	s_cbranch_vccz .LBB223_2
.LBB223_4:
                                        ; implicit-def: $sgpr18_sgpr19
.LBB223_5:
	s_lshl_b64 s[10:11], s[8:9], 3
	s_add_u32 s6, s6, s10
	s_load_dwordx2 s[4:5], s[0:1], 0x38
	s_addc_u32 s7, s7, s11
	s_load_dwordx2 s[6:7], s[6:7], 0x0
	s_waitcnt lgkmcnt(0)
	s_lshl_b64 s[4:5], s[4:5], 1
	s_add_u32 s18, s6, s4
	s_addc_u32 s19, s7, s5
.LBB223_6:
	s_load_dword s33, s[0:1], 0x40
	s_load_dwordx4 s[4:7], s[0:1], 0x58
	s_waitcnt lgkmcnt(0)
	v_cmp_eq_f16_e64 s[10:11], s33, 0
	v_cmp_neq_f16_e64 s[12:13], s33, 0
	s_and_b64 vcc, exec, s[10:11]
	s_cbranch_vccnz .LBB223_8
; %bb.7:
	s_load_dwordx2 s[10:11], s[0:1], 0x48
	s_lshl_b64 s[14:15], s[8:9], 3
	s_waitcnt lgkmcnt(0)
	s_add_u32 s10, s10, s14
	s_addc_u32 s11, s11, s15
	s_load_dwordx2 s[10:11], s[10:11], 0x0
	s_lshl_b64 s[4:5], s[4:5], 1
	s_waitcnt lgkmcnt(0)
	s_add_u32 s24, s10, s4
	s_addc_u32 s25, s11, s5
	s_branch .LBB223_9
.LBB223_8:
	s_mov_b64 s[24:25], 0
.LBB223_9:
	s_load_dword s26, s[0:1], 0x18
	s_lshl_b64 s[4:5], s[8:9], 3
	v_and_b32_e32 v46, 0x3ff, v0
	v_bfe_u32 v47, v0, 10, 10
	v_mov_b32_e32 v2, 0x7c00
	s_waitcnt lgkmcnt(0)
	s_ashr_i32 s27, s26, 31
	s_add_u32 s4, s6, s4
	s_addc_u32 s5, s7, s5
	s_add_i32 s3, s20, -1
	s_ashr_i32 s6, s3, 31
	s_lshr_b32 s6, s6, 26
	s_add_i32 s3, s3, s6
	s_ashr_i32 s3, s3, 6
	s_add_i32 s6, s3, 1
	v_cvt_f32_u32_e32 v1, s6
	s_load_dwordx2 s[14:15], s[4:5], 0x0
	s_not_b32 s3, s3
	v_mov_b32_e32 v4, 0x7c00
	v_rcp_iflag_f32_e32 v0, v1
	v_lshl_add_u32 v1, v47, 3, v46
	v_and_b32_e32 v3, 63, v1
	v_lshrrev_b32_e32 v48, 6, v1
	v_mul_f32_e32 v0, 0x4f7ffffe, v0
	v_cvt_u32_f32_e32 v0, v0
	v_cmp_le_i32_e64 s[10:11], s22, v48
	v_readfirstlane_b32 s4, v0
	s_mul_i32 s3, s3, s4
	s_mul_hi_u32 s3, s4, s3
	s_add_i32 s4, s4, s3
	s_mul_hi_u32 s3, s2, s4
	s_mul_i32 s4, s3, s6
	s_sub_i32 s4, s2, s4
	s_add_i32 s5, s3, 1
	s_sub_i32 s7, s4, s6
	s_cmp_ge_u32 s4, s6
	s_cselect_b32 s3, s5, s3
	s_cselect_b32 s4, s7, s4
	s_add_i32 s5, s3, 1
	s_cmp_ge_u32 s4, s6
	s_cselect_b32 s4, s5, s3
	s_mul_i32 s3, s4, s6
	s_sub_i32 s2, s2, s3
	s_lshl_b32 s34, s2, 6
	v_or_b32_e32 v32, s34, v3
	v_cmp_le_i32_e32 vcc, s20, v32
	s_or_b64 s[2:3], vcc, s[10:11]
	s_xor_b64 s[6:7], s[2:3], -1
	v_ashrrev_i32_e32 v33, 31, v32
	s_and_saveexec_b64 s[2:3], s[6:7]
	s_cbranch_execz .LBB223_11
; %bb.10:
	v_mad_i64_i32 v[0:1], s[6:7], s26, v48, 0
	v_lshl_add_u64 v[0:1], v[0:1], 1, s[16:17]
	v_lshl_add_u64 v[0:1], v[32:33], 1, v[0:1]
	flat_load_ushort v4, v[0:1]
.LBB223_11:
	s_or_b64 exec, exec, s[2:3]
	s_load_dword s28, s[0:1], 0x30
	s_lshl_b32 s35, s4, 8
	v_or_b32_e32 v38, s35, v3
	v_cmp_le_i32_e64 s[2:3], s21, v38
	v_ashrrev_i32_e32 v39, 31, v38
	s_waitcnt lgkmcnt(0)
	v_mad_i64_i32 v[0:1], s[4:5], v48, s28, 0
	s_or_b64 s[4:5], s[2:3], s[10:11]
	v_lshl_add_u64 v[0:1], v[0:1], 1, s[18:19]
	s_xor_b64 s[6:7], s[4:5], -1
	s_and_saveexec_b64 s[4:5], s[6:7]
	s_cbranch_execz .LBB223_13
; %bb.12:
	v_lshl_add_u64 v[6:7], v[38:39], 1, v[0:1]
	flat_load_ushort v2, v[6:7]
.LBB223_13:
	s_or_b64 exec, exec, s[4:5]
	v_or_b32_e32 v5, 64, v38
	v_cmp_le_i32_e64 s[4:5], s21, v5
	s_or_b64 s[6:7], s[4:5], s[10:11]
	s_xor_b64 s[8:9], s[6:7], -1
	v_mov_b32_e32 v5, 0x7c00
	v_mov_b32_e32 v6, 0x7c00
	s_and_saveexec_b64 s[6:7], s[8:9]
	s_cbranch_execz .LBB223_15
; %bb.14:
	v_lshl_add_u64 v[6:7], v[38:39], 1, v[0:1]
	flat_load_ushort v6, v[6:7] offset:128
.LBB223_15:
	s_or_b64 exec, exec, s[6:7]
	v_or_b32_e32 v7, 0x80, v38
	v_cmp_le_i32_e64 s[6:7], s21, v7
	s_or_b64 s[8:9], s[6:7], s[10:11]
	s_ashr_i32 s29, s28, 31
	s_xor_b64 s[30:31], s[8:9], -1
	s_and_saveexec_b64 s[8:9], s[30:31]
	s_cbranch_execz .LBB223_17
; %bb.16:
	v_lshl_add_u64 v[8:9], v[38:39], 1, v[0:1]
	flat_load_ushort v5, v[8:9] offset:256
.LBB223_17:
	s_or_b64 exec, exec, s[8:9]
	v_or_b32_e32 v7, 0xc0, v38
	v_cmp_le_i32_e64 s[8:9], s21, v7
	s_or_b64 s[10:11], s[8:9], s[10:11]
	s_xor_b64 s[30:31], s[10:11], -1
	v_mov_b32_e32 v34, 0x7c00
	v_mov_b32_e32 v7, 0x7c00
	s_and_saveexec_b64 s[10:11], s[30:31]
	s_cbranch_execz .LBB223_19
; %bb.18:
	v_lshl_add_u64 v[0:1], v[38:39], 1, v[0:1]
	flat_load_ushort v7, v[0:1] offset:384
.LBB223_19:
	s_or_b64 exec, exec, s[10:11]
	v_add_u32_e32 v0, 4, v48
	v_cmp_le_i32_e64 s[10:11], s22, v0
	s_or_b64 s[30:31], vcc, s[10:11]
	s_xor_b64 s[36:37], s[30:31], -1
	s_and_saveexec_b64 s[30:31], s[36:37]
	s_cbranch_execz .LBB223_21
; %bb.20:
	v_mad_i64_i32 v[8:9], s[36:37], s26, v0, 0
	v_lshl_add_u64 v[8:9], v[8:9], 1, s[16:17]
	v_lshl_add_u64 v[8:9], v[32:33], 1, v[8:9]
	flat_load_ushort v34, v[8:9]
.LBB223_21:
	s_or_b64 exec, exec, s[30:31]
	v_mad_i64_i32 v[0:1], s[30:31], v0, s28, 0
	s_or_b64 s[30:31], s[2:3], s[10:11]
	v_lshl_add_u64 v[0:1], v[0:1], 1, s[18:19]
	s_xor_b64 s[36:37], s[30:31], -1
	v_mov_b32_e32 v35, 0x7c00
	v_mov_b32_e32 v36, 0x7c00
	s_and_saveexec_b64 s[30:31], s[36:37]
	s_cbranch_execz .LBB223_23
; %bb.22:
	v_lshl_add_u64 v[8:9], v[38:39], 1, v[0:1]
	flat_load_ushort v36, v[8:9]
.LBB223_23:
	s_or_b64 exec, exec, s[30:31]
	s_or_b64 s[30:31], s[4:5], s[10:11]
	s_xor_b64 s[36:37], s[30:31], -1
	s_and_saveexec_b64 s[30:31], s[36:37]
	s_cbranch_execz .LBB223_25
; %bb.24:
	v_lshl_add_u64 v[8:9], v[38:39], 1, v[0:1]
	flat_load_ushort v35, v[8:9] offset:128
.LBB223_25:
	s_or_b64 exec, exec, s[30:31]
	s_or_b64 s[30:31], s[6:7], s[10:11]
	s_xor_b64 s[36:37], s[30:31], -1
	v_mov_b32_e32 v37, 0x7c00
	v_mov_b32_e32 v40, 0x7c00
	s_and_saveexec_b64 s[30:31], s[36:37]
	s_cbranch_execz .LBB223_27
; %bb.26:
	v_lshl_add_u64 v[8:9], v[38:39], 1, v[0:1]
	flat_load_ushort v40, v[8:9] offset:256
.LBB223_27:
	s_or_b64 exec, exec, s[30:31]
	s_or_b64 s[10:11], s[8:9], s[10:11]
	s_xor_b64 s[30:31], s[10:11], -1
	s_and_saveexec_b64 s[10:11], s[30:31]
	s_cbranch_execz .LBB223_29
; %bb.28:
	v_lshl_add_u64 v[0:1], v[38:39], 1, v[0:1]
	flat_load_ushort v37, v[0:1] offset:384
.LBB223_29:
	s_or_b64 exec, exec, s[10:11]
	v_lshlrev_b32_e32 v0, 1, v48
	v_lshlrev_b32_e32 v49, 3, v46
	v_lshl_add_u32 v51, v3, 3, v0
	v_add_u32_e32 v92, 0x1000, v49
	s_waitcnt vmcnt(0)
	ds_write_b16 v51, v4 offset:4096
	s_waitcnt lgkmcnt(0)
	ds_write_b16 v51, v2
	ds_write_b16 v51, v6 offset:512
	ds_write_b16 v51, v5 offset:1024
	;; [unrolled: 1-line block ×3, first 2 shown]
	s_waitcnt lgkmcnt(0)
	s_barrier
	ds_read2_b64 v[16:19], v92 offset1:8
	ds_read2_b64 v[12:15], v92 offset0:16 offset1:24
	ds_read2_b64 v[0:3], v92 offset0:32 offset1:40
	v_lshlrev_b32_e32 v50, 3, v47
	ds_read2_b64 v[28:31], v50 offset1:32
	ds_read2_b64 v[4:7], v92 offset0:48 offset1:56
	ds_read2_b64 v[24:27], v50 offset0:64 offset1:96
	;; [unrolled: 1-line block ×4, first 2 shown]
	s_movk_i32 s10, 0x7c00
	s_waitcnt lgkmcnt(4)
	v_pk_add_f16 v41, v16, v28
	v_pk_add_f16 v42, v18, v28
	s_waitcnt lgkmcnt(1)
	v_pk_add_f16 v80, v2, v20
	v_pk_min_f16 v41, v41, s10 op_sel_hi:[1,0]
	v_pk_min_f16 v117, v80, s10 op_sel_hi:[1,0]
	v_pk_add_f16 v80, v4, v20
	v_pk_add_f16 v43, v12, v28
	v_pk_min_f16 v118, v80, s10 op_sel_hi:[1,0]
	v_pk_add_f16 v80, v16, v22
	v_pk_add_f16 v44, v14, v28
	;; [unrolled: 3-line block ×8, first 2 shown]
	v_pk_min_f16 v125, v80, s10 op_sel_hi:[1,0]
	s_waitcnt lgkmcnt(0)
	v_pk_add_f16 v80, v16, v8
	v_pk_add_f16 v56, v12, v30
	v_pk_min_f16 v126, v80, s10 op_sel_hi:[1,0]
	v_pk_add_f16 v80, v18, v8
	v_pk_add_f16 v57, v14, v30
	v_pk_min_f16 v127, v80, s10 op_sel_hi:[1,0]
	;; [unrolled: 3-line block ×5, first 2 shown]
	v_pk_add_f16 v80, v2, v8
	v_pk_add_f16 v30, v6, v30
	;; [unrolled: 1-line block ×25, first 2 shown]
	v_pk_min_f16 v131, v80, s10 op_sel_hi:[1,0]
	v_pk_add_f16 v80, v4, v8
	v_pk_add_f16 v8, v6, v8
	;; [unrolled: 1-line block ×11, first 2 shown]
	v_pk_min_f16 v42, v42, s10 op_sel_hi:[1,0]
	v_pk_min_f16 v116, v41, v10
	v_pk_add_f16 v10, v19, v29
	v_pk_min_f16 v43, v43, s10 op_sel_hi:[1,0]
	v_pk_min_f16 v115, v42, v10
	v_pk_add_f16 v10, v13, v29
	;; [unrolled: 3-line block ×35, first 2 shown]
	v_pk_min_f16 v79, v79, s10 op_sel_hi:[1,0]
	v_pk_min_f16 v132, v80, s10 op_sel_hi:[1,0]
	v_pk_min_f16 v80, v78, v10
	v_pk_add_f16 v10, v1, v21
	v_pk_min_f16 v20, v20, s10 op_sel_hi:[1,0]
	v_pk_min_f16 v79, v79, v10
	v_pk_add_f16 v10, v3, v21
	;; [unrolled: 3-line block ×12, first 2 shown]
	s_cmp_lt_i32 s22, 9
	v_pk_min_f16 v68, v22, v10
	v_pk_add_f16 v10, v17, v9
	ds_write_b16 v51, v34 offset:4608
	ds_write_b16 v51, v36 offset:2048
	;; [unrolled: 1-line block ×5, first 2 shown]
	v_pk_min_f16 v67, v126, v10
	v_pk_add_f16 v10, v19, v9
	s_waitcnt lgkmcnt(0)
	v_pk_min_f16 v66, v127, v10
	v_pk_add_f16 v10, v13, v9
	s_barrier
	v_pk_min_f16 v65, v128, v10
	v_pk_add_f16 v10, v15, v9
	s_nop 0
	v_pk_min_f16 v64, v129, v10
	v_pk_add_f16 v10, v1, v9
	v_pk_add_f16 v1, v1, v11
	v_pk_min_f16 v63, v130, v10
	v_pk_add_f16 v10, v3, v9
	v_pk_min_f16 v54, v0, v1
	v_pk_min_f16 v62, v131, v10
	v_pk_add_f16 v10, v5, v9
	v_pk_add_f16 v9, v7, v9
	;; [unrolled: 1-line block ×3, first 2 shown]
	v_pk_min_f16 v60, v8, v9
	v_pk_add_f16 v8, v17, v11
	v_pk_min_f16 v53, v2, v0
	v_pk_min_f16 v59, v16, v8
	v_pk_add_f16 v8, v19, v11
	v_pk_add_f16 v0, v5, v11
	v_pk_min_f16 v58, v18, v8
	v_pk_add_f16 v8, v13, v11
	v_pk_min_f16 v52, v4, v0
	v_pk_min_f16 v57, v12, v8
	v_pk_add_f16 v8, v15, v11
	v_pk_add_f16 v0, v7, v11
	v_pk_min_f16 v61, v132, v10
	v_pk_min_f16 v55, v14, v8
	;; [unrolled: 1-line block ×3, first 2 shown]
	s_cbranch_scc1 .LBB223_52
; %bb.30:
	v_mov_b32_e32 v0, 0x1200
	v_lshl_add_u32 v120, v46, 3, v0
	v_add_u32_e32 v0, v50, v46
	v_lshrrev_b32_e32 v2, 6, v0
	v_add_u32_e32 v3, 8, v2
	v_mad_i64_i32 v[0:1], s[10:11], v3, s26, 0
	v_lshlrev_b64 v[34:35], 1, v[0:1]
	v_mad_i64_i32 v[0:1], s[10:11], v3, s28, 0
	v_add_u32_e32 v2, 12, v2
	v_lshlrev_b64 v[36:37], 1, v[0:1]
	v_mad_i64_i32 v[0:1], s[10:11], v2, s28, 0
	v_lshlrev_b64 v[40:41], 1, v[0:1]
	v_mad_i64_i32 v[0:1], s[10:11], v2, s26, 0
	v_or_b32_e32 v117, 0x1000, v51
	v_add_u32_e32 v118, 0x1200, v51
	v_or_b32_e32 v119, 0x800, v51
	s_add_i32 s23, s22, -8
	v_lshl_add_u64 v[32:33], v[32:33], 1, s[16:17]
	v_add_u32_e32 v121, 0x800, v50
	s_lshl_b64 s[16:17], s[26:27], 4
	v_lshl_add_u64 v[38:39], v[38:39], 1, s[18:19]
	s_lshl_b64 s[18:19], s[28:29], 4
	v_lshlrev_b64 v[42:43], 1, v[0:1]
	s_mov_b32 s28, 0
	s_branch .LBB223_32
.LBB223_31:                             ;   in Loop: Header=BB223_32 Depth=1
	s_or_b64 exec, exec, s[10:11]
	ds_read2_b64 v[8:11], v92 offset1:8
	ds_read2_b64 v[4:7], v92 offset0:16 offset1:24
	ds_read2_b64 v[0:3], v92 offset0:32 offset1:40
	ds_read2_b64 v[128:131], v50 offset1:32
	ds_read2_b64 v[12:15], v92 offset0:48 offset1:56
	ds_read2_b64 v[24:27], v50 offset0:64 offset1:96
	;; [unrolled: 1-line block ×4, first 2 shown]
	s_waitcnt lgkmcnt(0)
	v_pk_add_f16 v44, v8, v128
	v_pk_max_f16 v45, v112, v112
	v_pk_max_f16 v111, v111, v111
	v_pk_min_f16 v44, v45, v44
	v_pk_add_f16 v45, v10, v128
	v_pk_max_f16 v110, v110, v110
	v_pk_min_f16 v45, v111, v45
	v_pk_add_f16 v111, v4, v128
	;; [unrolled: 3-line block ×22, first 2 shown]
	v_pk_add_f16 v24, v14, v24
	v_pk_max_f16 v87, v87, v87
	v_pk_min_f16 v24, v88, v24
	v_pk_add_f16 v88, v8, v26
	v_pk_max_f16 v86, v86, v86
	v_pk_min_f16 v87, v87, v88
	v_pk_add_f16 v88, v10, v26
	v_pk_max_f16 v85, v85, v85
	v_pk_min_f16 v86, v86, v88
	v_pk_add_f16 v88, v4, v26
	v_pk_max_f16 v84, v84, v84
	v_pk_min_f16 v85, v85, v88
	v_pk_add_f16 v88, v6, v26
	v_pk_max_f16 v83, v83, v83
	v_pk_min_f16 v84, v84, v88
	v_pk_add_f16 v88, v0, v26
	v_pk_max_f16 v82, v82, v82
	v_pk_min_f16 v83, v83, v88
	v_pk_add_f16 v88, v2, v26
	v_pk_max_f16 v80, v80, v80
	v_pk_min_f16 v82, v82, v88
	v_pk_add_f16 v88, v12, v26
	v_pk_add_f16 v26, v14, v26
	v_pk_max_f16 v79, v79, v79
	v_pk_min_f16 v26, v80, v26
	v_pk_add_f16 v80, v8, v20
	v_pk_max_f16 v78, v78, v78
	v_pk_min_f16 v79, v79, v80
	v_pk_add_f16 v80, v10, v20
	v_pk_max_f16 v77, v77, v77
	v_pk_min_f16 v78, v78, v80
	v_pk_add_f16 v80, v4, v20
	v_pk_max_f16 v76, v76, v76
	v_pk_min_f16 v77, v77, v80
	v_pk_add_f16 v80, v6, v20
	v_pk_max_f16 v75, v75, v75
	v_pk_min_f16 v76, v76, v80
	v_pk_add_f16 v80, v0, v20
	v_pk_max_f16 v74, v74, v74
	v_pk_min_f16 v75, v75, v80
	v_pk_add_f16 v80, v2, v20
	v_pk_max_f16 v72, v72, v72
	v_pk_min_f16 v74, v74, v80
	v_pk_add_f16 v80, v12, v20
	v_pk_add_f16 v20, v14, v20
	v_pk_max_f16 v71, v71, v71
	v_pk_min_f16 v20, v72, v20
	v_pk_add_f16 v72, v8, v22
	v_pk_max_f16 v70, v70, v70
	v_pk_min_f16 v71, v71, v72
	v_pk_add_f16 v72, v10, v22
	v_pk_max_f16 v69, v69, v69
	v_pk_min_f16 v70, v70, v72
	v_pk_add_f16 v72, v4, v22
	v_pk_max_f16 v68, v68, v68
	v_pk_min_f16 v69, v69, v72
	v_pk_add_f16 v72, v6, v22
	v_pk_max_f16 v67, v67, v67
	v_pk_min_f16 v68, v68, v72
	v_pk_add_f16 v72, v0, v22
	v_pk_max_f16 v66, v66, v66
	v_pk_min_f16 v67, v67, v72
	v_pk_add_f16 v72, v2, v22
	v_pk_max_f16 v64, v64, v64
	v_pk_min_f16 v66, v66, v72
	v_pk_add_f16 v72, v12, v22
	v_pk_add_f16 v22, v14, v22
	v_pk_max_f16 v63, v63, v63
	v_pk_min_f16 v22, v64, v22
	v_pk_add_f16 v64, v8, v16
	v_pk_max_f16 v62, v62, v62
	v_pk_min_f16 v63, v63, v64
	;; [unrolled: 3-line block ×6, first 2 shown]
	v_pk_add_f16 v64, v2, v16
	v_pk_add_f16 v8, v8, v18
	v_pk_min_f16 v58, v58, v64
	v_pk_add_f16 v64, v12, v16
	v_pk_add_f16 v16, v14, v16
	;; [unrolled: 1-line block ×9, first 2 shown]
	v_pk_max_f16 v18, v28, v28
	v_pk_max_f16 v89, v89, v89
	v_pk_min_f16 v14, v18, v14
	v_pk_add_f16 v18, v9, v129
	v_pk_min_f16 v89, v89, v111
	v_pk_min_f16 v116, v44, v18
	v_pk_add_f16 v18, v11, v129
	v_pk_max_f16 v81, v81, v81
	v_pk_min_f16 v115, v45, v18
	v_pk_add_f16 v18, v5, v129
	v_pk_min_f16 v81, v81, v88
	v_pk_min_f16 v114, v110, v18
	v_pk_add_f16 v18, v7, v129
	;; [unrolled: 6-line block ×4, first 2 shown]
	v_pk_max_f16 v57, v57, v57
	v_pk_min_f16 v109, v105, v18
	v_pk_add_f16 v18, v9, v131
	v_pk_max_f16 v31, v31, v31
	v_pk_min_f16 v108, v104, v18
	v_pk_add_f16 v18, v11, v131
	v_pk_min_f16 v57, v57, v64
	v_pk_min_f16 v107, v103, v18
	v_pk_add_f16 v18, v5, v131
	v_pk_max_f16 v54, v54, v54
	v_pk_min_f16 v106, v102, v18
	v_pk_add_f16 v18, v7, v131
	v_pk_min_f16 v0, v31, v0
	v_pk_min_f16 v105, v101, v18
	v_pk_add_f16 v18, v1, v131
	v_pk_max_f16 v30, v30, v30
	v_pk_min_f16 v104, v100, v18
	v_pk_add_f16 v18, v3, v131
	v_pk_max_f16 v55, v55, v55
	v_pk_min_f16 v103, v99, v18
	v_pk_add_f16 v18, v13, v131
	v_pk_min_f16 v10, v54, v10
	v_pk_min_f16 v102, v98, v18
	v_pk_add_f16 v18, v15, v131
	v_pk_max_f16 v53, v53, v53
	v_pk_min_f16 v101, v97, v18
	v_pk_add_f16 v18, v9, v25
	v_pk_min_f16 v2, v30, v2
	v_pk_min_f16 v100, v96, v18
	v_pk_add_f16 v18, v11, v25
	v_pk_max_f16 v29, v29, v29
	v_pk_min_f16 v99, v95, v18
	v_pk_add_f16 v18, v5, v25
	v_pk_max_f16 v56, v56, v56
	v_pk_min_f16 v98, v94, v18
	v_pk_add_f16 v18, v7, v25
	v_pk_min_f16 v8, v55, v8
	v_pk_min_f16 v97, v93, v18
	v_pk_add_f16 v18, v1, v25
	v_pk_min_f16 v4, v53, v4
	v_pk_min_f16 v96, v91, v18
	v_pk_add_f16 v18, v3, v25
	v_pk_max_f16 v52, v52, v52
	v_pk_min_f16 v95, v90, v18
	v_pk_add_f16 v18, v13, v25
	v_pk_min_f16 v12, v29, v12
	v_pk_min_f16 v94, v89, v18
	v_pk_add_f16 v18, v15, v25
	v_pk_min_f16 v16, v56, v16
	;; [unrolled: 3-line block ×3, first 2 shown]
	v_pk_min_f16 v91, v87, v18
	v_pk_add_f16 v18, v11, v27
	s_add_i32 s28, s28, 8
	v_pk_min_f16 v90, v86, v18
	v_pk_add_f16 v18, v5, v27
	v_lshl_add_u64 v[32:33], v[32:33], 0, s[16:17]
	v_pk_min_f16 v89, v85, v18
	v_pk_add_f16 v18, v7, v27
	s_cmp_ge_i32 s28, s23
	v_pk_min_f16 v88, v84, v18
	v_pk_add_f16 v18, v1, v27
	v_lshl_add_u64 v[38:39], v[38:39], 0, s[18:19]
	v_pk_min_f16 v87, v83, v18
	v_pk_add_f16 v18, v3, v27
	s_waitcnt vmcnt(0)
	ds_write_b16 v118, v122
	ds_write_b16 v119, v124
	ds_write_b16 v119, v123 offset:512
	ds_write_b16 v119, v126 offset:1024
	;; [unrolled: 1-line block ×3, first 2 shown]
	v_pk_min_f16 v86, v82, v18
	v_pk_add_f16 v18, v13, v27
	s_waitcnt lgkmcnt(0)
	v_pk_min_f16 v85, v81, v18
	v_pk_add_f16 v18, v15, v27
	s_barrier
	v_pk_min_f16 v84, v26, v18
	v_pk_add_f16 v18, v9, v21
	s_nop 0
	v_pk_min_f16 v83, v79, v18
	v_pk_add_f16 v18, v11, v21
	s_nop 0
	v_pk_min_f16 v82, v78, v18
	v_pk_add_f16 v18, v5, v21
	s_nop 0
	v_pk_min_f16 v81, v77, v18
	v_pk_add_f16 v18, v7, v21
	s_nop 0
	v_pk_min_f16 v80, v76, v18
	v_pk_add_f16 v18, v1, v21
	s_nop 0
	v_pk_min_f16 v79, v75, v18
	v_pk_add_f16 v18, v3, v21
	s_nop 0
	v_pk_min_f16 v78, v74, v18
	v_pk_add_f16 v18, v13, v21
	s_nop 0
	v_pk_min_f16 v77, v73, v18
	v_pk_add_f16 v18, v15, v21
	s_nop 0
	v_pk_min_f16 v76, v20, v18
	v_pk_add_f16 v18, v9, v23
	s_nop 0
	v_pk_min_f16 v75, v71, v18
	v_pk_add_f16 v18, v11, v23
	s_nop 0
	v_pk_min_f16 v74, v70, v18
	v_pk_add_f16 v18, v5, v23
	s_nop 0
	v_pk_min_f16 v73, v69, v18
	v_pk_add_f16 v18, v7, v23
	s_nop 0
	v_pk_min_f16 v72, v68, v18
	v_pk_add_f16 v18, v1, v23
	s_nop 0
	v_pk_min_f16 v71, v67, v18
	v_pk_add_f16 v18, v3, v23
	s_nop 0
	v_pk_min_f16 v70, v66, v18
	v_pk_add_f16 v18, v13, v23
	s_nop 0
	v_pk_min_f16 v69, v65, v18
	v_pk_add_f16 v18, v15, v23
	s_nop 0
	v_pk_min_f16 v68, v22, v18
	v_pk_add_f16 v18, v9, v17
	v_pk_add_f16 v9, v9, v19
	v_pk_min_f16 v67, v63, v18
	v_pk_add_f16 v18, v11, v17
	s_nop 0
	v_pk_min_f16 v66, v62, v18
	v_pk_add_f16 v18, v5, v17
	v_pk_add_f16 v5, v5, v19
	v_pk_min_f16 v65, v61, v18
	v_pk_add_f16 v18, v7, v17
	s_nop 0
	v_pk_min_f16 v64, v60, v18
	v_pk_add_f16 v18, v1, v17
	v_pk_add_f16 v1, v1, v19
	v_pk_min_f16 v63, v59, v18
	v_pk_add_f16 v18, v3, v17
	v_pk_min_f16 v54, v0, v1
	;; [unrolled: 2-line block ×9, first 2 shown]
	v_pk_min_f16 v58, v10, v8
	v_pk_min_f16 v55, v6, v4
	;; [unrolled: 1-line block ×3, first 2 shown]
	s_cbranch_scc1 .LBB223_52
.LBB223_32:                             ; =>This Inner Loop Header: Depth=1
	v_add_u32_e32 v44, s28, v48
	v_add_u32_e32 v0, 8, v44
	v_cmp_le_i32_e64 s[10:11], s22, v0
	s_or_b64 s[26:27], vcc, s[10:11]
	s_xor_b64 s[30:31], s[26:27], -1
	v_mov_b32_e32 v45, 0x7c00
	v_mov_b32_e32 v123, 0x7c00
	s_and_saveexec_b64 s[26:27], s[30:31]
	s_cbranch_execz .LBB223_34
; %bb.33:                               ;   in Loop: Header=BB223_32 Depth=1
	v_lshl_add_u64 v[0:1], v[32:33], 0, v[34:35]
	flat_load_ushort v123, v[0:1]
.LBB223_34:                             ;   in Loop: Header=BB223_32 Depth=1
	s_or_b64 exec, exec, s[26:27]
	s_or_b64 s[26:27], s[2:3], s[10:11]
	s_xor_b64 s[30:31], s[26:27], -1
	v_lshl_add_u64 v[0:1], v[38:39], 0, v[36:37]
	s_and_saveexec_b64 s[26:27], s[30:31]
	s_cbranch_execz .LBB223_36
; %bb.35:                               ;   in Loop: Header=BB223_32 Depth=1
	flat_load_ushort v45, v[0:1]
.LBB223_36:                             ;   in Loop: Header=BB223_32 Depth=1
	s_or_b64 exec, exec, s[26:27]
	s_or_b64 s[26:27], s[4:5], s[10:11]
	s_xor_b64 s[30:31], s[26:27], -1
	v_mov_b32_e32 v124, 0x7c00
	v_mov_b32_e32 v125, 0x7c00
	s_and_saveexec_b64 s[26:27], s[30:31]
	s_cbranch_execz .LBB223_38
; %bb.37:                               ;   in Loop: Header=BB223_32 Depth=1
	flat_load_ushort v125, v[0:1] offset:128
.LBB223_38:                             ;   in Loop: Header=BB223_32 Depth=1
	s_or_b64 exec, exec, s[26:27]
	s_or_b64 s[26:27], s[6:7], s[10:11]
	s_xor_b64 s[30:31], s[26:27], -1
	s_and_saveexec_b64 s[26:27], s[30:31]
	s_cbranch_execz .LBB223_40
; %bb.39:                               ;   in Loop: Header=BB223_32 Depth=1
	flat_load_ushort v124, v[0:1] offset:256
.LBB223_40:                             ;   in Loop: Header=BB223_32 Depth=1
	s_or_b64 exec, exec, s[26:27]
	s_or_b64 s[10:11], s[8:9], s[10:11]
	s_xor_b64 s[26:27], s[10:11], -1
	v_mov_b32_e32 v122, 0x7c00
	v_mov_b32_e32 v126, 0x7c00
	s_and_saveexec_b64 s[10:11], s[26:27]
	s_cbranch_execz .LBB223_42
; %bb.41:                               ;   in Loop: Header=BB223_32 Depth=1
	flat_load_ushort v126, v[0:1] offset:384
.LBB223_42:                             ;   in Loop: Header=BB223_32 Depth=1
	s_or_b64 exec, exec, s[10:11]
	ds_read2_b64 v[12:15], v120 offset1:8
	ds_read2_b64 v[8:11], v120 offset0:16 offset1:24
	ds_read2_b64 v[4:7], v120 offset0:32 offset1:40
	;; [unrolled: 1-line block ×3, first 2 shown]
	ds_read2_b64 v[28:31], v121 offset1:32
	ds_read2_b64 v[24:27], v121 offset0:64 offset1:96
	ds_read2_b64 v[20:23], v121 offset0:128 offset1:160
	;; [unrolled: 1-line block ×3, first 2 shown]
	v_add_u32_e32 v44, 12, v44
	v_cmp_le_i32_e64 s[10:11], s22, v44
	s_or_b64 s[26:27], vcc, s[10:11]
	s_xor_b64 s[26:27], s[26:27], -1
	s_waitcnt vmcnt(0) lgkmcnt(0)
	ds_write_b16 v117, v123
	ds_write_b16 v51, v45
	ds_write_b16 v51, v125 offset:512
	ds_write_b16 v51, v124 offset:1024
	;; [unrolled: 1-line block ×3, first 2 shown]
	s_waitcnt lgkmcnt(0)
	s_barrier
	s_and_saveexec_b64 s[30:31], s[26:27]
	s_xor_b64 s[26:27], exec, s[30:31]
	s_cbranch_execz .LBB223_44
; %bb.43:                               ;   in Loop: Header=BB223_32 Depth=1
	v_lshl_add_u64 v[44:45], v[32:33], 0, v[42:43]
	flat_load_ushort v122, v[44:45]
.LBB223_44:                             ;   in Loop: Header=BB223_32 Depth=1
	s_or_b64 exec, exec, s[26:27]
	s_or_b64 s[26:27], s[2:3], s[10:11]
	s_xor_b64 s[30:31], s[26:27], -1
	v_mov_b32_e32 v123, 0x7c00
	v_lshl_add_u64 v[44:45], v[38:39], 0, v[40:41]
	v_mov_b32_e32 v124, 0x7c00
	s_and_saveexec_b64 s[26:27], s[30:31]
	s_cbranch_execz .LBB223_46
; %bb.45:                               ;   in Loop: Header=BB223_32 Depth=1
	flat_load_ushort v124, v[44:45]
.LBB223_46:                             ;   in Loop: Header=BB223_32 Depth=1
	s_or_b64 exec, exec, s[26:27]
	s_or_b64 s[26:27], s[4:5], s[10:11]
	s_xor_b64 s[30:31], s[26:27], -1
	s_and_saveexec_b64 s[26:27], s[30:31]
	s_cbranch_execz .LBB223_48
; %bb.47:                               ;   in Loop: Header=BB223_32 Depth=1
	flat_load_ushort v123, v[44:45] offset:128
.LBB223_48:                             ;   in Loop: Header=BB223_32 Depth=1
	s_or_b64 exec, exec, s[26:27]
	s_or_b64 s[26:27], s[6:7], s[10:11]
	s_xor_b64 s[30:31], s[26:27], -1
	v_mov_b32_e32 v125, 0x7c00
	v_mov_b32_e32 v126, 0x7c00
	s_and_saveexec_b64 s[26:27], s[30:31]
	s_cbranch_execz .LBB223_50
; %bb.49:                               ;   in Loop: Header=BB223_32 Depth=1
	flat_load_ushort v126, v[44:45] offset:256
.LBB223_50:                             ;   in Loop: Header=BB223_32 Depth=1
	s_or_b64 exec, exec, s[26:27]
	v_pk_add_f16 v127, v12, v28
	v_pk_max_f16 v116, v116, v116
	v_pk_max_f16 v115, v115, v115
	v_pk_min_f16 v116, v116, v127
	v_pk_add_f16 v127, v14, v28
	v_pk_max_f16 v114, v114, v114
	v_pk_min_f16 v115, v115, v127
	v_pk_add_f16 v127, v8, v28
	v_pk_max_f16 v113, v113, v113
	v_pk_min_f16 v114, v114, v127
	v_pk_add_f16 v127, v10, v28
	v_pk_max_f16 v112, v112, v112
	v_pk_min_f16 v113, v113, v127
	v_pk_add_f16 v127, v4, v28
	v_pk_max_f16 v111, v111, v111
	v_pk_min_f16 v127, v112, v127
	v_pk_add_f16 v112, v6, v28
	v_pk_max_f16 v109, v109, v109
	v_pk_min_f16 v128, v111, v112
	v_pk_add_f16 v111, v0, v28
	v_pk_add_f16 v28, v2, v28
	v_pk_max_f16 v108, v108, v108
	v_pk_min_f16 v28, v109, v28
	v_pk_add_f16 v109, v12, v30
	v_pk_max_f16 v107, v107, v107
	v_pk_min_f16 v130, v108, v109
	v_pk_add_f16 v108, v14, v30
	v_pk_max_f16 v106, v106, v106
	v_pk_min_f16 v131, v107, v108
	v_pk_add_f16 v107, v8, v30
	v_pk_max_f16 v105, v105, v105
	v_pk_min_f16 v132, v106, v107
	v_pk_add_f16 v106, v10, v30
	v_pk_max_f16 v104, v104, v104
	v_pk_min_f16 v133, v105, v106
	v_pk_add_f16 v105, v4, v30
	v_pk_max_f16 v103, v103, v103
	v_pk_min_f16 v134, v104, v105
	v_pk_add_f16 v104, v6, v30
	v_pk_max_f16 v101, v101, v101
	v_pk_min_f16 v135, v103, v104
	v_pk_add_f16 v103, v0, v30
	v_pk_add_f16 v30, v2, v30
	v_pk_max_f16 v100, v100, v100
	v_pk_min_f16 v30, v101, v30
	v_pk_add_f16 v101, v12, v24
	;; [unrolled: 22-line block ×6, first 2 shown]
	v_pk_max_f16 v66, v66, v66
	v_pk_min_f16 v165, v67, v68
	v_pk_add_f16 v67, v14, v16
	v_pk_max_f16 v65, v65, v65
	v_pk_min_f16 v166, v66, v67
	v_pk_add_f16 v66, v8, v16
	;; [unrolled: 3-line block ×5, first 2 shown]
	v_pk_add_f16 v12, v12, v18
	v_pk_min_f16 v170, v62, v63
	v_pk_add_f16 v62, v0, v16
	v_pk_add_f16 v16, v2, v16
	;; [unrolled: 1-line block ×9, first 2 shown]
	v_pk_max_f16 v18, v56, v56
	v_pk_max_f16 v110, v110, v110
	v_pk_min_f16 v2, v18, v2
	v_pk_add_f16 v18, v13, v29
	v_pk_min_f16 v129, v110, v111
	v_pk_min_f16 v112, v116, v18
	v_pk_add_f16 v18, v15, v29
	v_pk_max_f16 v102, v102, v102
	v_pk_min_f16 v111, v115, v18
	v_pk_add_f16 v18, v9, v29
	v_pk_min_f16 v136, v102, v103
	v_pk_min_f16 v110, v114, v18
	v_pk_add_f16 v18, v11, v29
	;; [unrolled: 6-line block ×9, first 2 shown]
	v_pk_max_f16 v58, v58, v58
	v_pk_min_f16 v95, v138, v18
	v_pk_add_f16 v18, v9, v25
	v_pk_max_f16 v57, v57, v57
	v_pk_min_f16 v94, v139, v18
	v_pk_add_f16 v18, v11, v25
	;; [unrolled: 3-line block ×4, first 2 shown]
	v_pk_min_f16 v14, v58, v14
	v_pk_min_f16 v90, v142, v18
	v_pk_add_f16 v18, v1, v25
	v_pk_min_f16 v8, v57, v8
	v_pk_min_f16 v89, v143, v18
	v_pk_add_f16 v18, v3, v25
	v_pk_max_f16 v55, v55, v55
	v_pk_min_f16 v88, v24, v18
	v_pk_add_f16 v18, v13, v27
	v_pk_min_f16 v4, v54, v4
	v_pk_min_f16 v87, v144, v18
	v_pk_add_f16 v18, v15, v27
	v_pk_max_f16 v53, v53, v53
	v_pk_min_f16 v86, v145, v18
	v_pk_add_f16 v18, v9, v27
	v_pk_min_f16 v0, v52, v0
	v_pk_min_f16 v85, v146, v18
	v_pk_add_f16 v18, v11, v27
	v_pk_min_f16 v10, v55, v10
	;; [unrolled: 3-line block ×3, first 2 shown]
	v_pk_min_f16 v83, v148, v18
	v_pk_add_f16 v18, v7, v27
	s_or_b64 s[10:11], s[8:9], s[10:11]
	v_pk_min_f16 v82, v149, v18
	v_pk_add_f16 v18, v1, v27
	s_xor_b64 s[26:27], s[10:11], -1
	v_pk_min_f16 v81, v150, v18
	v_pk_add_f16 v18, v3, v27
	s_nop 0
	v_pk_min_f16 v80, v26, v18
	v_pk_add_f16 v18, v13, v21
	s_nop 0
	;; [unrolled: 3-line block ×17, first 2 shown]
	v_pk_min_f16 v64, v22, v18
	v_pk_add_f16 v18, v13, v17
	v_pk_add_f16 v13, v13, v19
	v_pk_min_f16 v63, v165, v18
	v_pk_add_f16 v18, v15, v17
	v_pk_min_f16 v55, v12, v13
	v_pk_min_f16 v62, v166, v18
	v_pk_add_f16 v18, v9, v17
	v_pk_add_f16 v9, v9, v19
	v_pk_min_f16 v61, v167, v18
	v_pk_add_f16 v18, v11, v17
	v_pk_add_f16 v12, v15, v19
	;; [unrolled: 3-line block ×3, first 2 shown]
	v_pk_min_f16 v59, v169, v18
	v_pk_add_f16 v18, v7, v17
	v_pk_min_f16 v53, v8, v9
	v_pk_min_f16 v58, v170, v18
	v_pk_add_f16 v18, v1, v17
	v_pk_add_f16 v1, v1, v19
	;; [unrolled: 1-line block ×4, first 2 shown]
	v_pk_min_f16 v31, v4, v5
	v_pk_add_f16 v4, v7, v19
	v_pk_min_f16 v29, v0, v1
	v_pk_add_f16 v0, v3, v19
	v_pk_min_f16 v57, v171, v18
	v_pk_min_f16 v56, v16, v17
	;; [unrolled: 1-line block ×6, first 2 shown]
	s_and_saveexec_b64 s[10:11], s[26:27]
	s_cbranch_execz .LBB223_31
; %bb.51:                               ;   in Loop: Header=BB223_32 Depth=1
	flat_load_ushort v125, v[44:45] offset:384
	s_branch .LBB223_31
.LBB223_52:
	s_load_dwordx2 s[2:3], s[0:1], 0x70
	s_load_dword s29, s[0:1], 0x50
	s_load_dword s28, s[0:1], 0x68
	v_add_u32_e32 v0, 0x1000, v49
	v_add_u32_e32 v4, 0x800, v50
	ds_read2_b64 v[16:19], v0 offset0:64 offset1:72
	ds_read2_b64 v[12:15], v0 offset0:80 offset1:88
	;; [unrolled: 1-line block ×4, first 2 shown]
	ds_read2_b64 v[28:31], v4 offset1:32
	ds_read2_b64 v[24:27], v4 offset0:64 offset1:96
	ds_read2_b64 v[20:23], v4 offset0:128 offset1:160
	;; [unrolled: 1-line block ×3, first 2 shown]
	s_waitcnt lgkmcnt(0)
	s_lshl_b64 s[0:1], s[2:3], 1
	s_add_u32 s22, s14, s0
	v_add_u32_e32 v92, s35, v47
	s_addc_u32 s23, s15, s1
	v_mad_i64_i32 v[34:35], s[0:1], v92, s29, 0
	v_add_u32_e32 v32, s34, v46
	v_lshl_add_u64 v[50:51], v[34:35], 1, s[24:25]
	v_mad_i64_i32 v[34:35], s[0:1], v92, s28, 0
	v_cmp_gt_i32_e64 s[2:3], s20, v32
	v_cmp_gt_i32_e64 s[18:19], s21, v92
	v_lshl_add_u64 v[48:49], v[34:35], 1, s[22:23]
	v_cndmask_b32_e64 v34, 0, 1, s[12:13]
	v_ashrrev_i32_e32 v33, 31, v32
	s_and_b64 s[4:5], s[2:3], s[18:19]
	v_cmp_ne_u32_e64 s[0:1], 1, v34
	s_and_saveexec_b64 s[6:7], s[4:5]
	s_xor_b64 s[4:5], exec, s[6:7]
	s_cbranch_execz .LBB223_57
; %bb.53:
	s_and_b64 vcc, exec, s[0:1]
	s_cbranch_vccnz .LBB223_55
; %bb.54:
	v_lshl_add_u64 v[34:35], v[32:33], 1, v[50:51]
	flat_load_ushort v34, v[34:35]
	s_waitcnt vmcnt(0) lgkmcnt(0)
	v_mul_f16_e32 v34, s33, v34
	s_branch .LBB223_56
.LBB223_55:
	v_mov_b32_e32 v34, 0
.LBB223_56:
	v_pk_add_f16 v35, v16, v28
	v_pk_max_f16 v36, v116, v116
	s_nop 0
	v_pk_min_f16 v35, v36, v35
	v_pk_add_f16 v36, v17, v29
	s_nop 0
	v_pk_min_f16 v35, v35, v36
	s_nop 0
	v_lshrrev_b32_e32 v36, 16, v35
	v_min3_f16 v36, v34, v35, v36
	v_lshl_add_u64 v[34:35], v[32:33], 1, v[48:49]
	global_store_short v[34:35], v36, off
.LBB223_57:
	s_or_b64 exec, exec, s[4:5]
	v_add_u32_e32 v34, 8, v32
	v_cmp_gt_i32_e64 s[4:5], s20, v34
	v_ashrrev_i32_e32 v35, 31, v34
	s_and_b64 s[8:9], s[4:5], s[18:19]
	s_and_saveexec_b64 s[6:7], s[8:9]
	s_cbranch_execz .LBB223_62
; %bb.58:
	s_and_b64 vcc, exec, s[0:1]
	s_cbranch_vccnz .LBB223_60
; %bb.59:
	v_lshl_add_u64 v[36:37], v[34:35], 1, v[50:51]
	flat_load_ushort v36, v[36:37]
	s_waitcnt vmcnt(0) lgkmcnt(0)
	v_mul_f16_e32 v36, s33, v36
	s_branch .LBB223_61
.LBB223_60:
	v_mov_b32_e32 v36, 0
.LBB223_61:
	v_pk_add_f16 v37, v18, v28
	v_pk_max_f16 v38, v115, v115
	s_nop 0
	v_pk_min_f16 v37, v38, v37
	v_pk_add_f16 v38, v19, v29
	s_nop 0
	v_pk_min_f16 v37, v37, v38
	s_nop 0
	v_lshrrev_b32_e32 v38, 16, v37
	v_min3_f16 v38, v36, v37, v38
	v_lshl_add_u64 v[36:37], v[34:35], 1, v[48:49]
	global_store_short v[36:37], v38, off
.LBB223_62:
	s_or_b64 exec, exec, s[6:7]
	v_add_u32_e32 v36, 16, v32
	v_cmp_gt_i32_e64 s[6:7], s20, v36
	v_ashrrev_i32_e32 v37, 31, v36
	s_and_b64 s[10:11], s[6:7], s[18:19]
	s_and_saveexec_b64 s[8:9], s[10:11]
	;; [unrolled: 32-line block ×7, first 2 shown]
	s_cbranch_execz .LBB223_92
; %bb.88:
	s_and_b64 vcc, exec, s[0:1]
	s_cbranch_vccnz .LBB223_90
; %bb.89:
	v_lshl_add_u64 v[50:51], v[46:47], 1, v[50:51]
	flat_load_ushort v50, v[50:51]
	s_waitcnt vmcnt(0) lgkmcnt(0)
	v_mul_f16_e32 v50, s33, v50
	s_branch .LBB223_91
.LBB223_90:
	v_mov_b32_e32 v50, 0
.LBB223_91:
	v_pk_add_f16 v28, v2, v28
	v_pk_max_f16 v51, v109, v109
	v_pk_add_f16 v29, v3, v29
	v_pk_min_f16 v28, v51, v28
	s_nop 0
	v_pk_min_f16 v28, v28, v29
	s_nop 0
	v_lshrrev_b32_e32 v29, 16, v28
	v_min3_f16 v50, v50, v28, v29
	v_lshl_add_u64 v[28:29], v[46:47], 1, v[48:49]
	global_store_short v[28:29], v50, off
.LBB223_92:
	s_or_b64 exec, exec, s[18:19]
	v_add_u32_e32 v50, 32, v92
	v_mad_i64_i32 v[28:29], s[26:27], v50, s29, 0
	v_cmp_gt_i32_e64 s[18:19], s21, v50
	v_lshl_add_u64 v[48:49], v[28:29], 1, s[24:25]
	v_mad_i64_i32 v[28:29], s[26:27], v50, s28, 0
	v_lshl_add_u64 v[28:29], v[28:29], 1, s[22:23]
	s_and_b64 s[30:31], s[2:3], s[18:19]
	s_and_saveexec_b64 s[26:27], s[30:31]
	s_cbranch_execnz .LBB223_100
; %bb.93:
	s_or_b64 exec, exec, s[26:27]
	s_and_b64 s[30:31], s[4:5], s[18:19]
	s_and_saveexec_b64 s[26:27], s[30:31]
	s_cbranch_execnz .LBB223_104
.LBB223_94:
	s_or_b64 exec, exec, s[26:27]
	s_and_b64 s[30:31], s[6:7], s[18:19]
	s_and_saveexec_b64 s[26:27], s[30:31]
	s_cbranch_execnz .LBB223_108
.LBB223_95:
	s_or_b64 exec, exec, s[26:27]
	s_and_b64 s[30:31], s[8:9], s[18:19]
	s_and_saveexec_b64 s[26:27], s[30:31]
	s_cbranch_execnz .LBB223_112
.LBB223_96:
	s_or_b64 exec, exec, s[26:27]
	s_and_b64 s[30:31], s[10:11], s[18:19]
	s_and_saveexec_b64 s[26:27], s[30:31]
	s_cbranch_execnz .LBB223_116
.LBB223_97:
	s_or_b64 exec, exec, s[26:27]
	s_and_b64 s[30:31], s[12:13], s[18:19]
	s_and_saveexec_b64 s[26:27], s[30:31]
	s_cbranch_execnz .LBB223_120
.LBB223_98:
	s_or_b64 exec, exec, s[26:27]
	s_and_b64 s[30:31], s[14:15], s[18:19]
	s_and_saveexec_b64 s[26:27], s[30:31]
	s_cbranch_execnz .LBB223_124
.LBB223_99:
	s_or_b64 exec, exec, s[26:27]
	s_and_b64 s[26:27], s[16:17], s[18:19]
	s_and_saveexec_b64 s[18:19], s[26:27]
	s_cbranch_execnz .LBB223_128
	s_branch .LBB223_132
.LBB223_100:
	s_and_b64 vcc, exec, s[0:1]
	s_cbranch_vccnz .LBB223_102
; %bb.101:
	v_lshl_add_u64 v[50:51], v[32:33], 1, v[48:49]
	flat_load_ushort v50, v[50:51]
	s_waitcnt vmcnt(0) lgkmcnt(0)
	v_mul_f16_e32 v50, s33, v50
	s_branch .LBB223_103
.LBB223_102:
	v_mov_b32_e32 v50, 0
.LBB223_103:
	v_pk_add_f16 v51, v16, v30
	v_pk_max_f16 v108, v108, v108
	s_nop 0
	v_pk_min_f16 v51, v108, v51
	v_pk_add_f16 v108, v17, v31
	s_nop 0
	v_pk_min_f16 v51, v51, v108
	s_nop 0
	v_lshrrev_b32_e32 v108, 16, v51
	v_min3_f16 v108, v50, v51, v108
	v_lshl_add_u64 v[50:51], v[32:33], 1, v[28:29]
	global_store_short v[50:51], v108, off
	s_or_b64 exec, exec, s[26:27]
	s_and_b64 s[30:31], s[4:5], s[18:19]
	s_and_saveexec_b64 s[26:27], s[30:31]
	s_cbranch_execz .LBB223_94
.LBB223_104:
	s_and_b64 vcc, exec, s[0:1]
	s_cbranch_vccnz .LBB223_106
; %bb.105:
	v_lshl_add_u64 v[50:51], v[34:35], 1, v[48:49]
	flat_load_ushort v50, v[50:51]
	s_waitcnt vmcnt(0) lgkmcnt(0)
	v_mul_f16_e32 v50, s33, v50
	s_branch .LBB223_107
.LBB223_106:
	v_mov_b32_e32 v50, 0
.LBB223_107:
	v_pk_add_f16 v51, v18, v30
	v_pk_max_f16 v107, v107, v107
	s_nop 0
	v_pk_min_f16 v51, v107, v51
	v_pk_add_f16 v107, v19, v31
	s_nop 0
	v_pk_min_f16 v51, v51, v107
	s_nop 0
	v_lshrrev_b32_e32 v107, 16, v51
	v_min3_f16 v107, v50, v51, v107
	v_lshl_add_u64 v[50:51], v[34:35], 1, v[28:29]
	global_store_short v[50:51], v107, off
	s_or_b64 exec, exec, s[26:27]
	s_and_b64 s[30:31], s[6:7], s[18:19]
	s_and_saveexec_b64 s[26:27], s[30:31]
	s_cbranch_execz .LBB223_95
.LBB223_108:
	s_and_b64 vcc, exec, s[0:1]
	s_cbranch_vccnz .LBB223_110
; %bb.109:
	v_lshl_add_u64 v[50:51], v[36:37], 1, v[48:49]
	flat_load_ushort v50, v[50:51]
	s_waitcnt vmcnt(0) lgkmcnt(0)
	v_mul_f16_e32 v50, s33, v50
	s_branch .LBB223_111
.LBB223_110:
	v_mov_b32_e32 v50, 0
.LBB223_111:
	v_pk_add_f16 v51, v12, v30
	v_pk_max_f16 v106, v106, v106
	s_nop 0
	v_pk_min_f16 v51, v106, v51
	v_pk_add_f16 v106, v13, v31
	s_nop 0
	v_pk_min_f16 v51, v51, v106
	s_nop 0
	v_lshrrev_b32_e32 v106, 16, v51
	v_min3_f16 v106, v50, v51, v106
	v_lshl_add_u64 v[50:51], v[36:37], 1, v[28:29]
	global_store_short v[50:51], v106, off
	s_or_b64 exec, exec, s[26:27]
	s_and_b64 s[30:31], s[8:9], s[18:19]
	s_and_saveexec_b64 s[26:27], s[30:31]
	s_cbranch_execz .LBB223_96
.LBB223_112:
	s_and_b64 vcc, exec, s[0:1]
	s_cbranch_vccnz .LBB223_114
; %bb.113:
	v_lshl_add_u64 v[50:51], v[38:39], 1, v[48:49]
	flat_load_ushort v50, v[50:51]
	s_waitcnt vmcnt(0) lgkmcnt(0)
	v_mul_f16_e32 v50, s33, v50
	s_branch .LBB223_115
.LBB223_114:
	v_mov_b32_e32 v50, 0
.LBB223_115:
	v_pk_add_f16 v51, v14, v30
	v_pk_max_f16 v105, v105, v105
	s_nop 0
	v_pk_min_f16 v51, v105, v51
	v_pk_add_f16 v105, v15, v31
	s_nop 0
	v_pk_min_f16 v51, v51, v105
	s_nop 0
	v_lshrrev_b32_e32 v105, 16, v51
	v_min3_f16 v105, v50, v51, v105
	v_lshl_add_u64 v[50:51], v[38:39], 1, v[28:29]
	global_store_short v[50:51], v105, off
	s_or_b64 exec, exec, s[26:27]
	s_and_b64 s[30:31], s[10:11], s[18:19]
	s_and_saveexec_b64 s[26:27], s[30:31]
	s_cbranch_execz .LBB223_97
.LBB223_116:
	s_and_b64 vcc, exec, s[0:1]
	s_cbranch_vccnz .LBB223_118
; %bb.117:
	v_lshl_add_u64 v[50:51], v[40:41], 1, v[48:49]
	flat_load_ushort v50, v[50:51]
	s_waitcnt vmcnt(0) lgkmcnt(0)
	v_mul_f16_e32 v50, s33, v50
	s_branch .LBB223_119
.LBB223_118:
	v_mov_b32_e32 v50, 0
.LBB223_119:
	v_pk_add_f16 v51, v8, v30
	v_pk_max_f16 v104, v104, v104
	s_nop 0
	v_pk_min_f16 v51, v104, v51
	v_pk_add_f16 v104, v9, v31
	s_nop 0
	v_pk_min_f16 v51, v51, v104
	s_nop 0
	v_lshrrev_b32_e32 v104, 16, v51
	v_min3_f16 v104, v50, v51, v104
	v_lshl_add_u64 v[50:51], v[40:41], 1, v[28:29]
	global_store_short v[50:51], v104, off
	s_or_b64 exec, exec, s[26:27]
	s_and_b64 s[30:31], s[12:13], s[18:19]
	s_and_saveexec_b64 s[26:27], s[30:31]
	s_cbranch_execz .LBB223_98
.LBB223_120:
	s_and_b64 vcc, exec, s[0:1]
	s_cbranch_vccnz .LBB223_122
; %bb.121:
	v_lshl_add_u64 v[50:51], v[42:43], 1, v[48:49]
	flat_load_ushort v50, v[50:51]
	s_waitcnt vmcnt(0) lgkmcnt(0)
	v_mul_f16_e32 v50, s33, v50
	s_branch .LBB223_123
.LBB223_122:
	v_mov_b32_e32 v50, 0
.LBB223_123:
	v_pk_add_f16 v51, v10, v30
	v_pk_max_f16 v103, v103, v103
	s_nop 0
	v_pk_min_f16 v51, v103, v51
	v_pk_add_f16 v103, v11, v31
	s_nop 0
	v_pk_min_f16 v51, v51, v103
	s_nop 0
	v_lshrrev_b32_e32 v103, 16, v51
	v_min3_f16 v103, v50, v51, v103
	v_lshl_add_u64 v[50:51], v[42:43], 1, v[28:29]
	global_store_short v[50:51], v103, off
	s_or_b64 exec, exec, s[26:27]
	s_and_b64 s[30:31], s[14:15], s[18:19]
	s_and_saveexec_b64 s[26:27], s[30:31]
	s_cbranch_execz .LBB223_99
.LBB223_124:
	s_and_b64 vcc, exec, s[0:1]
	s_cbranch_vccnz .LBB223_126
; %bb.125:
	v_lshl_add_u64 v[50:51], v[44:45], 1, v[48:49]
	flat_load_ushort v50, v[50:51]
	s_waitcnt vmcnt(0) lgkmcnt(0)
	v_mul_f16_e32 v50, s33, v50
	s_branch .LBB223_127
.LBB223_126:
	v_mov_b32_e32 v50, 0
.LBB223_127:
	v_pk_add_f16 v51, v0, v30
	v_pk_max_f16 v102, v102, v102
	s_nop 0
	v_pk_min_f16 v51, v102, v51
	v_pk_add_f16 v102, v1, v31
	s_nop 0
	v_pk_min_f16 v51, v51, v102
	s_nop 0
	v_lshrrev_b32_e32 v102, 16, v51
	v_min3_f16 v102, v50, v51, v102
	v_lshl_add_u64 v[50:51], v[44:45], 1, v[28:29]
	global_store_short v[50:51], v102, off
	s_or_b64 exec, exec, s[26:27]
	s_and_b64 s[26:27], s[16:17], s[18:19]
	s_and_saveexec_b64 s[18:19], s[26:27]
	s_cbranch_execz .LBB223_132
.LBB223_128:
	s_and_b64 vcc, exec, s[0:1]
	s_cbranch_vccnz .LBB223_130
; %bb.129:
	v_lshl_add_u64 v[48:49], v[46:47], 1, v[48:49]
	flat_load_ushort v48, v[48:49]
	s_waitcnt vmcnt(0) lgkmcnt(0)
	v_mul_f16_e32 v48, s33, v48
	s_branch .LBB223_131
.LBB223_130:
	v_mov_b32_e32 v48, 0
.LBB223_131:
	v_pk_add_f16 v30, v2, v30
	v_pk_max_f16 v49, v101, v101
	v_pk_add_f16 v31, v3, v31
	v_pk_min_f16 v30, v49, v30
	v_lshl_add_u64 v[28:29], v[46:47], 1, v[28:29]
	v_pk_min_f16 v30, v30, v31
	s_nop 0
	v_lshrrev_b32_e32 v31, 16, v30
	v_min3_f16 v30, v48, v30, v31
	global_store_short v[28:29], v30, off
.LBB223_132:
	s_or_b64 exec, exec, s[18:19]
	v_add_u32_e32 v48, 64, v92
	v_mad_i64_i32 v[28:29], s[26:27], v48, s29, 0
	v_cmp_gt_i32_e64 s[18:19], s21, v48
	v_lshl_add_u64 v[30:31], v[28:29], 1, s[24:25]
	v_mad_i64_i32 v[28:29], s[26:27], v48, s28, 0
	v_lshl_add_u64 v[28:29], v[28:29], 1, s[22:23]
	s_and_b64 s[30:31], s[2:3], s[18:19]
	s_and_saveexec_b64 s[26:27], s[30:31]
	s_cbranch_execnz .LBB223_140
; %bb.133:
	s_or_b64 exec, exec, s[26:27]
	s_and_b64 s[30:31], s[4:5], s[18:19]
	s_and_saveexec_b64 s[26:27], s[30:31]
	s_cbranch_execnz .LBB223_144
.LBB223_134:
	s_or_b64 exec, exec, s[26:27]
	s_and_b64 s[30:31], s[6:7], s[18:19]
	s_and_saveexec_b64 s[26:27], s[30:31]
	s_cbranch_execnz .LBB223_148
.LBB223_135:
	s_or_b64 exec, exec, s[26:27]
	s_and_b64 s[30:31], s[8:9], s[18:19]
	s_and_saveexec_b64 s[26:27], s[30:31]
	s_cbranch_execnz .LBB223_152
.LBB223_136:
	s_or_b64 exec, exec, s[26:27]
	s_and_b64 s[30:31], s[10:11], s[18:19]
	s_and_saveexec_b64 s[26:27], s[30:31]
	s_cbranch_execnz .LBB223_156
.LBB223_137:
	s_or_b64 exec, exec, s[26:27]
	s_and_b64 s[30:31], s[12:13], s[18:19]
	s_and_saveexec_b64 s[26:27], s[30:31]
	s_cbranch_execnz .LBB223_160
.LBB223_138:
	s_or_b64 exec, exec, s[26:27]
	s_and_b64 s[30:31], s[14:15], s[18:19]
	s_and_saveexec_b64 s[26:27], s[30:31]
	s_cbranch_execnz .LBB223_164
.LBB223_139:
	s_or_b64 exec, exec, s[26:27]
	s_and_b64 s[26:27], s[16:17], s[18:19]
	s_and_saveexec_b64 s[18:19], s[26:27]
	s_cbranch_execnz .LBB223_168
	s_branch .LBB223_172
.LBB223_140:
	s_and_b64 vcc, exec, s[0:1]
	s_cbranch_vccnz .LBB223_142
; %bb.141:
	v_lshl_add_u64 v[48:49], v[32:33], 1, v[30:31]
	flat_load_ushort v48, v[48:49]
	s_waitcnt vmcnt(0) lgkmcnt(0)
	v_mul_f16_e32 v48, s33, v48
	s_branch .LBB223_143
.LBB223_142:
	v_mov_b32_e32 v48, 0
.LBB223_143:
	v_pk_add_f16 v49, v16, v24
	v_pk_max_f16 v50, v100, v100
	s_nop 0
	v_pk_min_f16 v49, v50, v49
	v_pk_add_f16 v50, v17, v25
	s_nop 0
	v_pk_min_f16 v49, v49, v50
	s_nop 0
	v_lshrrev_b32_e32 v50, 16, v49
	v_min3_f16 v50, v48, v49, v50
	v_lshl_add_u64 v[48:49], v[32:33], 1, v[28:29]
	global_store_short v[48:49], v50, off
	s_or_b64 exec, exec, s[26:27]
	s_and_b64 s[30:31], s[4:5], s[18:19]
	s_and_saveexec_b64 s[26:27], s[30:31]
	s_cbranch_execz .LBB223_134
.LBB223_144:
	s_and_b64 vcc, exec, s[0:1]
	s_cbranch_vccnz .LBB223_146
; %bb.145:
	v_lshl_add_u64 v[48:49], v[34:35], 1, v[30:31]
	flat_load_ushort v48, v[48:49]
	s_waitcnt vmcnt(0) lgkmcnt(0)
	v_mul_f16_e32 v48, s33, v48
	s_branch .LBB223_147
.LBB223_146:
	v_mov_b32_e32 v48, 0
.LBB223_147:
	v_pk_add_f16 v49, v18, v24
	v_pk_max_f16 v50, v99, v99
	s_nop 0
	v_pk_min_f16 v49, v50, v49
	v_pk_add_f16 v50, v19, v25
	s_nop 0
	v_pk_min_f16 v49, v49, v50
	s_nop 0
	v_lshrrev_b32_e32 v50, 16, v49
	v_min3_f16 v50, v48, v49, v50
	v_lshl_add_u64 v[48:49], v[34:35], 1, v[28:29]
	global_store_short v[48:49], v50, off
	s_or_b64 exec, exec, s[26:27]
	s_and_b64 s[30:31], s[6:7], s[18:19]
	s_and_saveexec_b64 s[26:27], s[30:31]
	s_cbranch_execz .LBB223_135
.LBB223_148:
	s_and_b64 vcc, exec, s[0:1]
	s_cbranch_vccnz .LBB223_150
; %bb.149:
	v_lshl_add_u64 v[48:49], v[36:37], 1, v[30:31]
	flat_load_ushort v48, v[48:49]
	s_waitcnt vmcnt(0) lgkmcnt(0)
	v_mul_f16_e32 v48, s33, v48
	s_branch .LBB223_151
.LBB223_150:
	v_mov_b32_e32 v48, 0
.LBB223_151:
	v_pk_add_f16 v49, v12, v24
	v_pk_max_f16 v50, v98, v98
	s_nop 0
	v_pk_min_f16 v49, v50, v49
	v_pk_add_f16 v50, v13, v25
	s_nop 0
	v_pk_min_f16 v49, v49, v50
	s_nop 0
	v_lshrrev_b32_e32 v50, 16, v49
	v_min3_f16 v50, v48, v49, v50
	v_lshl_add_u64 v[48:49], v[36:37], 1, v[28:29]
	global_store_short v[48:49], v50, off
	s_or_b64 exec, exec, s[26:27]
	s_and_b64 s[30:31], s[8:9], s[18:19]
	s_and_saveexec_b64 s[26:27], s[30:31]
	s_cbranch_execz .LBB223_136
.LBB223_152:
	s_and_b64 vcc, exec, s[0:1]
	s_cbranch_vccnz .LBB223_154
; %bb.153:
	v_lshl_add_u64 v[48:49], v[38:39], 1, v[30:31]
	flat_load_ushort v48, v[48:49]
	s_waitcnt vmcnt(0) lgkmcnt(0)
	v_mul_f16_e32 v48, s33, v48
	s_branch .LBB223_155
.LBB223_154:
	v_mov_b32_e32 v48, 0
.LBB223_155:
	v_pk_add_f16 v49, v14, v24
	v_pk_max_f16 v50, v97, v97
	s_nop 0
	v_pk_min_f16 v49, v50, v49
	v_pk_add_f16 v50, v15, v25
	s_nop 0
	v_pk_min_f16 v49, v49, v50
	s_nop 0
	v_lshrrev_b32_e32 v50, 16, v49
	v_min3_f16 v50, v48, v49, v50
	v_lshl_add_u64 v[48:49], v[38:39], 1, v[28:29]
	global_store_short v[48:49], v50, off
	s_or_b64 exec, exec, s[26:27]
	s_and_b64 s[30:31], s[10:11], s[18:19]
	s_and_saveexec_b64 s[26:27], s[30:31]
	s_cbranch_execz .LBB223_137
.LBB223_156:
	s_and_b64 vcc, exec, s[0:1]
	s_cbranch_vccnz .LBB223_158
; %bb.157:
	v_lshl_add_u64 v[48:49], v[40:41], 1, v[30:31]
	flat_load_ushort v48, v[48:49]
	s_waitcnt vmcnt(0) lgkmcnt(0)
	v_mul_f16_e32 v48, s33, v48
	s_branch .LBB223_159
.LBB223_158:
	v_mov_b32_e32 v48, 0
.LBB223_159:
	v_pk_add_f16 v49, v8, v24
	v_pk_max_f16 v50, v96, v96
	s_nop 0
	v_pk_min_f16 v49, v50, v49
	v_pk_add_f16 v50, v9, v25
	s_nop 0
	v_pk_min_f16 v49, v49, v50
	s_nop 0
	v_lshrrev_b32_e32 v50, 16, v49
	v_min3_f16 v50, v48, v49, v50
	v_lshl_add_u64 v[48:49], v[40:41], 1, v[28:29]
	global_store_short v[48:49], v50, off
	s_or_b64 exec, exec, s[26:27]
	s_and_b64 s[30:31], s[12:13], s[18:19]
	s_and_saveexec_b64 s[26:27], s[30:31]
	s_cbranch_execz .LBB223_138
.LBB223_160:
	s_and_b64 vcc, exec, s[0:1]
	s_cbranch_vccnz .LBB223_162
; %bb.161:
	v_lshl_add_u64 v[48:49], v[42:43], 1, v[30:31]
	flat_load_ushort v48, v[48:49]
	s_waitcnt vmcnt(0) lgkmcnt(0)
	v_mul_f16_e32 v48, s33, v48
	s_branch .LBB223_163
.LBB223_162:
	v_mov_b32_e32 v48, 0
.LBB223_163:
	v_pk_add_f16 v49, v10, v24
	v_pk_max_f16 v50, v95, v95
	s_nop 0
	v_pk_min_f16 v49, v50, v49
	v_pk_add_f16 v50, v11, v25
	s_nop 0
	v_pk_min_f16 v49, v49, v50
	s_nop 0
	v_lshrrev_b32_e32 v50, 16, v49
	v_min3_f16 v50, v48, v49, v50
	v_lshl_add_u64 v[48:49], v[42:43], 1, v[28:29]
	global_store_short v[48:49], v50, off
	s_or_b64 exec, exec, s[26:27]
	s_and_b64 s[30:31], s[14:15], s[18:19]
	s_and_saveexec_b64 s[26:27], s[30:31]
	s_cbranch_execz .LBB223_139
.LBB223_164:
	s_and_b64 vcc, exec, s[0:1]
	s_cbranch_vccnz .LBB223_166
; %bb.165:
	v_lshl_add_u64 v[48:49], v[44:45], 1, v[30:31]
	flat_load_ushort v48, v[48:49]
	s_waitcnt vmcnt(0) lgkmcnt(0)
	v_mul_f16_e32 v48, s33, v48
	s_branch .LBB223_167
.LBB223_166:
	v_mov_b32_e32 v48, 0
.LBB223_167:
	v_pk_add_f16 v49, v0, v24
	v_pk_max_f16 v50, v94, v94
	s_nop 0
	v_pk_min_f16 v49, v50, v49
	v_pk_add_f16 v50, v1, v25
	s_nop 0
	v_pk_min_f16 v49, v49, v50
	s_nop 0
	v_lshrrev_b32_e32 v50, 16, v49
	v_min3_f16 v50, v48, v49, v50
	v_lshl_add_u64 v[48:49], v[44:45], 1, v[28:29]
	global_store_short v[48:49], v50, off
	s_or_b64 exec, exec, s[26:27]
	s_and_b64 s[26:27], s[16:17], s[18:19]
	s_and_saveexec_b64 s[18:19], s[26:27]
	s_cbranch_execz .LBB223_172
.LBB223_168:
	s_and_b64 vcc, exec, s[0:1]
	s_cbranch_vccnz .LBB223_170
; %bb.169:
	v_lshl_add_u64 v[30:31], v[46:47], 1, v[30:31]
	flat_load_ushort v30, v[30:31]
	s_waitcnt vmcnt(0) lgkmcnt(0)
	v_mul_f16_e32 v30, s33, v30
	s_branch .LBB223_171
.LBB223_170:
	v_mov_b32_e32 v30, 0
.LBB223_171:
	v_pk_add_f16 v24, v2, v24
	v_pk_max_f16 v31, v93, v93
	v_pk_add_f16 v25, v3, v25
	v_pk_min_f16 v24, v31, v24
	s_nop 0
	v_pk_min_f16 v24, v24, v25
	s_nop 0
	v_lshrrev_b32_e32 v25, 16, v24
	v_min3_f16 v30, v30, v24, v25
	v_lshl_add_u64 v[24:25], v[46:47], 1, v[28:29]
	global_store_short v[24:25], v30, off
.LBB223_172:
	s_or_b64 exec, exec, s[18:19]
	v_add_u32_e32 v30, 0x60, v92
	v_mad_i64_i32 v[24:25], s[26:27], v30, s29, 0
	v_cmp_gt_i32_e64 s[18:19], s21, v30
	v_lshl_add_u64 v[28:29], v[24:25], 1, s[24:25]
	v_mad_i64_i32 v[24:25], s[26:27], v30, s28, 0
	v_lshl_add_u64 v[24:25], v[24:25], 1, s[22:23]
	s_and_b64 s[30:31], s[2:3], s[18:19]
	s_and_saveexec_b64 s[26:27], s[30:31]
	s_cbranch_execnz .LBB223_180
; %bb.173:
	s_or_b64 exec, exec, s[26:27]
	s_and_b64 s[30:31], s[4:5], s[18:19]
	s_and_saveexec_b64 s[26:27], s[30:31]
	s_cbranch_execnz .LBB223_184
.LBB223_174:
	s_or_b64 exec, exec, s[26:27]
	s_and_b64 s[30:31], s[6:7], s[18:19]
	s_and_saveexec_b64 s[26:27], s[30:31]
	s_cbranch_execnz .LBB223_188
.LBB223_175:
	s_or_b64 exec, exec, s[26:27]
	s_and_b64 s[30:31], s[8:9], s[18:19]
	s_and_saveexec_b64 s[26:27], s[30:31]
	s_cbranch_execnz .LBB223_192
.LBB223_176:
	s_or_b64 exec, exec, s[26:27]
	s_and_b64 s[30:31], s[10:11], s[18:19]
	s_and_saveexec_b64 s[26:27], s[30:31]
	s_cbranch_execnz .LBB223_196
.LBB223_177:
	s_or_b64 exec, exec, s[26:27]
	s_and_b64 s[30:31], s[12:13], s[18:19]
	s_and_saveexec_b64 s[26:27], s[30:31]
	s_cbranch_execnz .LBB223_200
.LBB223_178:
	s_or_b64 exec, exec, s[26:27]
	s_and_b64 s[30:31], s[14:15], s[18:19]
	s_and_saveexec_b64 s[26:27], s[30:31]
	s_cbranch_execnz .LBB223_204
.LBB223_179:
	s_or_b64 exec, exec, s[26:27]
	s_and_b64 s[26:27], s[16:17], s[18:19]
	s_and_saveexec_b64 s[18:19], s[26:27]
	s_cbranch_execnz .LBB223_208
	s_branch .LBB223_212
.LBB223_180:
	s_and_b64 vcc, exec, s[0:1]
	s_cbranch_vccnz .LBB223_182
; %bb.181:
	v_lshl_add_u64 v[30:31], v[32:33], 1, v[28:29]
	flat_load_ushort v30, v[30:31]
	s_waitcnt vmcnt(0) lgkmcnt(0)
	v_mul_f16_e32 v30, s33, v30
	s_branch .LBB223_183
.LBB223_182:
	v_mov_b32_e32 v30, 0
.LBB223_183:
	v_pk_add_f16 v31, v16, v26
	v_pk_max_f16 v48, v91, v91
	s_nop 0
	v_pk_min_f16 v31, v48, v31
	v_pk_add_f16 v48, v17, v27
	s_nop 0
	v_pk_min_f16 v31, v31, v48
	s_nop 0
	v_lshrrev_b32_e32 v48, 16, v31
	v_min3_f16 v48, v30, v31, v48
	v_lshl_add_u64 v[30:31], v[32:33], 1, v[24:25]
	global_store_short v[30:31], v48, off
	s_or_b64 exec, exec, s[26:27]
	s_and_b64 s[30:31], s[4:5], s[18:19]
	s_and_saveexec_b64 s[26:27], s[30:31]
	s_cbranch_execz .LBB223_174
.LBB223_184:
	s_and_b64 vcc, exec, s[0:1]
	s_cbranch_vccnz .LBB223_186
; %bb.185:
	v_lshl_add_u64 v[30:31], v[34:35], 1, v[28:29]
	flat_load_ushort v30, v[30:31]
	s_waitcnt vmcnt(0) lgkmcnt(0)
	v_mul_f16_e32 v30, s33, v30
	s_branch .LBB223_187
.LBB223_186:
	v_mov_b32_e32 v30, 0
.LBB223_187:
	v_pk_add_f16 v31, v18, v26
	v_pk_max_f16 v48, v90, v90
	s_nop 0
	v_pk_min_f16 v31, v48, v31
	v_pk_add_f16 v48, v19, v27
	s_nop 0
	v_pk_min_f16 v31, v31, v48
	s_nop 0
	v_lshrrev_b32_e32 v48, 16, v31
	v_min3_f16 v48, v30, v31, v48
	v_lshl_add_u64 v[30:31], v[34:35], 1, v[24:25]
	global_store_short v[30:31], v48, off
	s_or_b64 exec, exec, s[26:27]
	s_and_b64 s[30:31], s[6:7], s[18:19]
	s_and_saveexec_b64 s[26:27], s[30:31]
	s_cbranch_execz .LBB223_175
.LBB223_188:
	s_and_b64 vcc, exec, s[0:1]
	s_cbranch_vccnz .LBB223_190
; %bb.189:
	v_lshl_add_u64 v[30:31], v[36:37], 1, v[28:29]
	flat_load_ushort v30, v[30:31]
	s_waitcnt vmcnt(0) lgkmcnt(0)
	v_mul_f16_e32 v30, s33, v30
	s_branch .LBB223_191
.LBB223_190:
	v_mov_b32_e32 v30, 0
.LBB223_191:
	v_pk_add_f16 v31, v12, v26
	v_pk_max_f16 v48, v89, v89
	s_nop 0
	v_pk_min_f16 v31, v48, v31
	v_pk_add_f16 v48, v13, v27
	s_nop 0
	v_pk_min_f16 v31, v31, v48
	s_nop 0
	v_lshrrev_b32_e32 v48, 16, v31
	v_min3_f16 v48, v30, v31, v48
	v_lshl_add_u64 v[30:31], v[36:37], 1, v[24:25]
	global_store_short v[30:31], v48, off
	s_or_b64 exec, exec, s[26:27]
	s_and_b64 s[30:31], s[8:9], s[18:19]
	s_and_saveexec_b64 s[26:27], s[30:31]
	s_cbranch_execz .LBB223_176
.LBB223_192:
	s_and_b64 vcc, exec, s[0:1]
	s_cbranch_vccnz .LBB223_194
; %bb.193:
	v_lshl_add_u64 v[30:31], v[38:39], 1, v[28:29]
	flat_load_ushort v30, v[30:31]
	s_waitcnt vmcnt(0) lgkmcnt(0)
	v_mul_f16_e32 v30, s33, v30
	s_branch .LBB223_195
.LBB223_194:
	v_mov_b32_e32 v30, 0
.LBB223_195:
	v_pk_add_f16 v31, v14, v26
	v_pk_max_f16 v48, v88, v88
	s_nop 0
	v_pk_min_f16 v31, v48, v31
	v_pk_add_f16 v48, v15, v27
	s_nop 0
	v_pk_min_f16 v31, v31, v48
	s_nop 0
	v_lshrrev_b32_e32 v48, 16, v31
	v_min3_f16 v48, v30, v31, v48
	v_lshl_add_u64 v[30:31], v[38:39], 1, v[24:25]
	global_store_short v[30:31], v48, off
	s_or_b64 exec, exec, s[26:27]
	s_and_b64 s[30:31], s[10:11], s[18:19]
	s_and_saveexec_b64 s[26:27], s[30:31]
	s_cbranch_execz .LBB223_177
.LBB223_196:
	s_and_b64 vcc, exec, s[0:1]
	s_cbranch_vccnz .LBB223_198
; %bb.197:
	v_lshl_add_u64 v[30:31], v[40:41], 1, v[28:29]
	flat_load_ushort v30, v[30:31]
	s_waitcnt vmcnt(0) lgkmcnt(0)
	v_mul_f16_e32 v30, s33, v30
	s_branch .LBB223_199
.LBB223_198:
	v_mov_b32_e32 v30, 0
.LBB223_199:
	v_pk_add_f16 v31, v8, v26
	v_pk_max_f16 v48, v87, v87
	s_nop 0
	v_pk_min_f16 v31, v48, v31
	v_pk_add_f16 v48, v9, v27
	s_nop 0
	v_pk_min_f16 v31, v31, v48
	s_nop 0
	v_lshrrev_b32_e32 v48, 16, v31
	v_min3_f16 v48, v30, v31, v48
	v_lshl_add_u64 v[30:31], v[40:41], 1, v[24:25]
	global_store_short v[30:31], v48, off
	s_or_b64 exec, exec, s[26:27]
	s_and_b64 s[30:31], s[12:13], s[18:19]
	s_and_saveexec_b64 s[26:27], s[30:31]
	s_cbranch_execz .LBB223_178
.LBB223_200:
	s_and_b64 vcc, exec, s[0:1]
	s_cbranch_vccnz .LBB223_202
; %bb.201:
	v_lshl_add_u64 v[30:31], v[42:43], 1, v[28:29]
	flat_load_ushort v30, v[30:31]
	s_waitcnt vmcnt(0) lgkmcnt(0)
	v_mul_f16_e32 v30, s33, v30
	s_branch .LBB223_203
.LBB223_202:
	v_mov_b32_e32 v30, 0
.LBB223_203:
	v_pk_add_f16 v31, v10, v26
	v_pk_max_f16 v48, v86, v86
	s_nop 0
	v_pk_min_f16 v31, v48, v31
	v_pk_add_f16 v48, v11, v27
	s_nop 0
	v_pk_min_f16 v31, v31, v48
	s_nop 0
	v_lshrrev_b32_e32 v48, 16, v31
	v_min3_f16 v48, v30, v31, v48
	v_lshl_add_u64 v[30:31], v[42:43], 1, v[24:25]
	global_store_short v[30:31], v48, off
	s_or_b64 exec, exec, s[26:27]
	s_and_b64 s[30:31], s[14:15], s[18:19]
	s_and_saveexec_b64 s[26:27], s[30:31]
	s_cbranch_execz .LBB223_179
.LBB223_204:
	s_and_b64 vcc, exec, s[0:1]
	s_cbranch_vccnz .LBB223_206
; %bb.205:
	v_lshl_add_u64 v[30:31], v[44:45], 1, v[28:29]
	flat_load_ushort v30, v[30:31]
	s_waitcnt vmcnt(0) lgkmcnt(0)
	v_mul_f16_e32 v30, s33, v30
	s_branch .LBB223_207
.LBB223_206:
	v_mov_b32_e32 v30, 0
.LBB223_207:
	v_pk_add_f16 v31, v0, v26
	v_pk_max_f16 v48, v85, v85
	s_nop 0
	v_pk_min_f16 v31, v48, v31
	v_pk_add_f16 v48, v1, v27
	s_nop 0
	v_pk_min_f16 v31, v31, v48
	s_nop 0
	v_lshrrev_b32_e32 v48, 16, v31
	v_min3_f16 v48, v30, v31, v48
	v_lshl_add_u64 v[30:31], v[44:45], 1, v[24:25]
	global_store_short v[30:31], v48, off
	s_or_b64 exec, exec, s[26:27]
	s_and_b64 s[26:27], s[16:17], s[18:19]
	s_and_saveexec_b64 s[18:19], s[26:27]
	s_cbranch_execz .LBB223_212
.LBB223_208:
	s_and_b64 vcc, exec, s[0:1]
	s_cbranch_vccnz .LBB223_210
; %bb.209:
	v_lshl_add_u64 v[28:29], v[46:47], 1, v[28:29]
	flat_load_ushort v28, v[28:29]
	s_waitcnt vmcnt(0) lgkmcnt(0)
	v_mul_f16_e32 v28, s33, v28
	s_branch .LBB223_211
.LBB223_210:
	v_mov_b32_e32 v28, 0
.LBB223_211:
	v_pk_add_f16 v26, v2, v26
	v_pk_max_f16 v29, v84, v84
	v_pk_add_f16 v27, v3, v27
	v_pk_min_f16 v26, v29, v26
	v_lshl_add_u64 v[24:25], v[46:47], 1, v[24:25]
	v_pk_min_f16 v26, v26, v27
	s_nop 0
	v_lshrrev_b32_e32 v27, 16, v26
	v_min3_f16 v26, v28, v26, v27
	global_store_short v[24:25], v26, off
.LBB223_212:
	s_or_b64 exec, exec, s[18:19]
	v_add_u32_e32 v28, 0x80, v92
	v_mad_i64_i32 v[24:25], s[26:27], v28, s29, 0
	v_cmp_gt_i32_e64 s[18:19], s21, v28
	v_lshl_add_u64 v[26:27], v[24:25], 1, s[24:25]
	v_mad_i64_i32 v[24:25], s[26:27], v28, s28, 0
	v_lshl_add_u64 v[24:25], v[24:25], 1, s[22:23]
	s_and_b64 s[30:31], s[2:3], s[18:19]
	s_and_saveexec_b64 s[26:27], s[30:31]
	s_cbranch_execnz .LBB223_220
; %bb.213:
	s_or_b64 exec, exec, s[26:27]
	s_and_b64 s[30:31], s[4:5], s[18:19]
	s_and_saveexec_b64 s[26:27], s[30:31]
	s_cbranch_execnz .LBB223_224
.LBB223_214:
	s_or_b64 exec, exec, s[26:27]
	s_and_b64 s[30:31], s[6:7], s[18:19]
	s_and_saveexec_b64 s[26:27], s[30:31]
	s_cbranch_execnz .LBB223_228
.LBB223_215:
	s_or_b64 exec, exec, s[26:27]
	s_and_b64 s[30:31], s[8:9], s[18:19]
	s_and_saveexec_b64 s[26:27], s[30:31]
	s_cbranch_execnz .LBB223_232
.LBB223_216:
	s_or_b64 exec, exec, s[26:27]
	s_and_b64 s[30:31], s[10:11], s[18:19]
	s_and_saveexec_b64 s[26:27], s[30:31]
	s_cbranch_execnz .LBB223_236
.LBB223_217:
	s_or_b64 exec, exec, s[26:27]
	s_and_b64 s[30:31], s[12:13], s[18:19]
	s_and_saveexec_b64 s[26:27], s[30:31]
	s_cbranch_execnz .LBB223_240
.LBB223_218:
	s_or_b64 exec, exec, s[26:27]
	s_and_b64 s[30:31], s[14:15], s[18:19]
	s_and_saveexec_b64 s[26:27], s[30:31]
	s_cbranch_execnz .LBB223_244
.LBB223_219:
	s_or_b64 exec, exec, s[26:27]
	s_and_b64 s[26:27], s[16:17], s[18:19]
	s_and_saveexec_b64 s[18:19], s[26:27]
	s_cbranch_execnz .LBB223_248
	s_branch .LBB223_252
.LBB223_220:
	s_and_b64 vcc, exec, s[0:1]
	s_cbranch_vccnz .LBB223_222
; %bb.221:
	v_lshl_add_u64 v[28:29], v[32:33], 1, v[26:27]
	flat_load_ushort v28, v[28:29]
	s_waitcnt vmcnt(0) lgkmcnt(0)
	v_mul_f16_e32 v28, s33, v28
	s_branch .LBB223_223
.LBB223_222:
	v_mov_b32_e32 v28, 0
.LBB223_223:
	v_pk_add_f16 v29, v16, v20
	v_pk_max_f16 v30, v83, v83
	s_nop 0
	v_pk_min_f16 v29, v30, v29
	v_pk_add_f16 v30, v17, v21
	s_nop 0
	v_pk_min_f16 v29, v29, v30
	s_nop 0
	v_lshrrev_b32_e32 v30, 16, v29
	v_min3_f16 v30, v28, v29, v30
	v_lshl_add_u64 v[28:29], v[32:33], 1, v[24:25]
	global_store_short v[28:29], v30, off
	s_or_b64 exec, exec, s[26:27]
	s_and_b64 s[30:31], s[4:5], s[18:19]
	s_and_saveexec_b64 s[26:27], s[30:31]
	s_cbranch_execz .LBB223_214
.LBB223_224:
	s_and_b64 vcc, exec, s[0:1]
	s_cbranch_vccnz .LBB223_226
; %bb.225:
	v_lshl_add_u64 v[28:29], v[34:35], 1, v[26:27]
	flat_load_ushort v28, v[28:29]
	s_waitcnt vmcnt(0) lgkmcnt(0)
	v_mul_f16_e32 v28, s33, v28
	s_branch .LBB223_227
.LBB223_226:
	v_mov_b32_e32 v28, 0
.LBB223_227:
	v_pk_add_f16 v29, v18, v20
	v_pk_max_f16 v30, v82, v82
	s_nop 0
	v_pk_min_f16 v29, v30, v29
	v_pk_add_f16 v30, v19, v21
	s_nop 0
	v_pk_min_f16 v29, v29, v30
	s_nop 0
	v_lshrrev_b32_e32 v30, 16, v29
	v_min3_f16 v30, v28, v29, v30
	v_lshl_add_u64 v[28:29], v[34:35], 1, v[24:25]
	global_store_short v[28:29], v30, off
	s_or_b64 exec, exec, s[26:27]
	s_and_b64 s[30:31], s[6:7], s[18:19]
	s_and_saveexec_b64 s[26:27], s[30:31]
	s_cbranch_execz .LBB223_215
.LBB223_228:
	s_and_b64 vcc, exec, s[0:1]
	s_cbranch_vccnz .LBB223_230
; %bb.229:
	v_lshl_add_u64 v[28:29], v[36:37], 1, v[26:27]
	flat_load_ushort v28, v[28:29]
	s_waitcnt vmcnt(0) lgkmcnt(0)
	v_mul_f16_e32 v28, s33, v28
	s_branch .LBB223_231
.LBB223_230:
	v_mov_b32_e32 v28, 0
.LBB223_231:
	v_pk_add_f16 v29, v12, v20
	v_pk_max_f16 v30, v81, v81
	s_nop 0
	v_pk_min_f16 v29, v30, v29
	v_pk_add_f16 v30, v13, v21
	s_nop 0
	v_pk_min_f16 v29, v29, v30
	s_nop 0
	v_lshrrev_b32_e32 v30, 16, v29
	v_min3_f16 v30, v28, v29, v30
	v_lshl_add_u64 v[28:29], v[36:37], 1, v[24:25]
	global_store_short v[28:29], v30, off
	s_or_b64 exec, exec, s[26:27]
	s_and_b64 s[30:31], s[8:9], s[18:19]
	s_and_saveexec_b64 s[26:27], s[30:31]
	s_cbranch_execz .LBB223_216
.LBB223_232:
	s_and_b64 vcc, exec, s[0:1]
	s_cbranch_vccnz .LBB223_234
; %bb.233:
	v_lshl_add_u64 v[28:29], v[38:39], 1, v[26:27]
	flat_load_ushort v28, v[28:29]
	s_waitcnt vmcnt(0) lgkmcnt(0)
	v_mul_f16_e32 v28, s33, v28
	s_branch .LBB223_235
.LBB223_234:
	v_mov_b32_e32 v28, 0
.LBB223_235:
	v_pk_add_f16 v29, v14, v20
	v_pk_max_f16 v30, v80, v80
	s_nop 0
	v_pk_min_f16 v29, v30, v29
	v_pk_add_f16 v30, v15, v21
	s_nop 0
	v_pk_min_f16 v29, v29, v30
	s_nop 0
	v_lshrrev_b32_e32 v30, 16, v29
	v_min3_f16 v30, v28, v29, v30
	v_lshl_add_u64 v[28:29], v[38:39], 1, v[24:25]
	global_store_short v[28:29], v30, off
	s_or_b64 exec, exec, s[26:27]
	s_and_b64 s[30:31], s[10:11], s[18:19]
	s_and_saveexec_b64 s[26:27], s[30:31]
	s_cbranch_execz .LBB223_217
.LBB223_236:
	s_and_b64 vcc, exec, s[0:1]
	s_cbranch_vccnz .LBB223_238
; %bb.237:
	v_lshl_add_u64 v[28:29], v[40:41], 1, v[26:27]
	flat_load_ushort v28, v[28:29]
	s_waitcnt vmcnt(0) lgkmcnt(0)
	v_mul_f16_e32 v28, s33, v28
	s_branch .LBB223_239
.LBB223_238:
	v_mov_b32_e32 v28, 0
.LBB223_239:
	v_pk_add_f16 v29, v8, v20
	v_pk_max_f16 v30, v79, v79
	s_nop 0
	v_pk_min_f16 v29, v30, v29
	v_pk_add_f16 v30, v9, v21
	s_nop 0
	v_pk_min_f16 v29, v29, v30
	s_nop 0
	v_lshrrev_b32_e32 v30, 16, v29
	v_min3_f16 v30, v28, v29, v30
	v_lshl_add_u64 v[28:29], v[40:41], 1, v[24:25]
	global_store_short v[28:29], v30, off
	s_or_b64 exec, exec, s[26:27]
	s_and_b64 s[30:31], s[12:13], s[18:19]
	s_and_saveexec_b64 s[26:27], s[30:31]
	s_cbranch_execz .LBB223_218
.LBB223_240:
	s_and_b64 vcc, exec, s[0:1]
	s_cbranch_vccnz .LBB223_242
; %bb.241:
	v_lshl_add_u64 v[28:29], v[42:43], 1, v[26:27]
	flat_load_ushort v28, v[28:29]
	s_waitcnt vmcnt(0) lgkmcnt(0)
	v_mul_f16_e32 v28, s33, v28
	s_branch .LBB223_243
.LBB223_242:
	v_mov_b32_e32 v28, 0
.LBB223_243:
	v_pk_add_f16 v29, v10, v20
	v_pk_max_f16 v30, v78, v78
	s_nop 0
	v_pk_min_f16 v29, v30, v29
	v_pk_add_f16 v30, v11, v21
	s_nop 0
	v_pk_min_f16 v29, v29, v30
	s_nop 0
	v_lshrrev_b32_e32 v30, 16, v29
	v_min3_f16 v30, v28, v29, v30
	v_lshl_add_u64 v[28:29], v[42:43], 1, v[24:25]
	global_store_short v[28:29], v30, off
	s_or_b64 exec, exec, s[26:27]
	s_and_b64 s[30:31], s[14:15], s[18:19]
	s_and_saveexec_b64 s[26:27], s[30:31]
	s_cbranch_execz .LBB223_219
.LBB223_244:
	s_and_b64 vcc, exec, s[0:1]
	s_cbranch_vccnz .LBB223_246
; %bb.245:
	v_lshl_add_u64 v[28:29], v[44:45], 1, v[26:27]
	flat_load_ushort v28, v[28:29]
	s_waitcnt vmcnt(0) lgkmcnt(0)
	v_mul_f16_e32 v28, s33, v28
	s_branch .LBB223_247
.LBB223_246:
	v_mov_b32_e32 v28, 0
.LBB223_247:
	v_pk_add_f16 v29, v0, v20
	v_pk_max_f16 v30, v77, v77
	s_nop 0
	v_pk_min_f16 v29, v30, v29
	v_pk_add_f16 v30, v1, v21
	s_nop 0
	v_pk_min_f16 v29, v29, v30
	s_nop 0
	v_lshrrev_b32_e32 v30, 16, v29
	v_min3_f16 v30, v28, v29, v30
	v_lshl_add_u64 v[28:29], v[44:45], 1, v[24:25]
	global_store_short v[28:29], v30, off
	s_or_b64 exec, exec, s[26:27]
	s_and_b64 s[26:27], s[16:17], s[18:19]
	s_and_saveexec_b64 s[18:19], s[26:27]
	s_cbranch_execz .LBB223_252
.LBB223_248:
	s_and_b64 vcc, exec, s[0:1]
	s_cbranch_vccnz .LBB223_250
; %bb.249:
	v_lshl_add_u64 v[26:27], v[46:47], 1, v[26:27]
	flat_load_ushort v26, v[26:27]
	s_waitcnt vmcnt(0) lgkmcnt(0)
	v_mul_f16_e32 v26, s33, v26
	s_branch .LBB223_251
.LBB223_250:
	v_mov_b32_e32 v26, 0
.LBB223_251:
	v_pk_add_f16 v20, v2, v20
	v_pk_max_f16 v27, v76, v76
	v_pk_add_f16 v21, v3, v21
	v_pk_min_f16 v20, v27, v20
	s_nop 0
	v_pk_min_f16 v20, v20, v21
	s_nop 0
	v_lshrrev_b32_e32 v21, 16, v20
	v_min3_f16 v26, v26, v20, v21
	v_lshl_add_u64 v[20:21], v[46:47], 1, v[24:25]
	global_store_short v[20:21], v26, off
.LBB223_252:
	s_or_b64 exec, exec, s[18:19]
	v_add_u32_e32 v26, 0xa0, v92
	v_mad_i64_i32 v[20:21], s[26:27], v26, s29, 0
	v_cmp_gt_i32_e64 s[18:19], s21, v26
	v_lshl_add_u64 v[24:25], v[20:21], 1, s[24:25]
	v_mad_i64_i32 v[20:21], s[26:27], v26, s28, 0
	v_lshl_add_u64 v[20:21], v[20:21], 1, s[22:23]
	s_and_b64 s[30:31], s[2:3], s[18:19]
	s_and_saveexec_b64 s[26:27], s[30:31]
	s_cbranch_execnz .LBB223_260
; %bb.253:
	s_or_b64 exec, exec, s[26:27]
	s_and_b64 s[30:31], s[4:5], s[18:19]
	s_and_saveexec_b64 s[26:27], s[30:31]
	s_cbranch_execnz .LBB223_264
.LBB223_254:
	s_or_b64 exec, exec, s[26:27]
	s_and_b64 s[30:31], s[6:7], s[18:19]
	s_and_saveexec_b64 s[26:27], s[30:31]
	s_cbranch_execnz .LBB223_268
.LBB223_255:
	s_or_b64 exec, exec, s[26:27]
	s_and_b64 s[30:31], s[8:9], s[18:19]
	s_and_saveexec_b64 s[26:27], s[30:31]
	s_cbranch_execnz .LBB223_272
.LBB223_256:
	s_or_b64 exec, exec, s[26:27]
	s_and_b64 s[30:31], s[10:11], s[18:19]
	s_and_saveexec_b64 s[26:27], s[30:31]
	s_cbranch_execnz .LBB223_276
.LBB223_257:
	s_or_b64 exec, exec, s[26:27]
	s_and_b64 s[30:31], s[12:13], s[18:19]
	s_and_saveexec_b64 s[26:27], s[30:31]
	s_cbranch_execnz .LBB223_280
.LBB223_258:
	s_or_b64 exec, exec, s[26:27]
	s_and_b64 s[30:31], s[14:15], s[18:19]
	s_and_saveexec_b64 s[26:27], s[30:31]
	s_cbranch_execnz .LBB223_284
.LBB223_259:
	s_or_b64 exec, exec, s[26:27]
	s_and_b64 s[26:27], s[16:17], s[18:19]
	s_and_saveexec_b64 s[18:19], s[26:27]
	s_cbranch_execnz .LBB223_288
	s_branch .LBB223_292
.LBB223_260:
	s_and_b64 vcc, exec, s[0:1]
	s_cbranch_vccnz .LBB223_262
; %bb.261:
	v_lshl_add_u64 v[26:27], v[32:33], 1, v[24:25]
	flat_load_ushort v26, v[26:27]
	s_waitcnt vmcnt(0) lgkmcnt(0)
	v_mul_f16_e32 v26, s33, v26
	s_branch .LBB223_263
.LBB223_262:
	v_mov_b32_e32 v26, 0
.LBB223_263:
	v_pk_add_f16 v27, v16, v22
	v_pk_max_f16 v28, v75, v75
	s_nop 0
	v_pk_min_f16 v27, v28, v27
	v_pk_add_f16 v28, v17, v23
	s_nop 0
	v_pk_min_f16 v27, v27, v28
	s_nop 0
	v_lshrrev_b32_e32 v28, 16, v27
	v_min3_f16 v28, v26, v27, v28
	v_lshl_add_u64 v[26:27], v[32:33], 1, v[20:21]
	global_store_short v[26:27], v28, off
	s_or_b64 exec, exec, s[26:27]
	s_and_b64 s[30:31], s[4:5], s[18:19]
	s_and_saveexec_b64 s[26:27], s[30:31]
	s_cbranch_execz .LBB223_254
.LBB223_264:
	s_and_b64 vcc, exec, s[0:1]
	s_cbranch_vccnz .LBB223_266
; %bb.265:
	v_lshl_add_u64 v[26:27], v[34:35], 1, v[24:25]
	flat_load_ushort v26, v[26:27]
	s_waitcnt vmcnt(0) lgkmcnt(0)
	v_mul_f16_e32 v26, s33, v26
	s_branch .LBB223_267
.LBB223_266:
	v_mov_b32_e32 v26, 0
.LBB223_267:
	v_pk_add_f16 v27, v18, v22
	v_pk_max_f16 v28, v74, v74
	s_nop 0
	v_pk_min_f16 v27, v28, v27
	v_pk_add_f16 v28, v19, v23
	s_nop 0
	v_pk_min_f16 v27, v27, v28
	s_nop 0
	v_lshrrev_b32_e32 v28, 16, v27
	v_min3_f16 v28, v26, v27, v28
	v_lshl_add_u64 v[26:27], v[34:35], 1, v[20:21]
	global_store_short v[26:27], v28, off
	s_or_b64 exec, exec, s[26:27]
	s_and_b64 s[30:31], s[6:7], s[18:19]
	s_and_saveexec_b64 s[26:27], s[30:31]
	s_cbranch_execz .LBB223_255
.LBB223_268:
	s_and_b64 vcc, exec, s[0:1]
	s_cbranch_vccnz .LBB223_270
; %bb.269:
	v_lshl_add_u64 v[26:27], v[36:37], 1, v[24:25]
	flat_load_ushort v26, v[26:27]
	s_waitcnt vmcnt(0) lgkmcnt(0)
	v_mul_f16_e32 v26, s33, v26
	s_branch .LBB223_271
.LBB223_270:
	v_mov_b32_e32 v26, 0
.LBB223_271:
	v_pk_add_f16 v27, v12, v22
	v_pk_max_f16 v28, v73, v73
	s_nop 0
	v_pk_min_f16 v27, v28, v27
	v_pk_add_f16 v28, v13, v23
	s_nop 0
	v_pk_min_f16 v27, v27, v28
	s_nop 0
	v_lshrrev_b32_e32 v28, 16, v27
	v_min3_f16 v28, v26, v27, v28
	v_lshl_add_u64 v[26:27], v[36:37], 1, v[20:21]
	global_store_short v[26:27], v28, off
	s_or_b64 exec, exec, s[26:27]
	s_and_b64 s[30:31], s[8:9], s[18:19]
	s_and_saveexec_b64 s[26:27], s[30:31]
	s_cbranch_execz .LBB223_256
.LBB223_272:
	s_and_b64 vcc, exec, s[0:1]
	s_cbranch_vccnz .LBB223_274
; %bb.273:
	v_lshl_add_u64 v[26:27], v[38:39], 1, v[24:25]
	flat_load_ushort v26, v[26:27]
	s_waitcnt vmcnt(0) lgkmcnt(0)
	v_mul_f16_e32 v26, s33, v26
	s_branch .LBB223_275
.LBB223_274:
	v_mov_b32_e32 v26, 0
.LBB223_275:
	v_pk_add_f16 v27, v14, v22
	v_pk_max_f16 v28, v72, v72
	s_nop 0
	v_pk_min_f16 v27, v28, v27
	v_pk_add_f16 v28, v15, v23
	s_nop 0
	v_pk_min_f16 v27, v27, v28
	s_nop 0
	v_lshrrev_b32_e32 v28, 16, v27
	v_min3_f16 v28, v26, v27, v28
	v_lshl_add_u64 v[26:27], v[38:39], 1, v[20:21]
	global_store_short v[26:27], v28, off
	s_or_b64 exec, exec, s[26:27]
	s_and_b64 s[30:31], s[10:11], s[18:19]
	s_and_saveexec_b64 s[26:27], s[30:31]
	s_cbranch_execz .LBB223_257
.LBB223_276:
	s_and_b64 vcc, exec, s[0:1]
	s_cbranch_vccnz .LBB223_278
; %bb.277:
	v_lshl_add_u64 v[26:27], v[40:41], 1, v[24:25]
	flat_load_ushort v26, v[26:27]
	s_waitcnt vmcnt(0) lgkmcnt(0)
	v_mul_f16_e32 v26, s33, v26
	s_branch .LBB223_279
.LBB223_278:
	v_mov_b32_e32 v26, 0
.LBB223_279:
	v_pk_add_f16 v27, v8, v22
	v_pk_max_f16 v28, v71, v71
	s_nop 0
	v_pk_min_f16 v27, v28, v27
	v_pk_add_f16 v28, v9, v23
	s_nop 0
	v_pk_min_f16 v27, v27, v28
	s_nop 0
	v_lshrrev_b32_e32 v28, 16, v27
	v_min3_f16 v28, v26, v27, v28
	v_lshl_add_u64 v[26:27], v[40:41], 1, v[20:21]
	global_store_short v[26:27], v28, off
	s_or_b64 exec, exec, s[26:27]
	s_and_b64 s[30:31], s[12:13], s[18:19]
	s_and_saveexec_b64 s[26:27], s[30:31]
	s_cbranch_execz .LBB223_258
.LBB223_280:
	s_and_b64 vcc, exec, s[0:1]
	s_cbranch_vccnz .LBB223_282
; %bb.281:
	v_lshl_add_u64 v[26:27], v[42:43], 1, v[24:25]
	flat_load_ushort v26, v[26:27]
	s_waitcnt vmcnt(0) lgkmcnt(0)
	v_mul_f16_e32 v26, s33, v26
	s_branch .LBB223_283
.LBB223_282:
	v_mov_b32_e32 v26, 0
.LBB223_283:
	v_pk_add_f16 v27, v10, v22
	v_pk_max_f16 v28, v70, v70
	s_nop 0
	v_pk_min_f16 v27, v28, v27
	v_pk_add_f16 v28, v11, v23
	s_nop 0
	v_pk_min_f16 v27, v27, v28
	s_nop 0
	v_lshrrev_b32_e32 v28, 16, v27
	v_min3_f16 v28, v26, v27, v28
	v_lshl_add_u64 v[26:27], v[42:43], 1, v[20:21]
	global_store_short v[26:27], v28, off
	s_or_b64 exec, exec, s[26:27]
	s_and_b64 s[30:31], s[14:15], s[18:19]
	s_and_saveexec_b64 s[26:27], s[30:31]
	s_cbranch_execz .LBB223_259
.LBB223_284:
	s_and_b64 vcc, exec, s[0:1]
	s_cbranch_vccnz .LBB223_286
; %bb.285:
	v_lshl_add_u64 v[26:27], v[44:45], 1, v[24:25]
	flat_load_ushort v26, v[26:27]
	s_waitcnt vmcnt(0) lgkmcnt(0)
	v_mul_f16_e32 v26, s33, v26
	s_branch .LBB223_287
.LBB223_286:
	v_mov_b32_e32 v26, 0
.LBB223_287:
	v_pk_add_f16 v27, v0, v22
	v_pk_max_f16 v28, v69, v69
	s_nop 0
	v_pk_min_f16 v27, v28, v27
	v_pk_add_f16 v28, v1, v23
	s_nop 0
	v_pk_min_f16 v27, v27, v28
	s_nop 0
	v_lshrrev_b32_e32 v28, 16, v27
	v_min3_f16 v28, v26, v27, v28
	v_lshl_add_u64 v[26:27], v[44:45], 1, v[20:21]
	global_store_short v[26:27], v28, off
	s_or_b64 exec, exec, s[26:27]
	s_and_b64 s[26:27], s[16:17], s[18:19]
	s_and_saveexec_b64 s[18:19], s[26:27]
	s_cbranch_execz .LBB223_292
.LBB223_288:
	s_and_b64 vcc, exec, s[0:1]
	s_cbranch_vccnz .LBB223_290
; %bb.289:
	v_lshl_add_u64 v[24:25], v[46:47], 1, v[24:25]
	flat_load_ushort v24, v[24:25]
	s_waitcnt vmcnt(0) lgkmcnt(0)
	v_mul_f16_e32 v24, s33, v24
	s_branch .LBB223_291
.LBB223_290:
	v_mov_b32_e32 v24, 0
.LBB223_291:
	v_pk_add_f16 v22, v2, v22
	v_pk_max_f16 v25, v68, v68
	v_pk_add_f16 v23, v3, v23
	v_pk_min_f16 v22, v25, v22
	v_lshl_add_u64 v[20:21], v[46:47], 1, v[20:21]
	v_pk_min_f16 v22, v22, v23
	s_nop 0
	v_lshrrev_b32_e32 v23, 16, v22
	v_min3_f16 v22, v24, v22, v23
	global_store_short v[20:21], v22, off
.LBB223_292:
	s_or_b64 exec, exec, s[18:19]
	v_add_u32_e32 v24, 0xc0, v92
	v_mad_i64_i32 v[20:21], s[26:27], v24, s29, 0
	v_cmp_gt_i32_e64 s[18:19], s21, v24
	v_lshl_add_u64 v[22:23], v[20:21], 1, s[24:25]
	v_mad_i64_i32 v[20:21], s[26:27], v24, s28, 0
	v_lshl_add_u64 v[20:21], v[20:21], 1, s[22:23]
	s_and_b64 s[30:31], s[2:3], s[18:19]
	s_and_saveexec_b64 s[26:27], s[30:31]
	s_cbranch_execnz .LBB223_300
; %bb.293:
	s_or_b64 exec, exec, s[26:27]
	s_and_b64 s[30:31], s[4:5], s[18:19]
	s_and_saveexec_b64 s[26:27], s[30:31]
	s_cbranch_execnz .LBB223_304
.LBB223_294:
	s_or_b64 exec, exec, s[26:27]
	s_and_b64 s[30:31], s[6:7], s[18:19]
	s_and_saveexec_b64 s[26:27], s[30:31]
	s_cbranch_execnz .LBB223_308
.LBB223_295:
	s_or_b64 exec, exec, s[26:27]
	s_and_b64 s[30:31], s[8:9], s[18:19]
	s_and_saveexec_b64 s[26:27], s[30:31]
	s_cbranch_execnz .LBB223_312
.LBB223_296:
	s_or_b64 exec, exec, s[26:27]
	s_and_b64 s[30:31], s[10:11], s[18:19]
	s_and_saveexec_b64 s[26:27], s[30:31]
	s_cbranch_execnz .LBB223_316
.LBB223_297:
	s_or_b64 exec, exec, s[26:27]
	s_and_b64 s[30:31], s[12:13], s[18:19]
	s_and_saveexec_b64 s[26:27], s[30:31]
	s_cbranch_execnz .LBB223_320
.LBB223_298:
	s_or_b64 exec, exec, s[26:27]
	s_and_b64 s[30:31], s[14:15], s[18:19]
	s_and_saveexec_b64 s[26:27], s[30:31]
	s_cbranch_execnz .LBB223_324
.LBB223_299:
	s_or_b64 exec, exec, s[26:27]
	s_and_b64 s[26:27], s[16:17], s[18:19]
	s_and_saveexec_b64 s[18:19], s[26:27]
	s_cbranch_execnz .LBB223_328
	s_branch .LBB223_332
.LBB223_300:
	s_and_b64 vcc, exec, s[0:1]
	s_cbranch_vccnz .LBB223_302
; %bb.301:
	v_lshl_add_u64 v[24:25], v[32:33], 1, v[22:23]
	flat_load_ushort v24, v[24:25]
	s_waitcnt vmcnt(0) lgkmcnt(0)
	v_mul_f16_e32 v24, s33, v24
	s_branch .LBB223_303
.LBB223_302:
	v_mov_b32_e32 v24, 0
.LBB223_303:
	v_pk_add_f16 v25, v16, v4
	v_pk_max_f16 v26, v67, v67
	s_nop 0
	v_pk_min_f16 v25, v26, v25
	v_pk_add_f16 v26, v17, v5
	s_nop 0
	v_pk_min_f16 v25, v25, v26
	s_nop 0
	v_lshrrev_b32_e32 v26, 16, v25
	v_min3_f16 v26, v24, v25, v26
	v_lshl_add_u64 v[24:25], v[32:33], 1, v[20:21]
	global_store_short v[24:25], v26, off
	s_or_b64 exec, exec, s[26:27]
	s_and_b64 s[30:31], s[4:5], s[18:19]
	s_and_saveexec_b64 s[26:27], s[30:31]
	s_cbranch_execz .LBB223_294
.LBB223_304:
	s_and_b64 vcc, exec, s[0:1]
	s_cbranch_vccnz .LBB223_306
; %bb.305:
	v_lshl_add_u64 v[24:25], v[34:35], 1, v[22:23]
	flat_load_ushort v24, v[24:25]
	s_waitcnt vmcnt(0) lgkmcnt(0)
	v_mul_f16_e32 v24, s33, v24
	s_branch .LBB223_307
.LBB223_306:
	v_mov_b32_e32 v24, 0
.LBB223_307:
	v_pk_add_f16 v25, v18, v4
	v_pk_max_f16 v26, v66, v66
	s_nop 0
	v_pk_min_f16 v25, v26, v25
	v_pk_add_f16 v26, v19, v5
	s_nop 0
	v_pk_min_f16 v25, v25, v26
	s_nop 0
	v_lshrrev_b32_e32 v26, 16, v25
	v_min3_f16 v26, v24, v25, v26
	v_lshl_add_u64 v[24:25], v[34:35], 1, v[20:21]
	global_store_short v[24:25], v26, off
	s_or_b64 exec, exec, s[26:27]
	s_and_b64 s[30:31], s[6:7], s[18:19]
	s_and_saveexec_b64 s[26:27], s[30:31]
	s_cbranch_execz .LBB223_295
.LBB223_308:
	s_and_b64 vcc, exec, s[0:1]
	s_cbranch_vccnz .LBB223_310
; %bb.309:
	v_lshl_add_u64 v[24:25], v[36:37], 1, v[22:23]
	flat_load_ushort v24, v[24:25]
	s_waitcnt vmcnt(0) lgkmcnt(0)
	v_mul_f16_e32 v24, s33, v24
	s_branch .LBB223_311
.LBB223_310:
	v_mov_b32_e32 v24, 0
.LBB223_311:
	v_pk_add_f16 v25, v12, v4
	v_pk_max_f16 v26, v65, v65
	s_nop 0
	v_pk_min_f16 v25, v26, v25
	v_pk_add_f16 v26, v13, v5
	s_nop 0
	v_pk_min_f16 v25, v25, v26
	s_nop 0
	v_lshrrev_b32_e32 v26, 16, v25
	v_min3_f16 v26, v24, v25, v26
	v_lshl_add_u64 v[24:25], v[36:37], 1, v[20:21]
	global_store_short v[24:25], v26, off
	s_or_b64 exec, exec, s[26:27]
	s_and_b64 s[30:31], s[8:9], s[18:19]
	s_and_saveexec_b64 s[26:27], s[30:31]
	s_cbranch_execz .LBB223_296
.LBB223_312:
	s_and_b64 vcc, exec, s[0:1]
	s_cbranch_vccnz .LBB223_314
; %bb.313:
	v_lshl_add_u64 v[24:25], v[38:39], 1, v[22:23]
	flat_load_ushort v24, v[24:25]
	s_waitcnt vmcnt(0) lgkmcnt(0)
	v_mul_f16_e32 v24, s33, v24
	s_branch .LBB223_315
.LBB223_314:
	v_mov_b32_e32 v24, 0
.LBB223_315:
	v_pk_add_f16 v25, v14, v4
	v_pk_max_f16 v26, v64, v64
	s_nop 0
	v_pk_min_f16 v25, v26, v25
	v_pk_add_f16 v26, v15, v5
	s_nop 0
	v_pk_min_f16 v25, v25, v26
	s_nop 0
	v_lshrrev_b32_e32 v26, 16, v25
	v_min3_f16 v26, v24, v25, v26
	v_lshl_add_u64 v[24:25], v[38:39], 1, v[20:21]
	global_store_short v[24:25], v26, off
	s_or_b64 exec, exec, s[26:27]
	s_and_b64 s[30:31], s[10:11], s[18:19]
	s_and_saveexec_b64 s[26:27], s[30:31]
	s_cbranch_execz .LBB223_297
.LBB223_316:
	s_and_b64 vcc, exec, s[0:1]
	s_cbranch_vccnz .LBB223_318
; %bb.317:
	v_lshl_add_u64 v[24:25], v[40:41], 1, v[22:23]
	flat_load_ushort v24, v[24:25]
	s_waitcnt vmcnt(0) lgkmcnt(0)
	v_mul_f16_e32 v24, s33, v24
	s_branch .LBB223_319
.LBB223_318:
	v_mov_b32_e32 v24, 0
.LBB223_319:
	v_pk_add_f16 v25, v8, v4
	v_pk_max_f16 v26, v63, v63
	s_nop 0
	v_pk_min_f16 v25, v26, v25
	v_pk_add_f16 v26, v9, v5
	s_nop 0
	v_pk_min_f16 v25, v25, v26
	s_nop 0
	v_lshrrev_b32_e32 v26, 16, v25
	v_min3_f16 v26, v24, v25, v26
	v_lshl_add_u64 v[24:25], v[40:41], 1, v[20:21]
	global_store_short v[24:25], v26, off
	s_or_b64 exec, exec, s[26:27]
	s_and_b64 s[30:31], s[12:13], s[18:19]
	s_and_saveexec_b64 s[26:27], s[30:31]
	s_cbranch_execz .LBB223_298
.LBB223_320:
	s_and_b64 vcc, exec, s[0:1]
	s_cbranch_vccnz .LBB223_322
; %bb.321:
	v_lshl_add_u64 v[24:25], v[42:43], 1, v[22:23]
	flat_load_ushort v24, v[24:25]
	s_waitcnt vmcnt(0) lgkmcnt(0)
	v_mul_f16_e32 v24, s33, v24
	s_branch .LBB223_323
.LBB223_322:
	v_mov_b32_e32 v24, 0
.LBB223_323:
	v_pk_add_f16 v25, v10, v4
	v_pk_max_f16 v26, v62, v62
	s_nop 0
	v_pk_min_f16 v25, v26, v25
	v_pk_add_f16 v26, v11, v5
	s_nop 0
	v_pk_min_f16 v25, v25, v26
	s_nop 0
	v_lshrrev_b32_e32 v26, 16, v25
	v_min3_f16 v26, v24, v25, v26
	v_lshl_add_u64 v[24:25], v[42:43], 1, v[20:21]
	global_store_short v[24:25], v26, off
	s_or_b64 exec, exec, s[26:27]
	s_and_b64 s[30:31], s[14:15], s[18:19]
	s_and_saveexec_b64 s[26:27], s[30:31]
	s_cbranch_execz .LBB223_299
.LBB223_324:
	s_and_b64 vcc, exec, s[0:1]
	s_cbranch_vccnz .LBB223_326
; %bb.325:
	v_lshl_add_u64 v[24:25], v[44:45], 1, v[22:23]
	flat_load_ushort v24, v[24:25]
	s_waitcnt vmcnt(0) lgkmcnt(0)
	v_mul_f16_e32 v24, s33, v24
	s_branch .LBB223_327
.LBB223_326:
	v_mov_b32_e32 v24, 0
.LBB223_327:
	v_pk_add_f16 v25, v0, v4
	v_pk_max_f16 v26, v61, v61
	s_nop 0
	v_pk_min_f16 v25, v26, v25
	v_pk_add_f16 v26, v1, v5
	s_nop 0
	v_pk_min_f16 v25, v25, v26
	s_nop 0
	v_lshrrev_b32_e32 v26, 16, v25
	v_min3_f16 v26, v24, v25, v26
	v_lshl_add_u64 v[24:25], v[44:45], 1, v[20:21]
	global_store_short v[24:25], v26, off
	s_or_b64 exec, exec, s[26:27]
	s_and_b64 s[26:27], s[16:17], s[18:19]
	s_and_saveexec_b64 s[18:19], s[26:27]
	s_cbranch_execz .LBB223_332
.LBB223_328:
	s_and_b64 vcc, exec, s[0:1]
	s_cbranch_vccnz .LBB223_330
; %bb.329:
	v_lshl_add_u64 v[22:23], v[46:47], 1, v[22:23]
	flat_load_ushort v22, v[22:23]
	s_waitcnt vmcnt(0) lgkmcnt(0)
	v_mul_f16_e32 v22, s33, v22
	s_branch .LBB223_331
.LBB223_330:
	v_mov_b32_e32 v22, 0
.LBB223_331:
	v_pk_add_f16 v4, v2, v4
	v_pk_max_f16 v23, v60, v60
	v_pk_add_f16 v5, v3, v5
	v_pk_min_f16 v4, v23, v4
	s_nop 0
	v_pk_min_f16 v4, v4, v5
	s_nop 0
	v_lshrrev_b32_e32 v5, 16, v4
	v_min3_f16 v22, v22, v4, v5
	v_lshl_add_u64 v[4:5], v[46:47], 1, v[20:21]
	global_store_short v[4:5], v22, off
.LBB223_332:
	s_or_b64 exec, exec, s[18:19]
	v_add_u32_e32 v22, 0xe0, v92
	v_cmp_gt_i32_e64 s[18:19], s21, v22
	v_mad_i64_i32 v[4:5], s[20:21], v22, s29, 0
	v_lshl_add_u64 v[20:21], v[4:5], 1, s[24:25]
	v_mad_i64_i32 v[4:5], s[20:21], v22, s28, 0
	v_lshl_add_u64 v[4:5], v[4:5], 1, s[22:23]
	s_and_b64 s[20:21], s[2:3], s[18:19]
	s_and_saveexec_b64 s[2:3], s[20:21]
	s_cbranch_execnz .LBB223_341
; %bb.333:
	s_or_b64 exec, exec, s[2:3]
	s_and_b64 s[4:5], s[4:5], s[18:19]
	s_and_saveexec_b64 s[2:3], s[4:5]
	s_cbranch_execnz .LBB223_345
.LBB223_334:
	s_or_b64 exec, exec, s[2:3]
	s_and_b64 s[4:5], s[6:7], s[18:19]
	s_and_saveexec_b64 s[2:3], s[4:5]
	s_cbranch_execnz .LBB223_349
.LBB223_335:
	s_or_b64 exec, exec, s[2:3]
	s_and_b64 s[4:5], s[8:9], s[18:19]
	s_and_saveexec_b64 s[2:3], s[4:5]
	s_cbranch_execnz .LBB223_353
.LBB223_336:
	s_or_b64 exec, exec, s[2:3]
	s_and_b64 s[4:5], s[10:11], s[18:19]
	s_and_saveexec_b64 s[2:3], s[4:5]
	s_cbranch_execnz .LBB223_357
.LBB223_337:
	s_or_b64 exec, exec, s[2:3]
	s_and_b64 s[4:5], s[12:13], s[18:19]
	s_and_saveexec_b64 s[2:3], s[4:5]
	s_cbranch_execnz .LBB223_361
.LBB223_338:
	s_or_b64 exec, exec, s[2:3]
	s_and_b64 s[4:5], s[14:15], s[18:19]
	s_and_saveexec_b64 s[2:3], s[4:5]
	s_cbranch_execnz .LBB223_365
.LBB223_339:
	s_or_b64 exec, exec, s[2:3]
	s_and_b64 s[2:3], s[16:17], s[18:19]
	s_and_saveexec_b64 s[4:5], s[2:3]
	s_cbranch_execnz .LBB223_369
.LBB223_340:
	s_endpgm
.LBB223_341:
	s_and_b64 vcc, exec, s[0:1]
	s_cbranch_vccnz .LBB223_343
; %bb.342:
	v_lshl_add_u64 v[22:23], v[32:33], 1, v[20:21]
	flat_load_ushort v22, v[22:23]
	s_waitcnt vmcnt(0) lgkmcnt(0)
	v_mul_f16_e32 v22, s33, v22
	s_branch .LBB223_344
.LBB223_343:
	v_mov_b32_e32 v22, 0
.LBB223_344:
	v_pk_add_f16 v16, v16, v6
	v_pk_max_f16 v23, v59, v59
	v_pk_add_f16 v17, v17, v7
	v_pk_min_f16 v16, v23, v16
	s_nop 0
	v_pk_min_f16 v16, v16, v17
	s_nop 0
	v_lshrrev_b32_e32 v17, 16, v16
	v_min3_f16 v22, v22, v16, v17
	v_lshl_add_u64 v[16:17], v[32:33], 1, v[4:5]
	global_store_short v[16:17], v22, off
	s_or_b64 exec, exec, s[2:3]
	s_and_b64 s[4:5], s[4:5], s[18:19]
	s_and_saveexec_b64 s[2:3], s[4:5]
	s_cbranch_execz .LBB223_334
.LBB223_345:
	s_and_b64 vcc, exec, s[0:1]
	s_cbranch_vccnz .LBB223_347
; %bb.346:
	v_lshl_add_u64 v[16:17], v[34:35], 1, v[20:21]
	flat_load_ushort v16, v[16:17]
	s_waitcnt vmcnt(0) lgkmcnt(0)
	v_mul_f16_e32 v16, s33, v16
	s_branch .LBB223_348
.LBB223_347:
	v_mov_b32_e32 v16, 0
.LBB223_348:
	v_pk_add_f16 v17, v18, v6
	v_pk_max_f16 v18, v58, v58
	s_nop 0
	v_pk_min_f16 v17, v18, v17
	v_pk_add_f16 v18, v19, v7
	s_nop 0
	v_pk_min_f16 v17, v17, v18
	s_nop 0
	v_lshrrev_b32_e32 v18, 16, v17
	v_min3_f16 v18, v16, v17, v18
	v_lshl_add_u64 v[16:17], v[34:35], 1, v[4:5]
	global_store_short v[16:17], v18, off
	s_or_b64 exec, exec, s[2:3]
	s_and_b64 s[4:5], s[6:7], s[18:19]
	s_and_saveexec_b64 s[2:3], s[4:5]
	s_cbranch_execz .LBB223_335
.LBB223_349:
	s_and_b64 vcc, exec, s[0:1]
	s_cbranch_vccnz .LBB223_351
; %bb.350:
	v_lshl_add_u64 v[16:17], v[36:37], 1, v[20:21]
	flat_load_ushort v16, v[16:17]
	s_waitcnt vmcnt(0) lgkmcnt(0)
	v_mul_f16_e32 v16, s33, v16
	s_branch .LBB223_352
.LBB223_351:
	v_mov_b32_e32 v16, 0
.LBB223_352:
	v_pk_add_f16 v12, v12, v6
	v_pk_max_f16 v17, v57, v57
	v_pk_add_f16 v13, v13, v7
	v_pk_min_f16 v12, v17, v12
	s_nop 0
	v_pk_min_f16 v12, v12, v13
	s_nop 0
	v_lshrrev_b32_e32 v13, 16, v12
	v_min3_f16 v16, v16, v12, v13
	v_lshl_add_u64 v[12:13], v[36:37], 1, v[4:5]
	global_store_short v[12:13], v16, off
	s_or_b64 exec, exec, s[2:3]
	s_and_b64 s[4:5], s[8:9], s[18:19]
	s_and_saveexec_b64 s[2:3], s[4:5]
	s_cbranch_execz .LBB223_336
.LBB223_353:
	s_and_b64 vcc, exec, s[0:1]
	s_cbranch_vccnz .LBB223_355
; %bb.354:
	v_lshl_add_u64 v[12:13], v[38:39], 1, v[20:21]
	flat_load_ushort v12, v[12:13]
	s_waitcnt vmcnt(0) lgkmcnt(0)
	v_mul_f16_e32 v12, s33, v12
	s_branch .LBB223_356
.LBB223_355:
	v_mov_b32_e32 v12, 0
.LBB223_356:
	v_pk_add_f16 v13, v14, v6
	v_pk_max_f16 v14, v55, v55
	s_nop 0
	v_pk_min_f16 v13, v14, v13
	v_pk_add_f16 v14, v15, v7
	s_nop 0
	v_pk_min_f16 v13, v13, v14
	s_nop 0
	v_lshrrev_b32_e32 v14, 16, v13
	v_min3_f16 v14, v12, v13, v14
	v_lshl_add_u64 v[12:13], v[38:39], 1, v[4:5]
	global_store_short v[12:13], v14, off
	s_or_b64 exec, exec, s[2:3]
	s_and_b64 s[4:5], s[10:11], s[18:19]
	s_and_saveexec_b64 s[2:3], s[4:5]
	s_cbranch_execz .LBB223_337
.LBB223_357:
	s_and_b64 vcc, exec, s[0:1]
	s_cbranch_vccnz .LBB223_359
; %bb.358:
	v_lshl_add_u64 v[12:13], v[40:41], 1, v[20:21]
	flat_load_ushort v12, v[12:13]
	s_waitcnt vmcnt(0) lgkmcnt(0)
	v_mul_f16_e32 v12, s33, v12
	s_branch .LBB223_360
.LBB223_359:
	v_mov_b32_e32 v12, 0
.LBB223_360:
	v_pk_add_f16 v8, v8, v6
	v_pk_max_f16 v13, v54, v54
	v_pk_add_f16 v9, v9, v7
	v_pk_min_f16 v8, v13, v8
	s_nop 0
	v_pk_min_f16 v8, v8, v9
	s_nop 0
	v_lshrrev_b32_e32 v9, 16, v8
	v_min3_f16 v12, v12, v8, v9
	v_lshl_add_u64 v[8:9], v[40:41], 1, v[4:5]
	global_store_short v[8:9], v12, off
	s_or_b64 exec, exec, s[2:3]
	s_and_b64 s[4:5], s[12:13], s[18:19]
	s_and_saveexec_b64 s[2:3], s[4:5]
	s_cbranch_execz .LBB223_338
.LBB223_361:
	s_and_b64 vcc, exec, s[0:1]
	s_cbranch_vccnz .LBB223_363
; %bb.362:
	v_lshl_add_u64 v[8:9], v[42:43], 1, v[20:21]
	flat_load_ushort v8, v[8:9]
	s_waitcnt vmcnt(0) lgkmcnt(0)
	v_mul_f16_e32 v8, s33, v8
	s_branch .LBB223_364
.LBB223_363:
	v_mov_b32_e32 v8, 0
.LBB223_364:
	v_pk_add_f16 v9, v10, v6
	v_pk_max_f16 v10, v53, v53
	s_nop 0
	v_pk_min_f16 v9, v10, v9
	v_pk_add_f16 v10, v11, v7
	s_nop 0
	v_pk_min_f16 v9, v9, v10
	s_nop 0
	v_lshrrev_b32_e32 v10, 16, v9
	v_min3_f16 v10, v8, v9, v10
	v_lshl_add_u64 v[8:9], v[42:43], 1, v[4:5]
	global_store_short v[8:9], v10, off
	s_or_b64 exec, exec, s[2:3]
	s_and_b64 s[4:5], s[14:15], s[18:19]
	s_and_saveexec_b64 s[2:3], s[4:5]
	s_cbranch_execz .LBB223_339
.LBB223_365:
	s_and_b64 vcc, exec, s[0:1]
	s_cbranch_vccnz .LBB223_367
; %bb.366:
	v_lshl_add_u64 v[8:9], v[44:45], 1, v[20:21]
	flat_load_ushort v8, v[8:9]
	s_waitcnt vmcnt(0) lgkmcnt(0)
	v_mul_f16_e32 v8, s33, v8
	s_branch .LBB223_368
.LBB223_367:
	v_mov_b32_e32 v8, 0
.LBB223_368:
	v_pk_add_f16 v0, v0, v6
	v_pk_max_f16 v9, v52, v52
	v_pk_add_f16 v1, v1, v7
	v_pk_min_f16 v0, v9, v0
	s_nop 0
	v_pk_min_f16 v0, v0, v1
	s_nop 0
	v_lshrrev_b32_e32 v1, 16, v0
	v_min3_f16 v8, v8, v0, v1
	v_lshl_add_u64 v[0:1], v[44:45], 1, v[4:5]
	global_store_short v[0:1], v8, off
	s_or_b64 exec, exec, s[2:3]
	s_and_b64 s[2:3], s[16:17], s[18:19]
	s_and_saveexec_b64 s[4:5], s[2:3]
	s_cbranch_execz .LBB223_340
.LBB223_369:
	s_and_b64 vcc, exec, s[0:1]
	s_cbranch_vccnz .LBB223_371
; %bb.370:
	v_lshl_add_u64 v[0:1], v[46:47], 1, v[20:21]
	flat_load_ushort v0, v[0:1]
	s_waitcnt vmcnt(0) lgkmcnt(0)
	v_mul_f16_e32 v0, s33, v0
	s_branch .LBB223_372
.LBB223_371:
	v_mov_b32_e32 v0, 0
.LBB223_372:
	v_pk_add_f16 v1, v2, v6
	v_pk_max_f16 v2, v56, v56
	s_nop 0
	v_pk_min_f16 v1, v2, v1
	v_pk_add_f16 v2, v3, v7
	s_nop 0
	v_pk_min_f16 v1, v1, v2
	s_nop 0
	v_lshrrev_b32_e32 v2, 16, v1
	v_min3_f16 v2, v0, v1, v2
	v_lshl_add_u64 v[0:1], v[46:47], 1, v[4:5]
	global_store_short v[0:1], v2, off
	s_endpgm
	.section	.rodata,"a",@progbits
	.p2align	6, 0x0
	.amdhsa_kernel _ZN12_GLOBAL__N_120geam_min_plus_kernelIDF16_Dv2_DF16_S1_Li8ELi32ELi64ELi256ELi4ELi64ELi4ELi64ELi4ELc78ELc84ELb1ELb1ELb1EDF16_KPKDF16_KPDF16_EEviiiT16_PT17_ilS9_ilS7_S9_ilPT18_ili26rocblas_geam_ex_operation_
		.amdhsa_group_segment_fixed_size 5120
		.amdhsa_private_segment_fixed_size 0
		.amdhsa_kernarg_size 128
		.amdhsa_user_sgpr_count 2
		.amdhsa_user_sgpr_dispatch_ptr 0
		.amdhsa_user_sgpr_queue_ptr 0
		.amdhsa_user_sgpr_kernarg_segment_ptr 1
		.amdhsa_user_sgpr_dispatch_id 0
		.amdhsa_user_sgpr_kernarg_preload_length 0
		.amdhsa_user_sgpr_kernarg_preload_offset 0
		.amdhsa_user_sgpr_private_segment_size 0
		.amdhsa_uses_dynamic_stack 0
		.amdhsa_enable_private_segment 0
		.amdhsa_system_sgpr_workgroup_id_x 1
		.amdhsa_system_sgpr_workgroup_id_y 0
		.amdhsa_system_sgpr_workgroup_id_z 1
		.amdhsa_system_sgpr_workgroup_info 0
		.amdhsa_system_vgpr_workitem_id 1
		.amdhsa_next_free_vgpr 172
		.amdhsa_next_free_sgpr 38
		.amdhsa_accum_offset 172
		.amdhsa_reserve_vcc 1
		.amdhsa_float_round_mode_32 0
		.amdhsa_float_round_mode_16_64 0
		.amdhsa_float_denorm_mode_32 3
		.amdhsa_float_denorm_mode_16_64 3
		.amdhsa_dx10_clamp 1
		.amdhsa_ieee_mode 1
		.amdhsa_fp16_overflow 0
		.amdhsa_tg_split 0
		.amdhsa_exception_fp_ieee_invalid_op 0
		.amdhsa_exception_fp_denorm_src 0
		.amdhsa_exception_fp_ieee_div_zero 0
		.amdhsa_exception_fp_ieee_overflow 0
		.amdhsa_exception_fp_ieee_underflow 0
		.amdhsa_exception_fp_ieee_inexact 0
		.amdhsa_exception_int_div_zero 0
	.end_amdhsa_kernel
	.section	.text._ZN12_GLOBAL__N_120geam_min_plus_kernelIDF16_Dv2_DF16_S1_Li8ELi32ELi64ELi256ELi4ELi64ELi4ELi64ELi4ELc78ELc84ELb1ELb1ELb1EDF16_KPKDF16_KPDF16_EEviiiT16_PT17_ilS9_ilS7_S9_ilPT18_ili26rocblas_geam_ex_operation_,"axG",@progbits,_ZN12_GLOBAL__N_120geam_min_plus_kernelIDF16_Dv2_DF16_S1_Li8ELi32ELi64ELi256ELi4ELi64ELi4ELi64ELi4ELc78ELc84ELb1ELb1ELb1EDF16_KPKDF16_KPDF16_EEviiiT16_PT17_ilS9_ilS7_S9_ilPT18_ili26rocblas_geam_ex_operation_,comdat
.Lfunc_end223:
	.size	_ZN12_GLOBAL__N_120geam_min_plus_kernelIDF16_Dv2_DF16_S1_Li8ELi32ELi64ELi256ELi4ELi64ELi4ELi64ELi4ELc78ELc84ELb1ELb1ELb1EDF16_KPKDF16_KPDF16_EEviiiT16_PT17_ilS9_ilS7_S9_ilPT18_ili26rocblas_geam_ex_operation_, .Lfunc_end223-_ZN12_GLOBAL__N_120geam_min_plus_kernelIDF16_Dv2_DF16_S1_Li8ELi32ELi64ELi256ELi4ELi64ELi4ELi64ELi4ELc78ELc84ELb1ELb1ELb1EDF16_KPKDF16_KPDF16_EEviiiT16_PT17_ilS9_ilS7_S9_ilPT18_ili26rocblas_geam_ex_operation_
                                        ; -- End function
	.section	.AMDGPU.csdata,"",@progbits
; Kernel info:
; codeLenInByte = 19560
; NumSgprs: 44
; NumVgprs: 172
; NumAgprs: 0
; TotalNumVgprs: 172
; ScratchSize: 0
; MemoryBound: 0
; FloatMode: 240
; IeeeMode: 1
; LDSByteSize: 5120 bytes/workgroup (compile time only)
; SGPRBlocks: 5
; VGPRBlocks: 21
; NumSGPRsForWavesPerEU: 44
; NumVGPRsForWavesPerEU: 172
; AccumOffset: 172
; Occupancy: 2
; WaveLimiterHint : 1
; COMPUTE_PGM_RSRC2:SCRATCH_EN: 0
; COMPUTE_PGM_RSRC2:USER_SGPR: 2
; COMPUTE_PGM_RSRC2:TRAP_HANDLER: 0
; COMPUTE_PGM_RSRC2:TGID_X_EN: 1
; COMPUTE_PGM_RSRC2:TGID_Y_EN: 0
; COMPUTE_PGM_RSRC2:TGID_Z_EN: 1
; COMPUTE_PGM_RSRC2:TIDIG_COMP_CNT: 1
; COMPUTE_PGM_RSRC3_GFX90A:ACCUM_OFFSET: 42
; COMPUTE_PGM_RSRC3_GFX90A:TG_SPLIT: 0
	.section	.text._ZN12_GLOBAL__N_120geam_min_plus_kernelIDF16_Dv2_DF16_S1_Li8ELi32ELi64ELi256ELi4ELi64ELi4ELi64ELi4ELc78ELc84ELb0ELb1ELb1EDF16_KPKDF16_KPDF16_EEviiiT16_PT17_ilS9_ilS7_S9_ilPT18_ili26rocblas_geam_ex_operation_,"axG",@progbits,_ZN12_GLOBAL__N_120geam_min_plus_kernelIDF16_Dv2_DF16_S1_Li8ELi32ELi64ELi256ELi4ELi64ELi4ELi64ELi4ELc78ELc84ELb0ELb1ELb1EDF16_KPKDF16_KPDF16_EEviiiT16_PT17_ilS9_ilS7_S9_ilPT18_ili26rocblas_geam_ex_operation_,comdat
	.globl	_ZN12_GLOBAL__N_120geam_min_plus_kernelIDF16_Dv2_DF16_S1_Li8ELi32ELi64ELi256ELi4ELi64ELi4ELi64ELi4ELc78ELc84ELb0ELb1ELb1EDF16_KPKDF16_KPDF16_EEviiiT16_PT17_ilS9_ilS7_S9_ilPT18_ili26rocblas_geam_ex_operation_ ; -- Begin function _ZN12_GLOBAL__N_120geam_min_plus_kernelIDF16_Dv2_DF16_S1_Li8ELi32ELi64ELi256ELi4ELi64ELi4ELi64ELi4ELc78ELc84ELb0ELb1ELb1EDF16_KPKDF16_KPDF16_EEviiiT16_PT17_ilS9_ilS7_S9_ilPT18_ili26rocblas_geam_ex_operation_
	.p2align	8
	.type	_ZN12_GLOBAL__N_120geam_min_plus_kernelIDF16_Dv2_DF16_S1_Li8ELi32ELi64ELi256ELi4ELi64ELi4ELi64ELi4ELc78ELc84ELb0ELb1ELb1EDF16_KPKDF16_KPDF16_EEviiiT16_PT17_ilS9_ilS7_S9_ilPT18_ili26rocblas_geam_ex_operation_,@function
_ZN12_GLOBAL__N_120geam_min_plus_kernelIDF16_Dv2_DF16_S1_Li8ELi32ELi64ELi256ELi4ELi64ELi4ELi64ELi4ELc78ELc84ELb0ELb1ELb1EDF16_KPKDF16_KPDF16_EEviiiT16_PT17_ilS9_ilS7_S9_ilPT18_ili26rocblas_geam_ex_operation_: ; @_ZN12_GLOBAL__N_120geam_min_plus_kernelIDF16_Dv2_DF16_S1_Li8ELi32ELi64ELi256ELi4ELi64ELi4ELi64ELi4ELc78ELc84ELb0ELb1ELb1EDF16_KPKDF16_KPDF16_EEviiiT16_PT17_ilS9_ilS7_S9_ilPT18_ili26rocblas_geam_ex_operation_
; %bb.0:
	s_load_dwordx4 s[20:23], s[0:1], 0x0
	s_load_dwordx4 s[4:7], s[0:1], 0x20
	s_mov_b32 s8, s3
	s_mov_b32 s9, 0
	s_mov_b64 s[28:29], 0
	s_waitcnt lgkmcnt(0)
	v_cmp_eq_f16_e64 s[18:19], s23, 0
	v_cmp_neq_f16_e64 s[10:11], s23, 0
	s_and_b64 vcc, exec, s[18:19]
	s_cbranch_vccnz .LBB224_2
; %bb.1:
	s_load_dwordx2 s[12:13], s[0:1], 0x10
	s_lshl_b64 s[14:15], s[8:9], 3
	s_waitcnt lgkmcnt(0)
	s_add_u32 s12, s12, s14
	s_addc_u32 s13, s13, s15
	s_load_dwordx2 s[12:13], s[12:13], 0x0
	s_lshl_b64 s[4:5], s[4:5], 1
	s_waitcnt lgkmcnt(0)
	s_add_u32 s28, s12, s4
	s_addc_u32 s29, s13, s5
.LBB224_2:
	s_and_b64 vcc, exec, s[10:11]
	s_cbranch_vccz .LBB224_4
; %bb.3:
	s_lshl_b64 s[10:11], s[8:9], 3
	s_add_u32 s6, s6, s10
	s_load_dwordx2 s[4:5], s[0:1], 0x38
	s_addc_u32 s7, s7, s11
	s_load_dwordx2 s[6:7], s[6:7], 0x0
	s_waitcnt lgkmcnt(0)
	s_lshl_b64 s[4:5], s[4:5], 1
	s_add_u32 s26, s6, s4
	s_addc_u32 s27, s7, s5
	s_cbranch_execz .LBB224_5
	s_branch .LBB224_6
.LBB224_4:
                                        ; implicit-def: $sgpr26_sgpr27
.LBB224_5:
	s_mov_b64 s[26:27], 0
.LBB224_6:
	s_load_dword s33, s[0:1], 0x40
	s_load_dwordx4 s[4:7], s[0:1], 0x58
	s_waitcnt lgkmcnt(0)
	v_cmp_eq_f16_e64 s[10:11], s33, 0
	v_cmp_neq_f16_e64 s[14:15], s33, 0
	s_and_b64 vcc, exec, s[10:11]
	s_cbranch_vccnz .LBB224_8
; %bb.7:
	s_load_dwordx2 s[10:11], s[0:1], 0x48
	s_lshl_b64 s[12:13], s[8:9], 3
	s_waitcnt lgkmcnt(0)
	s_add_u32 s10, s10, s12
	s_addc_u32 s11, s11, s13
	s_load_dwordx2 s[10:11], s[10:11], 0x0
	s_lshl_b64 s[4:5], s[4:5], 1
	s_waitcnt lgkmcnt(0)
	s_add_u32 s24, s10, s4
	s_addc_u32 s25, s11, s5
	s_branch .LBB224_9
.LBB224_8:
	s_mov_b64 s[24:25], 0
.LBB224_9:
	s_load_dword s30, s[0:1], 0x18
	s_lshl_b64 s[4:5], s[8:9], 3
	v_and_b32_e32 v48, 0x3ff, v0
	v_bfe_u32 v49, v0, 10, 10
                                        ; implicit-def: $vgpr3
	s_waitcnt lgkmcnt(0)
	s_ashr_i32 s31, s30, 31
	s_add_u32 s4, s6, s4
	s_addc_u32 s5, s7, s5
	s_add_i32 s3, s20, -1
	s_ashr_i32 s6, s3, 31
	s_lshr_b32 s6, s6, 26
	s_add_i32 s6, s3, s6
	s_ashr_i32 s6, s6, 6
	s_add_i32 s7, s6, 1
	v_cvt_f32_u32_e32 v1, s7
	s_load_dwordx2 s[16:17], s[4:5], 0x0
	s_not_b32 s4, s6
	v_rcp_iflag_f32_e32 v0, v1
	v_lshl_add_u32 v1, v49, 3, v48
	v_and_b32_e32 v2, 63, v1
	v_lshrrev_b32_e32 v50, 6, v1
	v_mul_f32_e32 v0, 0x4f7ffffe, v0
	v_cvt_u32_f32_e32 v0, v0
	v_cmp_le_i32_e64 s[10:11], s22, v50
	v_readfirstlane_b32 s5, v0
	s_mul_i32 s4, s4, s5
	s_mul_hi_u32 s4, s5, s4
	s_add_i32 s5, s5, s4
	s_mul_hi_u32 s4, s2, s5
	s_mul_i32 s5, s4, s7
	s_sub_i32 s5, s2, s5
	s_add_i32 s6, s4, 1
	s_sub_i32 s8, s5, s7
	s_cmp_ge_u32 s5, s7
	s_cselect_b32 s4, s6, s4
	s_cselect_b32 s5, s8, s5
	s_add_i32 s6, s4, 1
	s_cmp_ge_u32 s5, s7
	s_cselect_b32 s6, s6, s4
	s_mul_i32 s4, s6, s7
	s_sub_i32 s2, s2, s4
	s_lshl_b32 s36, s2, 6
	v_or_b32_e32 v0, s36, v2
	v_cmp_le_i32_e32 vcc, s20, v0
	v_min_i32_e32 v40, s3, v0
	s_or_b64 s[2:3], vcc, s[10:11]
	s_add_i32 s38, s22, -1
	v_min_i32_e32 v0, s38, v50
	s_or_b64 s[4:5], s[18:19], s[2:3]
	s_xor_b64 s[4:5], s[4:5], -1
	v_ashrrev_i32_e32 v1, 31, v0
	v_ashrrev_i32_e32 v41, 31, v40
	s_and_saveexec_b64 s[8:9], s[4:5]
	s_xor_b64 s[4:5], exec, s[8:9]
	s_cbranch_execz .LBB224_11
; %bb.10:
	v_mad_i64_i32 v[4:5], s[8:9], s30, v0, 0
	v_lshl_add_u64 v[4:5], v[4:5], 1, s[28:29]
	v_lshl_add_u64 v[4:5], v[40:41], 1, v[4:5]
	flat_load_ushort v3, v[4:5]
	s_waitcnt vmcnt(0) lgkmcnt(0)
	v_mul_f16_e32 v3, s23, v3
.LBB224_11:
	s_andn2_saveexec_b64 s[4:5], s[4:5]
; %bb.12:
	v_mov_b32_e32 v3, 0x7c00
	v_cndmask_b32_e64 v3, 0, v3, s[2:3]
; %bb.13:
	s_or_b64 exec, exec, s[4:5]
	s_load_dword s39, s[0:1], 0x30
	s_lshl_b32 s37, s6, 8
	v_or_b32_e32 v32, s37, v2
	v_ashrrev_i32_e32 v33, 31, v32
	s_waitcnt lgkmcnt(0)
	s_ashr_i32 s40, s39, 31
	v_mul_lo_u32 v4, v1, s39
	v_mul_lo_u32 v5, v0, s40
	v_mad_u64_u32 v[0:1], s[2:3], v0, s39, 0
	v_cmp_le_i32_e64 s[2:3], s21, v32
	v_add3_u32 v1, v1, v5, v4
	v_mov_b32_e32 v5, 0x7c00
	s_or_b64 s[4:5], s[2:3], s[10:11]
	v_cndmask_b32_e64 v4, 0, v5, s[4:5]
	s_or_b64 s[4:5], s[18:19], s[4:5]
	v_lshl_add_u64 v[0:1], v[0:1], 1, s[26:27]
	s_xor_b64 s[6:7], s[4:5], -1
	s_and_saveexec_b64 s[4:5], s[6:7]
	s_cbranch_execz .LBB224_15
; %bb.14:
	v_lshl_add_u64 v[6:7], v[32:33], 1, v[0:1]
	flat_load_ushort v4, v[6:7]
	s_waitcnt vmcnt(0) lgkmcnt(0)
	v_mul_f16_e32 v4, s23, v4
.LBB224_15:
	s_or_b64 exec, exec, s[4:5]
	v_or_b32_e32 v6, 64, v32
	v_cmp_le_i32_e64 s[4:5], s21, v6
	s_add_i32 s12, s21, -1
	s_or_b64 s[6:7], s[4:5], s[10:11]
	v_min_i32_e32 v34, s12, v6
	v_cndmask_b32_e64 v5, 0, v5, s[6:7]
	s_or_b64 s[6:7], s[18:19], s[6:7]
	s_xor_b64 s[8:9], s[6:7], -1
	v_ashrrev_i32_e32 v35, 31, v34
	s_and_saveexec_b64 s[6:7], s[8:9]
	s_cbranch_execz .LBB224_17
; %bb.16:
	v_lshl_add_u64 v[6:7], v[34:35], 1, v[0:1]
	flat_load_ushort v5, v[6:7]
	s_waitcnt vmcnt(0) lgkmcnt(0)
	v_mul_f16_e32 v5, s23, v5
.LBB224_17:
	s_or_b64 exec, exec, s[6:7]
	v_or_b32_e32 v6, 0x80, v32
	v_cmp_le_i32_e64 s[6:7], s21, v6
	v_mov_b32_e32 v7, 0x7c00
	s_or_b64 s[8:9], s[6:7], s[10:11]
	v_min_i32_e32 v36, s12, v6
	v_cndmask_b32_e64 v6, 0, v7, s[8:9]
	s_or_b64 s[8:9], s[18:19], s[8:9]
	s_xor_b64 s[34:35], s[8:9], -1
	v_ashrrev_i32_e32 v37, 31, v36
	s_and_saveexec_b64 s[8:9], s[34:35]
	s_cbranch_execz .LBB224_19
; %bb.18:
	v_lshl_add_u64 v[8:9], v[36:37], 1, v[0:1]
	flat_load_ushort v6, v[8:9]
	s_waitcnt vmcnt(0) lgkmcnt(0)
	v_mul_f16_e32 v6, s23, v6
.LBB224_19:
	s_or_b64 exec, exec, s[8:9]
	v_or_b32_e32 v8, 0xc0, v32
	v_cmp_le_i32_e64 s[8:9], s21, v8
	s_or_b64 s[10:11], s[8:9], s[10:11]
	v_min_i32_e32 v38, s12, v8
	v_cndmask_b32_e64 v7, 0, v7, s[10:11]
	s_or_b64 s[10:11], s[18:19], s[10:11]
	s_xor_b64 s[12:13], s[10:11], -1
	v_ashrrev_i32_e32 v39, 31, v38
	s_and_saveexec_b64 s[10:11], s[12:13]
	s_cbranch_execz .LBB224_21
; %bb.20:
	v_lshl_add_u64 v[0:1], v[38:39], 1, v[0:1]
	flat_load_ushort v0, v[0:1]
	s_waitcnt vmcnt(0) lgkmcnt(0)
	v_mul_f16_e32 v7, s23, v0
.LBB224_21:
	s_or_b64 exec, exec, s[10:11]
	v_add_u32_e32 v0, 4, v50
	v_cmp_le_i32_e64 s[10:11], s22, v0
	s_or_b64 s[12:13], vcc, s[10:11]
	v_min_i32_e32 v0, s38, v0
	s_or_b64 s[34:35], s[18:19], s[12:13]
	s_xor_b64 s[34:35], s[34:35], -1
	v_ashrrev_i32_e32 v1, 31, v0
                                        ; implicit-def: $vgpr42
	s_and_saveexec_b64 s[42:43], s[34:35]
	s_xor_b64 s[34:35], exec, s[42:43]
	s_cbranch_execz .LBB224_23
; %bb.22:
	v_mad_i64_i32 v[8:9], s[42:43], s30, v0, 0
	v_lshl_add_u64 v[8:9], v[8:9], 1, s[28:29]
	v_lshl_add_u64 v[8:9], v[40:41], 1, v[8:9]
	flat_load_ushort v8, v[8:9]
	s_waitcnt vmcnt(0) lgkmcnt(0)
	v_mul_f16_e32 v42, s23, v8
.LBB224_23:
	s_andn2_saveexec_b64 s[34:35], s[34:35]
; %bb.24:
	v_mov_b32_e32 v8, 0x7c00
	v_cndmask_b32_e64 v42, 0, v8, s[12:13]
; %bb.25:
	s_or_b64 exec, exec, s[34:35]
	v_mul_lo_u32 v8, v1, s39
	v_mul_lo_u32 v9, v0, s40
	v_mad_u64_u32 v[0:1], s[12:13], v0, s39, 0
	v_add3_u32 v1, v1, v9, v8
	v_mov_b32_e32 v8, 0x7c00
	s_or_b64 s[12:13], s[2:3], s[10:11]
	v_cndmask_b32_e64 v43, 0, v8, s[12:13]
	s_or_b64 s[12:13], s[18:19], s[12:13]
	v_lshl_add_u64 v[0:1], v[0:1], 1, s[26:27]
	s_xor_b64 s[34:35], s[12:13], -1
	s_and_saveexec_b64 s[12:13], s[34:35]
	s_cbranch_execz .LBB224_27
; %bb.26:
	v_lshl_add_u64 v[10:11], v[32:33], 1, v[0:1]
	flat_load_ushort v9, v[10:11]
	s_waitcnt vmcnt(0) lgkmcnt(0)
	v_mul_f16_e32 v43, s23, v9
.LBB224_27:
	s_or_b64 exec, exec, s[12:13]
	s_or_b64 s[12:13], s[4:5], s[10:11]
	v_cndmask_b32_e64 v44, 0, v8, s[12:13]
	s_or_b64 s[12:13], s[18:19], s[12:13]
	s_xor_b64 s[34:35], s[12:13], -1
	s_and_saveexec_b64 s[12:13], s[34:35]
	s_cbranch_execz .LBB224_29
; %bb.28:
	v_lshl_add_u64 v[8:9], v[34:35], 1, v[0:1]
	flat_load_ushort v8, v[8:9]
	s_waitcnt vmcnt(0) lgkmcnt(0)
	v_mul_f16_e32 v44, s23, v8
.LBB224_29:
	s_or_b64 exec, exec, s[12:13]
	v_mov_b32_e32 v8, 0x7c00
	s_or_b64 s[12:13], s[6:7], s[10:11]
	v_cndmask_b32_e64 v45, 0, v8, s[12:13]
	s_or_b64 s[12:13], s[18:19], s[12:13]
	s_xor_b64 s[34:35], s[12:13], -1
	s_and_saveexec_b64 s[12:13], s[34:35]
	s_cbranch_execz .LBB224_31
; %bb.30:
	v_lshl_add_u64 v[10:11], v[36:37], 1, v[0:1]
	flat_load_ushort v9, v[10:11]
	s_waitcnt vmcnt(0) lgkmcnt(0)
	v_mul_f16_e32 v45, s23, v9
.LBB224_31:
	s_or_b64 exec, exec, s[12:13]
	s_or_b64 s[10:11], s[8:9], s[10:11]
	v_cndmask_b32_e64 v46, 0, v8, s[10:11]
	s_or_b64 s[10:11], s[18:19], s[10:11]
	s_xor_b64 s[34:35], s[10:11], -1
	s_movk_i32 s12, 0x7c00
	s_and_saveexec_b64 s[10:11], s[34:35]
	s_cbranch_execz .LBB224_33
; %bb.32:
	v_lshl_add_u64 v[0:1], v[38:39], 1, v[0:1]
	flat_load_ushort v0, v[0:1]
	s_waitcnt vmcnt(0) lgkmcnt(0)
	v_mul_f16_e32 v46, s23, v0
.LBB224_33:
	s_or_b64 exec, exec, s[10:11]
	v_lshlrev_b32_e32 v0, 1, v50
	v_lshlrev_b32_e32 v51, 3, v48
	v_lshl_add_u32 v101, v2, 3, v0
	v_add_u32_e32 v102, 0x1000, v51
	v_lshlrev_b32_e32 v93, 3, v49
	ds_write_b16 v101, v3 offset:4096
	ds_write_b16 v101, v4
	ds_write_b16 v101, v5 offset:512
	ds_write_b16 v101, v6 offset:1024
	;; [unrolled: 1-line block ×3, first 2 shown]
	s_waitcnt lgkmcnt(0)
	s_barrier
	ds_read2_b64 v[16:19], v102 offset1:8
	ds_read2_b64 v[12:15], v102 offset0:16 offset1:24
	ds_read2_b64 v[0:3], v102 offset0:32 offset1:40
	ds_read2_b64 v[28:31], v93 offset1:32
	ds_read2_b64 v[4:7], v102 offset0:48 offset1:56
	ds_read2_b64 v[24:27], v93 offset0:64 offset1:96
	;; [unrolled: 1-line block ×4, first 2 shown]
	s_cmp_lt_i32 s22, 9
	s_waitcnt lgkmcnt(4)
	v_pk_add_f16 v47, v16, v28
	v_pk_add_f16 v52, v18, v28
	s_waitcnt lgkmcnt(1)
	v_pk_add_f16 v82, v14, v20
	v_pk_min_f16 v47, v47, s12 op_sel_hi:[1,0]
	v_pk_min_f16 v119, v82, s12 op_sel_hi:[1,0]
	v_pk_add_f16 v82, v0, v20
	v_pk_add_f16 v53, v12, v28
	v_pk_min_f16 v120, v82, s12 op_sel_hi:[1,0]
	v_pk_add_f16 v82, v2, v20
	v_pk_add_f16 v54, v14, v28
	;; [unrolled: 3-line block ×10, first 2 shown]
	v_pk_min_f16 v129, v82, s12 op_sel_hi:[1,0]
	s_waitcnt lgkmcnt(0)
	v_pk_add_f16 v82, v16, v8
	v_pk_add_f16 v62, v0, v30
	v_pk_min_f16 v130, v82, s12 op_sel_hi:[1,0]
	v_pk_add_f16 v82, v18, v8
	v_pk_add_f16 v63, v2, v30
	v_pk_min_f16 v131, v82, s12 op_sel_hi:[1,0]
	;; [unrolled: 3-line block ×5, first 2 shown]
	v_pk_add_f16 v82, v2, v8
	v_pk_add_f16 v66, v18, v24
	;; [unrolled: 1-line block ×21, first 2 shown]
	v_pk_min_f16 v135, v82, s12 op_sel_hi:[1,0]
	v_pk_add_f16 v82, v4, v8
	v_pk_add_f16 v8, v6, v8
	;; [unrolled: 1-line block ×11, first 2 shown]
	v_pk_min_f16 v52, v52, s12 op_sel_hi:[1,0]
	v_pk_min_f16 v118, v47, v10
	v_pk_add_f16 v10, v19, v29
	v_pk_min_f16 v53, v53, s12 op_sel_hi:[1,0]
	v_pk_min_f16 v117, v52, v10
	v_pk_add_f16 v10, v13, v29
	;; [unrolled: 3-line block ×33, first 2 shown]
	v_pk_min_f16 v81, v81, s12 op_sel_hi:[1,0]
	v_pk_min_f16 v136, v82, s12 op_sel_hi:[1,0]
	v_pk_min_f16 v82, v80, v10
	v_pk_add_f16 v10, v13, v21
	v_pk_min_f16 v20, v20, s12 op_sel_hi:[1,0]
	v_pk_min_f16 v81, v81, v10
	v_pk_add_f16 v10, v15, v21
	;; [unrolled: 3-line block ×12, first 2 shown]
	ds_write_b16 v101, v42 offset:4608
	ds_write_b16 v101, v43 offset:2048
	;; [unrolled: 1-line block ×5, first 2 shown]
	v_pk_min_f16 v70, v128, v10
	v_pk_add_f16 v10, v5, v23
	s_waitcnt lgkmcnt(0)
	v_pk_min_f16 v69, v129, v10
	v_pk_add_f16 v10, v7, v23
	s_barrier
	v_pk_min_f16 v68, v22, v10
	v_pk_add_f16 v10, v17, v9
	s_nop 0
	v_pk_min_f16 v67, v130, v10
	v_pk_add_f16 v10, v19, v9
	s_nop 0
	;; [unrolled: 3-line block ×4, first 2 shown]
	v_pk_min_f16 v64, v133, v10
	v_pk_add_f16 v10, v1, v9
	v_pk_add_f16 v1, v1, v11
	v_pk_min_f16 v63, v134, v10
	v_pk_add_f16 v10, v3, v9
	v_pk_min_f16 v54, v0, v1
	v_pk_min_f16 v62, v135, v10
	v_pk_add_f16 v10, v5, v9
	v_pk_add_f16 v9, v7, v9
	;; [unrolled: 1-line block ×3, first 2 shown]
	v_pk_min_f16 v60, v8, v9
	v_pk_add_f16 v8, v17, v11
	v_pk_min_f16 v53, v2, v0
	v_pk_min_f16 v59, v16, v8
	v_pk_add_f16 v8, v19, v11
	v_pk_add_f16 v0, v5, v11
	v_pk_min_f16 v58, v18, v8
	v_pk_add_f16 v8, v13, v11
	v_pk_min_f16 v52, v4, v0
	v_pk_min_f16 v57, v12, v8
	v_pk_add_f16 v8, v15, v11
	v_pk_add_f16 v0, v7, v11
	v_pk_min_f16 v61, v136, v10
	v_pk_min_f16 v55, v14, v8
	;; [unrolled: 1-line block ×3, first 2 shown]
	s_cbranch_scc1 .LBB224_56
; %bb.34:
	v_mov_b32_e32 v0, 0x1200
	v_lshl_add_u32 v122, v48, 3, v0
	v_add_u32_e32 v0, v93, v48
	v_lshrrev_b32_e32 v2, 6, v0
	v_add_u32_e32 v0, 12, v2
	v_mad_i64_i32 v[0:1], s[10:11], v0, s30, 0
	v_lshlrev_b64 v[42:43], 1, v[0:1]
	v_add_u32_e32 v0, 8, v2
	v_mad_i64_i32 v[0:1], s[10:11], v0, s30, 0
	v_or_b32_e32 v119, 0x1000, v101
	v_add_u32_e32 v120, 0x1200, v101
	v_or_b32_e32 v121, 0x800, v101
	s_add_i32 s34, s22, -8
	v_lshl_add_u64 v[40:41], v[40:41], 1, s[28:29]
	v_add_u32_e32 v123, 0x800, v93
	s_lshl_b64 s[28:29], s[30:31], 4
	v_lshlrev_b64 v[44:45], 1, v[0:1]
	s_mov_b32 s30, 0
	v_mov_b32_e32 v124, 0x7c00
	s_branch .LBB224_36
.LBB224_35:                             ;   in Loop: Header=BB224_36 Depth=1
	s_or_b64 exec, exec, s[10:11]
	ds_read2_b64 v[8:11], v102 offset1:8
	ds_read2_b64 v[4:7], v102 offset0:16 offset1:24
	ds_read2_b64 v[0:3], v102 offset0:32 offset1:40
	ds_read2_b64 v[130:133], v93 offset1:32
	ds_read2_b64 v[12:15], v102 offset0:48 offset1:56
	ds_read2_b64 v[24:27], v93 offset0:64 offset1:96
	;; [unrolled: 1-line block ×4, first 2 shown]
	s_waitcnt lgkmcnt(4)
	v_pk_add_f16 v46, v8, v130
	v_pk_max_f16 v47, v115, v115
	v_pk_max_f16 v114, v114, v114
	v_pk_min_f16 v46, v47, v46
	v_pk_add_f16 v47, v10, v130
	v_pk_max_f16 v113, v113, v113
	v_pk_min_f16 v47, v114, v47
	v_pk_add_f16 v114, v4, v130
	;; [unrolled: 3-line block ×5, first 2 shown]
	v_pk_max_f16 v109, v109, v109
	v_pk_min_f16 v110, v110, v114
	s_waitcnt lgkmcnt(3)
	v_pk_add_f16 v114, v12, v130
	v_pk_max_f16 v108, v108, v108
	v_pk_min_f16 v109, v109, v114
	v_pk_add_f16 v114, v14, v130
	v_pk_max_f16 v107, v107, v107
	v_pk_min_f16 v108, v108, v114
	;; [unrolled: 3-line block ×10, first 2 shown]
	s_waitcnt lgkmcnt(2)
	v_pk_add_f16 v114, v8, v24
	v_pk_max_f16 v96, v96, v96
	v_pk_min_f16 v97, v97, v114
	v_pk_add_f16 v114, v10, v24
	v_pk_max_f16 v95, v95, v95
	v_pk_min_f16 v96, v96, v114
	;; [unrolled: 3-line block ×6, first 2 shown]
	v_pk_add_f16 v114, v12, v24
	v_pk_add_f16 v24, v14, v24
	v_pk_max_f16 v88, v88, v88
	v_pk_min_f16 v24, v89, v24
	v_pk_add_f16 v89, v8, v26
	v_pk_max_f16 v87, v87, v87
	v_pk_min_f16 v88, v88, v89
	;; [unrolled: 3-line block ×7, first 2 shown]
	v_pk_add_f16 v89, v12, v26
	v_pk_add_f16 v26, v14, v26
	v_pk_max_f16 v80, v80, v80
	v_pk_min_f16 v26, v81, v26
	s_waitcnt lgkmcnt(1)
	v_pk_add_f16 v81, v8, v20
	v_pk_max_f16 v79, v79, v79
	v_pk_min_f16 v80, v80, v81
	v_pk_add_f16 v81, v10, v20
	v_pk_max_f16 v78, v78, v78
	v_pk_min_f16 v79, v79, v81
	;; [unrolled: 3-line block ×6, first 2 shown]
	v_pk_add_f16 v81, v12, v20
	v_pk_add_f16 v20, v14, v20
	v_pk_max_f16 v72, v72, v72
	v_pk_min_f16 v20, v73, v20
	v_pk_add_f16 v73, v8, v22
	v_pk_max_f16 v71, v71, v71
	v_pk_min_f16 v72, v72, v73
	;; [unrolled: 3-line block ×7, first 2 shown]
	v_pk_add_f16 v73, v12, v22
	v_pk_add_f16 v22, v14, v22
	v_pk_max_f16 v64, v64, v64
	v_pk_min_f16 v22, v65, v22
	s_waitcnt lgkmcnt(0)
	v_pk_add_f16 v65, v8, v16
	v_pk_max_f16 v63, v63, v63
	v_pk_min_f16 v64, v64, v65
	v_pk_add_f16 v65, v10, v16
	v_pk_max_f16 v62, v62, v62
	v_pk_min_f16 v63, v63, v65
	v_pk_add_f16 v65, v4, v16
	v_pk_max_f16 v61, v61, v61
	v_pk_min_f16 v62, v62, v65
	v_pk_add_f16 v65, v6, v16
	v_pk_max_f16 v60, v60, v60
	v_pk_min_f16 v61, v61, v65
	v_pk_add_f16 v65, v0, v16
	v_pk_max_f16 v59, v59, v59
	v_pk_min_f16 v60, v60, v65
	v_pk_add_f16 v65, v2, v16
	v_pk_add_f16 v8, v8, v18
	v_pk_min_f16 v59, v59, v65
	v_pk_add_f16 v65, v12, v16
	v_pk_add_f16 v16, v14, v16
	;; [unrolled: 1-line block ×9, first 2 shown]
	v_pk_max_f16 v18, v29, v29
	v_pk_max_f16 v90, v90, v90
	v_pk_min_f16 v14, v18, v14
	v_pk_add_f16 v18, v9, v131
	v_pk_min_f16 v90, v90, v114
	v_pk_min_f16 v118, v46, v18
	v_pk_add_f16 v18, v11, v131
	v_pk_max_f16 v82, v82, v82
	v_pk_min_f16 v117, v47, v18
	v_pk_add_f16 v18, v5, v131
	v_pk_min_f16 v82, v82, v89
	v_pk_min_f16 v116, v113, v18
	v_pk_add_f16 v18, v7, v131
	;; [unrolled: 6-line block ×5, first 2 shown]
	v_pk_max_f16 v52, v52, v52
	v_pk_min_f16 v109, v106, v18
	v_pk_add_f16 v18, v5, v133
	v_pk_max_f16 v54, v54, v54
	v_pk_min_f16 v108, v105, v18
	v_pk_add_f16 v18, v7, v133
	v_pk_min_f16 v0, v52, v0
	v_pk_min_f16 v107, v104, v18
	v_pk_add_f16 v18, v1, v133
	v_pk_max_f16 v31, v31, v31
	v_pk_min_f16 v106, v103, v18
	v_pk_add_f16 v18, v3, v133
	v_pk_max_f16 v56, v56, v56
	v_pk_min_f16 v105, v100, v18
	v_pk_add_f16 v18, v13, v133
	v_pk_min_f16 v4, v54, v4
	v_pk_min_f16 v104, v99, v18
	v_pk_add_f16 v18, v15, v133
	v_pk_max_f16 v53, v53, v53
	v_pk_min_f16 v103, v98, v18
	v_pk_add_f16 v18, v9, v25
	v_pk_min_f16 v2, v31, v2
	v_pk_min_f16 v100, v97, v18
	v_pk_add_f16 v18, v11, v25
	v_pk_max_f16 v30, v30, v30
	v_pk_min_f16 v99, v96, v18
	v_pk_add_f16 v18, v5, v25
	v_pk_max_f16 v57, v57, v57
	v_pk_min_f16 v98, v95, v18
	v_pk_add_f16 v18, v7, v25
	v_pk_min_f16 v8, v56, v8
	v_pk_min_f16 v97, v94, v18
	v_pk_add_f16 v18, v1, v25
	v_pk_max_f16 v55, v55, v55
	v_pk_min_f16 v96, v92, v18
	v_pk_add_f16 v18, v3, v25
	v_pk_min_f16 v6, v53, v6
	v_pk_min_f16 v95, v91, v18
	v_pk_add_f16 v18, v13, v25
	v_pk_min_f16 v12, v30, v12
	v_pk_min_f16 v94, v90, v18
	v_pk_add_f16 v18, v15, v25
	v_pk_min_f16 v16, v57, v16
	v_pk_min_f16 v92, v24, v18
	v_pk_add_f16 v18, v9, v27
	v_pk_min_f16 v10, v55, v10
	v_pk_min_f16 v91, v88, v18
	v_pk_add_f16 v18, v11, v27
	s_add_i32 s30, s30, 8
	v_pk_min_f16 v90, v87, v18
	v_pk_add_f16 v18, v5, v27
	s_cmp_ge_i32 s30, s34
	v_pk_min_f16 v89, v86, v18
	v_pk_add_f16 v18, v7, v27
	v_lshl_add_u64 v[40:41], v[40:41], 0, s[28:29]
	v_pk_min_f16 v88, v85, v18
	v_pk_add_f16 v18, v1, v27
	ds_write_b16 v120, v125
	ds_write_b16 v121, v126
	ds_write_b16 v121, v127 offset:512
	ds_write_b16 v121, v128 offset:1024
	;; [unrolled: 1-line block ×3, first 2 shown]
	v_pk_min_f16 v87, v84, v18
	v_pk_add_f16 v18, v3, v27
	s_waitcnt lgkmcnt(0)
	v_pk_min_f16 v86, v83, v18
	v_pk_add_f16 v18, v13, v27
	s_barrier
	v_pk_min_f16 v85, v82, v18
	v_pk_add_f16 v18, v15, v27
	s_nop 0
	v_pk_min_f16 v84, v26, v18
	v_pk_add_f16 v18, v9, v21
	s_nop 0
	;; [unrolled: 3-line block ×17, first 2 shown]
	v_pk_min_f16 v68, v22, v18
	v_pk_add_f16 v18, v9, v17
	v_pk_add_f16 v9, v9, v19
	v_pk_min_f16 v67, v64, v18
	v_pk_add_f16 v18, v11, v17
	s_nop 0
	v_pk_min_f16 v66, v63, v18
	v_pk_add_f16 v18, v5, v17
	v_pk_add_f16 v5, v5, v19
	v_pk_min_f16 v65, v62, v18
	v_pk_add_f16 v18, v7, v17
	v_pk_min_f16 v57, v4, v5
	v_pk_min_f16 v64, v61, v18
	v_pk_add_f16 v18, v1, v17
	v_pk_add_f16 v1, v1, v19
	v_pk_min_f16 v63, v60, v18
	v_pk_min_f16 v54, v0, v1
	v_pk_add_f16 v0, v3, v19
	v_pk_add_f16 v18, v3, v17
	v_pk_min_f16 v53, v2, v0
	v_pk_add_f16 v0, v13, v19
	v_pk_min_f16 v62, v59, v18
	v_pk_add_f16 v18, v13, v17
	v_pk_add_f16 v17, v15, v17
	v_pk_min_f16 v59, v8, v9
	v_pk_add_f16 v8, v11, v19
	v_pk_add_f16 v4, v7, v19
	v_pk_min_f16 v52, v12, v0
	v_pk_add_f16 v0, v15, v19
	v_pk_min_f16 v61, v58, v18
	v_pk_min_f16 v60, v16, v17
	;; [unrolled: 1-line block ×5, first 2 shown]
	s_cbranch_scc1 .LBB224_56
.LBB224_36:                             ; =>This Inner Loop Header: Depth=1
	v_add_u32_e32 v46, s30, v50
	v_add_u32_e32 v0, 8, v46
	v_cmp_le_i32_e64 s[10:11], s22, v0
	s_or_b64 s[12:13], vcc, s[10:11]
	v_cndmask_b32_e64 v47, 0, v124, s[12:13]
	s_or_b64 s[12:13], s[18:19], s[12:13]
	s_xor_b64 s[40:41], s[12:13], -1
	s_and_saveexec_b64 s[12:13], s[40:41]
	s_cbranch_execz .LBB224_38
; %bb.37:                               ;   in Loop: Header=BB224_36 Depth=1
	v_lshl_add_u64 v[2:3], v[40:41], 0, v[44:45]
	flat_load_ushort v1, v[2:3]
	s_waitcnt vmcnt(0) lgkmcnt(0)
	v_mul_f16_e32 v47, s23, v1
.LBB224_38:                             ;   in Loop: Header=BB224_36 Depth=1
	s_or_b64 exec, exec, s[12:13]
	v_min_i32_e32 v0, s38, v0
	v_mad_i64_i32 v[0:1], s[12:13], v0, s39, 0
	s_or_b64 s[12:13], s[2:3], s[10:11]
	s_nop 0
	v_cndmask_b32_e64 v125, 0, v124, s[12:13]
	s_or_b64 s[12:13], s[18:19], s[12:13]
	v_lshl_add_u64 v[0:1], v[0:1], 1, s[26:27]
	s_xor_b64 s[40:41], s[12:13], -1
	s_and_saveexec_b64 s[12:13], s[40:41]
	s_cbranch_execz .LBB224_40
; %bb.39:                               ;   in Loop: Header=BB224_36 Depth=1
	v_lshl_add_u64 v[2:3], v[32:33], 1, v[0:1]
	flat_load_ushort v2, v[2:3]
	s_waitcnt vmcnt(0) lgkmcnt(0)
	v_mul_f16_e32 v125, s23, v2
.LBB224_40:                             ;   in Loop: Header=BB224_36 Depth=1
	s_or_b64 exec, exec, s[12:13]
	s_or_b64 s[12:13], s[4:5], s[10:11]
	v_cndmask_b32_e64 v126, 0, v124, s[12:13]
	s_or_b64 s[12:13], s[18:19], s[12:13]
	s_xor_b64 s[40:41], s[12:13], -1
	s_and_saveexec_b64 s[12:13], s[40:41]
	s_cbranch_execz .LBB224_42
; %bb.41:                               ;   in Loop: Header=BB224_36 Depth=1
	v_lshl_add_u64 v[2:3], v[34:35], 1, v[0:1]
	flat_load_ushort v2, v[2:3]
	s_waitcnt vmcnt(0) lgkmcnt(0)
	v_mul_f16_e32 v126, s23, v2
.LBB224_42:                             ;   in Loop: Header=BB224_36 Depth=1
	s_or_b64 exec, exec, s[12:13]
	s_or_b64 s[12:13], s[6:7], s[10:11]
	v_cndmask_b32_e64 v127, 0, v124, s[12:13]
	s_or_b64 s[12:13], s[18:19], s[12:13]
	;; [unrolled: 13-line block ×3, first 2 shown]
	s_xor_b64 s[12:13], s[10:11], -1
	s_and_saveexec_b64 s[10:11], s[12:13]
	s_cbranch_execz .LBB224_46
; %bb.45:                               ;   in Loop: Header=BB224_36 Depth=1
	v_lshl_add_u64 v[0:1], v[38:39], 1, v[0:1]
	flat_load_ushort v0, v[0:1]
	s_waitcnt vmcnt(0) lgkmcnt(0)
	v_mul_f16_e32 v128, s23, v0
.LBB224_46:                             ;   in Loop: Header=BB224_36 Depth=1
	s_or_b64 exec, exec, s[10:11]
	ds_read2_b64 v[12:15], v122 offset1:8
	ds_read2_b64 v[8:11], v122 offset0:16 offset1:24
	ds_read2_b64 v[4:7], v122 offset0:32 offset1:40
	;; [unrolled: 1-line block ×3, first 2 shown]
	ds_read2_b64 v[28:31], v123 offset1:32
	ds_read2_b64 v[24:27], v123 offset0:64 offset1:96
	ds_read2_b64 v[20:23], v123 offset0:128 offset1:160
	;; [unrolled: 1-line block ×3, first 2 shown]
	v_add_u32_e32 v46, 12, v46
	v_cmp_le_i32_e64 s[10:11], s22, v46
	s_or_b64 s[12:13], vcc, s[10:11]
	ds_write_b16 v119, v47
	ds_write_b16 v101, v125
	ds_write_b16 v101, v126 offset:512
	ds_write_b16 v101, v127 offset:1024
	;; [unrolled: 1-line block ×3, first 2 shown]
	v_cndmask_b32_e64 v125, 0, v124, s[12:13]
	s_or_b64 s[12:13], s[18:19], s[12:13]
	s_xor_b64 s[12:13], s[12:13], -1
	s_waitcnt lgkmcnt(0)
	s_barrier
	s_and_saveexec_b64 s[40:41], s[12:13]
	s_xor_b64 s[12:13], exec, s[40:41]
	s_cbranch_execz .LBB224_48
; %bb.47:                               ;   in Loop: Header=BB224_36 Depth=1
	v_lshl_add_u64 v[126:127], v[40:41], 0, v[42:43]
	flat_load_ushort v47, v[126:127]
	s_waitcnt vmcnt(0) lgkmcnt(0)
	v_mul_f16_e32 v125, s23, v47
.LBB224_48:                             ;   in Loop: Header=BB224_36 Depth=1
	s_or_b64 exec, exec, s[12:13]
	v_min_i32_e32 v46, s38, v46
	v_mad_i64_i32 v[46:47], s[12:13], v46, s39, 0
	s_or_b64 s[12:13], s[2:3], s[10:11]
	s_nop 0
	v_cndmask_b32_e64 v126, 0, v124, s[12:13]
	s_or_b64 s[12:13], s[18:19], s[12:13]
	v_lshl_add_u64 v[46:47], v[46:47], 1, s[26:27]
	s_xor_b64 s[40:41], s[12:13], -1
	s_and_saveexec_b64 s[12:13], s[40:41]
	s_cbranch_execz .LBB224_50
; %bb.49:                               ;   in Loop: Header=BB224_36 Depth=1
	v_lshl_add_u64 v[126:127], v[32:33], 1, v[46:47]
	flat_load_ushort v126, v[126:127]
	s_waitcnt vmcnt(0) lgkmcnt(0)
	v_mul_f16_e32 v126, s23, v126
.LBB224_50:                             ;   in Loop: Header=BB224_36 Depth=1
	s_or_b64 exec, exec, s[12:13]
	s_or_b64 s[12:13], s[4:5], s[10:11]
	v_cndmask_b32_e64 v127, 0, v124, s[12:13]
	s_or_b64 s[12:13], s[18:19], s[12:13]
	s_xor_b64 s[40:41], s[12:13], -1
	s_and_saveexec_b64 s[12:13], s[40:41]
	s_cbranch_execz .LBB224_52
; %bb.51:                               ;   in Loop: Header=BB224_36 Depth=1
	v_lshl_add_u64 v[128:129], v[34:35], 1, v[46:47]
	flat_load_ushort v127, v[128:129]
	s_waitcnt vmcnt(0) lgkmcnt(0)
	v_mul_f16_e32 v127, s23, v127
.LBB224_52:                             ;   in Loop: Header=BB224_36 Depth=1
	s_or_b64 exec, exec, s[12:13]
	s_or_b64 s[12:13], s[6:7], s[10:11]
	v_cndmask_b32_e64 v128, 0, v124, s[12:13]
	s_or_b64 s[12:13], s[18:19], s[12:13]
	s_xor_b64 s[40:41], s[12:13], -1
	s_and_saveexec_b64 s[12:13], s[40:41]
	s_cbranch_execz .LBB224_54
; %bb.53:                               ;   in Loop: Header=BB224_36 Depth=1
	v_lshl_add_u64 v[128:129], v[36:37], 1, v[46:47]
	flat_load_ushort v128, v[128:129]
	s_waitcnt vmcnt(0) lgkmcnt(0)
	v_mul_f16_e32 v128, s23, v128
.LBB224_54:                             ;   in Loop: Header=BB224_36 Depth=1
	s_or_b64 exec, exec, s[12:13]
	v_pk_add_f16 v129, v12, v28
	v_pk_max_f16 v118, v118, v118
	v_pk_max_f16 v117, v117, v117
	v_pk_min_f16 v118, v118, v129
	v_pk_add_f16 v129, v14, v28
	v_pk_max_f16 v116, v116, v116
	v_pk_min_f16 v117, v117, v129
	v_pk_add_f16 v129, v8, v28
	v_pk_max_f16 v115, v115, v115
	v_pk_min_f16 v116, v116, v129
	v_pk_add_f16 v129, v10, v28
	v_pk_max_f16 v114, v114, v114
	v_pk_min_f16 v129, v115, v129
	v_pk_add_f16 v115, v4, v28
	v_pk_max_f16 v113, v113, v113
	v_pk_min_f16 v130, v114, v115
	v_pk_add_f16 v114, v6, v28
	v_pk_max_f16 v111, v111, v111
	v_pk_min_f16 v131, v113, v114
	v_pk_add_f16 v113, v0, v28
	v_pk_add_f16 v28, v2, v28
	v_pk_max_f16 v110, v110, v110
	v_pk_min_f16 v28, v111, v28
	v_pk_add_f16 v111, v12, v30
	v_pk_max_f16 v109, v109, v109
	v_pk_min_f16 v133, v110, v111
	v_pk_add_f16 v110, v14, v30
	v_pk_max_f16 v108, v108, v108
	v_pk_min_f16 v134, v109, v110
	v_pk_add_f16 v109, v8, v30
	v_pk_max_f16 v107, v107, v107
	v_pk_min_f16 v135, v108, v109
	v_pk_add_f16 v108, v10, v30
	v_pk_max_f16 v106, v106, v106
	v_pk_min_f16 v136, v107, v108
	v_pk_add_f16 v107, v4, v30
	v_pk_max_f16 v105, v105, v105
	v_pk_min_f16 v137, v106, v107
	v_pk_add_f16 v106, v6, v30
	v_pk_max_f16 v103, v103, v103
	v_pk_min_f16 v138, v105, v106
	v_pk_add_f16 v105, v0, v30
	v_pk_add_f16 v30, v2, v30
	v_pk_max_f16 v100, v100, v100
	v_pk_min_f16 v30, v103, v30
	v_pk_add_f16 v103, v12, v24
	v_pk_max_f16 v99, v99, v99
	v_pk_min_f16 v140, v100, v103
	v_pk_add_f16 v100, v14, v24
	v_pk_max_f16 v98, v98, v98
	v_pk_min_f16 v141, v99, v100
	v_pk_add_f16 v99, v8, v24
	v_pk_max_f16 v97, v97, v97
	v_pk_min_f16 v142, v98, v99
	v_pk_add_f16 v98, v10, v24
	v_pk_max_f16 v96, v96, v96
	v_pk_min_f16 v143, v97, v98
	v_pk_add_f16 v97, v4, v24
	v_pk_max_f16 v95, v95, v95
	v_pk_min_f16 v144, v96, v97
	v_pk_add_f16 v96, v6, v24
	v_pk_max_f16 v92, v92, v92
	v_pk_min_f16 v145, v95, v96
	v_pk_add_f16 v95, v0, v24
	v_pk_add_f16 v24, v2, v24
	v_pk_max_f16 v91, v91, v91
	v_pk_min_f16 v24, v92, v24
	v_pk_add_f16 v92, v12, v26
	v_pk_max_f16 v90, v90, v90
	v_pk_min_f16 v147, v91, v92
	v_pk_add_f16 v91, v14, v26
	v_pk_max_f16 v89, v89, v89
	v_pk_min_f16 v148, v90, v91
	v_pk_add_f16 v90, v8, v26
	v_pk_max_f16 v88, v88, v88
	v_pk_min_f16 v149, v89, v90
	v_pk_add_f16 v89, v10, v26
	v_pk_max_f16 v87, v87, v87
	v_pk_min_f16 v150, v88, v89
	v_pk_add_f16 v88, v4, v26
	v_pk_max_f16 v86, v86, v86
	v_pk_min_f16 v151, v87, v88
	v_pk_add_f16 v87, v6, v26
	v_pk_max_f16 v84, v84, v84
	v_pk_min_f16 v152, v86, v87
	v_pk_add_f16 v86, v0, v26
	v_pk_add_f16 v26, v2, v26
	v_pk_max_f16 v83, v83, v83
	v_pk_min_f16 v26, v84, v26
	v_pk_add_f16 v84, v12, v20
	v_pk_max_f16 v82, v82, v82
	v_pk_min_f16 v154, v83, v84
	v_pk_add_f16 v83, v14, v20
	v_pk_max_f16 v81, v81, v81
	v_pk_min_f16 v155, v82, v83
	v_pk_add_f16 v82, v8, v20
	v_pk_max_f16 v80, v80, v80
	v_pk_min_f16 v156, v81, v82
	v_pk_add_f16 v81, v10, v20
	v_pk_max_f16 v79, v79, v79
	v_pk_min_f16 v157, v80, v81
	v_pk_add_f16 v80, v4, v20
	v_pk_max_f16 v78, v78, v78
	v_pk_min_f16 v158, v79, v80
	v_pk_add_f16 v79, v6, v20
	v_pk_max_f16 v76, v76, v76
	v_pk_min_f16 v159, v78, v79
	v_pk_add_f16 v78, v0, v20
	v_pk_add_f16 v20, v2, v20
	v_pk_max_f16 v75, v75, v75
	v_pk_min_f16 v20, v76, v20
	v_pk_add_f16 v76, v12, v22
	v_pk_max_f16 v74, v74, v74
	v_pk_min_f16 v161, v75, v76
	v_pk_add_f16 v75, v14, v22
	v_pk_max_f16 v73, v73, v73
	v_pk_min_f16 v162, v74, v75
	v_pk_add_f16 v74, v8, v22
	v_pk_max_f16 v72, v72, v72
	v_pk_min_f16 v163, v73, v74
	v_pk_add_f16 v73, v10, v22
	v_pk_max_f16 v71, v71, v71
	v_pk_min_f16 v164, v72, v73
	v_pk_add_f16 v72, v4, v22
	v_pk_max_f16 v70, v70, v70
	v_pk_min_f16 v165, v71, v72
	v_pk_add_f16 v71, v6, v22
	v_pk_max_f16 v68, v68, v68
	v_pk_min_f16 v166, v70, v71
	v_pk_add_f16 v70, v0, v22
	v_pk_add_f16 v22, v2, v22
	v_pk_max_f16 v67, v67, v67
	v_pk_min_f16 v22, v68, v22
	v_pk_add_f16 v68, v12, v16
	v_pk_max_f16 v66, v66, v66
	v_pk_min_f16 v168, v67, v68
	v_pk_add_f16 v67, v14, v16
	v_pk_max_f16 v65, v65, v65
	v_pk_min_f16 v169, v66, v67
	v_pk_add_f16 v66, v8, v16
	;; [unrolled: 3-line block ×5, first 2 shown]
	v_pk_add_f16 v12, v12, v18
	v_pk_min_f16 v173, v62, v63
	v_pk_add_f16 v62, v0, v16
	v_pk_add_f16 v16, v2, v16
	;; [unrolled: 1-line block ×9, first 2 shown]
	v_pk_max_f16 v18, v56, v56
	v_pk_max_f16 v112, v112, v112
	v_pk_min_f16 v2, v18, v2
	v_pk_add_f16 v18, v13, v29
	v_pk_min_f16 v132, v112, v113
	v_pk_min_f16 v115, v118, v18
	v_pk_add_f16 v18, v15, v29
	v_pk_max_f16 v104, v104, v104
	v_pk_min_f16 v114, v117, v18
	v_pk_add_f16 v18, v9, v29
	v_pk_min_f16 v139, v104, v105
	v_pk_min_f16 v113, v116, v18
	v_pk_add_f16 v18, v11, v29
	;; [unrolled: 6-line block ×8, first 2 shown]
	v_pk_max_f16 v59, v59, v59
	v_pk_min_f16 v98, v30, v18
	v_pk_add_f16 v18, v13, v25
	v_pk_max_f16 v57, v57, v57
	v_pk_min_f16 v97, v140, v18
	v_pk_add_f16 v18, v15, v25
	;; [unrolled: 3-line block ×4, first 2 shown]
	v_pk_min_f16 v12, v59, v12
	v_pk_min_f16 v94, v143, v18
	v_pk_add_f16 v18, v5, v25
	v_pk_max_f16 v58, v58, v58
	v_pk_min_f16 v92, v144, v18
	v_pk_add_f16 v18, v7, v25
	v_pk_min_f16 v8, v57, v8
	v_pk_min_f16 v91, v145, v18
	v_pk_add_f16 v18, v1, v25
	v_pk_max_f16 v55, v55, v55
	v_pk_min_f16 v90, v146, v18
	v_pk_add_f16 v18, v3, v25
	;; [unrolled: 6-line block ×3, first 2 shown]
	v_pk_min_f16 v0, v52, v0
	v_pk_min_f16 v87, v148, v18
	v_pk_add_f16 v18, v9, v27
	s_or_b64 s[10:11], s[8:9], s[10:11]
	v_pk_min_f16 v86, v149, v18
	v_pk_add_f16 v18, v11, v27
	v_pk_min_f16 v14, v58, v14
	v_pk_min_f16 v85, v150, v18
	v_pk_add_f16 v18, v5, v27
	v_pk_min_f16 v10, v55, v10
	;; [unrolled: 3-line block ×3, first 2 shown]
	v_pk_min_f16 v83, v152, v18
	v_pk_add_f16 v18, v1, v27
	v_cndmask_b32_e64 v28, 0, v124, s[10:11]
	v_pk_min_f16 v82, v153, v18
	v_pk_add_f16 v18, v3, v27
	s_or_b64 s[10:11], s[18:19], s[10:11]
	v_pk_min_f16 v81, v26, v18
	v_pk_add_f16 v18, v13, v21
	s_xor_b64 s[12:13], s[10:11], -1
	v_pk_min_f16 v80, v154, v18
	v_pk_add_f16 v18, v15, v21
	s_nop 0
	v_pk_min_f16 v79, v155, v18
	v_pk_add_f16 v18, v9, v21
	s_nop 0
	;; [unrolled: 3-line block ×15, first 2 shown]
	v_pk_min_f16 v65, v22, v18
	v_pk_add_f16 v18, v13, v17
	v_pk_add_f16 v13, v13, v19
	v_pk_min_f16 v64, v168, v18
	v_pk_add_f16 v18, v15, v17
	v_pk_min_f16 v56, v12, v13
	v_pk_min_f16 v63, v169, v18
	v_pk_add_f16 v18, v9, v17
	v_pk_add_f16 v9, v9, v19
	v_pk_min_f16 v62, v170, v18
	v_pk_add_f16 v18, v11, v17
	v_pk_add_f16 v12, v15, v19
	;; [unrolled: 3-line block ×3, first 2 shown]
	v_pk_min_f16 v60, v172, v18
	v_pk_add_f16 v18, v7, v17
	v_pk_min_f16 v54, v8, v9
	v_pk_min_f16 v59, v173, v18
	v_pk_add_f16 v18, v1, v17
	v_pk_add_f16 v1, v1, v19
	;; [unrolled: 1-line block ×4, first 2 shown]
	v_pk_min_f16 v52, v4, v5
	v_pk_add_f16 v4, v7, v19
	v_pk_min_f16 v30, v0, v1
	v_pk_add_f16 v0, v3, v19
	v_pk_min_f16 v58, v174, v18
	v_pk_min_f16 v57, v16, v17
	;; [unrolled: 1-line block ×6, first 2 shown]
	s_and_saveexec_b64 s[10:11], s[12:13]
	s_cbranch_execz .LBB224_35
; %bb.55:                               ;   in Loop: Header=BB224_36 Depth=1
	v_lshl_add_u64 v[0:1], v[38:39], 1, v[46:47]
	flat_load_ushort v0, v[0:1]
	s_waitcnt vmcnt(0) lgkmcnt(0)
	v_mul_f16_e32 v28, s23, v0
	s_branch .LBB224_35
.LBB224_56:
	s_load_dwordx2 s[2:3], s[0:1], 0x70
	s_load_dword s29, s[0:1], 0x50
	s_load_dword s28, s[0:1], 0x68
	v_add_u32_e32 v0, 0x1000, v51
	v_add_u32_e32 v4, 0x800, v93
	ds_read2_b64 v[16:19], v0 offset0:64 offset1:72
	ds_read2_b64 v[12:15], v0 offset0:80 offset1:88
	;; [unrolled: 1-line block ×4, first 2 shown]
	ds_read2_b64 v[28:31], v4 offset1:32
	ds_read2_b64 v[24:27], v4 offset0:64 offset1:96
	ds_read2_b64 v[20:23], v4 offset0:128 offset1:160
	;; [unrolled: 1-line block ×3, first 2 shown]
	s_waitcnt lgkmcnt(0)
	s_lshl_b64 s[0:1], s[2:3], 1
	s_add_u32 s22, s16, s0
	v_add_u32_e32 v93, s37, v49
	s_addc_u32 s23, s17, s1
	v_mad_i64_i32 v[34:35], s[0:1], v93, s29, 0
	v_add_u32_e32 v32, s36, v48
	v_lshl_add_u64 v[50:51], v[34:35], 1, s[24:25]
	v_mad_i64_i32 v[34:35], s[0:1], v93, s28, 0
	v_cmp_gt_i32_e64 s[2:3], s20, v32
	v_cmp_gt_i32_e64 s[18:19], s21, v93
	v_lshl_add_u64 v[48:49], v[34:35], 1, s[22:23]
	v_cndmask_b32_e64 v34, 0, 1, s[14:15]
	v_ashrrev_i32_e32 v33, 31, v32
	s_and_b64 s[4:5], s[2:3], s[18:19]
	v_cmp_ne_u32_e64 s[0:1], 1, v34
	s_and_saveexec_b64 s[6:7], s[4:5]
	s_xor_b64 s[4:5], exec, s[6:7]
	s_cbranch_execz .LBB224_61
; %bb.57:
	s_and_b64 vcc, exec, s[0:1]
	s_cbranch_vccnz .LBB224_59
; %bb.58:
	v_lshl_add_u64 v[34:35], v[32:33], 1, v[50:51]
	flat_load_ushort v34, v[34:35]
	s_waitcnt vmcnt(0) lgkmcnt(0)
	v_mul_f16_e32 v34, s33, v34
	s_branch .LBB224_60
.LBB224_59:
	v_mov_b32_e32 v34, 0
.LBB224_60:
	v_pk_add_f16 v35, v16, v28
	v_pk_max_f16 v36, v118, v118
	s_nop 0
	v_pk_min_f16 v35, v36, v35
	v_pk_add_f16 v36, v17, v29
	s_nop 0
	v_pk_min_f16 v35, v35, v36
	s_nop 0
	v_lshrrev_b32_e32 v36, 16, v35
	v_min3_f16 v36, v34, v35, v36
	v_lshl_add_u64 v[34:35], v[32:33], 1, v[48:49]
	global_store_short v[34:35], v36, off
.LBB224_61:
	s_or_b64 exec, exec, s[4:5]
	v_add_u32_e32 v34, 8, v32
	v_cmp_gt_i32_e64 s[4:5], s20, v34
	v_ashrrev_i32_e32 v35, 31, v34
	s_and_b64 s[8:9], s[4:5], s[18:19]
	s_and_saveexec_b64 s[6:7], s[8:9]
	s_cbranch_execz .LBB224_66
; %bb.62:
	s_and_b64 vcc, exec, s[0:1]
	s_cbranch_vccnz .LBB224_64
; %bb.63:
	v_lshl_add_u64 v[36:37], v[34:35], 1, v[50:51]
	flat_load_ushort v36, v[36:37]
	s_waitcnt vmcnt(0) lgkmcnt(0)
	v_mul_f16_e32 v36, s33, v36
	s_branch .LBB224_65
.LBB224_64:
	v_mov_b32_e32 v36, 0
.LBB224_65:
	v_pk_add_f16 v37, v18, v28
	v_pk_max_f16 v38, v117, v117
	s_nop 0
	v_pk_min_f16 v37, v38, v37
	v_pk_add_f16 v38, v19, v29
	s_nop 0
	v_pk_min_f16 v37, v37, v38
	s_nop 0
	v_lshrrev_b32_e32 v38, 16, v37
	v_min3_f16 v38, v36, v37, v38
	v_lshl_add_u64 v[36:37], v[34:35], 1, v[48:49]
	global_store_short v[36:37], v38, off
.LBB224_66:
	s_or_b64 exec, exec, s[6:7]
	v_add_u32_e32 v36, 16, v32
	v_cmp_gt_i32_e64 s[6:7], s20, v36
	v_ashrrev_i32_e32 v37, 31, v36
	s_and_b64 s[10:11], s[6:7], s[18:19]
	s_and_saveexec_b64 s[8:9], s[10:11]
	;; [unrolled: 32-line block ×7, first 2 shown]
	s_cbranch_execz .LBB224_96
; %bb.92:
	s_and_b64 vcc, exec, s[0:1]
	s_cbranch_vccnz .LBB224_94
; %bb.93:
	v_lshl_add_u64 v[50:51], v[46:47], 1, v[50:51]
	flat_load_ushort v50, v[50:51]
	s_waitcnt vmcnt(0) lgkmcnt(0)
	v_mul_f16_e32 v50, s33, v50
	s_branch .LBB224_95
.LBB224_94:
	v_mov_b32_e32 v50, 0
.LBB224_95:
	v_pk_add_f16 v28, v2, v28
	v_pk_max_f16 v51, v111, v111
	v_pk_add_f16 v29, v3, v29
	v_pk_min_f16 v28, v51, v28
	s_nop 0
	v_pk_min_f16 v28, v28, v29
	s_nop 0
	v_lshrrev_b32_e32 v29, 16, v28
	v_min3_f16 v50, v50, v28, v29
	v_lshl_add_u64 v[28:29], v[46:47], 1, v[48:49]
	global_store_short v[28:29], v50, off
.LBB224_96:
	s_or_b64 exec, exec, s[18:19]
	v_add_u32_e32 v50, 32, v93
	v_mad_i64_i32 v[28:29], s[26:27], v50, s29, 0
	v_cmp_gt_i32_e64 s[18:19], s21, v50
	v_lshl_add_u64 v[48:49], v[28:29], 1, s[24:25]
	v_mad_i64_i32 v[28:29], s[26:27], v50, s28, 0
	v_lshl_add_u64 v[28:29], v[28:29], 1, s[22:23]
	s_and_b64 s[30:31], s[2:3], s[18:19]
	s_and_saveexec_b64 s[26:27], s[30:31]
	s_cbranch_execnz .LBB224_104
; %bb.97:
	s_or_b64 exec, exec, s[26:27]
	s_and_b64 s[30:31], s[4:5], s[18:19]
	s_and_saveexec_b64 s[26:27], s[30:31]
	s_cbranch_execnz .LBB224_108
.LBB224_98:
	s_or_b64 exec, exec, s[26:27]
	s_and_b64 s[30:31], s[6:7], s[18:19]
	s_and_saveexec_b64 s[26:27], s[30:31]
	s_cbranch_execnz .LBB224_112
.LBB224_99:
	s_or_b64 exec, exec, s[26:27]
	s_and_b64 s[30:31], s[8:9], s[18:19]
	s_and_saveexec_b64 s[26:27], s[30:31]
	s_cbranch_execnz .LBB224_116
.LBB224_100:
	s_or_b64 exec, exec, s[26:27]
	s_and_b64 s[30:31], s[10:11], s[18:19]
	s_and_saveexec_b64 s[26:27], s[30:31]
	s_cbranch_execnz .LBB224_120
.LBB224_101:
	s_or_b64 exec, exec, s[26:27]
	s_and_b64 s[30:31], s[12:13], s[18:19]
	s_and_saveexec_b64 s[26:27], s[30:31]
	s_cbranch_execnz .LBB224_124
.LBB224_102:
	s_or_b64 exec, exec, s[26:27]
	s_and_b64 s[30:31], s[14:15], s[18:19]
	s_and_saveexec_b64 s[26:27], s[30:31]
	s_cbranch_execnz .LBB224_128
.LBB224_103:
	s_or_b64 exec, exec, s[26:27]
	s_and_b64 s[26:27], s[16:17], s[18:19]
	s_and_saveexec_b64 s[18:19], s[26:27]
	s_cbranch_execnz .LBB224_132
	s_branch .LBB224_136
.LBB224_104:
	s_and_b64 vcc, exec, s[0:1]
	s_cbranch_vccnz .LBB224_106
; %bb.105:
	v_lshl_add_u64 v[50:51], v[32:33], 1, v[48:49]
	flat_load_ushort v50, v[50:51]
	s_waitcnt vmcnt(0) lgkmcnt(0)
	v_mul_f16_e32 v50, s33, v50
	s_branch .LBB224_107
.LBB224_106:
	v_mov_b32_e32 v50, 0
.LBB224_107:
	v_pk_add_f16 v51, v16, v30
	v_pk_max_f16 v101, v110, v110
	s_nop 0
	v_pk_min_f16 v51, v101, v51
	v_pk_add_f16 v101, v17, v31
	s_nop 0
	v_pk_min_f16 v51, v51, v101
	s_nop 0
	v_lshrrev_b32_e32 v101, 16, v51
	v_min3_f16 v101, v50, v51, v101
	v_lshl_add_u64 v[50:51], v[32:33], 1, v[28:29]
	global_store_short v[50:51], v101, off
	s_or_b64 exec, exec, s[26:27]
	s_and_b64 s[30:31], s[4:5], s[18:19]
	s_and_saveexec_b64 s[26:27], s[30:31]
	s_cbranch_execz .LBB224_98
.LBB224_108:
	s_and_b64 vcc, exec, s[0:1]
	s_cbranch_vccnz .LBB224_110
; %bb.109:
	v_lshl_add_u64 v[50:51], v[34:35], 1, v[48:49]
	flat_load_ushort v50, v[50:51]
	s_waitcnt vmcnt(0) lgkmcnt(0)
	v_mul_f16_e32 v50, s33, v50
	s_branch .LBB224_111
.LBB224_110:
	v_mov_b32_e32 v50, 0
.LBB224_111:
	v_pk_add_f16 v51, v18, v30
	v_pk_max_f16 v101, v109, v109
	s_nop 0
	v_pk_min_f16 v51, v101, v51
	v_pk_add_f16 v101, v19, v31
	s_nop 0
	v_pk_min_f16 v51, v51, v101
	s_nop 0
	v_lshrrev_b32_e32 v101, 16, v51
	v_min3_f16 v101, v50, v51, v101
	v_lshl_add_u64 v[50:51], v[34:35], 1, v[28:29]
	global_store_short v[50:51], v101, off
	s_or_b64 exec, exec, s[26:27]
	s_and_b64 s[30:31], s[6:7], s[18:19]
	s_and_saveexec_b64 s[26:27], s[30:31]
	s_cbranch_execz .LBB224_99
.LBB224_112:
	s_and_b64 vcc, exec, s[0:1]
	s_cbranch_vccnz .LBB224_114
; %bb.113:
	v_lshl_add_u64 v[50:51], v[36:37], 1, v[48:49]
	flat_load_ushort v50, v[50:51]
	s_waitcnt vmcnt(0) lgkmcnt(0)
	v_mul_f16_e32 v50, s33, v50
	s_branch .LBB224_115
.LBB224_114:
	v_mov_b32_e32 v50, 0
.LBB224_115:
	v_pk_add_f16 v51, v12, v30
	v_pk_max_f16 v101, v108, v108
	s_nop 0
	v_pk_min_f16 v51, v101, v51
	v_pk_add_f16 v101, v13, v31
	s_nop 0
	v_pk_min_f16 v51, v51, v101
	s_nop 0
	v_lshrrev_b32_e32 v101, 16, v51
	v_min3_f16 v101, v50, v51, v101
	v_lshl_add_u64 v[50:51], v[36:37], 1, v[28:29]
	global_store_short v[50:51], v101, off
	s_or_b64 exec, exec, s[26:27]
	s_and_b64 s[30:31], s[8:9], s[18:19]
	s_and_saveexec_b64 s[26:27], s[30:31]
	s_cbranch_execz .LBB224_100
.LBB224_116:
	s_and_b64 vcc, exec, s[0:1]
	s_cbranch_vccnz .LBB224_118
; %bb.117:
	v_lshl_add_u64 v[50:51], v[38:39], 1, v[48:49]
	flat_load_ushort v50, v[50:51]
	s_waitcnt vmcnt(0) lgkmcnt(0)
	v_mul_f16_e32 v50, s33, v50
	s_branch .LBB224_119
.LBB224_118:
	v_mov_b32_e32 v50, 0
.LBB224_119:
	v_pk_add_f16 v51, v14, v30
	v_pk_max_f16 v101, v107, v107
	s_nop 0
	v_pk_min_f16 v51, v101, v51
	v_pk_add_f16 v101, v15, v31
	s_nop 0
	v_pk_min_f16 v51, v51, v101
	s_nop 0
	v_lshrrev_b32_e32 v101, 16, v51
	v_min3_f16 v101, v50, v51, v101
	v_lshl_add_u64 v[50:51], v[38:39], 1, v[28:29]
	global_store_short v[50:51], v101, off
	s_or_b64 exec, exec, s[26:27]
	s_and_b64 s[30:31], s[10:11], s[18:19]
	s_and_saveexec_b64 s[26:27], s[30:31]
	s_cbranch_execz .LBB224_101
.LBB224_120:
	s_and_b64 vcc, exec, s[0:1]
	s_cbranch_vccnz .LBB224_122
; %bb.121:
	v_lshl_add_u64 v[50:51], v[40:41], 1, v[48:49]
	flat_load_ushort v50, v[50:51]
	s_waitcnt vmcnt(0) lgkmcnt(0)
	v_mul_f16_e32 v50, s33, v50
	s_branch .LBB224_123
.LBB224_122:
	v_mov_b32_e32 v50, 0
.LBB224_123:
	v_pk_add_f16 v51, v8, v30
	v_pk_max_f16 v101, v106, v106
	s_nop 0
	v_pk_min_f16 v51, v101, v51
	v_pk_add_f16 v101, v9, v31
	s_nop 0
	v_pk_min_f16 v51, v51, v101
	s_nop 0
	v_lshrrev_b32_e32 v101, 16, v51
	v_min3_f16 v101, v50, v51, v101
	v_lshl_add_u64 v[50:51], v[40:41], 1, v[28:29]
	global_store_short v[50:51], v101, off
	s_or_b64 exec, exec, s[26:27]
	s_and_b64 s[30:31], s[12:13], s[18:19]
	s_and_saveexec_b64 s[26:27], s[30:31]
	s_cbranch_execz .LBB224_102
.LBB224_124:
	s_and_b64 vcc, exec, s[0:1]
	s_cbranch_vccnz .LBB224_126
; %bb.125:
	v_lshl_add_u64 v[50:51], v[42:43], 1, v[48:49]
	flat_load_ushort v50, v[50:51]
	s_waitcnt vmcnt(0) lgkmcnt(0)
	v_mul_f16_e32 v50, s33, v50
	s_branch .LBB224_127
.LBB224_126:
	v_mov_b32_e32 v50, 0
.LBB224_127:
	v_pk_add_f16 v51, v10, v30
	v_pk_max_f16 v101, v105, v105
	s_nop 0
	v_pk_min_f16 v51, v101, v51
	v_pk_add_f16 v101, v11, v31
	s_nop 0
	v_pk_min_f16 v51, v51, v101
	s_nop 0
	v_lshrrev_b32_e32 v101, 16, v51
	v_min3_f16 v101, v50, v51, v101
	v_lshl_add_u64 v[50:51], v[42:43], 1, v[28:29]
	global_store_short v[50:51], v101, off
	s_or_b64 exec, exec, s[26:27]
	s_and_b64 s[30:31], s[14:15], s[18:19]
	s_and_saveexec_b64 s[26:27], s[30:31]
	s_cbranch_execz .LBB224_103
.LBB224_128:
	s_and_b64 vcc, exec, s[0:1]
	s_cbranch_vccnz .LBB224_130
; %bb.129:
	v_lshl_add_u64 v[50:51], v[44:45], 1, v[48:49]
	flat_load_ushort v50, v[50:51]
	s_waitcnt vmcnt(0) lgkmcnt(0)
	v_mul_f16_e32 v50, s33, v50
	s_branch .LBB224_131
.LBB224_130:
	v_mov_b32_e32 v50, 0
.LBB224_131:
	v_pk_add_f16 v51, v0, v30
	v_pk_max_f16 v101, v104, v104
	s_nop 0
	v_pk_min_f16 v51, v101, v51
	v_pk_add_f16 v101, v1, v31
	s_nop 0
	v_pk_min_f16 v51, v51, v101
	s_nop 0
	v_lshrrev_b32_e32 v101, 16, v51
	v_min3_f16 v101, v50, v51, v101
	v_lshl_add_u64 v[50:51], v[44:45], 1, v[28:29]
	global_store_short v[50:51], v101, off
	s_or_b64 exec, exec, s[26:27]
	s_and_b64 s[26:27], s[16:17], s[18:19]
	s_and_saveexec_b64 s[18:19], s[26:27]
	s_cbranch_execz .LBB224_136
.LBB224_132:
	s_and_b64 vcc, exec, s[0:1]
	s_cbranch_vccnz .LBB224_134
; %bb.133:
	v_lshl_add_u64 v[48:49], v[46:47], 1, v[48:49]
	flat_load_ushort v48, v[48:49]
	s_waitcnt vmcnt(0) lgkmcnt(0)
	v_mul_f16_e32 v48, s33, v48
	s_branch .LBB224_135
.LBB224_134:
	v_mov_b32_e32 v48, 0
.LBB224_135:
	v_pk_add_f16 v30, v2, v30
	v_pk_max_f16 v49, v103, v103
	v_pk_add_f16 v31, v3, v31
	v_pk_min_f16 v30, v49, v30
	v_lshl_add_u64 v[28:29], v[46:47], 1, v[28:29]
	v_pk_min_f16 v30, v30, v31
	s_nop 0
	v_lshrrev_b32_e32 v31, 16, v30
	v_min3_f16 v30, v48, v30, v31
	global_store_short v[28:29], v30, off
.LBB224_136:
	s_or_b64 exec, exec, s[18:19]
	v_add_u32_e32 v48, 64, v93
	v_mad_i64_i32 v[28:29], s[26:27], v48, s29, 0
	v_cmp_gt_i32_e64 s[18:19], s21, v48
	v_lshl_add_u64 v[30:31], v[28:29], 1, s[24:25]
	v_mad_i64_i32 v[28:29], s[26:27], v48, s28, 0
	v_lshl_add_u64 v[28:29], v[28:29], 1, s[22:23]
	s_and_b64 s[30:31], s[2:3], s[18:19]
	s_and_saveexec_b64 s[26:27], s[30:31]
	s_cbranch_execnz .LBB224_144
; %bb.137:
	s_or_b64 exec, exec, s[26:27]
	s_and_b64 s[30:31], s[4:5], s[18:19]
	s_and_saveexec_b64 s[26:27], s[30:31]
	s_cbranch_execnz .LBB224_148
.LBB224_138:
	s_or_b64 exec, exec, s[26:27]
	s_and_b64 s[30:31], s[6:7], s[18:19]
	s_and_saveexec_b64 s[26:27], s[30:31]
	s_cbranch_execnz .LBB224_152
.LBB224_139:
	s_or_b64 exec, exec, s[26:27]
	s_and_b64 s[30:31], s[8:9], s[18:19]
	s_and_saveexec_b64 s[26:27], s[30:31]
	s_cbranch_execnz .LBB224_156
.LBB224_140:
	s_or_b64 exec, exec, s[26:27]
	s_and_b64 s[30:31], s[10:11], s[18:19]
	s_and_saveexec_b64 s[26:27], s[30:31]
	s_cbranch_execnz .LBB224_160
.LBB224_141:
	s_or_b64 exec, exec, s[26:27]
	s_and_b64 s[30:31], s[12:13], s[18:19]
	s_and_saveexec_b64 s[26:27], s[30:31]
	s_cbranch_execnz .LBB224_164
.LBB224_142:
	s_or_b64 exec, exec, s[26:27]
	s_and_b64 s[30:31], s[14:15], s[18:19]
	s_and_saveexec_b64 s[26:27], s[30:31]
	s_cbranch_execnz .LBB224_168
.LBB224_143:
	s_or_b64 exec, exec, s[26:27]
	s_and_b64 s[26:27], s[16:17], s[18:19]
	s_and_saveexec_b64 s[18:19], s[26:27]
	s_cbranch_execnz .LBB224_172
	s_branch .LBB224_176
.LBB224_144:
	s_and_b64 vcc, exec, s[0:1]
	s_cbranch_vccnz .LBB224_146
; %bb.145:
	v_lshl_add_u64 v[48:49], v[32:33], 1, v[30:31]
	flat_load_ushort v48, v[48:49]
	s_waitcnt vmcnt(0) lgkmcnt(0)
	v_mul_f16_e32 v48, s33, v48
	s_branch .LBB224_147
.LBB224_146:
	v_mov_b32_e32 v48, 0
.LBB224_147:
	v_pk_add_f16 v49, v16, v24
	v_pk_max_f16 v50, v100, v100
	s_nop 0
	v_pk_min_f16 v49, v50, v49
	v_pk_add_f16 v50, v17, v25
	s_nop 0
	v_pk_min_f16 v49, v49, v50
	s_nop 0
	v_lshrrev_b32_e32 v50, 16, v49
	v_min3_f16 v50, v48, v49, v50
	v_lshl_add_u64 v[48:49], v[32:33], 1, v[28:29]
	global_store_short v[48:49], v50, off
	s_or_b64 exec, exec, s[26:27]
	s_and_b64 s[30:31], s[4:5], s[18:19]
	s_and_saveexec_b64 s[26:27], s[30:31]
	s_cbranch_execz .LBB224_138
.LBB224_148:
	s_and_b64 vcc, exec, s[0:1]
	s_cbranch_vccnz .LBB224_150
; %bb.149:
	v_lshl_add_u64 v[48:49], v[34:35], 1, v[30:31]
	flat_load_ushort v48, v[48:49]
	s_waitcnt vmcnt(0) lgkmcnt(0)
	v_mul_f16_e32 v48, s33, v48
	s_branch .LBB224_151
.LBB224_150:
	v_mov_b32_e32 v48, 0
.LBB224_151:
	v_pk_add_f16 v49, v18, v24
	v_pk_max_f16 v50, v99, v99
	s_nop 0
	v_pk_min_f16 v49, v50, v49
	v_pk_add_f16 v50, v19, v25
	s_nop 0
	v_pk_min_f16 v49, v49, v50
	s_nop 0
	v_lshrrev_b32_e32 v50, 16, v49
	v_min3_f16 v50, v48, v49, v50
	v_lshl_add_u64 v[48:49], v[34:35], 1, v[28:29]
	global_store_short v[48:49], v50, off
	s_or_b64 exec, exec, s[26:27]
	s_and_b64 s[30:31], s[6:7], s[18:19]
	s_and_saveexec_b64 s[26:27], s[30:31]
	s_cbranch_execz .LBB224_139
.LBB224_152:
	s_and_b64 vcc, exec, s[0:1]
	s_cbranch_vccnz .LBB224_154
; %bb.153:
	v_lshl_add_u64 v[48:49], v[36:37], 1, v[30:31]
	flat_load_ushort v48, v[48:49]
	s_waitcnt vmcnt(0) lgkmcnt(0)
	v_mul_f16_e32 v48, s33, v48
	s_branch .LBB224_155
.LBB224_154:
	v_mov_b32_e32 v48, 0
.LBB224_155:
	v_pk_add_f16 v49, v12, v24
	v_pk_max_f16 v50, v98, v98
	s_nop 0
	v_pk_min_f16 v49, v50, v49
	v_pk_add_f16 v50, v13, v25
	s_nop 0
	v_pk_min_f16 v49, v49, v50
	s_nop 0
	v_lshrrev_b32_e32 v50, 16, v49
	v_min3_f16 v50, v48, v49, v50
	v_lshl_add_u64 v[48:49], v[36:37], 1, v[28:29]
	global_store_short v[48:49], v50, off
	s_or_b64 exec, exec, s[26:27]
	s_and_b64 s[30:31], s[8:9], s[18:19]
	s_and_saveexec_b64 s[26:27], s[30:31]
	s_cbranch_execz .LBB224_140
.LBB224_156:
	s_and_b64 vcc, exec, s[0:1]
	s_cbranch_vccnz .LBB224_158
; %bb.157:
	v_lshl_add_u64 v[48:49], v[38:39], 1, v[30:31]
	flat_load_ushort v48, v[48:49]
	s_waitcnt vmcnt(0) lgkmcnt(0)
	v_mul_f16_e32 v48, s33, v48
	s_branch .LBB224_159
.LBB224_158:
	v_mov_b32_e32 v48, 0
.LBB224_159:
	v_pk_add_f16 v49, v14, v24
	v_pk_max_f16 v50, v97, v97
	s_nop 0
	v_pk_min_f16 v49, v50, v49
	v_pk_add_f16 v50, v15, v25
	s_nop 0
	v_pk_min_f16 v49, v49, v50
	s_nop 0
	v_lshrrev_b32_e32 v50, 16, v49
	v_min3_f16 v50, v48, v49, v50
	v_lshl_add_u64 v[48:49], v[38:39], 1, v[28:29]
	global_store_short v[48:49], v50, off
	s_or_b64 exec, exec, s[26:27]
	s_and_b64 s[30:31], s[10:11], s[18:19]
	s_and_saveexec_b64 s[26:27], s[30:31]
	s_cbranch_execz .LBB224_141
.LBB224_160:
	s_and_b64 vcc, exec, s[0:1]
	s_cbranch_vccnz .LBB224_162
; %bb.161:
	v_lshl_add_u64 v[48:49], v[40:41], 1, v[30:31]
	flat_load_ushort v48, v[48:49]
	s_waitcnt vmcnt(0) lgkmcnt(0)
	v_mul_f16_e32 v48, s33, v48
	s_branch .LBB224_163
.LBB224_162:
	v_mov_b32_e32 v48, 0
.LBB224_163:
	v_pk_add_f16 v49, v8, v24
	v_pk_max_f16 v50, v96, v96
	s_nop 0
	v_pk_min_f16 v49, v50, v49
	v_pk_add_f16 v50, v9, v25
	s_nop 0
	v_pk_min_f16 v49, v49, v50
	s_nop 0
	v_lshrrev_b32_e32 v50, 16, v49
	v_min3_f16 v50, v48, v49, v50
	v_lshl_add_u64 v[48:49], v[40:41], 1, v[28:29]
	global_store_short v[48:49], v50, off
	s_or_b64 exec, exec, s[26:27]
	s_and_b64 s[30:31], s[12:13], s[18:19]
	s_and_saveexec_b64 s[26:27], s[30:31]
	s_cbranch_execz .LBB224_142
.LBB224_164:
	s_and_b64 vcc, exec, s[0:1]
	s_cbranch_vccnz .LBB224_166
; %bb.165:
	v_lshl_add_u64 v[48:49], v[42:43], 1, v[30:31]
	flat_load_ushort v48, v[48:49]
	s_waitcnt vmcnt(0) lgkmcnt(0)
	v_mul_f16_e32 v48, s33, v48
	s_branch .LBB224_167
.LBB224_166:
	v_mov_b32_e32 v48, 0
.LBB224_167:
	v_pk_add_f16 v49, v10, v24
	v_pk_max_f16 v50, v95, v95
	s_nop 0
	v_pk_min_f16 v49, v50, v49
	v_pk_add_f16 v50, v11, v25
	s_nop 0
	v_pk_min_f16 v49, v49, v50
	s_nop 0
	v_lshrrev_b32_e32 v50, 16, v49
	v_min3_f16 v50, v48, v49, v50
	v_lshl_add_u64 v[48:49], v[42:43], 1, v[28:29]
	global_store_short v[48:49], v50, off
	s_or_b64 exec, exec, s[26:27]
	s_and_b64 s[30:31], s[14:15], s[18:19]
	s_and_saveexec_b64 s[26:27], s[30:31]
	s_cbranch_execz .LBB224_143
.LBB224_168:
	s_and_b64 vcc, exec, s[0:1]
	s_cbranch_vccnz .LBB224_170
; %bb.169:
	v_lshl_add_u64 v[48:49], v[44:45], 1, v[30:31]
	flat_load_ushort v48, v[48:49]
	s_waitcnt vmcnt(0) lgkmcnt(0)
	v_mul_f16_e32 v48, s33, v48
	s_branch .LBB224_171
.LBB224_170:
	v_mov_b32_e32 v48, 0
.LBB224_171:
	v_pk_add_f16 v49, v0, v24
	v_pk_max_f16 v50, v94, v94
	s_nop 0
	v_pk_min_f16 v49, v50, v49
	v_pk_add_f16 v50, v1, v25
	s_nop 0
	v_pk_min_f16 v49, v49, v50
	s_nop 0
	v_lshrrev_b32_e32 v50, 16, v49
	v_min3_f16 v50, v48, v49, v50
	v_lshl_add_u64 v[48:49], v[44:45], 1, v[28:29]
	global_store_short v[48:49], v50, off
	s_or_b64 exec, exec, s[26:27]
	s_and_b64 s[26:27], s[16:17], s[18:19]
	s_and_saveexec_b64 s[18:19], s[26:27]
	s_cbranch_execz .LBB224_176
.LBB224_172:
	s_and_b64 vcc, exec, s[0:1]
	s_cbranch_vccnz .LBB224_174
; %bb.173:
	v_lshl_add_u64 v[30:31], v[46:47], 1, v[30:31]
	flat_load_ushort v30, v[30:31]
	s_waitcnt vmcnt(0) lgkmcnt(0)
	v_mul_f16_e32 v30, s33, v30
	s_branch .LBB224_175
.LBB224_174:
	v_mov_b32_e32 v30, 0
.LBB224_175:
	v_pk_add_f16 v24, v2, v24
	v_pk_max_f16 v31, v92, v92
	v_pk_add_f16 v25, v3, v25
	v_pk_min_f16 v24, v31, v24
	s_nop 0
	v_pk_min_f16 v24, v24, v25
	s_nop 0
	v_lshrrev_b32_e32 v25, 16, v24
	v_min3_f16 v30, v30, v24, v25
	v_lshl_add_u64 v[24:25], v[46:47], 1, v[28:29]
	global_store_short v[24:25], v30, off
.LBB224_176:
	s_or_b64 exec, exec, s[18:19]
	v_add_u32_e32 v30, 0x60, v93
	v_mad_i64_i32 v[24:25], s[26:27], v30, s29, 0
	v_cmp_gt_i32_e64 s[18:19], s21, v30
	v_lshl_add_u64 v[28:29], v[24:25], 1, s[24:25]
	v_mad_i64_i32 v[24:25], s[26:27], v30, s28, 0
	v_lshl_add_u64 v[24:25], v[24:25], 1, s[22:23]
	s_and_b64 s[30:31], s[2:3], s[18:19]
	s_and_saveexec_b64 s[26:27], s[30:31]
	s_cbranch_execnz .LBB224_184
; %bb.177:
	s_or_b64 exec, exec, s[26:27]
	s_and_b64 s[30:31], s[4:5], s[18:19]
	s_and_saveexec_b64 s[26:27], s[30:31]
	s_cbranch_execnz .LBB224_188
.LBB224_178:
	s_or_b64 exec, exec, s[26:27]
	s_and_b64 s[30:31], s[6:7], s[18:19]
	s_and_saveexec_b64 s[26:27], s[30:31]
	s_cbranch_execnz .LBB224_192
.LBB224_179:
	s_or_b64 exec, exec, s[26:27]
	s_and_b64 s[30:31], s[8:9], s[18:19]
	s_and_saveexec_b64 s[26:27], s[30:31]
	s_cbranch_execnz .LBB224_196
.LBB224_180:
	s_or_b64 exec, exec, s[26:27]
	s_and_b64 s[30:31], s[10:11], s[18:19]
	s_and_saveexec_b64 s[26:27], s[30:31]
	s_cbranch_execnz .LBB224_200
.LBB224_181:
	s_or_b64 exec, exec, s[26:27]
	s_and_b64 s[30:31], s[12:13], s[18:19]
	s_and_saveexec_b64 s[26:27], s[30:31]
	s_cbranch_execnz .LBB224_204
.LBB224_182:
	s_or_b64 exec, exec, s[26:27]
	s_and_b64 s[30:31], s[14:15], s[18:19]
	s_and_saveexec_b64 s[26:27], s[30:31]
	s_cbranch_execnz .LBB224_208
.LBB224_183:
	s_or_b64 exec, exec, s[26:27]
	s_and_b64 s[26:27], s[16:17], s[18:19]
	s_and_saveexec_b64 s[18:19], s[26:27]
	s_cbranch_execnz .LBB224_212
	s_branch .LBB224_216
.LBB224_184:
	s_and_b64 vcc, exec, s[0:1]
	s_cbranch_vccnz .LBB224_186
; %bb.185:
	v_lshl_add_u64 v[30:31], v[32:33], 1, v[28:29]
	flat_load_ushort v30, v[30:31]
	s_waitcnt vmcnt(0) lgkmcnt(0)
	v_mul_f16_e32 v30, s33, v30
	s_branch .LBB224_187
.LBB224_186:
	v_mov_b32_e32 v30, 0
.LBB224_187:
	v_pk_add_f16 v31, v16, v26
	v_pk_max_f16 v48, v91, v91
	s_nop 0
	v_pk_min_f16 v31, v48, v31
	v_pk_add_f16 v48, v17, v27
	s_nop 0
	v_pk_min_f16 v31, v31, v48
	s_nop 0
	v_lshrrev_b32_e32 v48, 16, v31
	v_min3_f16 v48, v30, v31, v48
	v_lshl_add_u64 v[30:31], v[32:33], 1, v[24:25]
	global_store_short v[30:31], v48, off
	s_or_b64 exec, exec, s[26:27]
	s_and_b64 s[30:31], s[4:5], s[18:19]
	s_and_saveexec_b64 s[26:27], s[30:31]
	s_cbranch_execz .LBB224_178
.LBB224_188:
	s_and_b64 vcc, exec, s[0:1]
	s_cbranch_vccnz .LBB224_190
; %bb.189:
	v_lshl_add_u64 v[30:31], v[34:35], 1, v[28:29]
	flat_load_ushort v30, v[30:31]
	s_waitcnt vmcnt(0) lgkmcnt(0)
	v_mul_f16_e32 v30, s33, v30
	s_branch .LBB224_191
.LBB224_190:
	v_mov_b32_e32 v30, 0
.LBB224_191:
	v_pk_add_f16 v31, v18, v26
	v_pk_max_f16 v48, v90, v90
	s_nop 0
	v_pk_min_f16 v31, v48, v31
	v_pk_add_f16 v48, v19, v27
	s_nop 0
	v_pk_min_f16 v31, v31, v48
	s_nop 0
	v_lshrrev_b32_e32 v48, 16, v31
	v_min3_f16 v48, v30, v31, v48
	v_lshl_add_u64 v[30:31], v[34:35], 1, v[24:25]
	global_store_short v[30:31], v48, off
	s_or_b64 exec, exec, s[26:27]
	s_and_b64 s[30:31], s[6:7], s[18:19]
	s_and_saveexec_b64 s[26:27], s[30:31]
	s_cbranch_execz .LBB224_179
.LBB224_192:
	s_and_b64 vcc, exec, s[0:1]
	s_cbranch_vccnz .LBB224_194
; %bb.193:
	v_lshl_add_u64 v[30:31], v[36:37], 1, v[28:29]
	flat_load_ushort v30, v[30:31]
	s_waitcnt vmcnt(0) lgkmcnt(0)
	v_mul_f16_e32 v30, s33, v30
	s_branch .LBB224_195
.LBB224_194:
	v_mov_b32_e32 v30, 0
.LBB224_195:
	v_pk_add_f16 v31, v12, v26
	v_pk_max_f16 v48, v89, v89
	s_nop 0
	v_pk_min_f16 v31, v48, v31
	v_pk_add_f16 v48, v13, v27
	s_nop 0
	v_pk_min_f16 v31, v31, v48
	s_nop 0
	v_lshrrev_b32_e32 v48, 16, v31
	v_min3_f16 v48, v30, v31, v48
	v_lshl_add_u64 v[30:31], v[36:37], 1, v[24:25]
	global_store_short v[30:31], v48, off
	s_or_b64 exec, exec, s[26:27]
	s_and_b64 s[30:31], s[8:9], s[18:19]
	s_and_saveexec_b64 s[26:27], s[30:31]
	s_cbranch_execz .LBB224_180
.LBB224_196:
	s_and_b64 vcc, exec, s[0:1]
	s_cbranch_vccnz .LBB224_198
; %bb.197:
	v_lshl_add_u64 v[30:31], v[38:39], 1, v[28:29]
	flat_load_ushort v30, v[30:31]
	s_waitcnt vmcnt(0) lgkmcnt(0)
	v_mul_f16_e32 v30, s33, v30
	s_branch .LBB224_199
.LBB224_198:
	v_mov_b32_e32 v30, 0
.LBB224_199:
	v_pk_add_f16 v31, v14, v26
	v_pk_max_f16 v48, v88, v88
	s_nop 0
	v_pk_min_f16 v31, v48, v31
	v_pk_add_f16 v48, v15, v27
	s_nop 0
	v_pk_min_f16 v31, v31, v48
	s_nop 0
	v_lshrrev_b32_e32 v48, 16, v31
	v_min3_f16 v48, v30, v31, v48
	v_lshl_add_u64 v[30:31], v[38:39], 1, v[24:25]
	global_store_short v[30:31], v48, off
	s_or_b64 exec, exec, s[26:27]
	s_and_b64 s[30:31], s[10:11], s[18:19]
	s_and_saveexec_b64 s[26:27], s[30:31]
	s_cbranch_execz .LBB224_181
.LBB224_200:
	s_and_b64 vcc, exec, s[0:1]
	s_cbranch_vccnz .LBB224_202
; %bb.201:
	v_lshl_add_u64 v[30:31], v[40:41], 1, v[28:29]
	flat_load_ushort v30, v[30:31]
	s_waitcnt vmcnt(0) lgkmcnt(0)
	v_mul_f16_e32 v30, s33, v30
	s_branch .LBB224_203
.LBB224_202:
	v_mov_b32_e32 v30, 0
.LBB224_203:
	v_pk_add_f16 v31, v8, v26
	v_pk_max_f16 v48, v87, v87
	s_nop 0
	v_pk_min_f16 v31, v48, v31
	v_pk_add_f16 v48, v9, v27
	s_nop 0
	v_pk_min_f16 v31, v31, v48
	s_nop 0
	v_lshrrev_b32_e32 v48, 16, v31
	v_min3_f16 v48, v30, v31, v48
	v_lshl_add_u64 v[30:31], v[40:41], 1, v[24:25]
	global_store_short v[30:31], v48, off
	s_or_b64 exec, exec, s[26:27]
	s_and_b64 s[30:31], s[12:13], s[18:19]
	s_and_saveexec_b64 s[26:27], s[30:31]
	s_cbranch_execz .LBB224_182
.LBB224_204:
	s_and_b64 vcc, exec, s[0:1]
	s_cbranch_vccnz .LBB224_206
; %bb.205:
	v_lshl_add_u64 v[30:31], v[42:43], 1, v[28:29]
	flat_load_ushort v30, v[30:31]
	s_waitcnt vmcnt(0) lgkmcnt(0)
	v_mul_f16_e32 v30, s33, v30
	s_branch .LBB224_207
.LBB224_206:
	v_mov_b32_e32 v30, 0
.LBB224_207:
	v_pk_add_f16 v31, v10, v26
	v_pk_max_f16 v48, v86, v86
	s_nop 0
	v_pk_min_f16 v31, v48, v31
	v_pk_add_f16 v48, v11, v27
	s_nop 0
	v_pk_min_f16 v31, v31, v48
	s_nop 0
	v_lshrrev_b32_e32 v48, 16, v31
	v_min3_f16 v48, v30, v31, v48
	v_lshl_add_u64 v[30:31], v[42:43], 1, v[24:25]
	global_store_short v[30:31], v48, off
	s_or_b64 exec, exec, s[26:27]
	s_and_b64 s[30:31], s[14:15], s[18:19]
	s_and_saveexec_b64 s[26:27], s[30:31]
	s_cbranch_execz .LBB224_183
.LBB224_208:
	s_and_b64 vcc, exec, s[0:1]
	s_cbranch_vccnz .LBB224_210
; %bb.209:
	v_lshl_add_u64 v[30:31], v[44:45], 1, v[28:29]
	flat_load_ushort v30, v[30:31]
	s_waitcnt vmcnt(0) lgkmcnt(0)
	v_mul_f16_e32 v30, s33, v30
	s_branch .LBB224_211
.LBB224_210:
	v_mov_b32_e32 v30, 0
.LBB224_211:
	v_pk_add_f16 v31, v0, v26
	v_pk_max_f16 v48, v85, v85
	s_nop 0
	v_pk_min_f16 v31, v48, v31
	v_pk_add_f16 v48, v1, v27
	s_nop 0
	v_pk_min_f16 v31, v31, v48
	s_nop 0
	v_lshrrev_b32_e32 v48, 16, v31
	v_min3_f16 v48, v30, v31, v48
	v_lshl_add_u64 v[30:31], v[44:45], 1, v[24:25]
	global_store_short v[30:31], v48, off
	s_or_b64 exec, exec, s[26:27]
	s_and_b64 s[26:27], s[16:17], s[18:19]
	s_and_saveexec_b64 s[18:19], s[26:27]
	s_cbranch_execz .LBB224_216
.LBB224_212:
	s_and_b64 vcc, exec, s[0:1]
	s_cbranch_vccnz .LBB224_214
; %bb.213:
	v_lshl_add_u64 v[28:29], v[46:47], 1, v[28:29]
	flat_load_ushort v28, v[28:29]
	s_waitcnt vmcnt(0) lgkmcnt(0)
	v_mul_f16_e32 v28, s33, v28
	s_branch .LBB224_215
.LBB224_214:
	v_mov_b32_e32 v28, 0
.LBB224_215:
	v_pk_add_f16 v26, v2, v26
	v_pk_max_f16 v29, v84, v84
	v_pk_add_f16 v27, v3, v27
	v_pk_min_f16 v26, v29, v26
	v_lshl_add_u64 v[24:25], v[46:47], 1, v[24:25]
	v_pk_min_f16 v26, v26, v27
	s_nop 0
	v_lshrrev_b32_e32 v27, 16, v26
	v_min3_f16 v26, v28, v26, v27
	global_store_short v[24:25], v26, off
.LBB224_216:
	s_or_b64 exec, exec, s[18:19]
	v_add_u32_e32 v28, 0x80, v93
	v_mad_i64_i32 v[24:25], s[26:27], v28, s29, 0
	v_cmp_gt_i32_e64 s[18:19], s21, v28
	v_lshl_add_u64 v[26:27], v[24:25], 1, s[24:25]
	v_mad_i64_i32 v[24:25], s[26:27], v28, s28, 0
	v_lshl_add_u64 v[24:25], v[24:25], 1, s[22:23]
	s_and_b64 s[30:31], s[2:3], s[18:19]
	s_and_saveexec_b64 s[26:27], s[30:31]
	s_cbranch_execnz .LBB224_224
; %bb.217:
	s_or_b64 exec, exec, s[26:27]
	s_and_b64 s[30:31], s[4:5], s[18:19]
	s_and_saveexec_b64 s[26:27], s[30:31]
	s_cbranch_execnz .LBB224_228
.LBB224_218:
	s_or_b64 exec, exec, s[26:27]
	s_and_b64 s[30:31], s[6:7], s[18:19]
	s_and_saveexec_b64 s[26:27], s[30:31]
	s_cbranch_execnz .LBB224_232
.LBB224_219:
	s_or_b64 exec, exec, s[26:27]
	s_and_b64 s[30:31], s[8:9], s[18:19]
	s_and_saveexec_b64 s[26:27], s[30:31]
	s_cbranch_execnz .LBB224_236
.LBB224_220:
	s_or_b64 exec, exec, s[26:27]
	s_and_b64 s[30:31], s[10:11], s[18:19]
	s_and_saveexec_b64 s[26:27], s[30:31]
	s_cbranch_execnz .LBB224_240
.LBB224_221:
	s_or_b64 exec, exec, s[26:27]
	s_and_b64 s[30:31], s[12:13], s[18:19]
	s_and_saveexec_b64 s[26:27], s[30:31]
	s_cbranch_execnz .LBB224_244
.LBB224_222:
	s_or_b64 exec, exec, s[26:27]
	s_and_b64 s[30:31], s[14:15], s[18:19]
	s_and_saveexec_b64 s[26:27], s[30:31]
	s_cbranch_execnz .LBB224_248
.LBB224_223:
	s_or_b64 exec, exec, s[26:27]
	s_and_b64 s[26:27], s[16:17], s[18:19]
	s_and_saveexec_b64 s[18:19], s[26:27]
	s_cbranch_execnz .LBB224_252
	s_branch .LBB224_256
.LBB224_224:
	s_and_b64 vcc, exec, s[0:1]
	s_cbranch_vccnz .LBB224_226
; %bb.225:
	v_lshl_add_u64 v[28:29], v[32:33], 1, v[26:27]
	flat_load_ushort v28, v[28:29]
	s_waitcnt vmcnt(0) lgkmcnt(0)
	v_mul_f16_e32 v28, s33, v28
	s_branch .LBB224_227
.LBB224_226:
	v_mov_b32_e32 v28, 0
.LBB224_227:
	v_pk_add_f16 v29, v16, v20
	v_pk_max_f16 v30, v83, v83
	s_nop 0
	v_pk_min_f16 v29, v30, v29
	v_pk_add_f16 v30, v17, v21
	s_nop 0
	v_pk_min_f16 v29, v29, v30
	s_nop 0
	v_lshrrev_b32_e32 v30, 16, v29
	v_min3_f16 v30, v28, v29, v30
	v_lshl_add_u64 v[28:29], v[32:33], 1, v[24:25]
	global_store_short v[28:29], v30, off
	s_or_b64 exec, exec, s[26:27]
	s_and_b64 s[30:31], s[4:5], s[18:19]
	s_and_saveexec_b64 s[26:27], s[30:31]
	s_cbranch_execz .LBB224_218
.LBB224_228:
	s_and_b64 vcc, exec, s[0:1]
	s_cbranch_vccnz .LBB224_230
; %bb.229:
	v_lshl_add_u64 v[28:29], v[34:35], 1, v[26:27]
	flat_load_ushort v28, v[28:29]
	s_waitcnt vmcnt(0) lgkmcnt(0)
	v_mul_f16_e32 v28, s33, v28
	s_branch .LBB224_231
.LBB224_230:
	v_mov_b32_e32 v28, 0
.LBB224_231:
	v_pk_add_f16 v29, v18, v20
	v_pk_max_f16 v30, v82, v82
	s_nop 0
	v_pk_min_f16 v29, v30, v29
	v_pk_add_f16 v30, v19, v21
	s_nop 0
	v_pk_min_f16 v29, v29, v30
	s_nop 0
	v_lshrrev_b32_e32 v30, 16, v29
	v_min3_f16 v30, v28, v29, v30
	v_lshl_add_u64 v[28:29], v[34:35], 1, v[24:25]
	global_store_short v[28:29], v30, off
	s_or_b64 exec, exec, s[26:27]
	s_and_b64 s[30:31], s[6:7], s[18:19]
	s_and_saveexec_b64 s[26:27], s[30:31]
	s_cbranch_execz .LBB224_219
.LBB224_232:
	s_and_b64 vcc, exec, s[0:1]
	s_cbranch_vccnz .LBB224_234
; %bb.233:
	v_lshl_add_u64 v[28:29], v[36:37], 1, v[26:27]
	flat_load_ushort v28, v[28:29]
	s_waitcnt vmcnt(0) lgkmcnt(0)
	v_mul_f16_e32 v28, s33, v28
	s_branch .LBB224_235
.LBB224_234:
	v_mov_b32_e32 v28, 0
.LBB224_235:
	v_pk_add_f16 v29, v12, v20
	v_pk_max_f16 v30, v81, v81
	s_nop 0
	v_pk_min_f16 v29, v30, v29
	v_pk_add_f16 v30, v13, v21
	s_nop 0
	v_pk_min_f16 v29, v29, v30
	s_nop 0
	v_lshrrev_b32_e32 v30, 16, v29
	v_min3_f16 v30, v28, v29, v30
	v_lshl_add_u64 v[28:29], v[36:37], 1, v[24:25]
	global_store_short v[28:29], v30, off
	s_or_b64 exec, exec, s[26:27]
	s_and_b64 s[30:31], s[8:9], s[18:19]
	s_and_saveexec_b64 s[26:27], s[30:31]
	s_cbranch_execz .LBB224_220
.LBB224_236:
	s_and_b64 vcc, exec, s[0:1]
	s_cbranch_vccnz .LBB224_238
; %bb.237:
	v_lshl_add_u64 v[28:29], v[38:39], 1, v[26:27]
	flat_load_ushort v28, v[28:29]
	s_waitcnt vmcnt(0) lgkmcnt(0)
	v_mul_f16_e32 v28, s33, v28
	s_branch .LBB224_239
.LBB224_238:
	v_mov_b32_e32 v28, 0
.LBB224_239:
	v_pk_add_f16 v29, v14, v20
	v_pk_max_f16 v30, v80, v80
	s_nop 0
	v_pk_min_f16 v29, v30, v29
	v_pk_add_f16 v30, v15, v21
	s_nop 0
	v_pk_min_f16 v29, v29, v30
	s_nop 0
	v_lshrrev_b32_e32 v30, 16, v29
	v_min3_f16 v30, v28, v29, v30
	v_lshl_add_u64 v[28:29], v[38:39], 1, v[24:25]
	global_store_short v[28:29], v30, off
	s_or_b64 exec, exec, s[26:27]
	s_and_b64 s[30:31], s[10:11], s[18:19]
	s_and_saveexec_b64 s[26:27], s[30:31]
	s_cbranch_execz .LBB224_221
.LBB224_240:
	s_and_b64 vcc, exec, s[0:1]
	s_cbranch_vccnz .LBB224_242
; %bb.241:
	v_lshl_add_u64 v[28:29], v[40:41], 1, v[26:27]
	flat_load_ushort v28, v[28:29]
	s_waitcnt vmcnt(0) lgkmcnt(0)
	v_mul_f16_e32 v28, s33, v28
	s_branch .LBB224_243
.LBB224_242:
	v_mov_b32_e32 v28, 0
.LBB224_243:
	v_pk_add_f16 v29, v8, v20
	v_pk_max_f16 v30, v79, v79
	s_nop 0
	v_pk_min_f16 v29, v30, v29
	v_pk_add_f16 v30, v9, v21
	s_nop 0
	v_pk_min_f16 v29, v29, v30
	s_nop 0
	v_lshrrev_b32_e32 v30, 16, v29
	v_min3_f16 v30, v28, v29, v30
	v_lshl_add_u64 v[28:29], v[40:41], 1, v[24:25]
	global_store_short v[28:29], v30, off
	s_or_b64 exec, exec, s[26:27]
	s_and_b64 s[30:31], s[12:13], s[18:19]
	s_and_saveexec_b64 s[26:27], s[30:31]
	s_cbranch_execz .LBB224_222
.LBB224_244:
	s_and_b64 vcc, exec, s[0:1]
	s_cbranch_vccnz .LBB224_246
; %bb.245:
	v_lshl_add_u64 v[28:29], v[42:43], 1, v[26:27]
	flat_load_ushort v28, v[28:29]
	s_waitcnt vmcnt(0) lgkmcnt(0)
	v_mul_f16_e32 v28, s33, v28
	s_branch .LBB224_247
.LBB224_246:
	v_mov_b32_e32 v28, 0
.LBB224_247:
	v_pk_add_f16 v29, v10, v20
	v_pk_max_f16 v30, v78, v78
	s_nop 0
	v_pk_min_f16 v29, v30, v29
	v_pk_add_f16 v30, v11, v21
	s_nop 0
	v_pk_min_f16 v29, v29, v30
	s_nop 0
	v_lshrrev_b32_e32 v30, 16, v29
	v_min3_f16 v30, v28, v29, v30
	v_lshl_add_u64 v[28:29], v[42:43], 1, v[24:25]
	global_store_short v[28:29], v30, off
	s_or_b64 exec, exec, s[26:27]
	s_and_b64 s[30:31], s[14:15], s[18:19]
	s_and_saveexec_b64 s[26:27], s[30:31]
	s_cbranch_execz .LBB224_223
.LBB224_248:
	s_and_b64 vcc, exec, s[0:1]
	s_cbranch_vccnz .LBB224_250
; %bb.249:
	v_lshl_add_u64 v[28:29], v[44:45], 1, v[26:27]
	flat_load_ushort v28, v[28:29]
	s_waitcnt vmcnt(0) lgkmcnt(0)
	v_mul_f16_e32 v28, s33, v28
	s_branch .LBB224_251
.LBB224_250:
	v_mov_b32_e32 v28, 0
.LBB224_251:
	v_pk_add_f16 v29, v0, v20
	v_pk_max_f16 v30, v77, v77
	s_nop 0
	v_pk_min_f16 v29, v30, v29
	v_pk_add_f16 v30, v1, v21
	s_nop 0
	v_pk_min_f16 v29, v29, v30
	s_nop 0
	v_lshrrev_b32_e32 v30, 16, v29
	v_min3_f16 v30, v28, v29, v30
	v_lshl_add_u64 v[28:29], v[44:45], 1, v[24:25]
	global_store_short v[28:29], v30, off
	s_or_b64 exec, exec, s[26:27]
	s_and_b64 s[26:27], s[16:17], s[18:19]
	s_and_saveexec_b64 s[18:19], s[26:27]
	s_cbranch_execz .LBB224_256
.LBB224_252:
	s_and_b64 vcc, exec, s[0:1]
	s_cbranch_vccnz .LBB224_254
; %bb.253:
	v_lshl_add_u64 v[26:27], v[46:47], 1, v[26:27]
	flat_load_ushort v26, v[26:27]
	s_waitcnt vmcnt(0) lgkmcnt(0)
	v_mul_f16_e32 v26, s33, v26
	s_branch .LBB224_255
.LBB224_254:
	v_mov_b32_e32 v26, 0
.LBB224_255:
	v_pk_add_f16 v20, v2, v20
	v_pk_max_f16 v27, v76, v76
	v_pk_add_f16 v21, v3, v21
	v_pk_min_f16 v20, v27, v20
	s_nop 0
	v_pk_min_f16 v20, v20, v21
	s_nop 0
	v_lshrrev_b32_e32 v21, 16, v20
	v_min3_f16 v26, v26, v20, v21
	v_lshl_add_u64 v[20:21], v[46:47], 1, v[24:25]
	global_store_short v[20:21], v26, off
.LBB224_256:
	s_or_b64 exec, exec, s[18:19]
	v_add_u32_e32 v26, 0xa0, v93
	v_mad_i64_i32 v[20:21], s[26:27], v26, s29, 0
	v_cmp_gt_i32_e64 s[18:19], s21, v26
	v_lshl_add_u64 v[24:25], v[20:21], 1, s[24:25]
	v_mad_i64_i32 v[20:21], s[26:27], v26, s28, 0
	v_lshl_add_u64 v[20:21], v[20:21], 1, s[22:23]
	s_and_b64 s[30:31], s[2:3], s[18:19]
	s_and_saveexec_b64 s[26:27], s[30:31]
	s_cbranch_execnz .LBB224_264
; %bb.257:
	s_or_b64 exec, exec, s[26:27]
	s_and_b64 s[30:31], s[4:5], s[18:19]
	s_and_saveexec_b64 s[26:27], s[30:31]
	s_cbranch_execnz .LBB224_268
.LBB224_258:
	s_or_b64 exec, exec, s[26:27]
	s_and_b64 s[30:31], s[6:7], s[18:19]
	s_and_saveexec_b64 s[26:27], s[30:31]
	s_cbranch_execnz .LBB224_272
.LBB224_259:
	s_or_b64 exec, exec, s[26:27]
	s_and_b64 s[30:31], s[8:9], s[18:19]
	s_and_saveexec_b64 s[26:27], s[30:31]
	s_cbranch_execnz .LBB224_276
.LBB224_260:
	s_or_b64 exec, exec, s[26:27]
	s_and_b64 s[30:31], s[10:11], s[18:19]
	s_and_saveexec_b64 s[26:27], s[30:31]
	s_cbranch_execnz .LBB224_280
.LBB224_261:
	s_or_b64 exec, exec, s[26:27]
	s_and_b64 s[30:31], s[12:13], s[18:19]
	s_and_saveexec_b64 s[26:27], s[30:31]
	s_cbranch_execnz .LBB224_284
.LBB224_262:
	s_or_b64 exec, exec, s[26:27]
	s_and_b64 s[30:31], s[14:15], s[18:19]
	s_and_saveexec_b64 s[26:27], s[30:31]
	s_cbranch_execnz .LBB224_288
.LBB224_263:
	s_or_b64 exec, exec, s[26:27]
	s_and_b64 s[26:27], s[16:17], s[18:19]
	s_and_saveexec_b64 s[18:19], s[26:27]
	s_cbranch_execnz .LBB224_292
	s_branch .LBB224_296
.LBB224_264:
	s_and_b64 vcc, exec, s[0:1]
	s_cbranch_vccnz .LBB224_266
; %bb.265:
	v_lshl_add_u64 v[26:27], v[32:33], 1, v[24:25]
	flat_load_ushort v26, v[26:27]
	s_waitcnt vmcnt(0) lgkmcnt(0)
	v_mul_f16_e32 v26, s33, v26
	s_branch .LBB224_267
.LBB224_266:
	v_mov_b32_e32 v26, 0
.LBB224_267:
	v_pk_add_f16 v27, v16, v22
	v_pk_max_f16 v28, v75, v75
	s_nop 0
	v_pk_min_f16 v27, v28, v27
	v_pk_add_f16 v28, v17, v23
	s_nop 0
	v_pk_min_f16 v27, v27, v28
	s_nop 0
	v_lshrrev_b32_e32 v28, 16, v27
	v_min3_f16 v28, v26, v27, v28
	v_lshl_add_u64 v[26:27], v[32:33], 1, v[20:21]
	global_store_short v[26:27], v28, off
	s_or_b64 exec, exec, s[26:27]
	s_and_b64 s[30:31], s[4:5], s[18:19]
	s_and_saveexec_b64 s[26:27], s[30:31]
	s_cbranch_execz .LBB224_258
.LBB224_268:
	s_and_b64 vcc, exec, s[0:1]
	s_cbranch_vccnz .LBB224_270
; %bb.269:
	v_lshl_add_u64 v[26:27], v[34:35], 1, v[24:25]
	flat_load_ushort v26, v[26:27]
	s_waitcnt vmcnt(0) lgkmcnt(0)
	v_mul_f16_e32 v26, s33, v26
	s_branch .LBB224_271
.LBB224_270:
	v_mov_b32_e32 v26, 0
.LBB224_271:
	v_pk_add_f16 v27, v18, v22
	v_pk_max_f16 v28, v74, v74
	s_nop 0
	v_pk_min_f16 v27, v28, v27
	v_pk_add_f16 v28, v19, v23
	s_nop 0
	v_pk_min_f16 v27, v27, v28
	s_nop 0
	v_lshrrev_b32_e32 v28, 16, v27
	v_min3_f16 v28, v26, v27, v28
	v_lshl_add_u64 v[26:27], v[34:35], 1, v[20:21]
	global_store_short v[26:27], v28, off
	s_or_b64 exec, exec, s[26:27]
	s_and_b64 s[30:31], s[6:7], s[18:19]
	s_and_saveexec_b64 s[26:27], s[30:31]
	s_cbranch_execz .LBB224_259
.LBB224_272:
	s_and_b64 vcc, exec, s[0:1]
	s_cbranch_vccnz .LBB224_274
; %bb.273:
	v_lshl_add_u64 v[26:27], v[36:37], 1, v[24:25]
	flat_load_ushort v26, v[26:27]
	s_waitcnt vmcnt(0) lgkmcnt(0)
	v_mul_f16_e32 v26, s33, v26
	s_branch .LBB224_275
.LBB224_274:
	v_mov_b32_e32 v26, 0
.LBB224_275:
	v_pk_add_f16 v27, v12, v22
	v_pk_max_f16 v28, v73, v73
	s_nop 0
	v_pk_min_f16 v27, v28, v27
	v_pk_add_f16 v28, v13, v23
	s_nop 0
	v_pk_min_f16 v27, v27, v28
	s_nop 0
	v_lshrrev_b32_e32 v28, 16, v27
	v_min3_f16 v28, v26, v27, v28
	v_lshl_add_u64 v[26:27], v[36:37], 1, v[20:21]
	global_store_short v[26:27], v28, off
	s_or_b64 exec, exec, s[26:27]
	s_and_b64 s[30:31], s[8:9], s[18:19]
	s_and_saveexec_b64 s[26:27], s[30:31]
	s_cbranch_execz .LBB224_260
.LBB224_276:
	s_and_b64 vcc, exec, s[0:1]
	s_cbranch_vccnz .LBB224_278
; %bb.277:
	v_lshl_add_u64 v[26:27], v[38:39], 1, v[24:25]
	flat_load_ushort v26, v[26:27]
	s_waitcnt vmcnt(0) lgkmcnt(0)
	v_mul_f16_e32 v26, s33, v26
	s_branch .LBB224_279
.LBB224_278:
	v_mov_b32_e32 v26, 0
.LBB224_279:
	v_pk_add_f16 v27, v14, v22
	v_pk_max_f16 v28, v72, v72
	s_nop 0
	v_pk_min_f16 v27, v28, v27
	v_pk_add_f16 v28, v15, v23
	s_nop 0
	v_pk_min_f16 v27, v27, v28
	s_nop 0
	v_lshrrev_b32_e32 v28, 16, v27
	v_min3_f16 v28, v26, v27, v28
	v_lshl_add_u64 v[26:27], v[38:39], 1, v[20:21]
	global_store_short v[26:27], v28, off
	s_or_b64 exec, exec, s[26:27]
	s_and_b64 s[30:31], s[10:11], s[18:19]
	s_and_saveexec_b64 s[26:27], s[30:31]
	s_cbranch_execz .LBB224_261
.LBB224_280:
	s_and_b64 vcc, exec, s[0:1]
	s_cbranch_vccnz .LBB224_282
; %bb.281:
	v_lshl_add_u64 v[26:27], v[40:41], 1, v[24:25]
	flat_load_ushort v26, v[26:27]
	s_waitcnt vmcnt(0) lgkmcnt(0)
	v_mul_f16_e32 v26, s33, v26
	s_branch .LBB224_283
.LBB224_282:
	v_mov_b32_e32 v26, 0
.LBB224_283:
	v_pk_add_f16 v27, v8, v22
	v_pk_max_f16 v28, v71, v71
	s_nop 0
	v_pk_min_f16 v27, v28, v27
	v_pk_add_f16 v28, v9, v23
	s_nop 0
	v_pk_min_f16 v27, v27, v28
	s_nop 0
	v_lshrrev_b32_e32 v28, 16, v27
	v_min3_f16 v28, v26, v27, v28
	v_lshl_add_u64 v[26:27], v[40:41], 1, v[20:21]
	global_store_short v[26:27], v28, off
	s_or_b64 exec, exec, s[26:27]
	s_and_b64 s[30:31], s[12:13], s[18:19]
	s_and_saveexec_b64 s[26:27], s[30:31]
	s_cbranch_execz .LBB224_262
.LBB224_284:
	s_and_b64 vcc, exec, s[0:1]
	s_cbranch_vccnz .LBB224_286
; %bb.285:
	v_lshl_add_u64 v[26:27], v[42:43], 1, v[24:25]
	flat_load_ushort v26, v[26:27]
	s_waitcnt vmcnt(0) lgkmcnt(0)
	v_mul_f16_e32 v26, s33, v26
	s_branch .LBB224_287
.LBB224_286:
	v_mov_b32_e32 v26, 0
.LBB224_287:
	v_pk_add_f16 v27, v10, v22
	v_pk_max_f16 v28, v70, v70
	s_nop 0
	v_pk_min_f16 v27, v28, v27
	v_pk_add_f16 v28, v11, v23
	s_nop 0
	v_pk_min_f16 v27, v27, v28
	s_nop 0
	v_lshrrev_b32_e32 v28, 16, v27
	v_min3_f16 v28, v26, v27, v28
	v_lshl_add_u64 v[26:27], v[42:43], 1, v[20:21]
	global_store_short v[26:27], v28, off
	s_or_b64 exec, exec, s[26:27]
	s_and_b64 s[30:31], s[14:15], s[18:19]
	s_and_saveexec_b64 s[26:27], s[30:31]
	s_cbranch_execz .LBB224_263
.LBB224_288:
	s_and_b64 vcc, exec, s[0:1]
	s_cbranch_vccnz .LBB224_290
; %bb.289:
	v_lshl_add_u64 v[26:27], v[44:45], 1, v[24:25]
	flat_load_ushort v26, v[26:27]
	s_waitcnt vmcnt(0) lgkmcnt(0)
	v_mul_f16_e32 v26, s33, v26
	s_branch .LBB224_291
.LBB224_290:
	v_mov_b32_e32 v26, 0
.LBB224_291:
	v_pk_add_f16 v27, v0, v22
	v_pk_max_f16 v28, v69, v69
	s_nop 0
	v_pk_min_f16 v27, v28, v27
	v_pk_add_f16 v28, v1, v23
	s_nop 0
	v_pk_min_f16 v27, v27, v28
	s_nop 0
	v_lshrrev_b32_e32 v28, 16, v27
	v_min3_f16 v28, v26, v27, v28
	v_lshl_add_u64 v[26:27], v[44:45], 1, v[20:21]
	global_store_short v[26:27], v28, off
	s_or_b64 exec, exec, s[26:27]
	s_and_b64 s[26:27], s[16:17], s[18:19]
	s_and_saveexec_b64 s[18:19], s[26:27]
	s_cbranch_execz .LBB224_296
.LBB224_292:
	s_and_b64 vcc, exec, s[0:1]
	s_cbranch_vccnz .LBB224_294
; %bb.293:
	v_lshl_add_u64 v[24:25], v[46:47], 1, v[24:25]
	flat_load_ushort v24, v[24:25]
	s_waitcnt vmcnt(0) lgkmcnt(0)
	v_mul_f16_e32 v24, s33, v24
	s_branch .LBB224_295
.LBB224_294:
	v_mov_b32_e32 v24, 0
.LBB224_295:
	v_pk_add_f16 v22, v2, v22
	v_pk_max_f16 v25, v68, v68
	v_pk_add_f16 v23, v3, v23
	v_pk_min_f16 v22, v25, v22
	v_lshl_add_u64 v[20:21], v[46:47], 1, v[20:21]
	v_pk_min_f16 v22, v22, v23
	s_nop 0
	v_lshrrev_b32_e32 v23, 16, v22
	v_min3_f16 v22, v24, v22, v23
	global_store_short v[20:21], v22, off
.LBB224_296:
	s_or_b64 exec, exec, s[18:19]
	v_add_u32_e32 v24, 0xc0, v93
	v_mad_i64_i32 v[20:21], s[26:27], v24, s29, 0
	v_cmp_gt_i32_e64 s[18:19], s21, v24
	v_lshl_add_u64 v[22:23], v[20:21], 1, s[24:25]
	v_mad_i64_i32 v[20:21], s[26:27], v24, s28, 0
	v_lshl_add_u64 v[20:21], v[20:21], 1, s[22:23]
	s_and_b64 s[30:31], s[2:3], s[18:19]
	s_and_saveexec_b64 s[26:27], s[30:31]
	s_cbranch_execnz .LBB224_304
; %bb.297:
	s_or_b64 exec, exec, s[26:27]
	s_and_b64 s[30:31], s[4:5], s[18:19]
	s_and_saveexec_b64 s[26:27], s[30:31]
	s_cbranch_execnz .LBB224_308
.LBB224_298:
	s_or_b64 exec, exec, s[26:27]
	s_and_b64 s[30:31], s[6:7], s[18:19]
	s_and_saveexec_b64 s[26:27], s[30:31]
	s_cbranch_execnz .LBB224_312
.LBB224_299:
	s_or_b64 exec, exec, s[26:27]
	s_and_b64 s[30:31], s[8:9], s[18:19]
	s_and_saveexec_b64 s[26:27], s[30:31]
	s_cbranch_execnz .LBB224_316
.LBB224_300:
	s_or_b64 exec, exec, s[26:27]
	s_and_b64 s[30:31], s[10:11], s[18:19]
	s_and_saveexec_b64 s[26:27], s[30:31]
	s_cbranch_execnz .LBB224_320
.LBB224_301:
	s_or_b64 exec, exec, s[26:27]
	s_and_b64 s[30:31], s[12:13], s[18:19]
	s_and_saveexec_b64 s[26:27], s[30:31]
	s_cbranch_execnz .LBB224_324
.LBB224_302:
	s_or_b64 exec, exec, s[26:27]
	s_and_b64 s[30:31], s[14:15], s[18:19]
	s_and_saveexec_b64 s[26:27], s[30:31]
	s_cbranch_execnz .LBB224_328
.LBB224_303:
	s_or_b64 exec, exec, s[26:27]
	s_and_b64 s[26:27], s[16:17], s[18:19]
	s_and_saveexec_b64 s[18:19], s[26:27]
	s_cbranch_execnz .LBB224_332
	s_branch .LBB224_336
.LBB224_304:
	s_and_b64 vcc, exec, s[0:1]
	s_cbranch_vccnz .LBB224_306
; %bb.305:
	v_lshl_add_u64 v[24:25], v[32:33], 1, v[22:23]
	flat_load_ushort v24, v[24:25]
	s_waitcnt vmcnt(0) lgkmcnt(0)
	v_mul_f16_e32 v24, s33, v24
	s_branch .LBB224_307
.LBB224_306:
	v_mov_b32_e32 v24, 0
.LBB224_307:
	v_pk_add_f16 v25, v16, v4
	v_pk_max_f16 v26, v67, v67
	s_nop 0
	v_pk_min_f16 v25, v26, v25
	v_pk_add_f16 v26, v17, v5
	s_nop 0
	v_pk_min_f16 v25, v25, v26
	s_nop 0
	v_lshrrev_b32_e32 v26, 16, v25
	v_min3_f16 v26, v24, v25, v26
	v_lshl_add_u64 v[24:25], v[32:33], 1, v[20:21]
	global_store_short v[24:25], v26, off
	s_or_b64 exec, exec, s[26:27]
	s_and_b64 s[30:31], s[4:5], s[18:19]
	s_and_saveexec_b64 s[26:27], s[30:31]
	s_cbranch_execz .LBB224_298
.LBB224_308:
	s_and_b64 vcc, exec, s[0:1]
	s_cbranch_vccnz .LBB224_310
; %bb.309:
	v_lshl_add_u64 v[24:25], v[34:35], 1, v[22:23]
	flat_load_ushort v24, v[24:25]
	s_waitcnt vmcnt(0) lgkmcnt(0)
	v_mul_f16_e32 v24, s33, v24
	s_branch .LBB224_311
.LBB224_310:
	v_mov_b32_e32 v24, 0
.LBB224_311:
	v_pk_add_f16 v25, v18, v4
	v_pk_max_f16 v26, v66, v66
	s_nop 0
	v_pk_min_f16 v25, v26, v25
	v_pk_add_f16 v26, v19, v5
	s_nop 0
	v_pk_min_f16 v25, v25, v26
	s_nop 0
	v_lshrrev_b32_e32 v26, 16, v25
	v_min3_f16 v26, v24, v25, v26
	v_lshl_add_u64 v[24:25], v[34:35], 1, v[20:21]
	global_store_short v[24:25], v26, off
	s_or_b64 exec, exec, s[26:27]
	s_and_b64 s[30:31], s[6:7], s[18:19]
	s_and_saveexec_b64 s[26:27], s[30:31]
	s_cbranch_execz .LBB224_299
.LBB224_312:
	s_and_b64 vcc, exec, s[0:1]
	s_cbranch_vccnz .LBB224_314
; %bb.313:
	v_lshl_add_u64 v[24:25], v[36:37], 1, v[22:23]
	flat_load_ushort v24, v[24:25]
	s_waitcnt vmcnt(0) lgkmcnt(0)
	v_mul_f16_e32 v24, s33, v24
	s_branch .LBB224_315
.LBB224_314:
	v_mov_b32_e32 v24, 0
.LBB224_315:
	v_pk_add_f16 v25, v12, v4
	v_pk_max_f16 v26, v65, v65
	s_nop 0
	v_pk_min_f16 v25, v26, v25
	v_pk_add_f16 v26, v13, v5
	s_nop 0
	v_pk_min_f16 v25, v25, v26
	s_nop 0
	v_lshrrev_b32_e32 v26, 16, v25
	v_min3_f16 v26, v24, v25, v26
	v_lshl_add_u64 v[24:25], v[36:37], 1, v[20:21]
	global_store_short v[24:25], v26, off
	s_or_b64 exec, exec, s[26:27]
	s_and_b64 s[30:31], s[8:9], s[18:19]
	s_and_saveexec_b64 s[26:27], s[30:31]
	s_cbranch_execz .LBB224_300
.LBB224_316:
	s_and_b64 vcc, exec, s[0:1]
	s_cbranch_vccnz .LBB224_318
; %bb.317:
	v_lshl_add_u64 v[24:25], v[38:39], 1, v[22:23]
	flat_load_ushort v24, v[24:25]
	s_waitcnt vmcnt(0) lgkmcnt(0)
	v_mul_f16_e32 v24, s33, v24
	s_branch .LBB224_319
.LBB224_318:
	v_mov_b32_e32 v24, 0
.LBB224_319:
	v_pk_add_f16 v25, v14, v4
	v_pk_max_f16 v26, v64, v64
	s_nop 0
	v_pk_min_f16 v25, v26, v25
	v_pk_add_f16 v26, v15, v5
	s_nop 0
	v_pk_min_f16 v25, v25, v26
	s_nop 0
	v_lshrrev_b32_e32 v26, 16, v25
	v_min3_f16 v26, v24, v25, v26
	v_lshl_add_u64 v[24:25], v[38:39], 1, v[20:21]
	global_store_short v[24:25], v26, off
	s_or_b64 exec, exec, s[26:27]
	s_and_b64 s[30:31], s[10:11], s[18:19]
	s_and_saveexec_b64 s[26:27], s[30:31]
	s_cbranch_execz .LBB224_301
.LBB224_320:
	s_and_b64 vcc, exec, s[0:1]
	s_cbranch_vccnz .LBB224_322
; %bb.321:
	v_lshl_add_u64 v[24:25], v[40:41], 1, v[22:23]
	flat_load_ushort v24, v[24:25]
	s_waitcnt vmcnt(0) lgkmcnt(0)
	v_mul_f16_e32 v24, s33, v24
	s_branch .LBB224_323
.LBB224_322:
	v_mov_b32_e32 v24, 0
.LBB224_323:
	v_pk_add_f16 v25, v8, v4
	v_pk_max_f16 v26, v63, v63
	s_nop 0
	v_pk_min_f16 v25, v26, v25
	v_pk_add_f16 v26, v9, v5
	s_nop 0
	v_pk_min_f16 v25, v25, v26
	s_nop 0
	v_lshrrev_b32_e32 v26, 16, v25
	v_min3_f16 v26, v24, v25, v26
	v_lshl_add_u64 v[24:25], v[40:41], 1, v[20:21]
	global_store_short v[24:25], v26, off
	s_or_b64 exec, exec, s[26:27]
	s_and_b64 s[30:31], s[12:13], s[18:19]
	s_and_saveexec_b64 s[26:27], s[30:31]
	s_cbranch_execz .LBB224_302
.LBB224_324:
	s_and_b64 vcc, exec, s[0:1]
	s_cbranch_vccnz .LBB224_326
; %bb.325:
	v_lshl_add_u64 v[24:25], v[42:43], 1, v[22:23]
	flat_load_ushort v24, v[24:25]
	s_waitcnt vmcnt(0) lgkmcnt(0)
	v_mul_f16_e32 v24, s33, v24
	s_branch .LBB224_327
.LBB224_326:
	v_mov_b32_e32 v24, 0
.LBB224_327:
	v_pk_add_f16 v25, v10, v4
	v_pk_max_f16 v26, v62, v62
	s_nop 0
	v_pk_min_f16 v25, v26, v25
	v_pk_add_f16 v26, v11, v5
	s_nop 0
	v_pk_min_f16 v25, v25, v26
	s_nop 0
	v_lshrrev_b32_e32 v26, 16, v25
	v_min3_f16 v26, v24, v25, v26
	v_lshl_add_u64 v[24:25], v[42:43], 1, v[20:21]
	global_store_short v[24:25], v26, off
	s_or_b64 exec, exec, s[26:27]
	s_and_b64 s[30:31], s[14:15], s[18:19]
	s_and_saveexec_b64 s[26:27], s[30:31]
	s_cbranch_execz .LBB224_303
.LBB224_328:
	s_and_b64 vcc, exec, s[0:1]
	s_cbranch_vccnz .LBB224_330
; %bb.329:
	v_lshl_add_u64 v[24:25], v[44:45], 1, v[22:23]
	flat_load_ushort v24, v[24:25]
	s_waitcnt vmcnt(0) lgkmcnt(0)
	v_mul_f16_e32 v24, s33, v24
	s_branch .LBB224_331
.LBB224_330:
	v_mov_b32_e32 v24, 0
.LBB224_331:
	v_pk_add_f16 v25, v0, v4
	v_pk_max_f16 v26, v61, v61
	s_nop 0
	v_pk_min_f16 v25, v26, v25
	v_pk_add_f16 v26, v1, v5
	s_nop 0
	v_pk_min_f16 v25, v25, v26
	s_nop 0
	v_lshrrev_b32_e32 v26, 16, v25
	v_min3_f16 v26, v24, v25, v26
	v_lshl_add_u64 v[24:25], v[44:45], 1, v[20:21]
	global_store_short v[24:25], v26, off
	s_or_b64 exec, exec, s[26:27]
	s_and_b64 s[26:27], s[16:17], s[18:19]
	s_and_saveexec_b64 s[18:19], s[26:27]
	s_cbranch_execz .LBB224_336
.LBB224_332:
	s_and_b64 vcc, exec, s[0:1]
	s_cbranch_vccnz .LBB224_334
; %bb.333:
	v_lshl_add_u64 v[22:23], v[46:47], 1, v[22:23]
	flat_load_ushort v22, v[22:23]
	s_waitcnt vmcnt(0) lgkmcnt(0)
	v_mul_f16_e32 v22, s33, v22
	s_branch .LBB224_335
.LBB224_334:
	v_mov_b32_e32 v22, 0
.LBB224_335:
	v_pk_add_f16 v4, v2, v4
	v_pk_max_f16 v23, v60, v60
	v_pk_add_f16 v5, v3, v5
	v_pk_min_f16 v4, v23, v4
	s_nop 0
	v_pk_min_f16 v4, v4, v5
	s_nop 0
	v_lshrrev_b32_e32 v5, 16, v4
	v_min3_f16 v22, v22, v4, v5
	v_lshl_add_u64 v[4:5], v[46:47], 1, v[20:21]
	global_store_short v[4:5], v22, off
.LBB224_336:
	s_or_b64 exec, exec, s[18:19]
	v_add_u32_e32 v22, 0xe0, v93
	v_cmp_gt_i32_e64 s[18:19], s21, v22
	v_mad_i64_i32 v[4:5], s[20:21], v22, s29, 0
	v_lshl_add_u64 v[20:21], v[4:5], 1, s[24:25]
	v_mad_i64_i32 v[4:5], s[20:21], v22, s28, 0
	v_lshl_add_u64 v[4:5], v[4:5], 1, s[22:23]
	s_and_b64 s[20:21], s[2:3], s[18:19]
	s_and_saveexec_b64 s[2:3], s[20:21]
	s_cbranch_execnz .LBB224_345
; %bb.337:
	s_or_b64 exec, exec, s[2:3]
	s_and_b64 s[4:5], s[4:5], s[18:19]
	s_and_saveexec_b64 s[2:3], s[4:5]
	s_cbranch_execnz .LBB224_349
.LBB224_338:
	s_or_b64 exec, exec, s[2:3]
	s_and_b64 s[4:5], s[6:7], s[18:19]
	s_and_saveexec_b64 s[2:3], s[4:5]
	s_cbranch_execnz .LBB224_353
.LBB224_339:
	s_or_b64 exec, exec, s[2:3]
	s_and_b64 s[4:5], s[8:9], s[18:19]
	s_and_saveexec_b64 s[2:3], s[4:5]
	s_cbranch_execnz .LBB224_357
.LBB224_340:
	s_or_b64 exec, exec, s[2:3]
	s_and_b64 s[4:5], s[10:11], s[18:19]
	s_and_saveexec_b64 s[2:3], s[4:5]
	s_cbranch_execnz .LBB224_361
.LBB224_341:
	s_or_b64 exec, exec, s[2:3]
	s_and_b64 s[4:5], s[12:13], s[18:19]
	s_and_saveexec_b64 s[2:3], s[4:5]
	s_cbranch_execnz .LBB224_365
.LBB224_342:
	s_or_b64 exec, exec, s[2:3]
	s_and_b64 s[4:5], s[14:15], s[18:19]
	s_and_saveexec_b64 s[2:3], s[4:5]
	s_cbranch_execnz .LBB224_369
.LBB224_343:
	s_or_b64 exec, exec, s[2:3]
	s_and_b64 s[2:3], s[16:17], s[18:19]
	s_and_saveexec_b64 s[4:5], s[2:3]
	s_cbranch_execnz .LBB224_373
.LBB224_344:
	s_endpgm
.LBB224_345:
	s_and_b64 vcc, exec, s[0:1]
	s_cbranch_vccnz .LBB224_347
; %bb.346:
	v_lshl_add_u64 v[22:23], v[32:33], 1, v[20:21]
	flat_load_ushort v22, v[22:23]
	s_waitcnt vmcnt(0) lgkmcnt(0)
	v_mul_f16_e32 v22, s33, v22
	s_branch .LBB224_348
.LBB224_347:
	v_mov_b32_e32 v22, 0
.LBB224_348:
	v_pk_add_f16 v16, v16, v6
	v_pk_max_f16 v23, v59, v59
	v_pk_add_f16 v17, v17, v7
	v_pk_min_f16 v16, v23, v16
	s_nop 0
	v_pk_min_f16 v16, v16, v17
	s_nop 0
	v_lshrrev_b32_e32 v17, 16, v16
	v_min3_f16 v22, v22, v16, v17
	v_lshl_add_u64 v[16:17], v[32:33], 1, v[4:5]
	global_store_short v[16:17], v22, off
	s_or_b64 exec, exec, s[2:3]
	s_and_b64 s[4:5], s[4:5], s[18:19]
	s_and_saveexec_b64 s[2:3], s[4:5]
	s_cbranch_execz .LBB224_338
.LBB224_349:
	s_and_b64 vcc, exec, s[0:1]
	s_cbranch_vccnz .LBB224_351
; %bb.350:
	v_lshl_add_u64 v[16:17], v[34:35], 1, v[20:21]
	flat_load_ushort v16, v[16:17]
	s_waitcnt vmcnt(0) lgkmcnt(0)
	v_mul_f16_e32 v16, s33, v16
	s_branch .LBB224_352
.LBB224_351:
	v_mov_b32_e32 v16, 0
.LBB224_352:
	v_pk_add_f16 v17, v18, v6
	v_pk_max_f16 v18, v58, v58
	s_nop 0
	v_pk_min_f16 v17, v18, v17
	v_pk_add_f16 v18, v19, v7
	s_nop 0
	v_pk_min_f16 v17, v17, v18
	s_nop 0
	v_lshrrev_b32_e32 v18, 16, v17
	v_min3_f16 v18, v16, v17, v18
	v_lshl_add_u64 v[16:17], v[34:35], 1, v[4:5]
	global_store_short v[16:17], v18, off
	s_or_b64 exec, exec, s[2:3]
	s_and_b64 s[4:5], s[6:7], s[18:19]
	s_and_saveexec_b64 s[2:3], s[4:5]
	s_cbranch_execz .LBB224_339
.LBB224_353:
	s_and_b64 vcc, exec, s[0:1]
	s_cbranch_vccnz .LBB224_355
; %bb.354:
	v_lshl_add_u64 v[16:17], v[36:37], 1, v[20:21]
	flat_load_ushort v16, v[16:17]
	s_waitcnt vmcnt(0) lgkmcnt(0)
	v_mul_f16_e32 v16, s33, v16
	s_branch .LBB224_356
.LBB224_355:
	v_mov_b32_e32 v16, 0
.LBB224_356:
	v_pk_add_f16 v12, v12, v6
	v_pk_max_f16 v17, v57, v57
	v_pk_add_f16 v13, v13, v7
	v_pk_min_f16 v12, v17, v12
	s_nop 0
	v_pk_min_f16 v12, v12, v13
	s_nop 0
	v_lshrrev_b32_e32 v13, 16, v12
	v_min3_f16 v16, v16, v12, v13
	v_lshl_add_u64 v[12:13], v[36:37], 1, v[4:5]
	global_store_short v[12:13], v16, off
	s_or_b64 exec, exec, s[2:3]
	s_and_b64 s[4:5], s[8:9], s[18:19]
	s_and_saveexec_b64 s[2:3], s[4:5]
	s_cbranch_execz .LBB224_340
.LBB224_357:
	s_and_b64 vcc, exec, s[0:1]
	s_cbranch_vccnz .LBB224_359
; %bb.358:
	v_lshl_add_u64 v[12:13], v[38:39], 1, v[20:21]
	flat_load_ushort v12, v[12:13]
	s_waitcnt vmcnt(0) lgkmcnt(0)
	v_mul_f16_e32 v12, s33, v12
	s_branch .LBB224_360
.LBB224_359:
	v_mov_b32_e32 v12, 0
.LBB224_360:
	v_pk_add_f16 v13, v14, v6
	v_pk_max_f16 v14, v55, v55
	s_nop 0
	v_pk_min_f16 v13, v14, v13
	v_pk_add_f16 v14, v15, v7
	s_nop 0
	v_pk_min_f16 v13, v13, v14
	s_nop 0
	v_lshrrev_b32_e32 v14, 16, v13
	v_min3_f16 v14, v12, v13, v14
	v_lshl_add_u64 v[12:13], v[38:39], 1, v[4:5]
	global_store_short v[12:13], v14, off
	s_or_b64 exec, exec, s[2:3]
	s_and_b64 s[4:5], s[10:11], s[18:19]
	s_and_saveexec_b64 s[2:3], s[4:5]
	s_cbranch_execz .LBB224_341
.LBB224_361:
	s_and_b64 vcc, exec, s[0:1]
	s_cbranch_vccnz .LBB224_363
; %bb.362:
	v_lshl_add_u64 v[12:13], v[40:41], 1, v[20:21]
	flat_load_ushort v12, v[12:13]
	s_waitcnt vmcnt(0) lgkmcnt(0)
	v_mul_f16_e32 v12, s33, v12
	s_branch .LBB224_364
.LBB224_363:
	v_mov_b32_e32 v12, 0
.LBB224_364:
	v_pk_add_f16 v8, v8, v6
	v_pk_max_f16 v13, v54, v54
	v_pk_add_f16 v9, v9, v7
	v_pk_min_f16 v8, v13, v8
	s_nop 0
	v_pk_min_f16 v8, v8, v9
	s_nop 0
	v_lshrrev_b32_e32 v9, 16, v8
	v_min3_f16 v12, v12, v8, v9
	v_lshl_add_u64 v[8:9], v[40:41], 1, v[4:5]
	global_store_short v[8:9], v12, off
	s_or_b64 exec, exec, s[2:3]
	s_and_b64 s[4:5], s[12:13], s[18:19]
	s_and_saveexec_b64 s[2:3], s[4:5]
	s_cbranch_execz .LBB224_342
.LBB224_365:
	s_and_b64 vcc, exec, s[0:1]
	s_cbranch_vccnz .LBB224_367
; %bb.366:
	v_lshl_add_u64 v[8:9], v[42:43], 1, v[20:21]
	flat_load_ushort v8, v[8:9]
	s_waitcnt vmcnt(0) lgkmcnt(0)
	v_mul_f16_e32 v8, s33, v8
	s_branch .LBB224_368
.LBB224_367:
	v_mov_b32_e32 v8, 0
.LBB224_368:
	v_pk_add_f16 v9, v10, v6
	v_pk_max_f16 v10, v53, v53
	s_nop 0
	v_pk_min_f16 v9, v10, v9
	v_pk_add_f16 v10, v11, v7
	s_nop 0
	v_pk_min_f16 v9, v9, v10
	s_nop 0
	v_lshrrev_b32_e32 v10, 16, v9
	v_min3_f16 v10, v8, v9, v10
	v_lshl_add_u64 v[8:9], v[42:43], 1, v[4:5]
	global_store_short v[8:9], v10, off
	s_or_b64 exec, exec, s[2:3]
	s_and_b64 s[4:5], s[14:15], s[18:19]
	s_and_saveexec_b64 s[2:3], s[4:5]
	s_cbranch_execz .LBB224_343
.LBB224_369:
	s_and_b64 vcc, exec, s[0:1]
	s_cbranch_vccnz .LBB224_371
; %bb.370:
	v_lshl_add_u64 v[8:9], v[44:45], 1, v[20:21]
	flat_load_ushort v8, v[8:9]
	s_waitcnt vmcnt(0) lgkmcnt(0)
	v_mul_f16_e32 v8, s33, v8
	s_branch .LBB224_372
.LBB224_371:
	v_mov_b32_e32 v8, 0
.LBB224_372:
	v_pk_add_f16 v0, v0, v6
	v_pk_max_f16 v9, v52, v52
	v_pk_add_f16 v1, v1, v7
	v_pk_min_f16 v0, v9, v0
	s_nop 0
	v_pk_min_f16 v0, v0, v1
	s_nop 0
	v_lshrrev_b32_e32 v1, 16, v0
	v_min3_f16 v8, v8, v0, v1
	v_lshl_add_u64 v[0:1], v[44:45], 1, v[4:5]
	global_store_short v[0:1], v8, off
	s_or_b64 exec, exec, s[2:3]
	s_and_b64 s[2:3], s[16:17], s[18:19]
	s_and_saveexec_b64 s[4:5], s[2:3]
	s_cbranch_execz .LBB224_344
.LBB224_373:
	s_and_b64 vcc, exec, s[0:1]
	s_cbranch_vccnz .LBB224_375
; %bb.374:
	v_lshl_add_u64 v[0:1], v[46:47], 1, v[20:21]
	flat_load_ushort v0, v[0:1]
	s_waitcnt vmcnt(0) lgkmcnt(0)
	v_mul_f16_e32 v0, s33, v0
	s_branch .LBB224_376
.LBB224_375:
	v_mov_b32_e32 v0, 0
.LBB224_376:
	v_pk_add_f16 v1, v2, v6
	v_pk_max_f16 v2, v56, v56
	s_nop 0
	v_pk_min_f16 v1, v2, v1
	v_pk_add_f16 v2, v3, v7
	s_nop 0
	v_pk_min_f16 v1, v1, v2
	s_nop 0
	v_lshrrev_b32_e32 v2, 16, v1
	v_min3_f16 v2, v0, v1, v2
	v_lshl_add_u64 v[0:1], v[46:47], 1, v[4:5]
	global_store_short v[0:1], v2, off
	s_endpgm
	.section	.rodata,"a",@progbits
	.p2align	6, 0x0
	.amdhsa_kernel _ZN12_GLOBAL__N_120geam_min_plus_kernelIDF16_Dv2_DF16_S1_Li8ELi32ELi64ELi256ELi4ELi64ELi4ELi64ELi4ELc78ELc84ELb0ELb1ELb1EDF16_KPKDF16_KPDF16_EEviiiT16_PT17_ilS9_ilS7_S9_ilPT18_ili26rocblas_geam_ex_operation_
		.amdhsa_group_segment_fixed_size 5120
		.amdhsa_private_segment_fixed_size 0
		.amdhsa_kernarg_size 128
		.amdhsa_user_sgpr_count 2
		.amdhsa_user_sgpr_dispatch_ptr 0
		.amdhsa_user_sgpr_queue_ptr 0
		.amdhsa_user_sgpr_kernarg_segment_ptr 1
		.amdhsa_user_sgpr_dispatch_id 0
		.amdhsa_user_sgpr_kernarg_preload_length 0
		.amdhsa_user_sgpr_kernarg_preload_offset 0
		.amdhsa_user_sgpr_private_segment_size 0
		.amdhsa_uses_dynamic_stack 0
		.amdhsa_enable_private_segment 0
		.amdhsa_system_sgpr_workgroup_id_x 1
		.amdhsa_system_sgpr_workgroup_id_y 0
		.amdhsa_system_sgpr_workgroup_id_z 1
		.amdhsa_system_sgpr_workgroup_info 0
		.amdhsa_system_vgpr_workitem_id 1
		.amdhsa_next_free_vgpr 175
		.amdhsa_next_free_sgpr 44
		.amdhsa_accum_offset 176
		.amdhsa_reserve_vcc 1
		.amdhsa_float_round_mode_32 0
		.amdhsa_float_round_mode_16_64 0
		.amdhsa_float_denorm_mode_32 3
		.amdhsa_float_denorm_mode_16_64 3
		.amdhsa_dx10_clamp 1
		.amdhsa_ieee_mode 1
		.amdhsa_fp16_overflow 0
		.amdhsa_tg_split 0
		.amdhsa_exception_fp_ieee_invalid_op 0
		.amdhsa_exception_fp_denorm_src 0
		.amdhsa_exception_fp_ieee_div_zero 0
		.amdhsa_exception_fp_ieee_overflow 0
		.amdhsa_exception_fp_ieee_underflow 0
		.amdhsa_exception_fp_ieee_inexact 0
		.amdhsa_exception_int_div_zero 0
	.end_amdhsa_kernel
	.section	.text._ZN12_GLOBAL__N_120geam_min_plus_kernelIDF16_Dv2_DF16_S1_Li8ELi32ELi64ELi256ELi4ELi64ELi4ELi64ELi4ELc78ELc84ELb0ELb1ELb1EDF16_KPKDF16_KPDF16_EEviiiT16_PT17_ilS9_ilS7_S9_ilPT18_ili26rocblas_geam_ex_operation_,"axG",@progbits,_ZN12_GLOBAL__N_120geam_min_plus_kernelIDF16_Dv2_DF16_S1_Li8ELi32ELi64ELi256ELi4ELi64ELi4ELi64ELi4ELc78ELc84ELb0ELb1ELb1EDF16_KPKDF16_KPDF16_EEviiiT16_PT17_ilS9_ilS7_S9_ilPT18_ili26rocblas_geam_ex_operation_,comdat
.Lfunc_end224:
	.size	_ZN12_GLOBAL__N_120geam_min_plus_kernelIDF16_Dv2_DF16_S1_Li8ELi32ELi64ELi256ELi4ELi64ELi4ELi64ELi4ELc78ELc84ELb0ELb1ELb1EDF16_KPKDF16_KPDF16_EEviiiT16_PT17_ilS9_ilS7_S9_ilPT18_ili26rocblas_geam_ex_operation_, .Lfunc_end224-_ZN12_GLOBAL__N_120geam_min_plus_kernelIDF16_Dv2_DF16_S1_Li8ELi32ELi64ELi256ELi4ELi64ELi4ELi64ELi4ELc78ELc84ELb0ELb1ELb1EDF16_KPKDF16_KPDF16_EEviiiT16_PT17_ilS9_ilS7_S9_ilPT18_ili26rocblas_geam_ex_operation_
                                        ; -- End function
	.section	.AMDGPU.csdata,"",@progbits
; Kernel info:
; codeLenInByte = 20020
; NumSgprs: 50
; NumVgprs: 175
; NumAgprs: 0
; TotalNumVgprs: 175
; ScratchSize: 0
; MemoryBound: 0
; FloatMode: 240
; IeeeMode: 1
; LDSByteSize: 5120 bytes/workgroup (compile time only)
; SGPRBlocks: 6
; VGPRBlocks: 21
; NumSGPRsForWavesPerEU: 50
; NumVGPRsForWavesPerEU: 175
; AccumOffset: 176
; Occupancy: 2
; WaveLimiterHint : 1
; COMPUTE_PGM_RSRC2:SCRATCH_EN: 0
; COMPUTE_PGM_RSRC2:USER_SGPR: 2
; COMPUTE_PGM_RSRC2:TRAP_HANDLER: 0
; COMPUTE_PGM_RSRC2:TGID_X_EN: 1
; COMPUTE_PGM_RSRC2:TGID_Y_EN: 0
; COMPUTE_PGM_RSRC2:TGID_Z_EN: 1
; COMPUTE_PGM_RSRC2:TIDIG_COMP_CNT: 1
; COMPUTE_PGM_RSRC3_GFX90A:ACCUM_OFFSET: 43
; COMPUTE_PGM_RSRC3_GFX90A:TG_SPLIT: 0
	.section	.text._ZN12_GLOBAL__N_120geam_min_plus_kernelIDF16_Dv2_DF16_S1_Li8ELi32ELi64ELi256ELi4ELi4ELi64ELi64ELi4ELc84ELc84ELb0ELb0ELb1EPKDF16_KS3_KPDF16_EEviiiT16_PT17_ilS9_ilS7_S9_ilPT18_ili26rocblas_geam_ex_operation_,"axG",@progbits,_ZN12_GLOBAL__N_120geam_min_plus_kernelIDF16_Dv2_DF16_S1_Li8ELi32ELi64ELi256ELi4ELi4ELi64ELi64ELi4ELc84ELc84ELb0ELb0ELb1EPKDF16_KS3_KPDF16_EEviiiT16_PT17_ilS9_ilS7_S9_ilPT18_ili26rocblas_geam_ex_operation_,comdat
	.globl	_ZN12_GLOBAL__N_120geam_min_plus_kernelIDF16_Dv2_DF16_S1_Li8ELi32ELi64ELi256ELi4ELi4ELi64ELi64ELi4ELc84ELc84ELb0ELb0ELb1EPKDF16_KS3_KPDF16_EEviiiT16_PT17_ilS9_ilS7_S9_ilPT18_ili26rocblas_geam_ex_operation_ ; -- Begin function _ZN12_GLOBAL__N_120geam_min_plus_kernelIDF16_Dv2_DF16_S1_Li8ELi32ELi64ELi256ELi4ELi4ELi64ELi64ELi4ELc84ELc84ELb0ELb0ELb1EPKDF16_KS3_KPDF16_EEviiiT16_PT17_ilS9_ilS7_S9_ilPT18_ili26rocblas_geam_ex_operation_
	.p2align	8
	.type	_ZN12_GLOBAL__N_120geam_min_plus_kernelIDF16_Dv2_DF16_S1_Li8ELi32ELi64ELi256ELi4ELi4ELi64ELi64ELi4ELc84ELc84ELb0ELb0ELb1EPKDF16_KS3_KPDF16_EEviiiT16_PT17_ilS9_ilS7_S9_ilPT18_ili26rocblas_geam_ex_operation_,@function
_ZN12_GLOBAL__N_120geam_min_plus_kernelIDF16_Dv2_DF16_S1_Li8ELi32ELi64ELi256ELi4ELi4ELi64ELi64ELi4ELc84ELc84ELb0ELb0ELb1EPKDF16_KS3_KPDF16_EEviiiT16_PT17_ilS9_ilS7_S9_ilPT18_ili26rocblas_geam_ex_operation_: ; @_ZN12_GLOBAL__N_120geam_min_plus_kernelIDF16_Dv2_DF16_S1_Li8ELi32ELi64ELi256ELi4ELi4ELi64ELi64ELi4ELc84ELc84ELb0ELb0ELb1EPKDF16_KS3_KPDF16_EEviiiT16_PT17_ilS9_ilS7_S9_ilPT18_ili26rocblas_geam_ex_operation_
; %bb.0:
	s_load_dwordx4 s[16:19], s[0:1], 0x10
	s_load_dwordx4 s[8:11], s[0:1], 0x28
	s_mov_b32 s22, s3
	s_mov_b32 s23, 0
	s_lshl_b64 s[4:5], s[22:23], 1
	s_waitcnt lgkmcnt(0)
	s_add_u32 s6, s16, s4
	s_addc_u32 s7, s17, s5
	v_mov_b32_e32 v1, 0
	global_load_ushort v44, v1, s[6:7]
	s_load_dwordx4 s[12:15], s[0:1], 0x40
	s_load_dwordx2 s[24:25], s[0:1], 0x50
	s_mov_b64 s[16:17], 0
	s_mov_b64 s[20:21], 0
	s_waitcnt lgkmcnt(0)
	s_add_u32 s4, s14, s4
	s_addc_u32 s5, s15, s5
	s_waitcnt vmcnt(0)
	v_cmp_eq_f16_e32 vcc, 0, v44
	v_cmp_neq_f16_e64 s[6:7], 0, v44
	s_cbranch_vccnz .LBB225_2
; %bb.1:
	s_lshl_b64 s[14:15], s[22:23], 3
	s_add_u32 s14, s18, s14
	s_addc_u32 s15, s19, s15
	s_load_dwordx2 s[14:15], s[14:15], 0x0
	s_lshl_b64 s[8:9], s[8:9], 1
	s_waitcnt lgkmcnt(0)
	s_add_u32 s20, s14, s8
	s_addc_u32 s21, s15, s9
.LBB225_2:
	global_load_ushort v52, v1, s[4:5]
	v_cndmask_b32_e64 v1, 0, 1, s[6:7]
	v_cmp_ne_u32_e64 s[4:5], 1, v1
	s_andn2_b64 vcc, exec, s[6:7]
	s_cbranch_vccnz .LBB225_4
; %bb.3:
	s_lshl_b64 s[8:9], s[22:23], 3
	s_add_u32 s8, s10, s8
	s_addc_u32 s9, s11, s9
	s_load_dwordx2 s[8:9], s[8:9], 0x0
	s_lshl_b64 s[10:11], s[12:13], 1
	s_waitcnt lgkmcnt(0)
	s_add_u32 s16, s8, s10
	s_addc_u32 s17, s9, s11
.LBB225_4:
	s_load_dwordx4 s[12:15], s[0:1], 0x60
	s_waitcnt vmcnt(0)
	v_cmp_eq_f16_e32 vcc, 0, v52
	s_and_b64 s[8:9], exec, vcc
	s_mov_b64 vcc, s[8:9]
	s_cbranch_vccnz .LBB225_6
; %bb.5:
	s_lshl_b64 s[10:11], s[22:23], 3
	s_add_u32 s10, s24, s10
	s_addc_u32 s11, s25, s11
	s_load_dwordx2 s[10:11], s[10:11], 0x0
	s_waitcnt lgkmcnt(0)
	s_lshl_b64 s[12:13], s[12:13], 1
	s_add_u32 s10, s10, s12
	s_addc_u32 s11, s11, s13
	s_branch .LBB225_7
.LBB225_6:
	s_mov_b64 s[10:11], 0
.LBB225_7:
	s_load_dword s24, s[0:1], 0x0
	s_load_dword s3, s[0:1], 0x20
	s_waitcnt lgkmcnt(0)
	s_lshl_b64 s[12:13], s[22:23], 3
	s_add_u32 s18, s14, s12
	s_addc_u32 s19, s15, s13
	s_add_i32 s12, s24, -1
	s_ashr_i32 s13, s12, 31
	s_lshr_b32 s13, s13, 26
	s_add_i32 s12, s12, s13
	s_ashr_i32 s12, s12, 6
	s_add_i32 s13, s12, 1
	v_cvt_f32_u32_e32 v1, s13
	s_not_b32 s12, s12
	v_and_b32_e32 v42, 0x3ff, v0
	v_bfe_u32 v43, v0, 10, 10
	v_rcp_iflag_f32_e32 v1, v1
	v_lshl_add_u32 v0, v43, 3, v42
	v_and_b32_e32 v2, 3, v42
	v_lshrrev_b32_e32 v34, 2, v0
	v_mul_f32_e32 v1, 0x4f7ffffe, v1
	v_cvt_u32_f32_e32 v1, v1
	v_lshlrev_b32_e32 v32, 1, v2
	v_readfirstlane_b32 s14, v1
	s_mul_i32 s12, s12, s14
	s_mul_hi_u32 s12, s14, s12
	s_add_i32 s14, s14, s12
	s_mul_hi_u32 s12, s2, s14
	s_mul_i32 s14, s12, s13
	s_sub_i32 s14, s2, s14
	s_add_i32 s15, s12, 1
	s_sub_i32 s22, s14, s13
	s_cmp_ge_u32 s14, s13
	s_cselect_b32 s12, s15, s12
	s_cselect_b32 s14, s22, s14
	s_add_i32 s15, s12, 1
	s_cmp_ge_u32 s14, s13
	s_cselect_b32 s12, s15, s12
	s_mul_i32 s24, s12, s13
	s_sub_i32 s13, s2, s24
	s_lshl_b32 s22, s13, 6
	s_and_b64 vcc, exec, s[4:5]
	v_add_u32_e32 v9, s22, v34
	s_cbranch_vccnz .LBB225_9
; %bb.8:
	v_mad_i64_i32 v[2:3], s[14:15], v9, s3, 0
	v_lshl_add_u64 v[2:3], v[2:3], 1, s[20:21]
	v_mov_b32_e32 v33, 0
	v_lshl_add_u64 v[2:3], v[2:3], 0, v[32:33]
	flat_load_ushort v1, v[2:3]
	s_waitcnt vmcnt(0) lgkmcnt(0)
	v_mul_f16_e32 v4, v44, v1
	s_branch .LBB225_10
.LBB225_9:
	v_mov_b32_e32 v4, 0
.LBB225_10:
	s_load_dword s14, s[0:1], 0x38
	v_and_b32_e32 v36, 63, v0
	v_lshrrev_b32_e32 v38, 6, v0
	s_lshl_b32 s23, s12, 8
	v_or_b32_e32 v0, s23, v36
	s_waitcnt lgkmcnt(0)
	v_mad_i64_i32 v[2:3], s[12:13], s14, v38, 0
	s_ashr_i32 s15, s14, 31
	v_lshl_add_u64 v[2:3], v[2:3], 1, s[16:17]
	s_and_b64 vcc, exec, s[4:5]
	v_ashrrev_i32_e32 v1, 31, v0
	s_cbranch_vccnz .LBB225_14
; %bb.11:
	v_lshl_add_u64 v[6:7], v[0:1], 1, v[2:3]
	flat_load_ushort v5, v[6:7]
	flat_load_ushort v8, v[6:7] offset:128
	s_waitcnt vmcnt(0) lgkmcnt(0)
	v_mul_f16_e32 v5, v44, v5
	v_mul_f16_e32 v6, v44, v8
	s_and_b64 vcc, exec, s[4:5]
	s_cbranch_vccnz .LBB225_15
.LBB225_12:
	v_lshl_add_u64 v[2:3], v[0:1], 1, v[2:3]
	flat_load_ushort v7, v[2:3] offset:256
	flat_load_ushort v8, v[2:3] offset:384
	s_waitcnt vmcnt(0) lgkmcnt(0)
	v_mul_f16_e32 v7, v44, v7
	v_mul_f16_e32 v8, v44, v8
	s_and_b64 vcc, exec, s[4:5]
	s_cbranch_vccnz .LBB225_16
.LBB225_13:
	v_mad_i64_i32 v[2:3], s[12:13], v9, s3, 0
	v_lshl_add_u64 v[2:3], v[2:3], 1, s[20:21]
	v_mov_b32_e32 v33, 0
	v_lshl_add_u64 v[2:3], v[2:3], 0, v[32:33]
	flat_load_ushort v2, v[2:3] offset:8
	s_waitcnt vmcnt(0) lgkmcnt(0)
	v_mul_f16_e32 v33, v44, v2
	s_branch .LBB225_17
.LBB225_14:
	v_mov_b32_e32 v5, 0
	v_mov_b32_e32 v6, 0
	s_and_b64 vcc, exec, s[4:5]
	s_cbranch_vccz .LBB225_12
.LBB225_15:
	v_mov_b32_e32 v7, 0
	v_mov_b32_e32 v8, 0
	s_and_b64 vcc, exec, s[4:5]
	s_cbranch_vccz .LBB225_13
.LBB225_16:
	v_mov_b32_e32 v33, 0
.LBB225_17:
	v_add_u32_e32 v2, 4, v38
	v_mad_i64_i32 v[2:3], s[12:13], s14, v2, 0
	s_and_b64 vcc, exec, s[4:5]
	v_lshl_add_u64 v[2:3], v[2:3], 1, s[16:17]
	s_cbranch_vccnz .LBB225_20
; %bb.18:
	v_lshl_add_u64 v[10:11], v[0:1], 1, v[2:3]
	flat_load_ushort v9, v[10:11]
	flat_load_ushort v12, v[10:11] offset:128
	s_waitcnt vmcnt(0) lgkmcnt(0)
	v_mul_f16_e32 v35, v44, v9
	v_mul_f16_e32 v37, v44, v12
	s_and_b64 vcc, exec, s[4:5]
	s_cbranch_vccnz .LBB225_21
.LBB225_19:
	v_lshl_add_u64 v[0:1], v[0:1], 1, v[2:3]
	flat_load_ushort v2, v[0:1] offset:256
	flat_load_ushort v3, v[0:1] offset:384
	s_waitcnt vmcnt(0) lgkmcnt(0)
	v_mul_f16_e32 v40, v44, v2
	v_mul_f16_e32 v41, v44, v3
	s_branch .LBB225_22
.LBB225_20:
	v_mov_b32_e32 v35, 0
	v_mov_b32_e32 v37, 0
	s_and_b64 vcc, exec, s[4:5]
	s_cbranch_vccz .LBB225_19
.LBB225_21:
	v_mov_b32_e32 v40, 0
	v_mov_b32_e32 v41, 0
.LBB225_22:
	v_lshlrev_b32_e32 v0, 1, v38
	v_lshlrev_b32_e32 v45, 3, v42
	v_lshl_or_b32 v39, v34, 3, v32
	v_lshl_add_u32 v46, v36, 3, v0
	v_add_u32_e32 v47, 0x1000, v45
	s_load_dwordx2 s[12:13], s[18:19], 0x0
	s_load_dword s25, s[0:1], 0x8
	ds_write_b16 v39, v4 offset:4096
	ds_write_b16 v46, v5
	ds_write_b16 v46, v6 offset:512
	ds_write_b16 v46, v7 offset:1024
	;; [unrolled: 1-line block ×3, first 2 shown]
	s_waitcnt lgkmcnt(0)
	s_barrier
	ds_read2_b64 v[16:19], v47 offset1:8
	ds_read2_b64 v[12:15], v47 offset0:16 offset1:24
	ds_read2_b64 v[4:7], v47 offset0:32 offset1:40
	v_lshlrev_b32_e32 v50, 3, v43
	ds_read2_b64 v[28:31], v50 offset1:32
	ds_read2_b64 v[0:3], v47 offset0:48 offset1:56
	ds_read2_b64 v[24:27], v50 offset0:64 offset1:96
	;; [unrolled: 1-line block ×4, first 2 shown]
	s_movk_i32 s18, 0x7c00
	s_waitcnt lgkmcnt(4)
	v_pk_add_f16 v51, v12, v28
	v_pk_add_f16 v48, v16, v28
	v_pk_min_f16 v53, v51, s18 op_sel_hi:[1,0]
	v_pk_add_f16 v51, v14, v28
	v_pk_add_f16 v49, v18, v28
	v_pk_min_f16 v54, v51, s18 op_sel_hi:[1,0]
	v_pk_add_f16 v51, v4, v28
	v_pk_min_f16 v48, v48, s18 op_sel_hi:[1,0]
	v_pk_min_f16 v55, v51, s18 op_sel_hi:[1,0]
	v_pk_add_f16 v51, v6, v28
	v_pk_min_f16 v49, v49, s18 op_sel_hi:[1,0]
	v_pk_min_f16 v56, v51, s18 op_sel_hi:[1,0]
	s_waitcnt lgkmcnt(3)
	v_pk_add_f16 v51, v0, v28
	v_pk_add_f16 v28, v2, v28
	v_pk_min_f16 v57, v51, s18 op_sel_hi:[1,0]
	v_pk_add_f16 v51, v16, v30
	v_pk_min_f16 v28, v28, s18 op_sel_hi:[1,0]
	v_pk_min_f16 v58, v51, s18 op_sel_hi:[1,0]
	v_pk_add_f16 v51, v18, v30
	s_cmp_lt_i32 s25, 9
	v_pk_min_f16 v59, v51, s18 op_sel_hi:[1,0]
	v_pk_add_f16 v51, v12, v30
	ds_write_b16 v39, v33 offset:4608
	ds_write_b16 v46, v35 offset:2048
	;; [unrolled: 1-line block ×5, first 2 shown]
	v_pk_min_f16 v60, v51, s18 op_sel_hi:[1,0]
	v_pk_add_f16 v51, v14, v30
	s_waitcnt lgkmcnt(0)
	v_pk_min_f16 v61, v51, s18 op_sel_hi:[1,0]
	v_pk_add_f16 v51, v4, v30
	s_barrier
	v_pk_min_f16 v62, v51, s18 op_sel_hi:[1,0]
	v_pk_add_f16 v51, v6, v30
	s_nop 0
	v_pk_min_f16 v63, v51, s18 op_sel_hi:[1,0]
	v_pk_add_f16 v51, v0, v30
	v_pk_add_f16 v30, v2, v30
	v_pk_min_f16 v64, v51, s18 op_sel_hi:[1,0]
	v_pk_add_f16 v51, v16, v24
	v_pk_min_f16 v30, v30, s18 op_sel_hi:[1,0]
	v_pk_min_f16 v65, v51, s18 op_sel_hi:[1,0]
	v_pk_add_f16 v51, v18, v24
	s_nop 0
	v_pk_min_f16 v66, v51, s18 op_sel_hi:[1,0]
	v_pk_add_f16 v51, v12, v24
	s_nop 0
	v_pk_min_f16 v67, v51, s18 op_sel_hi:[1,0]
	v_pk_add_f16 v51, v14, v24
	s_nop 0
	v_pk_min_f16 v68, v51, s18 op_sel_hi:[1,0]
	v_pk_add_f16 v51, v4, v24
	s_nop 0
	v_pk_min_f16 v69, v51, s18 op_sel_hi:[1,0]
	v_pk_add_f16 v51, v6, v24
	s_nop 0
	v_pk_min_f16 v70, v51, s18 op_sel_hi:[1,0]
	v_pk_add_f16 v51, v0, v24
	v_pk_add_f16 v24, v2, v24
	v_pk_min_f16 v71, v51, s18 op_sel_hi:[1,0]
	v_pk_add_f16 v51, v16, v26
	v_pk_min_f16 v24, v24, s18 op_sel_hi:[1,0]
	v_pk_min_f16 v72, v51, s18 op_sel_hi:[1,0]
	v_pk_add_f16 v51, v18, v26
	s_nop 0
	v_pk_min_f16 v73, v51, s18 op_sel_hi:[1,0]
	v_pk_add_f16 v51, v12, v26
	s_nop 0
	v_pk_min_f16 v74, v51, s18 op_sel_hi:[1,0]
	v_pk_add_f16 v51, v14, v26
	s_nop 0
	v_pk_min_f16 v75, v51, s18 op_sel_hi:[1,0]
	v_pk_add_f16 v51, v4, v26
	s_nop 0
	;; [unrolled: 21-line block ×4, first 2 shown]
	v_pk_min_f16 v124, v51, s18 op_sel_hi:[1,0]
	v_pk_add_f16 v51, v6, v22
	s_nop 0
	v_pk_min_f16 v125, v51, s18 op_sel_hi:[1,0]
	v_pk_add_f16 v51, v0, v22
	v_pk_add_f16 v22, v2, v22
	v_pk_min_f16 v126, v51, s18 op_sel_hi:[1,0]
	v_pk_add_f16 v51, v16, v8
	v_pk_min_f16 v22, v22, s18 op_sel_hi:[1,0]
	v_pk_min_f16 v127, v51, s18 op_sel_hi:[1,0]
	v_pk_add_f16 v51, v18, v8
	s_nop 0
	v_pk_min_f16 v128, v51, s18 op_sel_hi:[1,0]
	v_pk_add_f16 v51, v12, v8
	s_nop 0
	;; [unrolled: 3-line block ×3, first 2 shown]
	v_pk_min_f16 v130, v51, s18 op_sel_hi:[1,0]
	v_pk_add_f16 v51, v4, v8
	v_pk_add_f16 v4, v4, v10
	v_pk_min_f16 v131, v51, s18 op_sel_hi:[1,0]
	v_pk_add_f16 v51, v6, v8
	s_nop 0
	v_pk_min_f16 v132, v51, s18 op_sel_hi:[1,0]
	v_pk_add_f16 v51, v0, v8
	v_pk_add_f16 v8, v2, v8
	v_pk_add_f16 v0, v0, v10
	v_pk_min_f16 v134, v8, s18 op_sel_hi:[1,0]
	v_pk_add_f16 v8, v16, v10
	v_pk_min_f16 v133, v51, s18 op_sel_hi:[1,0]
	v_pk_min_f16 v16, v8, s18 op_sel_hi:[1,0]
	v_pk_add_f16 v8, v18, v10
	s_nop 0
	v_pk_min_f16 v18, v8, s18 op_sel_hi:[1,0]
	v_pk_add_f16 v8, v12, v10
	s_nop 0
	v_pk_min_f16 v12, v8, s18 op_sel_hi:[1,0]
	v_pk_add_f16 v8, v14, v10
	s_nop 0
	v_pk_min_f16 v14, v8, s18 op_sel_hi:[1,0]
	v_pk_min_f16 v8, v4, s18 op_sel_hi:[1,0]
	v_pk_add_f16 v4, v6, v10
	s_nop 0
	v_pk_min_f16 v6, v4, s18 op_sel_hi:[1,0]
	v_pk_min_f16 v4, v0, s18 op_sel_hi:[1,0]
	v_pk_add_f16 v0, v2, v10
	v_pk_add_f16 v2, v17, v29
	v_pk_min_f16 v0, v0, s18 op_sel_hi:[1,0]
	v_pk_min_f16 v51, v48, v2
	v_pk_add_f16 v2, v19, v29
	s_nop 0
	v_pk_min_f16 v115, v49, v2
	v_pk_add_f16 v2, v13, v29
	s_nop 0
	;; [unrolled: 3-line block ×53, first 2 shown]
	v_pk_min_f16 v62, v132, v2
	v_pk_add_f16 v2, v1, v9
	v_pk_add_f16 v1, v1, v11
	v_pk_min_f16 v61, v133, v2
	v_pk_add_f16 v2, v3, v9
	v_pk_min_f16 v54, v4, v1
	v_pk_min_f16 v59, v134, v2
	v_pk_add_f16 v2, v17, v11
	v_pk_add_f16 v1, v3, v11
	v_pk_min_f16 v60, v16, v2
	v_pk_add_f16 v2, v19, v11
	v_pk_min_f16 v68, v0, v1
	v_pk_min_f16 v58, v18, v2
	v_pk_add_f16 v2, v13, v11
	s_nop 0
	v_pk_min_f16 v57, v12, v2
	v_pk_add_f16 v2, v15, v11
	s_nop 0
	;; [unrolled: 3-line block ×4, first 2 shown]
	v_pk_min_f16 v53, v6, v2
	s_cbranch_scc1 .LBB225_40
; %bb.23:
	v_mov_b32_e32 v0, 0x1200
	v_lshl_add_u32 v117, v42, 3, v0
	v_mov_b32_e32 v0, 0x800
	v_lshl_add_u32 v118, v43, 3, v0
	v_lshl_add_u32 v0, s2, 6, v34
	s_lshl_b32 s2, s24, 6
	v_subrev_u32_e32 v0, s2, v0
	v_mad_i64_i32 v[0:1], s[2:3], s3, v0, 0
	v_mov_b32_e32 v33, 0
	v_lshl_add_u64 v[0:1], v[0:1], 1, v[32:33]
	v_lshl_add_u64 v[0:1], v[0:1], 0, s[20:21]
	;; [unrolled: 1-line block ×3, first 2 shown]
	v_add_u32_e32 v0, 12, v38
	v_mad_i64_i32 v[0:1], s[2:3], v0, s14, 0
	v_lshlrev_b64 v[34:35], 1, v[0:1]
	v_add_u32_e32 v0, s23, v36
	v_ashrrev_i32_e32 v1, 31, v0
	v_lshl_add_u64 v[36:37], v[0:1], 1, s[16:17]
	v_add_u32_e32 v0, 8, v38
	s_lshl_b64 s[2:3], s[14:15], 4
	v_mad_i64_i32 v[0:1], s[14:15], v0, s14, 0
	v_add_u32_e32 v48, 0x1000, v39
	v_add_u32_e32 v49, 0x1200, v39
	v_or_b32_e32 v116, 0x800, v46
	s_add_i32 s18, s25, -8
	v_lshlrev_b64 v[38:39], 1, v[0:1]
	s_mov_b32 s14, 0
	s_and_b64 s[6:7], exec, s[6:7]
	s_branch .LBB225_26
.LBB225_24:                             ;   in Loop: Header=BB225_26 Depth=1
	flat_load_ushort v0, v[40:41] offset:256
	flat_load_ushort v1, v[40:41] offset:384
	s_waitcnt vmcnt(0) lgkmcnt(0)
	v_mul_f16_e32 v28, v44, v0
	v_mul_f16_e32 v29, v44, v1
.LBB225_25:                             ;   in Loop: Header=BB225_26 Depth=1
	ds_read2_b64 v[8:11], v47 offset1:8
	ds_read2_b64 v[4:7], v47 offset0:16 offset1:24
	ds_read2_b64 v[0:3], v47 offset0:32 offset1:40
	ds_read2_b64 v[122:125], v50 offset1:32
	ds_read2_b64 v[12:15], v47 offset0:48 offset1:56
	ds_read2_b64 v[24:27], v50 offset0:64 offset1:96
	;; [unrolled: 1-line block ×4, first 2 shown]
	s_waitcnt lgkmcnt(4)
	v_pk_add_f16 v40, v8, v122
	v_pk_max_f16 v41, v113, v113
	v_pk_max_f16 v112, v112, v112
	v_pk_min_f16 v40, v41, v40
	v_pk_add_f16 v41, v10, v122
	v_pk_max_f16 v111, v111, v111
	v_pk_min_f16 v41, v112, v41
	v_pk_add_f16 v112, v4, v122
	;; [unrolled: 3-line block ×5, first 2 shown]
	v_pk_max_f16 v107, v107, v107
	v_pk_min_f16 v108, v108, v112
	s_waitcnt lgkmcnt(3)
	v_pk_add_f16 v112, v12, v122
	v_pk_max_f16 v106, v106, v106
	v_pk_min_f16 v107, v107, v112
	v_pk_add_f16 v112, v14, v122
	v_pk_max_f16 v105, v105, v105
	v_pk_min_f16 v106, v106, v112
	;; [unrolled: 3-line block ×10, first 2 shown]
	s_waitcnt lgkmcnt(2)
	v_pk_add_f16 v112, v8, v24
	v_pk_max_f16 v96, v96, v96
	v_pk_min_f16 v97, v97, v112
	v_pk_add_f16 v112, v10, v24
	v_pk_max_f16 v95, v95, v95
	v_pk_min_f16 v96, v96, v112
	;; [unrolled: 3-line block ×6, first 2 shown]
	v_pk_add_f16 v112, v12, v24
	v_pk_add_f16 v24, v14, v24
	v_pk_max_f16 v89, v89, v89
	v_pk_min_f16 v24, v90, v24
	v_pk_add_f16 v90, v8, v26
	v_pk_max_f16 v88, v88, v88
	v_pk_min_f16 v89, v89, v90
	;; [unrolled: 3-line block ×7, first 2 shown]
	v_pk_add_f16 v90, v12, v26
	v_pk_add_f16 v26, v14, v26
	v_pk_max_f16 v81, v81, v81
	v_pk_min_f16 v26, v82, v26
	s_waitcnt lgkmcnt(1)
	v_pk_add_f16 v82, v8, v20
	v_pk_max_f16 v80, v80, v80
	v_pk_min_f16 v81, v81, v82
	v_pk_add_f16 v82, v10, v20
	v_pk_max_f16 v79, v79, v79
	v_pk_min_f16 v80, v80, v82
	;; [unrolled: 3-line block ×6, first 2 shown]
	v_pk_add_f16 v82, v12, v20
	v_pk_add_f16 v20, v14, v20
	v_pk_max_f16 v73, v73, v73
	v_pk_min_f16 v20, v74, v20
	v_pk_add_f16 v74, v8, v22
	v_pk_max_f16 v72, v72, v72
	v_pk_min_f16 v73, v73, v74
	;; [unrolled: 3-line block ×7, first 2 shown]
	v_pk_add_f16 v74, v12, v22
	v_pk_add_f16 v22, v14, v22
	v_pk_max_f16 v65, v65, v65
	v_pk_min_f16 v22, v66, v22
	s_waitcnt lgkmcnt(0)
	v_pk_add_f16 v66, v8, v16
	v_pk_max_f16 v64, v64, v64
	v_pk_min_f16 v65, v65, v66
	v_pk_add_f16 v66, v10, v16
	v_pk_max_f16 v63, v63, v63
	v_pk_min_f16 v64, v64, v66
	;; [unrolled: 3-line block ×5, first 2 shown]
	v_pk_add_f16 v66, v2, v16
	v_pk_add_f16 v8, v8, v18
	v_pk_min_f16 v60, v60, v66
	v_pk_add_f16 v66, v12, v16
	v_pk_add_f16 v16, v14, v16
	;; [unrolled: 1-line block ×9, first 2 shown]
	v_pk_max_f16 v18, v51, v51
	v_pk_max_f16 v91, v91, v91
	v_pk_min_f16 v14, v18, v14
	v_pk_add_f16 v18, v9, v123
	v_pk_min_f16 v91, v91, v112
	v_pk_min_f16 v51, v40, v18
	v_pk_add_f16 v18, v11, v123
	v_pk_max_f16 v83, v83, v83
	v_pk_min_f16 v115, v41, v18
	v_pk_add_f16 v18, v5, v123
	v_pk_min_f16 v83, v83, v90
	v_pk_min_f16 v114, v111, v18
	v_pk_add_f16 v18, v7, v123
	;; [unrolled: 6-line block ×5, first 2 shown]
	v_pk_max_f16 v53, v53, v53
	v_pk_min_f16 v107, v104, v18
	v_pk_add_f16 v18, v5, v125
	v_pk_max_f16 v55, v55, v55
	v_pk_min_f16 v106, v103, v18
	v_pk_add_f16 v18, v7, v125
	v_pk_min_f16 v0, v53, v0
	v_pk_min_f16 v105, v102, v18
	v_pk_add_f16 v18, v1, v125
	v_pk_max_f16 v31, v31, v31
	v_pk_min_f16 v104, v101, v18
	v_pk_add_f16 v18, v3, v125
	v_pk_max_f16 v57, v57, v57
	v_pk_min_f16 v103, v100, v18
	v_pk_add_f16 v18, v13, v125
	v_pk_min_f16 v4, v55, v4
	v_pk_min_f16 v102, v99, v18
	v_pk_add_f16 v18, v15, v125
	v_pk_min_f16 v2, v31, v2
	v_pk_min_f16 v101, v98, v18
	v_pk_add_f16 v18, v9, v25
	v_pk_max_f16 v30, v30, v30
	v_pk_min_f16 v100, v97, v18
	v_pk_add_f16 v18, v11, v25
	v_pk_max_f16 v58, v58, v58
	v_pk_min_f16 v99, v96, v18
	v_pk_add_f16 v18, v5, v25
	v_pk_min_f16 v8, v57, v8
	v_pk_min_f16 v98, v95, v18
	v_pk_add_f16 v18, v7, v25
	v_pk_max_f16 v56, v56, v56
	v_pk_min_f16 v97, v94, v18
	v_pk_add_f16 v18, v1, v25
	v_pk_max_f16 v54, v54, v54
	v_pk_min_f16 v96, v93, v18
	v_pk_add_f16 v18, v3, v25
	v_pk_min_f16 v12, v30, v12
	v_pk_min_f16 v95, v92, v18
	v_pk_add_f16 v18, v13, v25
	v_pk_min_f16 v16, v58, v16
	;; [unrolled: 3-line block ×4, first 2 shown]
	v_pk_min_f16 v92, v89, v18
	v_pk_add_f16 v18, v11, v27
	s_add_i32 s14, s14, 8
	v_pk_min_f16 v91, v88, v18
	v_pk_add_f16 v18, v5, v27
	v_lshl_add_u64 v[32:33], v[32:33], 0, 16
	v_pk_min_f16 v90, v87, v18
	v_pk_add_f16 v18, v7, v27
	s_cmp_ge_i32 s14, s18
	v_pk_min_f16 v89, v86, v18
	v_pk_add_f16 v18, v1, v27
	v_lshl_add_u64 v[36:37], v[36:37], 0, s[2:3]
	v_pk_min_f16 v88, v85, v18
	v_pk_add_f16 v18, v3, v27
	ds_write_b16 v49, v119
	ds_write_b16 v116, v120
	ds_write_b16 v116, v121 offset:512
	ds_write_b16 v116, v28 offset:1024
	;; [unrolled: 1-line block ×3, first 2 shown]
	v_pk_min_f16 v87, v84, v18
	v_pk_add_f16 v18, v13, v27
	s_waitcnt lgkmcnt(0)
	v_pk_min_f16 v86, v83, v18
	v_pk_add_f16 v18, v15, v27
	s_barrier
	v_pk_min_f16 v84, v26, v18
	v_pk_add_f16 v18, v9, v21
	s_nop 0
	v_pk_min_f16 v85, v81, v18
	v_pk_add_f16 v18, v11, v21
	s_nop 0
	;; [unrolled: 3-line block ×16, first 2 shown]
	v_pk_min_f16 v69, v22, v18
	v_pk_add_f16 v18, v9, v17
	v_pk_add_f16 v9, v9, v19
	v_pk_min_f16 v67, v65, v18
	v_pk_add_f16 v18, v11, v17
	s_nop 0
	v_pk_min_f16 v66, v64, v18
	v_pk_add_f16 v18, v5, v17
	v_pk_add_f16 v5, v5, v19
	v_pk_min_f16 v65, v63, v18
	v_pk_add_f16 v18, v7, v17
	v_pk_min_f16 v57, v4, v5
	v_pk_min_f16 v64, v62, v18
	v_pk_add_f16 v18, v1, v17
	v_pk_add_f16 v1, v1, v19
	v_pk_min_f16 v63, v61, v18
	v_pk_min_f16 v55, v0, v1
	v_pk_add_f16 v0, v3, v19
	v_pk_add_f16 v18, v3, v17
	v_pk_min_f16 v53, v2, v0
	v_pk_add_f16 v0, v13, v19
	v_pk_min_f16 v62, v60, v18
	v_pk_add_f16 v18, v13, v17
	v_pk_add_f16 v17, v15, v17
	v_pk_min_f16 v60, v8, v9
	v_pk_add_f16 v8, v11, v19
	;; [unrolled: 3-line block ×3, first 2 shown]
	v_pk_min_f16 v61, v59, v18
	v_pk_min_f16 v59, v16, v17
	;; [unrolled: 1-line block ×5, first 2 shown]
	s_cbranch_scc1 .LBB225_40
.LBB225_26:                             ; =>This Inner Loop Header: Depth=1
	s_and_b64 vcc, exec, s[4:5]
	v_mov_b32_e32 v40, 0
	s_cbranch_vccnz .LBB225_28
; %bb.27:                               ;   in Loop: Header=BB225_26 Depth=1
	flat_load_ushort v0, v[32:33]
	s_waitcnt vmcnt(0) lgkmcnt(0)
	v_mul_f16_e32 v40, v44, v0
.LBB225_28:                             ;   in Loop: Header=BB225_26 Depth=1
	s_and_b64 vcc, exec, s[4:5]
	v_lshl_add_u64 v[0:1], v[36:37], 0, v[38:39]
	s_cbranch_vccnz .LBB225_31
; %bb.29:                               ;   in Loop: Header=BB225_26 Depth=1
	flat_load_ushort v2, v[0:1]
	flat_load_ushort v3, v[0:1] offset:128
	s_waitcnt vmcnt(0) lgkmcnt(0)
	v_mul_f16_e32 v41, v44, v2
	v_mul_f16_e32 v119, v44, v3
	s_and_b64 vcc, exec, s[4:5]
	s_cbranch_vccnz .LBB225_32
.LBB225_30:                             ;   in Loop: Header=BB225_26 Depth=1
	flat_load_ushort v2, v[0:1] offset:256
	flat_load_ushort v3, v[0:1] offset:384
	s_waitcnt vmcnt(0) lgkmcnt(0)
	v_mul_f16_e32 v120, v44, v2
	v_mul_f16_e32 v121, v44, v3
	s_branch .LBB225_33
.LBB225_31:                             ;   in Loop: Header=BB225_26 Depth=1
	v_mov_b32_e32 v41, 0
	v_mov_b32_e32 v119, 0
	s_and_b64 vcc, exec, s[4:5]
	s_cbranch_vccz .LBB225_30
.LBB225_32:                             ;   in Loop: Header=BB225_26 Depth=1
	v_mov_b32_e32 v120, 0
	v_mov_b32_e32 v121, 0
.LBB225_33:                             ;   in Loop: Header=BB225_26 Depth=1
	ds_read2_b64 v[12:15], v117 offset1:8
	ds_read2_b64 v[8:11], v117 offset0:16 offset1:24
	ds_read2_b64 v[4:7], v117 offset0:32 offset1:40
	;; [unrolled: 1-line block ×3, first 2 shown]
	ds_read2_b64 v[28:31], v118 offset1:32
	ds_read2_b64 v[24:27], v118 offset0:64 offset1:96
	ds_read2_b64 v[20:23], v118 offset0:128 offset1:160
	;; [unrolled: 1-line block ×3, first 2 shown]
	s_mov_b64 vcc, s[6:7]
	ds_write_b16 v48, v40
	ds_write_b16 v46, v41
	ds_write_b16 v46, v119 offset:512
	ds_write_b16 v46, v120 offset:1024
	;; [unrolled: 1-line block ×3, first 2 shown]
	s_waitcnt lgkmcnt(0)
	s_barrier
	s_cbranch_vccz .LBB225_36
; %bb.34:                               ;   in Loop: Header=BB225_26 Depth=1
	flat_load_ushort v40, v[32:33] offset:8
	s_waitcnt vmcnt(0) lgkmcnt(0)
	v_mul_f16_e32 v119, v44, v40
	s_and_b64 vcc, exec, s[4:5]
	v_lshl_add_u64 v[40:41], v[36:37], 0, v[34:35]
	s_cbranch_vccnz .LBB225_37
.LBB225_35:                             ;   in Loop: Header=BB225_26 Depth=1
	flat_load_ushort v120, v[40:41]
	flat_load_ushort v121, v[40:41] offset:128
	s_waitcnt vmcnt(0) lgkmcnt(0)
	v_mul_f16_e32 v120, v44, v120
	v_mul_f16_e32 v121, v44, v121
	s_branch .LBB225_38
.LBB225_36:                             ;   in Loop: Header=BB225_26 Depth=1
	v_mov_b32_e32 v119, 0
	s_and_b64 vcc, exec, s[4:5]
	v_lshl_add_u64 v[40:41], v[36:37], 0, v[34:35]
	s_cbranch_vccz .LBB225_35
.LBB225_37:                             ;   in Loop: Header=BB225_26 Depth=1
	v_mov_b32_e32 v120, 0
	v_mov_b32_e32 v121, 0
.LBB225_38:                             ;   in Loop: Header=BB225_26 Depth=1
	v_pk_add_f16 v122, v12, v28
	v_pk_max_f16 v51, v51, v51
	v_pk_max_f16 v115, v115, v115
	v_pk_min_f16 v51, v51, v122
	v_pk_add_f16 v122, v14, v28
	v_pk_max_f16 v114, v114, v114
	v_pk_min_f16 v115, v115, v122
	v_pk_add_f16 v122, v8, v28
	v_pk_max_f16 v113, v113, v113
	v_pk_min_f16 v114, v114, v122
	v_pk_add_f16 v122, v10, v28
	v_pk_max_f16 v112, v112, v112
	v_pk_min_f16 v122, v113, v122
	v_pk_add_f16 v113, v4, v28
	v_pk_max_f16 v111, v111, v111
	v_pk_min_f16 v123, v112, v113
	v_pk_add_f16 v112, v6, v28
	v_pk_max_f16 v109, v109, v109
	v_pk_min_f16 v124, v111, v112
	v_pk_add_f16 v111, v0, v28
	v_pk_add_f16 v28, v2, v28
	v_pk_max_f16 v108, v108, v108
	v_pk_min_f16 v28, v109, v28
	v_pk_add_f16 v109, v12, v30
	v_pk_max_f16 v107, v107, v107
	v_pk_min_f16 v126, v108, v109
	v_pk_add_f16 v108, v14, v30
	v_pk_max_f16 v106, v106, v106
	v_pk_min_f16 v127, v107, v108
	v_pk_add_f16 v107, v8, v30
	v_pk_max_f16 v105, v105, v105
	v_pk_min_f16 v128, v106, v107
	v_pk_add_f16 v106, v10, v30
	v_pk_max_f16 v104, v104, v104
	v_pk_min_f16 v129, v105, v106
	v_pk_add_f16 v105, v4, v30
	v_pk_max_f16 v103, v103, v103
	v_pk_min_f16 v130, v104, v105
	v_pk_add_f16 v104, v6, v30
	v_pk_max_f16 v101, v101, v101
	v_pk_min_f16 v131, v103, v104
	v_pk_add_f16 v103, v0, v30
	v_pk_add_f16 v30, v2, v30
	v_pk_max_f16 v100, v100, v100
	v_pk_min_f16 v30, v101, v30
	v_pk_add_f16 v101, v12, v24
	;; [unrolled: 22-line block ×6, first 2 shown]
	v_pk_max_f16 v66, v66, v66
	v_pk_min_f16 v161, v67, v69
	v_pk_add_f16 v67, v14, v16
	v_pk_max_f16 v65, v65, v65
	v_pk_min_f16 v162, v66, v67
	v_pk_add_f16 v66, v8, v16
	;; [unrolled: 3-line block ×5, first 2 shown]
	v_pk_add_f16 v12, v12, v18
	v_pk_min_f16 v166, v62, v63
	v_pk_add_f16 v62, v0, v16
	v_pk_add_f16 v16, v2, v16
	;; [unrolled: 1-line block ×9, first 2 shown]
	v_pk_max_f16 v18, v68, v68
	v_pk_max_f16 v110, v110, v110
	v_pk_min_f16 v2, v18, v2
	v_pk_add_f16 v18, v13, v29
	v_pk_min_f16 v125, v110, v111
	v_pk_min_f16 v113, v51, v18
	v_pk_add_f16 v18, v15, v29
	v_pk_max_f16 v102, v102, v102
	v_pk_min_f16 v112, v115, v18
	v_pk_add_f16 v18, v9, v29
	v_pk_min_f16 v132, v102, v103
	v_pk_min_f16 v111, v114, v18
	v_pk_add_f16 v18, v11, v29
	;; [unrolled: 6-line block ×7, first 2 shown]
	v_pk_max_f16 v59, v59, v59
	v_pk_min_f16 v100, v131, v18
	v_pk_add_f16 v18, v1, v31
	v_pk_max_f16 v53, v53, v53
	v_pk_min_f16 v99, v132, v18
	v_pk_add_f16 v18, v3, v31
	v_pk_min_f16 v16, v59, v16
	v_pk_min_f16 v98, v30, v18
	v_pk_add_f16 v18, v13, v25
	v_pk_max_f16 v59, v60, v60
	v_pk_min_f16 v97, v133, v18
	v_pk_add_f16 v18, v15, v25
	v_pk_max_f16 v57, v57, v57
	;; [unrolled: 3-line block ×3, first 2 shown]
	v_pk_min_f16 v95, v135, v18
	v_pk_add_f16 v18, v11, v25
	v_pk_min_f16 v6, v53, v6
	v_pk_min_f16 v94, v136, v18
	v_pk_add_f16 v18, v5, v25
	v_pk_max_f16 v53, v54, v54
	v_pk_min_f16 v93, v137, v18
	v_pk_add_f16 v18, v7, v25
	v_pk_min_f16 v12, v59, v12
	v_pk_min_f16 v92, v138, v18
	v_pk_add_f16 v18, v1, v25
	v_pk_max_f16 v58, v58, v58
	v_pk_min_f16 v91, v139, v18
	v_pk_add_f16 v18, v3, v25
	v_pk_min_f16 v8, v57, v8
	v_pk_min_f16 v90, v24, v18
	v_pk_add_f16 v18, v13, v27
	v_pk_max_f16 v56, v56, v56
	v_pk_min_f16 v89, v140, v18
	v_pk_add_f16 v18, v15, v27
	v_pk_min_f16 v4, v55, v4
	v_pk_min_f16 v88, v141, v18
	v_pk_add_f16 v18, v9, v27
	v_pk_min_f16 v0, v53, v0
	;; [unrolled: 3-line block ×4, first 2 shown]
	v_pk_min_f16 v85, v144, v18
	v_pk_add_f16 v18, v7, v27
	s_and_b64 vcc, exec, s[4:5]
	v_pk_min_f16 v84, v145, v18
	v_pk_add_f16 v18, v1, v27
	s_nop 0
	v_pk_min_f16 v83, v146, v18
	v_pk_add_f16 v18, v3, v27
	s_nop 0
	;; [unrolled: 3-line block ×18, first 2 shown]
	v_pk_min_f16 v66, v22, v18
	v_pk_add_f16 v18, v13, v17
	v_pk_add_f16 v13, v13, v19
	v_pk_min_f16 v65, v161, v18
	v_pk_add_f16 v18, v15, v17
	v_pk_min_f16 v57, v12, v13
	v_pk_min_f16 v64, v162, v18
	v_pk_add_f16 v18, v9, v17
	v_pk_add_f16 v9, v9, v19
	v_pk_min_f16 v63, v163, v18
	v_pk_add_f16 v18, v11, v17
	v_pk_add_f16 v12, v15, v19
	;; [unrolled: 3-line block ×3, first 2 shown]
	v_pk_min_f16 v61, v165, v18
	v_pk_add_f16 v18, v7, v17
	v_pk_min_f16 v55, v8, v9
	v_pk_min_f16 v60, v166, v18
	v_pk_add_f16 v18, v1, v17
	v_pk_add_f16 v1, v1, v19
	v_pk_add_f16 v17, v3, v17
	v_pk_add_f16 v8, v11, v19
	v_pk_min_f16 v53, v4, v5
	v_pk_add_f16 v4, v7, v19
	v_pk_min_f16 v30, v0, v1
	v_pk_add_f16 v0, v3, v19
	v_pk_min_f16 v59, v167, v18
	v_pk_min_f16 v58, v16, v17
	;; [unrolled: 1-line block ×6, first 2 shown]
	s_cbranch_vccz .LBB225_24
; %bb.39:                               ;   in Loop: Header=BB225_26 Depth=1
	v_mov_b32_e32 v28, 0
	v_mov_b32_e32 v29, 0
	s_branch .LBB225_25
.LBB225_40:
	s_load_dword s6, s[0:1], 0x58
	ds_read_b64 v[30:31], v45 offset:4608
	ds_read_b64 v[46:47], v50 offset:2048
	v_add_u32_e32 v116, s23, v43
	v_cmp_neq_f16_e64 s[4:5], 0, v52
	v_add_u32_e32 v28, s22, v42
	s_waitcnt lgkmcnt(0)
	v_mad_i64_i32 v[0:1], s[2:3], v116, s6, 0
	v_ashrrev_i32_e32 v29, 31, v28
	v_lshl_add_u64 v[48:49], v[0:1], 1, s[10:11]
	s_and_b64 vcc, exec, s[4:5]
	v_mov_b32_e32 v36, 0
	v_mov_b32_e32 v34, 0
	s_cbranch_vccz .LBB225_42
; %bb.41:
	v_lshl_add_u64 v[0:1], v[28:29], 1, v[48:49]
	flat_load_ushort v0, v[0:1]
	s_waitcnt vmcnt(0) lgkmcnt(0)
	v_mul_f16_e32 v34, v52, v0
.LBB225_42:
	v_add_u32_e32 v0, 0x1000, v45
	ds_read2_b64 v[8:11], v0 offset0:72 offset1:80
	ds_read2_b64 v[4:7], v0 offset0:88 offset1:96
	;; [unrolled: 1-line block ×3, first 2 shown]
	ds_read_b64 v[24:25], v45 offset:5056
	s_load_dword s7, s[0:1], 0x70
	s_load_dwordx2 s[2:3], s[0:1], 0x78
	v_add_u32_e32 v12, 0x800, v50
	ds_read2_b64 v[20:23], v12 offset0:32 offset1:64
	ds_read2_b64 v[16:19], v12 offset0:96 offset1:128
	;; [unrolled: 1-line block ×3, first 2 shown]
	ds_read_b64 v[26:27], v50 offset:3840
	v_pk_add_f16 v32, v30, v46
	v_pk_max_f16 v33, v51, v51
	s_waitcnt lgkmcnt(0)
	s_lshl_b64 s[0:1], s[2:3], 1
	s_add_u32 s2, s12, s0
	v_pk_min_f16 v32, v33, v32
	v_pk_add_f16 v33, v31, v47
	s_addc_u32 s3, s13, s1
	v_pk_min_f16 v35, v32, v33
	v_mad_i64_i32 v[38:39], s[0:1], v116, s7, 0
	v_add_u32_e32 v32, 8, v28
	v_lshl_add_u64 v[50:51], v[38:39], 1, s[2:3]
	v_lshrrev_b32_e32 v37, 16, v35
	v_cndmask_b32_e64 v38, 0, 1, s[4:5]
	v_ashrrev_i32_e32 v33, 31, v32
	v_min3_f16 v37, v34, v35, v37
	v_lshl_add_u64 v[34:35], v[28:29], 1, v[50:51]
	v_cmp_ne_u32_e64 s[0:1], 1, v38
	s_andn2_b64 vcc, exec, s[4:5]
	global_store_short v[34:35], v37, off
	s_cbranch_vccnz .LBB225_44
; %bb.43:
	v_lshl_add_u64 v[34:35], v[32:33], 1, v[48:49]
	flat_load_ushort v34, v[34:35]
	s_waitcnt vmcnt(0) lgkmcnt(0)
	v_mul_f16_e32 v36, v52, v34
.LBB225_44:
	v_pk_add_f16 v34, v8, v46
	v_pk_max_f16 v35, v115, v115
	s_and_b64 vcc, exec, s[0:1]
	v_pk_min_f16 v34, v35, v34
	v_pk_add_f16 v35, v9, v47
	v_mov_b32_e32 v39, 0
	v_pk_min_f16 v37, v34, v35
	v_add_u32_e32 v34, 16, v28
	v_lshrrev_b32_e32 v38, 16, v37
	v_min3_f16 v38, v36, v37, v38
	v_lshl_add_u64 v[36:37], v[32:33], 1, v[50:51]
	v_ashrrev_i32_e32 v35, 31, v34
	global_store_short v[36:37], v38, off
	v_mov_b32_e32 v38, 0
	s_cbranch_vccnz .LBB225_46
; %bb.45:
	v_lshl_add_u64 v[36:37], v[34:35], 1, v[48:49]
	flat_load_ushort v36, v[36:37]
	s_waitcnt vmcnt(0) lgkmcnt(0)
	v_mul_f16_e32 v39, v52, v36
.LBB225_46:
	v_pk_add_f16 v36, v10, v46
	v_pk_max_f16 v37, v114, v114
	s_and_b64 vcc, exec, s[0:1]
	v_pk_min_f16 v36, v37, v36
	v_pk_add_f16 v37, v11, v47
	s_nop 0
	v_pk_min_f16 v40, v36, v37
	v_add_u32_e32 v36, 24, v28
	v_lshrrev_b32_e32 v41, 16, v40
	v_ashrrev_i32_e32 v37, 31, v36
	v_min3_f16 v39, v39, v40, v41
	v_lshl_add_u64 v[40:41], v[34:35], 1, v[50:51]
	global_store_short v[40:41], v39, off
	s_cbranch_vccnz .LBB225_48
; %bb.47:
	v_lshl_add_u64 v[38:39], v[36:37], 1, v[48:49]
	flat_load_ushort v38, v[38:39]
	s_waitcnt vmcnt(0) lgkmcnt(0)
	v_mul_f16_e32 v38, v52, v38
.LBB225_48:
	v_pk_add_f16 v39, v4, v46
	v_pk_max_f16 v40, v113, v113
	v_add_u32_e32 v44, 32, v28
	v_pk_min_f16 v39, v40, v39
	v_pk_add_f16 v40, v5, v47
	v_ashrrev_i32_e32 v45, 31, v44
	v_pk_min_f16 v39, v39, v40
	s_and_b64 vcc, exec, s[0:1]
	v_lshrrev_b32_e32 v40, 16, v39
	v_min3_f16 v40, v38, v39, v40
	v_lshl_add_u64 v[38:39], v[36:37], 1, v[50:51]
	global_store_short v[38:39], v40, off
	v_mov_b32_e32 v38, 0
	v_mov_b32_e32 v39, 0
	s_cbranch_vccnz .LBB225_50
; %bb.49:
	v_lshl_add_u64 v[40:41], v[44:45], 1, v[48:49]
	flat_load_ushort v39, v[40:41]
	s_waitcnt vmcnt(0) lgkmcnt(0)
	v_mul_f16_e32 v39, v52, v39
.LBB225_50:
	v_pk_add_f16 v40, v6, v46
	v_pk_max_f16 v41, v112, v112
	v_add_u32_e32 v42, 40, v28
	v_pk_min_f16 v40, v41, v40
	v_pk_add_f16 v41, v7, v47
	v_ashrrev_i32_e32 v43, 31, v42
	v_pk_min_f16 v40, v40, v41
	s_and_b64 vcc, exec, s[0:1]
	v_lshrrev_b32_e32 v41, 16, v40
	v_min3_f16 v39, v39, v40, v41
	v_lshl_add_u64 v[40:41], v[44:45], 1, v[50:51]
	global_store_short v[40:41], v39, off
	s_cbranch_vccnz .LBB225_52
; %bb.51:
	v_lshl_add_u64 v[38:39], v[42:43], 1, v[48:49]
	flat_load_ushort v38, v[38:39]
	s_waitcnt vmcnt(0) lgkmcnt(0)
	v_mul_f16_e32 v38, v52, v38
.LBB225_52:
	v_pk_add_f16 v39, v0, v46
	v_pk_max_f16 v40, v111, v111
	s_and_b64 vcc, exec, s[0:1]
	v_pk_min_f16 v39, v40, v39
	v_pk_add_f16 v40, v1, v47
	v_mov_b32_e32 v112, 0
	v_pk_min_f16 v39, v39, v40
	v_add_u32_e32 v40, 48, v28
	v_lshrrev_b32_e32 v111, 16, v39
	v_min3_f16 v111, v38, v39, v111
	v_lshl_add_u64 v[38:39], v[42:43], 1, v[50:51]
	v_ashrrev_i32_e32 v41, 31, v40
	global_store_short v[38:39], v111, off
	v_mov_b32_e32 v111, 0
	s_cbranch_vccnz .LBB225_54
; %bb.53:
	v_lshl_add_u64 v[38:39], v[40:41], 1, v[48:49]
	flat_load_ushort v38, v[38:39]
	s_waitcnt vmcnt(0) lgkmcnt(0)
	v_mul_f16_e32 v112, v52, v38
.LBB225_54:
	v_pk_add_f16 v38, v2, v46
	v_pk_max_f16 v39, v110, v110
	s_and_b64 vcc, exec, s[0:1]
	v_pk_min_f16 v38, v39, v38
	v_pk_add_f16 v39, v3, v47
	s_nop 0
	v_pk_min_f16 v110, v38, v39
	v_add_u32_e32 v38, 56, v28
	v_lshrrev_b32_e32 v113, 16, v110
	v_ashrrev_i32_e32 v39, 31, v38
	v_min3_f16 v110, v112, v110, v113
	v_lshl_add_u64 v[112:113], v[40:41], 1, v[50:51]
	global_store_short v[112:113], v110, off
	s_cbranch_vccnz .LBB225_56
; %bb.55:
	v_lshl_add_u64 v[48:49], v[38:39], 1, v[48:49]
	flat_load_ushort v48, v[48:49]
	s_waitcnt vmcnt(0) lgkmcnt(0)
	v_mul_f16_e32 v111, v52, v48
.LBB225_56:
	v_pk_add_f16 v46, v24, v46
	v_pk_max_f16 v48, v109, v109
	v_pk_add_f16 v47, v25, v47
	v_pk_min_f16 v46, v48, v46
	s_and_b64 vcc, exec, s[0:1]
	v_pk_min_f16 v46, v46, v47
	s_nop 0
	v_lshrrev_b32_e32 v47, 16, v46
	v_min3_f16 v48, v111, v46, v47
	v_lshl_add_u64 v[46:47], v[38:39], 1, v[50:51]
	global_store_short v[46:47], v48, off
	v_add_u32_e32 v48, 32, v116
	v_mad_i64_i32 v[46:47], s[4:5], v48, s6, 0
	v_lshl_add_u64 v[46:47], v[46:47], 1, s[10:11]
	v_mov_b32_e32 v50, 0
	v_mov_b32_e32 v51, 0
	s_cbranch_vccnz .LBB225_58
; %bb.57:
	v_lshl_add_u64 v[110:111], v[28:29], 1, v[46:47]
	flat_load_ushort v49, v[110:111]
	s_waitcnt vmcnt(0) lgkmcnt(0)
	v_mul_f16_e32 v51, v52, v49
.LBB225_58:
	v_pk_add_f16 v49, v30, v20
	v_pk_max_f16 v108, v108, v108
	s_and_b64 vcc, exec, s[0:1]
	v_pk_min_f16 v49, v108, v49
	v_pk_add_f16 v108, v31, v21
	s_nop 0
	v_pk_min_f16 v108, v49, v108
	v_mad_i64_i32 v[48:49], s[4:5], v48, s7, 0
	v_lshl_add_u64 v[48:49], v[48:49], 1, s[2:3]
	v_lshrrev_b32_e32 v109, 16, v108
	v_min3_f16 v51, v51, v108, v109
	v_lshl_add_u64 v[108:109], v[28:29], 1, v[48:49]
	global_store_short v[108:109], v51, off
	s_cbranch_vccnz .LBB225_60
; %bb.59:
	v_lshl_add_u64 v[50:51], v[32:33], 1, v[46:47]
	flat_load_ushort v50, v[50:51]
	s_waitcnt vmcnt(0) lgkmcnt(0)
	v_mul_f16_e32 v50, v52, v50
.LBB225_60:
	v_pk_add_f16 v51, v8, v20
	v_pk_max_f16 v107, v107, v107
	s_and_b64 vcc, exec, s[0:1]
	v_pk_min_f16 v51, v107, v51
	v_pk_add_f16 v107, v9, v21
	s_nop 0
	v_pk_min_f16 v51, v51, v107
	s_nop 0
	v_lshrrev_b32_e32 v107, 16, v51
	v_min3_f16 v107, v50, v51, v107
	v_lshl_add_u64 v[50:51], v[32:33], 1, v[48:49]
	global_store_short v[50:51], v107, off
	v_mov_b32_e32 v50, 0
	v_mov_b32_e32 v51, 0
	s_cbranch_vccnz .LBB225_62
; %bb.61:
	v_lshl_add_u64 v[108:109], v[34:35], 1, v[46:47]
	flat_load_ushort v51, v[108:109]
	s_waitcnt vmcnt(0) lgkmcnt(0)
	v_mul_f16_e32 v51, v52, v51
.LBB225_62:
	v_pk_add_f16 v107, v10, v20
	v_pk_max_f16 v106, v106, v106
	s_and_b64 vcc, exec, s[0:1]
	v_pk_min_f16 v106, v106, v107
	v_pk_add_f16 v107, v11, v21
	s_nop 0
	v_pk_min_f16 v106, v106, v107
	s_nop 0
	v_lshrrev_b32_e32 v107, 16, v106
	v_min3_f16 v51, v51, v106, v107
	v_lshl_add_u64 v[106:107], v[34:35], 1, v[48:49]
	global_store_short v[106:107], v51, off
	s_cbranch_vccnz .LBB225_64
; %bb.63:
	v_lshl_add_u64 v[50:51], v[36:37], 1, v[46:47]
	flat_load_ushort v50, v[50:51]
	s_waitcnt vmcnt(0) lgkmcnt(0)
	v_mul_f16_e32 v50, v52, v50
.LBB225_64:
	v_pk_add_f16 v51, v4, v20
	v_pk_max_f16 v105, v105, v105
	s_and_b64 vcc, exec, s[0:1]
	v_pk_min_f16 v51, v105, v51
	v_pk_add_f16 v105, v5, v21
	s_nop 0
	v_pk_min_f16 v51, v51, v105
	s_nop 0
	v_lshrrev_b32_e32 v105, 16, v51
	v_min3_f16 v105, v50, v51, v105
	v_lshl_add_u64 v[50:51], v[36:37], 1, v[48:49]
	global_store_short v[50:51], v105, off
	v_mov_b32_e32 v50, 0
	v_mov_b32_e32 v51, 0
	s_cbranch_vccnz .LBB225_66
; %bb.65:
	v_lshl_add_u64 v[106:107], v[44:45], 1, v[46:47]
	flat_load_ushort v51, v[106:107]
	s_waitcnt vmcnt(0) lgkmcnt(0)
	v_mul_f16_e32 v51, v52, v51
.LBB225_66:
	v_pk_add_f16 v105, v6, v20
	v_pk_max_f16 v104, v104, v104
	s_and_b64 vcc, exec, s[0:1]
	v_pk_min_f16 v104, v104, v105
	v_pk_add_f16 v105, v7, v21
	s_nop 0
	v_pk_min_f16 v104, v104, v105
	s_nop 0
	;; [unrolled: 40-line block ×3, first 2 shown]
	v_lshrrev_b32_e32 v103, 16, v102
	v_min3_f16 v51, v51, v102, v103
	v_lshl_add_u64 v[102:103], v[40:41], 1, v[48:49]
	global_store_short v[102:103], v51, off
	s_cbranch_vccnz .LBB225_72
; %bb.71:
	v_lshl_add_u64 v[46:47], v[38:39], 1, v[46:47]
	flat_load_ushort v46, v[46:47]
	s_waitcnt vmcnt(0) lgkmcnt(0)
	v_mul_f16_e32 v50, v52, v46
.LBB225_72:
	v_pk_add_f16 v20, v24, v20
	v_pk_max_f16 v46, v101, v101
	v_pk_add_f16 v21, v25, v21
	v_pk_min_f16 v20, v46, v20
	s_and_b64 vcc, exec, s[0:1]
	v_pk_min_f16 v20, v20, v21
	s_nop 0
	v_lshrrev_b32_e32 v21, 16, v20
	v_min3_f16 v46, v50, v20, v21
	v_lshl_add_u64 v[20:21], v[38:39], 1, v[48:49]
	global_store_short v[20:21], v46, off
	v_add_u32_e32 v46, 64, v116
	v_mad_i64_i32 v[20:21], s[4:5], v46, s6, 0
	v_lshl_add_u64 v[20:21], v[20:21], 1, s[10:11]
	v_mov_b32_e32 v48, 0
	v_mov_b32_e32 v49, 0
	s_cbranch_vccnz .LBB225_74
; %bb.73:
	v_lshl_add_u64 v[50:51], v[28:29], 1, v[20:21]
	flat_load_ushort v47, v[50:51]
	s_waitcnt vmcnt(0) lgkmcnt(0)
	v_mul_f16_e32 v49, v52, v47
.LBB225_74:
	v_pk_add_f16 v47, v30, v22
	v_pk_max_f16 v50, v100, v100
	s_and_b64 vcc, exec, s[0:1]
	v_pk_min_f16 v47, v50, v47
	v_pk_add_f16 v50, v31, v23
	s_nop 0
	v_pk_min_f16 v50, v47, v50
	v_mad_i64_i32 v[46:47], s[4:5], v46, s7, 0
	v_lshl_add_u64 v[46:47], v[46:47], 1, s[2:3]
	v_lshrrev_b32_e32 v51, 16, v50
	v_min3_f16 v49, v49, v50, v51
	v_lshl_add_u64 v[50:51], v[28:29], 1, v[46:47]
	global_store_short v[50:51], v49, off
	s_cbranch_vccnz .LBB225_76
; %bb.75:
	v_lshl_add_u64 v[48:49], v[32:33], 1, v[20:21]
	flat_load_ushort v48, v[48:49]
	s_waitcnt vmcnt(0) lgkmcnt(0)
	v_mul_f16_e32 v48, v52, v48
.LBB225_76:
	v_pk_add_f16 v49, v8, v22
	v_pk_max_f16 v50, v99, v99
	s_and_b64 vcc, exec, s[0:1]
	v_pk_min_f16 v49, v50, v49
	v_pk_add_f16 v50, v9, v23
	s_nop 0
	v_pk_min_f16 v49, v49, v50
	s_nop 0
	v_lshrrev_b32_e32 v50, 16, v49
	v_min3_f16 v50, v48, v49, v50
	v_lshl_add_u64 v[48:49], v[32:33], 1, v[46:47]
	global_store_short v[48:49], v50, off
	v_mov_b32_e32 v48, 0
	v_mov_b32_e32 v49, 0
	s_cbranch_vccnz .LBB225_78
; %bb.77:
	v_lshl_add_u64 v[50:51], v[34:35], 1, v[20:21]
	flat_load_ushort v49, v[50:51]
	s_waitcnt vmcnt(0) lgkmcnt(0)
	v_mul_f16_e32 v49, v52, v49
.LBB225_78:
	v_pk_add_f16 v50, v10, v22
	v_pk_max_f16 v51, v98, v98
	s_and_b64 vcc, exec, s[0:1]
	v_pk_min_f16 v50, v51, v50
	v_pk_add_f16 v51, v11, v23
	s_nop 0
	v_pk_min_f16 v50, v50, v51
	s_nop 0
	v_lshrrev_b32_e32 v51, 16, v50
	v_min3_f16 v49, v49, v50, v51
	v_lshl_add_u64 v[50:51], v[34:35], 1, v[46:47]
	global_store_short v[50:51], v49, off
	s_cbranch_vccnz .LBB225_80
; %bb.79:
	v_lshl_add_u64 v[48:49], v[36:37], 1, v[20:21]
	flat_load_ushort v48, v[48:49]
	s_waitcnt vmcnt(0) lgkmcnt(0)
	v_mul_f16_e32 v48, v52, v48
.LBB225_80:
	v_pk_add_f16 v49, v4, v22
	v_pk_max_f16 v50, v97, v97
	s_and_b64 vcc, exec, s[0:1]
	v_pk_min_f16 v49, v50, v49
	v_pk_add_f16 v50, v5, v23
	s_nop 0
	v_pk_min_f16 v49, v49, v50
	s_nop 0
	v_lshrrev_b32_e32 v50, 16, v49
	v_min3_f16 v50, v48, v49, v50
	v_lshl_add_u64 v[48:49], v[36:37], 1, v[46:47]
	global_store_short v[48:49], v50, off
	v_mov_b32_e32 v48, 0
	v_mov_b32_e32 v49, 0
	s_cbranch_vccnz .LBB225_82
; %bb.81:
	v_lshl_add_u64 v[50:51], v[44:45], 1, v[20:21]
	flat_load_ushort v49, v[50:51]
	s_waitcnt vmcnt(0) lgkmcnt(0)
	v_mul_f16_e32 v49, v52, v49
.LBB225_82:
	v_pk_add_f16 v50, v6, v22
	v_pk_max_f16 v51, v96, v96
	s_and_b64 vcc, exec, s[0:1]
	v_pk_min_f16 v50, v51, v50
	v_pk_add_f16 v51, v7, v23
	s_nop 0
	v_pk_min_f16 v50, v50, v51
	s_nop 0
	;; [unrolled: 40-line block ×3, first 2 shown]
	v_lshrrev_b32_e32 v51, 16, v50
	v_min3_f16 v49, v49, v50, v51
	v_lshl_add_u64 v[50:51], v[40:41], 1, v[46:47]
	global_store_short v[50:51], v49, off
	s_cbranch_vccnz .LBB225_88
; %bb.87:
	v_lshl_add_u64 v[20:21], v[38:39], 1, v[20:21]
	flat_load_ushort v20, v[20:21]
	s_waitcnt vmcnt(0) lgkmcnt(0)
	v_mul_f16_e32 v48, v52, v20
.LBB225_88:
	v_pk_add_f16 v20, v24, v22
	v_pk_max_f16 v21, v93, v93
	s_and_b64 vcc, exec, s[0:1]
	v_pk_min_f16 v20, v21, v20
	v_pk_add_f16 v21, v25, v23
	s_nop 0
	v_pk_min_f16 v20, v20, v21
	s_nop 0
	v_lshrrev_b32_e32 v21, 16, v20
	v_min3_f16 v22, v48, v20, v21
	v_lshl_add_u64 v[20:21], v[38:39], 1, v[46:47]
	global_store_short v[20:21], v22, off
	v_add_u32_e32 v22, 0x60, v116
	v_mad_i64_i32 v[20:21], s[4:5], v22, s6, 0
	v_lshl_add_u64 v[20:21], v[20:21], 1, s[10:11]
	v_mov_b32_e32 v46, 0
	v_mov_b32_e32 v47, 0
	s_cbranch_vccnz .LBB225_90
; %bb.89:
	v_lshl_add_u64 v[48:49], v[28:29], 1, v[20:21]
	flat_load_ushort v23, v[48:49]
	s_waitcnt vmcnt(0) lgkmcnt(0)
	v_mul_f16_e32 v47, v52, v23
.LBB225_90:
	v_pk_add_f16 v23, v30, v16
	v_pk_max_f16 v48, v92, v92
	s_and_b64 vcc, exec, s[0:1]
	v_pk_min_f16 v23, v48, v23
	v_pk_add_f16 v48, v31, v17
	s_nop 0
	v_pk_min_f16 v48, v23, v48
	v_mad_i64_i32 v[22:23], s[4:5], v22, s7, 0
	v_lshl_add_u64 v[22:23], v[22:23], 1, s[2:3]
	v_lshrrev_b32_e32 v49, 16, v48
	v_min3_f16 v47, v47, v48, v49
	v_lshl_add_u64 v[48:49], v[28:29], 1, v[22:23]
	global_store_short v[48:49], v47, off
	s_cbranch_vccnz .LBB225_92
; %bb.91:
	v_lshl_add_u64 v[46:47], v[32:33], 1, v[20:21]
	flat_load_ushort v46, v[46:47]
	s_waitcnt vmcnt(0) lgkmcnt(0)
	v_mul_f16_e32 v46, v52, v46
.LBB225_92:
	v_pk_add_f16 v47, v8, v16
	v_pk_max_f16 v48, v91, v91
	s_and_b64 vcc, exec, s[0:1]
	v_pk_min_f16 v47, v48, v47
	v_pk_add_f16 v48, v9, v17
	s_nop 0
	v_pk_min_f16 v47, v47, v48
	s_nop 0
	v_lshrrev_b32_e32 v48, 16, v47
	v_min3_f16 v48, v46, v47, v48
	v_lshl_add_u64 v[46:47], v[32:33], 1, v[22:23]
	global_store_short v[46:47], v48, off
	v_mov_b32_e32 v46, 0
	v_mov_b32_e32 v47, 0
	s_cbranch_vccnz .LBB225_94
; %bb.93:
	v_lshl_add_u64 v[48:49], v[34:35], 1, v[20:21]
	flat_load_ushort v47, v[48:49]
	s_waitcnt vmcnt(0) lgkmcnt(0)
	v_mul_f16_e32 v47, v52, v47
.LBB225_94:
	v_pk_add_f16 v48, v10, v16
	v_pk_max_f16 v49, v90, v90
	s_and_b64 vcc, exec, s[0:1]
	v_pk_min_f16 v48, v49, v48
	v_pk_add_f16 v49, v11, v17
	s_nop 0
	v_pk_min_f16 v48, v48, v49
	s_nop 0
	v_lshrrev_b32_e32 v49, 16, v48
	v_min3_f16 v47, v47, v48, v49
	v_lshl_add_u64 v[48:49], v[34:35], 1, v[22:23]
	global_store_short v[48:49], v47, off
	s_cbranch_vccnz .LBB225_96
; %bb.95:
	v_lshl_add_u64 v[46:47], v[36:37], 1, v[20:21]
	flat_load_ushort v46, v[46:47]
	s_waitcnt vmcnt(0) lgkmcnt(0)
	v_mul_f16_e32 v46, v52, v46
.LBB225_96:
	v_pk_add_f16 v47, v4, v16
	v_pk_max_f16 v48, v89, v89
	s_and_b64 vcc, exec, s[0:1]
	v_pk_min_f16 v47, v48, v47
	v_pk_add_f16 v48, v5, v17
	s_nop 0
	v_pk_min_f16 v47, v47, v48
	s_nop 0
	v_lshrrev_b32_e32 v48, 16, v47
	v_min3_f16 v48, v46, v47, v48
	v_lshl_add_u64 v[46:47], v[36:37], 1, v[22:23]
	global_store_short v[46:47], v48, off
	v_mov_b32_e32 v46, 0
	v_mov_b32_e32 v47, 0
	s_cbranch_vccnz .LBB225_98
; %bb.97:
	v_lshl_add_u64 v[48:49], v[44:45], 1, v[20:21]
	flat_load_ushort v47, v[48:49]
	s_waitcnt vmcnt(0) lgkmcnt(0)
	v_mul_f16_e32 v47, v52, v47
.LBB225_98:
	v_pk_add_f16 v48, v6, v16
	v_pk_max_f16 v49, v88, v88
	s_and_b64 vcc, exec, s[0:1]
	v_pk_min_f16 v48, v49, v48
	v_pk_add_f16 v49, v7, v17
	s_nop 0
	v_pk_min_f16 v48, v48, v49
	s_nop 0
	;; [unrolled: 40-line block ×3, first 2 shown]
	v_lshrrev_b32_e32 v49, 16, v48
	v_min3_f16 v47, v47, v48, v49
	v_lshl_add_u64 v[48:49], v[40:41], 1, v[22:23]
	global_store_short v[48:49], v47, off
	s_cbranch_vccnz .LBB225_104
; %bb.103:
	v_lshl_add_u64 v[20:21], v[38:39], 1, v[20:21]
	flat_load_ushort v20, v[20:21]
	s_waitcnt vmcnt(0) lgkmcnt(0)
	v_mul_f16_e32 v46, v52, v20
.LBB225_104:
	v_pk_add_f16 v16, v24, v16
	v_pk_max_f16 v20, v84, v84
	v_pk_add_f16 v17, v25, v17
	v_pk_min_f16 v16, v20, v16
	s_and_b64 vcc, exec, s[0:1]
	v_pk_min_f16 v16, v16, v17
	s_nop 0
	v_lshrrev_b32_e32 v17, 16, v16
	v_min3_f16 v20, v46, v16, v17
	v_lshl_add_u64 v[16:17], v[38:39], 1, v[22:23]
	global_store_short v[16:17], v20, off
	v_add_u32_e32 v20, 0x80, v116
	v_mad_i64_i32 v[16:17], s[4:5], v20, s6, 0
	v_lshl_add_u64 v[16:17], v[16:17], 1, s[10:11]
	v_mov_b32_e32 v22, 0
	v_mov_b32_e32 v23, 0
	s_cbranch_vccnz .LBB225_106
; %bb.105:
	v_lshl_add_u64 v[46:47], v[28:29], 1, v[16:17]
	flat_load_ushort v21, v[46:47]
	s_waitcnt vmcnt(0) lgkmcnt(0)
	v_mul_f16_e32 v23, v52, v21
.LBB225_106:
	v_pk_add_f16 v21, v30, v18
	v_pk_max_f16 v46, v85, v85
	s_and_b64 vcc, exec, s[0:1]
	v_pk_min_f16 v21, v46, v21
	v_pk_add_f16 v46, v31, v19
	s_nop 0
	v_pk_min_f16 v46, v21, v46
	v_mad_i64_i32 v[20:21], s[4:5], v20, s7, 0
	v_lshl_add_u64 v[20:21], v[20:21], 1, s[2:3]
	v_lshrrev_b32_e32 v47, 16, v46
	v_min3_f16 v23, v23, v46, v47
	v_lshl_add_u64 v[46:47], v[28:29], 1, v[20:21]
	global_store_short v[46:47], v23, off
	s_cbranch_vccnz .LBB225_108
; %bb.107:
	v_lshl_add_u64 v[22:23], v[32:33], 1, v[16:17]
	flat_load_ushort v22, v[22:23]
	s_waitcnt vmcnt(0) lgkmcnt(0)
	v_mul_f16_e32 v22, v52, v22
.LBB225_108:
	v_pk_add_f16 v23, v8, v18
	v_pk_max_f16 v46, v83, v83
	s_and_b64 vcc, exec, s[0:1]
	v_pk_min_f16 v23, v46, v23
	v_pk_add_f16 v46, v9, v19
	s_nop 0
	v_pk_min_f16 v23, v23, v46
	s_nop 0
	v_lshrrev_b32_e32 v46, 16, v23
	v_min3_f16 v46, v22, v23, v46
	v_lshl_add_u64 v[22:23], v[32:33], 1, v[20:21]
	global_store_short v[22:23], v46, off
	v_mov_b32_e32 v22, 0
	v_mov_b32_e32 v23, 0
	s_cbranch_vccnz .LBB225_110
; %bb.109:
	v_lshl_add_u64 v[46:47], v[34:35], 1, v[16:17]
	flat_load_ushort v23, v[46:47]
	s_waitcnt vmcnt(0) lgkmcnt(0)
	v_mul_f16_e32 v23, v52, v23
.LBB225_110:
	v_pk_add_f16 v46, v10, v18
	v_pk_max_f16 v47, v82, v82
	s_and_b64 vcc, exec, s[0:1]
	v_pk_min_f16 v46, v47, v46
	v_pk_add_f16 v47, v11, v19
	s_nop 0
	v_pk_min_f16 v46, v46, v47
	s_nop 0
	v_lshrrev_b32_e32 v47, 16, v46
	v_min3_f16 v23, v23, v46, v47
	v_lshl_add_u64 v[46:47], v[34:35], 1, v[20:21]
	global_store_short v[46:47], v23, off
	s_cbranch_vccnz .LBB225_112
; %bb.111:
	v_lshl_add_u64 v[22:23], v[36:37], 1, v[16:17]
	flat_load_ushort v22, v[22:23]
	s_waitcnt vmcnt(0) lgkmcnt(0)
	v_mul_f16_e32 v22, v52, v22
.LBB225_112:
	v_pk_add_f16 v23, v4, v18
	v_pk_max_f16 v46, v81, v81
	s_and_b64 vcc, exec, s[0:1]
	v_pk_min_f16 v23, v46, v23
	v_pk_add_f16 v46, v5, v19
	s_nop 0
	v_pk_min_f16 v23, v23, v46
	s_nop 0
	v_lshrrev_b32_e32 v46, 16, v23
	v_min3_f16 v46, v22, v23, v46
	v_lshl_add_u64 v[22:23], v[36:37], 1, v[20:21]
	global_store_short v[22:23], v46, off
	v_mov_b32_e32 v22, 0
	v_mov_b32_e32 v23, 0
	s_cbranch_vccnz .LBB225_114
; %bb.113:
	v_lshl_add_u64 v[46:47], v[44:45], 1, v[16:17]
	flat_load_ushort v23, v[46:47]
	s_waitcnt vmcnt(0) lgkmcnt(0)
	v_mul_f16_e32 v23, v52, v23
.LBB225_114:
	v_pk_add_f16 v46, v6, v18
	v_pk_max_f16 v47, v80, v80
	s_and_b64 vcc, exec, s[0:1]
	v_pk_min_f16 v46, v47, v46
	v_pk_add_f16 v47, v7, v19
	s_nop 0
	v_pk_min_f16 v46, v46, v47
	s_nop 0
	;; [unrolled: 40-line block ×3, first 2 shown]
	v_lshrrev_b32_e32 v47, 16, v46
	v_min3_f16 v23, v23, v46, v47
	v_lshl_add_u64 v[46:47], v[40:41], 1, v[20:21]
	global_store_short v[46:47], v23, off
	s_cbranch_vccnz .LBB225_120
; %bb.119:
	v_lshl_add_u64 v[16:17], v[38:39], 1, v[16:17]
	flat_load_ushort v16, v[16:17]
	s_waitcnt vmcnt(0) lgkmcnt(0)
	v_mul_f16_e32 v22, v52, v16
.LBB225_120:
	v_pk_add_f16 v16, v24, v18
	v_pk_max_f16 v17, v77, v77
	s_and_b64 vcc, exec, s[0:1]
	v_pk_min_f16 v16, v17, v16
	v_pk_add_f16 v17, v25, v19
	s_nop 0
	v_pk_min_f16 v16, v16, v17
	s_nop 0
	v_lshrrev_b32_e32 v17, 16, v16
	v_min3_f16 v18, v22, v16, v17
	v_lshl_add_u64 v[16:17], v[38:39], 1, v[20:21]
	global_store_short v[16:17], v18, off
	v_add_u32_e32 v18, 0xa0, v116
	v_mad_i64_i32 v[16:17], s[4:5], v18, s6, 0
	v_lshl_add_u64 v[16:17], v[16:17], 1, s[10:11]
	v_mov_b32_e32 v20, 0
	v_mov_b32_e32 v21, 0
	s_cbranch_vccnz .LBB225_122
; %bb.121:
	v_lshl_add_u64 v[22:23], v[28:29], 1, v[16:17]
	flat_load_ushort v19, v[22:23]
	s_waitcnt vmcnt(0) lgkmcnt(0)
	v_mul_f16_e32 v21, v52, v19
.LBB225_122:
	v_pk_add_f16 v19, v30, v12
	v_pk_max_f16 v22, v76, v76
	s_and_b64 vcc, exec, s[0:1]
	v_pk_min_f16 v19, v22, v19
	v_pk_add_f16 v22, v31, v13
	s_nop 0
	v_pk_min_f16 v22, v19, v22
	v_mad_i64_i32 v[18:19], s[4:5], v18, s7, 0
	v_lshl_add_u64 v[18:19], v[18:19], 1, s[2:3]
	v_lshrrev_b32_e32 v23, 16, v22
	v_min3_f16 v21, v21, v22, v23
	v_lshl_add_u64 v[22:23], v[28:29], 1, v[18:19]
	global_store_short v[22:23], v21, off
	s_cbranch_vccnz .LBB225_124
; %bb.123:
	v_lshl_add_u64 v[20:21], v[32:33], 1, v[16:17]
	flat_load_ushort v20, v[20:21]
	s_waitcnt vmcnt(0) lgkmcnt(0)
	v_mul_f16_e32 v20, v52, v20
.LBB225_124:
	v_pk_add_f16 v21, v8, v12
	v_pk_max_f16 v22, v75, v75
	s_and_b64 vcc, exec, s[0:1]
	v_pk_min_f16 v21, v22, v21
	v_pk_add_f16 v22, v9, v13
	s_nop 0
	v_pk_min_f16 v21, v21, v22
	s_nop 0
	v_lshrrev_b32_e32 v22, 16, v21
	v_min3_f16 v22, v20, v21, v22
	v_lshl_add_u64 v[20:21], v[32:33], 1, v[18:19]
	global_store_short v[20:21], v22, off
	v_mov_b32_e32 v20, 0
	v_mov_b32_e32 v21, 0
	s_cbranch_vccnz .LBB225_126
; %bb.125:
	v_lshl_add_u64 v[22:23], v[34:35], 1, v[16:17]
	flat_load_ushort v21, v[22:23]
	s_waitcnt vmcnt(0) lgkmcnt(0)
	v_mul_f16_e32 v21, v52, v21
.LBB225_126:
	v_pk_add_f16 v22, v10, v12
	v_pk_max_f16 v23, v74, v74
	s_and_b64 vcc, exec, s[0:1]
	v_pk_min_f16 v22, v23, v22
	v_pk_add_f16 v23, v11, v13
	s_nop 0
	v_pk_min_f16 v22, v22, v23
	s_nop 0
	v_lshrrev_b32_e32 v23, 16, v22
	v_min3_f16 v21, v21, v22, v23
	v_lshl_add_u64 v[22:23], v[34:35], 1, v[18:19]
	global_store_short v[22:23], v21, off
	s_cbranch_vccnz .LBB225_128
; %bb.127:
	v_lshl_add_u64 v[20:21], v[36:37], 1, v[16:17]
	flat_load_ushort v20, v[20:21]
	s_waitcnt vmcnt(0) lgkmcnt(0)
	v_mul_f16_e32 v20, v52, v20
.LBB225_128:
	v_pk_add_f16 v21, v4, v12
	v_pk_max_f16 v22, v73, v73
	s_and_b64 vcc, exec, s[0:1]
	v_pk_min_f16 v21, v22, v21
	v_pk_add_f16 v22, v5, v13
	s_nop 0
	v_pk_min_f16 v21, v21, v22
	s_nop 0
	v_lshrrev_b32_e32 v22, 16, v21
	v_min3_f16 v22, v20, v21, v22
	v_lshl_add_u64 v[20:21], v[36:37], 1, v[18:19]
	global_store_short v[20:21], v22, off
	v_mov_b32_e32 v20, 0
	v_mov_b32_e32 v21, 0
	s_cbranch_vccnz .LBB225_130
; %bb.129:
	v_lshl_add_u64 v[22:23], v[44:45], 1, v[16:17]
	flat_load_ushort v21, v[22:23]
	s_waitcnt vmcnt(0) lgkmcnt(0)
	v_mul_f16_e32 v21, v52, v21
.LBB225_130:
	v_pk_add_f16 v22, v6, v12
	v_pk_max_f16 v23, v72, v72
	s_and_b64 vcc, exec, s[0:1]
	v_pk_min_f16 v22, v23, v22
	v_pk_add_f16 v23, v7, v13
	s_nop 0
	v_pk_min_f16 v22, v22, v23
	s_nop 0
	;; [unrolled: 40-line block ×3, first 2 shown]
	v_lshrrev_b32_e32 v23, 16, v22
	v_min3_f16 v21, v21, v22, v23
	v_lshl_add_u64 v[22:23], v[40:41], 1, v[18:19]
	global_store_short v[22:23], v21, off
	s_cbranch_vccnz .LBB225_136
; %bb.135:
	v_lshl_add_u64 v[16:17], v[38:39], 1, v[16:17]
	flat_load_ushort v16, v[16:17]
	s_waitcnt vmcnt(0) lgkmcnt(0)
	v_mul_f16_e32 v20, v52, v16
.LBB225_136:
	v_pk_add_f16 v12, v24, v12
	v_pk_max_f16 v16, v69, v69
	v_pk_add_f16 v13, v25, v13
	v_pk_min_f16 v12, v16, v12
	s_and_b64 vcc, exec, s[0:1]
	v_pk_min_f16 v12, v12, v13
	s_nop 0
	v_lshrrev_b32_e32 v13, 16, v12
	v_min3_f16 v16, v20, v12, v13
	v_lshl_add_u64 v[12:13], v[38:39], 1, v[18:19]
	global_store_short v[12:13], v16, off
	v_add_u32_e32 v16, 0xc0, v116
	v_mad_i64_i32 v[12:13], s[4:5], v16, s6, 0
	v_lshl_add_u64 v[12:13], v[12:13], 1, s[10:11]
	v_mov_b32_e32 v18, 0
	v_mov_b32_e32 v19, 0
	s_cbranch_vccnz .LBB225_138
; %bb.137:
	v_lshl_add_u64 v[20:21], v[28:29], 1, v[12:13]
	flat_load_ushort v17, v[20:21]
	s_waitcnt vmcnt(0) lgkmcnt(0)
	v_mul_f16_e32 v19, v52, v17
.LBB225_138:
	v_pk_add_f16 v17, v30, v14
	v_pk_max_f16 v20, v67, v67
	s_and_b64 vcc, exec, s[0:1]
	v_pk_min_f16 v17, v20, v17
	v_pk_add_f16 v20, v31, v15
	s_nop 0
	v_pk_min_f16 v20, v17, v20
	v_mad_i64_i32 v[16:17], s[4:5], v16, s7, 0
	v_lshl_add_u64 v[16:17], v[16:17], 1, s[2:3]
	v_lshrrev_b32_e32 v21, 16, v20
	v_min3_f16 v19, v19, v20, v21
	v_lshl_add_u64 v[20:21], v[28:29], 1, v[16:17]
	global_store_short v[20:21], v19, off
	s_cbranch_vccnz .LBB225_140
; %bb.139:
	v_lshl_add_u64 v[18:19], v[32:33], 1, v[12:13]
	flat_load_ushort v18, v[18:19]
	s_waitcnt vmcnt(0) lgkmcnt(0)
	v_mul_f16_e32 v18, v52, v18
.LBB225_140:
	v_pk_add_f16 v19, v8, v14
	v_pk_max_f16 v20, v66, v66
	s_and_b64 vcc, exec, s[0:1]
	v_pk_min_f16 v19, v20, v19
	v_pk_add_f16 v20, v9, v15
	s_nop 0
	v_pk_min_f16 v19, v19, v20
	s_nop 0
	v_lshrrev_b32_e32 v20, 16, v19
	v_min3_f16 v20, v18, v19, v20
	v_lshl_add_u64 v[18:19], v[32:33], 1, v[16:17]
	global_store_short v[18:19], v20, off
	v_mov_b32_e32 v18, 0
	v_mov_b32_e32 v19, 0
	s_cbranch_vccnz .LBB225_142
; %bb.141:
	v_lshl_add_u64 v[20:21], v[34:35], 1, v[12:13]
	flat_load_ushort v19, v[20:21]
	s_waitcnt vmcnt(0) lgkmcnt(0)
	v_mul_f16_e32 v19, v52, v19
.LBB225_142:
	v_pk_add_f16 v20, v10, v14
	v_pk_max_f16 v21, v65, v65
	s_and_b64 vcc, exec, s[0:1]
	v_pk_min_f16 v20, v21, v20
	v_pk_add_f16 v21, v11, v15
	s_nop 0
	v_pk_min_f16 v20, v20, v21
	s_nop 0
	v_lshrrev_b32_e32 v21, 16, v20
	v_min3_f16 v19, v19, v20, v21
	v_lshl_add_u64 v[20:21], v[34:35], 1, v[16:17]
	global_store_short v[20:21], v19, off
	s_cbranch_vccnz .LBB225_144
; %bb.143:
	v_lshl_add_u64 v[18:19], v[36:37], 1, v[12:13]
	flat_load_ushort v18, v[18:19]
	s_waitcnt vmcnt(0) lgkmcnt(0)
	v_mul_f16_e32 v18, v52, v18
.LBB225_144:
	v_pk_add_f16 v19, v4, v14
	v_pk_max_f16 v20, v64, v64
	s_and_b64 vcc, exec, s[0:1]
	v_pk_min_f16 v19, v20, v19
	v_pk_add_f16 v20, v5, v15
	s_nop 0
	v_pk_min_f16 v19, v19, v20
	s_nop 0
	v_lshrrev_b32_e32 v20, 16, v19
	v_min3_f16 v20, v18, v19, v20
	v_lshl_add_u64 v[18:19], v[36:37], 1, v[16:17]
	global_store_short v[18:19], v20, off
	v_mov_b32_e32 v18, 0
	v_mov_b32_e32 v19, 0
	s_cbranch_vccnz .LBB225_146
; %bb.145:
	v_lshl_add_u64 v[20:21], v[44:45], 1, v[12:13]
	flat_load_ushort v19, v[20:21]
	s_waitcnt vmcnt(0) lgkmcnt(0)
	v_mul_f16_e32 v19, v52, v19
.LBB225_146:
	v_pk_add_f16 v20, v6, v14
	v_pk_max_f16 v21, v63, v63
	s_and_b64 vcc, exec, s[0:1]
	v_pk_min_f16 v20, v21, v20
	v_pk_add_f16 v21, v7, v15
	s_nop 0
	v_pk_min_f16 v20, v20, v21
	s_nop 0
	;; [unrolled: 40-line block ×3, first 2 shown]
	v_lshrrev_b32_e32 v21, 16, v20
	v_min3_f16 v19, v19, v20, v21
	v_lshl_add_u64 v[20:21], v[40:41], 1, v[16:17]
	global_store_short v[20:21], v19, off
	s_cbranch_vccnz .LBB225_152
; %bb.151:
	v_lshl_add_u64 v[12:13], v[38:39], 1, v[12:13]
	flat_load_ushort v12, v[12:13]
	s_waitcnt vmcnt(0) lgkmcnt(0)
	v_mul_f16_e32 v18, v52, v12
.LBB225_152:
	v_pk_add_f16 v12, v24, v14
	v_pk_max_f16 v13, v59, v59
	s_and_b64 vcc, exec, s[0:1]
	v_pk_min_f16 v12, v13, v12
	v_pk_add_f16 v13, v25, v15
	s_nop 0
	v_pk_min_f16 v12, v12, v13
	s_nop 0
	v_lshrrev_b32_e32 v13, 16, v12
	v_min3_f16 v14, v18, v12, v13
	v_lshl_add_u64 v[12:13], v[38:39], 1, v[16:17]
	global_store_short v[12:13], v14, off
	v_add_u32_e32 v14, 0xe0, v116
	v_mad_i64_i32 v[12:13], s[4:5], v14, s6, 0
	v_lshl_add_u64 v[12:13], v[12:13], 1, s[10:11]
	v_mov_b32_e32 v16, 0
	v_mov_b32_e32 v17, 0
	s_cbranch_vccnz .LBB225_154
; %bb.153:
	v_lshl_add_u64 v[18:19], v[28:29], 1, v[12:13]
	flat_load_ushort v15, v[18:19]
	s_waitcnt vmcnt(0) lgkmcnt(0)
	v_mul_f16_e32 v17, v52, v15
.LBB225_154:
	v_pk_add_f16 v15, v30, v26
	v_pk_max_f16 v18, v60, v60
	s_and_b64 vcc, exec, s[0:1]
	v_pk_min_f16 v15, v18, v15
	v_pk_add_f16 v18, v31, v27
	s_nop 0
	v_pk_min_f16 v18, v15, v18
	v_mad_i64_i32 v[14:15], s[4:5], v14, s7, 0
	v_lshl_add_u64 v[14:15], v[14:15], 1, s[2:3]
	v_lshrrev_b32_e32 v19, 16, v18
	v_min3_f16 v17, v17, v18, v19
	v_lshl_add_u64 v[18:19], v[28:29], 1, v[14:15]
	global_store_short v[18:19], v17, off
	s_cbranch_vccnz .LBB225_156
; %bb.155:
	v_lshl_add_u64 v[16:17], v[32:33], 1, v[12:13]
	flat_load_ushort v16, v[16:17]
	s_waitcnt vmcnt(0) lgkmcnt(0)
	v_mul_f16_e32 v16, v52, v16
.LBB225_156:
	v_pk_add_f16 v8, v8, v26
	v_pk_max_f16 v17, v58, v58
	v_pk_add_f16 v9, v9, v27
	v_pk_min_f16 v8, v17, v8
	s_and_b64 vcc, exec, s[0:1]
	v_pk_min_f16 v8, v8, v9
	s_nop 0
	v_lshrrev_b32_e32 v9, 16, v8
	v_min3_f16 v16, v16, v8, v9
	v_lshl_add_u64 v[8:9], v[32:33], 1, v[14:15]
	global_store_short v[8:9], v16, off
	v_mov_b32_e32 v8, 0
	v_mov_b32_e32 v9, 0
	s_cbranch_vccnz .LBB225_158
; %bb.157:
	v_lshl_add_u64 v[16:17], v[34:35], 1, v[12:13]
	flat_load_ushort v9, v[16:17]
	s_waitcnt vmcnt(0) lgkmcnt(0)
	v_mul_f16_e32 v9, v52, v9
.LBB225_158:
	v_pk_add_f16 v10, v10, v26
	v_pk_max_f16 v16, v57, v57
	v_pk_add_f16 v11, v11, v27
	v_pk_min_f16 v10, v16, v10
	s_and_b64 vcc, exec, s[0:1]
	v_pk_min_f16 v10, v10, v11
	s_nop 0
	v_lshrrev_b32_e32 v11, 16, v10
	v_min3_f16 v9, v9, v10, v11
	v_lshl_add_u64 v[10:11], v[34:35], 1, v[14:15]
	global_store_short v[10:11], v9, off
	s_cbranch_vccnz .LBB225_160
; %bb.159:
	v_lshl_add_u64 v[8:9], v[36:37], 1, v[12:13]
	flat_load_ushort v8, v[8:9]
	s_waitcnt vmcnt(0) lgkmcnt(0)
	v_mul_f16_e32 v8, v52, v8
.LBB225_160:
	v_pk_add_f16 v4, v4, v26
	v_pk_max_f16 v9, v56, v56
	v_pk_add_f16 v5, v5, v27
	v_pk_min_f16 v4, v9, v4
	s_and_b64 vcc, exec, s[0:1]
	v_pk_min_f16 v4, v4, v5
	s_nop 0
	v_lshrrev_b32_e32 v5, 16, v4
	v_min3_f16 v8, v8, v4, v5
	v_lshl_add_u64 v[4:5], v[36:37], 1, v[14:15]
	global_store_short v[4:5], v8, off
	v_mov_b32_e32 v4, 0
	v_mov_b32_e32 v5, 0
	s_cbranch_vccnz .LBB225_162
; %bb.161:
	v_lshl_add_u64 v[8:9], v[44:45], 1, v[12:13]
	flat_load_ushort v5, v[8:9]
	s_waitcnt vmcnt(0) lgkmcnt(0)
	v_mul_f16_e32 v5, v52, v5
.LBB225_162:
	v_pk_add_f16 v6, v6, v26
	v_pk_max_f16 v8, v55, v55
	v_pk_add_f16 v7, v7, v27
	v_pk_min_f16 v6, v8, v6
	s_and_b64 vcc, exec, s[0:1]
	v_pk_min_f16 v6, v6, v7
	s_nop 0
	v_lshrrev_b32_e32 v7, 16, v6
	v_min3_f16 v5, v5, v6, v7
	v_lshl_add_u64 v[6:7], v[44:45], 1, v[14:15]
	global_store_short v[6:7], v5, off
	s_cbranch_vccnz .LBB225_164
; %bb.163:
	v_lshl_add_u64 v[4:5], v[42:43], 1, v[12:13]
	flat_load_ushort v4, v[4:5]
	s_waitcnt vmcnt(0) lgkmcnt(0)
	v_mul_f16_e32 v4, v52, v4
.LBB225_164:
	v_pk_add_f16 v0, v0, v26
	v_pk_max_f16 v5, v53, v53
	v_pk_add_f16 v2, v2, v26
	v_pk_min_f16 v0, v5, v0
	v_pk_max_f16 v5, v54, v54
	v_pk_add_f16 v1, v1, v27
	v_pk_min_f16 v2, v5, v2
	v_pk_min_f16 v0, v0, v1
	v_pk_add_f16 v1, v3, v27
	s_mov_b64 vcc, s[8:9]
	v_pk_min_f16 v2, v2, v1
	v_lshrrev_b32_e32 v1, 16, v0
	v_min3_f16 v3, v4, v0, v1
	v_lshl_add_u64 v[0:1], v[42:43], 1, v[14:15]
	global_store_short v[0:1], v3, off
	v_min_f16_sdwa v0, v2, v2 dst_sel:DWORD dst_unused:UNUSED_PAD src0_sel:DWORD src1_sel:WORD_1
	v_max_f16_e32 v0, v0, v0
	s_cbranch_vccz .LBB225_167
; %bb.165:
	v_min_f16_e32 v1, 0, v0
	v_lshl_add_u64 v[2:3], v[40:41], 1, v[14:15]
	s_mov_b32 s2, 0
	global_store_short v[2:3], v1, off
	s_cbranch_execz .LBB225_168
; %bb.166:
	v_mov_b32_e32 v0, s2
	s_branch .LBB225_169
.LBB225_167:
                                        ; implicit-def: $sgpr2
.LBB225_168:
	v_lshlrev_b64 v[2:3], 1, v[40:41]
	v_lshl_add_u64 v[4:5], v[12:13], 0, v[2:3]
	flat_load_ushort v1, v[4:5]
	v_lshl_add_u64 v[2:3], v[14:15], 0, v[2:3]
	s_waitcnt vmcnt(0) lgkmcnt(0)
	v_mul_f16_e32 v1, v52, v1
	v_min_f16_e32 v0, v1, v0
	global_store_short v[2:3], v0, off
	v_lshl_add_u64 v[0:1], v[38:39], 1, v[12:13]
	flat_load_ushort v0, v[0:1]
	s_waitcnt vmcnt(0) lgkmcnt(0)
	v_mul_f16_e32 v0, v52, v0
.LBB225_169:
	v_pk_add_f16 v1, v24, v26
	v_pk_max_f16 v2, v68, v68
	s_nop 0
	v_pk_min_f16 v1, v2, v1
	v_pk_add_f16 v2, v25, v27
	s_nop 0
	v_pk_min_f16 v1, v1, v2
	s_nop 0
	v_lshrrev_b32_e32 v2, 16, v1
	v_min3_f16 v2, v0, v1, v2
	v_lshl_add_u64 v[0:1], v[38:39], 1, v[14:15]
	global_store_short v[0:1], v2, off
	s_endpgm
	.section	.rodata,"a",@progbits
	.p2align	6, 0x0
	.amdhsa_kernel _ZN12_GLOBAL__N_120geam_min_plus_kernelIDF16_Dv2_DF16_S1_Li8ELi32ELi64ELi256ELi4ELi4ELi64ELi64ELi4ELc84ELc84ELb0ELb0ELb1EPKDF16_KS3_KPDF16_EEviiiT16_PT17_ilS9_ilS7_S9_ilPT18_ili26rocblas_geam_ex_operation_
		.amdhsa_group_segment_fixed_size 5120
		.amdhsa_private_segment_fixed_size 0
		.amdhsa_kernarg_size 136
		.amdhsa_user_sgpr_count 2
		.amdhsa_user_sgpr_dispatch_ptr 0
		.amdhsa_user_sgpr_queue_ptr 0
		.amdhsa_user_sgpr_kernarg_segment_ptr 1
		.amdhsa_user_sgpr_dispatch_id 0
		.amdhsa_user_sgpr_kernarg_preload_length 0
		.amdhsa_user_sgpr_kernarg_preload_offset 0
		.amdhsa_user_sgpr_private_segment_size 0
		.amdhsa_uses_dynamic_stack 0
		.amdhsa_enable_private_segment 0
		.amdhsa_system_sgpr_workgroup_id_x 1
		.amdhsa_system_sgpr_workgroup_id_y 0
		.amdhsa_system_sgpr_workgroup_id_z 1
		.amdhsa_system_sgpr_workgroup_info 0
		.amdhsa_system_vgpr_workitem_id 1
		.amdhsa_next_free_vgpr 168
		.amdhsa_next_free_sgpr 26
		.amdhsa_accum_offset 168
		.amdhsa_reserve_vcc 1
		.amdhsa_float_round_mode_32 0
		.amdhsa_float_round_mode_16_64 0
		.amdhsa_float_denorm_mode_32 3
		.amdhsa_float_denorm_mode_16_64 3
		.amdhsa_dx10_clamp 1
		.amdhsa_ieee_mode 1
		.amdhsa_fp16_overflow 0
		.amdhsa_tg_split 0
		.amdhsa_exception_fp_ieee_invalid_op 0
		.amdhsa_exception_fp_denorm_src 0
		.amdhsa_exception_fp_ieee_div_zero 0
		.amdhsa_exception_fp_ieee_overflow 0
		.amdhsa_exception_fp_ieee_underflow 0
		.amdhsa_exception_fp_ieee_inexact 0
		.amdhsa_exception_int_div_zero 0
	.end_amdhsa_kernel
	.section	.text._ZN12_GLOBAL__N_120geam_min_plus_kernelIDF16_Dv2_DF16_S1_Li8ELi32ELi64ELi256ELi4ELi4ELi64ELi64ELi4ELc84ELc84ELb0ELb0ELb1EPKDF16_KS3_KPDF16_EEviiiT16_PT17_ilS9_ilS7_S9_ilPT18_ili26rocblas_geam_ex_operation_,"axG",@progbits,_ZN12_GLOBAL__N_120geam_min_plus_kernelIDF16_Dv2_DF16_S1_Li8ELi32ELi64ELi256ELi4ELi4ELi64ELi64ELi4ELc84ELc84ELb0ELb0ELb1EPKDF16_KS3_KPDF16_EEviiiT16_PT17_ilS9_ilS7_S9_ilPT18_ili26rocblas_geam_ex_operation_,comdat
.Lfunc_end225:
	.size	_ZN12_GLOBAL__N_120geam_min_plus_kernelIDF16_Dv2_DF16_S1_Li8ELi32ELi64ELi256ELi4ELi4ELi64ELi64ELi4ELc84ELc84ELb0ELb0ELb1EPKDF16_KS3_KPDF16_EEviiiT16_PT17_ilS9_ilS7_S9_ilPT18_ili26rocblas_geam_ex_operation_, .Lfunc_end225-_ZN12_GLOBAL__N_120geam_min_plus_kernelIDF16_Dv2_DF16_S1_Li8ELi32ELi64ELi256ELi4ELi4ELi64ELi64ELi4ELc84ELc84ELb0ELb0ELb1EPKDF16_KS3_KPDF16_EEviiiT16_PT17_ilS9_ilS7_S9_ilPT18_ili26rocblas_geam_ex_operation_
                                        ; -- End function
	.section	.AMDGPU.csdata,"",@progbits
; Kernel info:
; codeLenInByte = 17148
; NumSgprs: 32
; NumVgprs: 168
; NumAgprs: 0
; TotalNumVgprs: 168
; ScratchSize: 0
; MemoryBound: 0
; FloatMode: 240
; IeeeMode: 1
; LDSByteSize: 5120 bytes/workgroup (compile time only)
; SGPRBlocks: 3
; VGPRBlocks: 20
; NumSGPRsForWavesPerEU: 32
; NumVGPRsForWavesPerEU: 168
; AccumOffset: 168
; Occupancy: 3
; WaveLimiterHint : 1
; COMPUTE_PGM_RSRC2:SCRATCH_EN: 0
; COMPUTE_PGM_RSRC2:USER_SGPR: 2
; COMPUTE_PGM_RSRC2:TRAP_HANDLER: 0
; COMPUTE_PGM_RSRC2:TGID_X_EN: 1
; COMPUTE_PGM_RSRC2:TGID_Y_EN: 0
; COMPUTE_PGM_RSRC2:TGID_Z_EN: 1
; COMPUTE_PGM_RSRC2:TIDIG_COMP_CNT: 1
; COMPUTE_PGM_RSRC3_GFX90A:ACCUM_OFFSET: 41
; COMPUTE_PGM_RSRC3_GFX90A:TG_SPLIT: 0
	.section	.text._ZN12_GLOBAL__N_120geam_min_plus_kernelIDF16_Dv2_DF16_S1_Li8ELi32ELi64ELi256ELi4ELi4ELi64ELi64ELi4ELc84ELc84ELb1ELb0ELb1EDF16_KPKDF16_KPDF16_EEviiiT16_PT17_ilS9_ilS7_S9_ilPT18_ili26rocblas_geam_ex_operation_,"axG",@progbits,_ZN12_GLOBAL__N_120geam_min_plus_kernelIDF16_Dv2_DF16_S1_Li8ELi32ELi64ELi256ELi4ELi4ELi64ELi64ELi4ELc84ELc84ELb1ELb0ELb1EDF16_KPKDF16_KPDF16_EEviiiT16_PT17_ilS9_ilS7_S9_ilPT18_ili26rocblas_geam_ex_operation_,comdat
	.globl	_ZN12_GLOBAL__N_120geam_min_plus_kernelIDF16_Dv2_DF16_S1_Li8ELi32ELi64ELi256ELi4ELi4ELi64ELi64ELi4ELc84ELc84ELb1ELb0ELb1EDF16_KPKDF16_KPDF16_EEviiiT16_PT17_ilS9_ilS7_S9_ilPT18_ili26rocblas_geam_ex_operation_ ; -- Begin function _ZN12_GLOBAL__N_120geam_min_plus_kernelIDF16_Dv2_DF16_S1_Li8ELi32ELi64ELi256ELi4ELi4ELi64ELi64ELi4ELc84ELc84ELb1ELb0ELb1EDF16_KPKDF16_KPDF16_EEviiiT16_PT17_ilS9_ilS7_S9_ilPT18_ili26rocblas_geam_ex_operation_
	.p2align	8
	.type	_ZN12_GLOBAL__N_120geam_min_plus_kernelIDF16_Dv2_DF16_S1_Li8ELi32ELi64ELi256ELi4ELi4ELi64ELi64ELi4ELc84ELc84ELb1ELb0ELb1EDF16_KPKDF16_KPDF16_EEviiiT16_PT17_ilS9_ilS7_S9_ilPT18_ili26rocblas_geam_ex_operation_,@function
_ZN12_GLOBAL__N_120geam_min_plus_kernelIDF16_Dv2_DF16_S1_Li8ELi32ELi64ELi256ELi4ELi4ELi64ELi64ELi4ELc84ELc84ELb1ELb0ELb1EDF16_KPKDF16_KPDF16_EEviiiT16_PT17_ilS9_ilS7_S9_ilPT18_ili26rocblas_geam_ex_operation_: ; @_ZN12_GLOBAL__N_120geam_min_plus_kernelIDF16_Dv2_DF16_S1_Li8ELi32ELi64ELi256ELi4ELi4ELi64ELi64ELi4ELc84ELc84ELb1ELb0ELb1EDF16_KPKDF16_KPDF16_EEviiiT16_PT17_ilS9_ilS7_S9_ilPT18_ili26rocblas_geam_ex_operation_
; %bb.0:
	s_load_dwordx2 s[12:13], s[0:1], 0x8
	s_load_dwordx4 s[4:7], s[0:1], 0x20
	s_mov_b32 s20, s3
	s_mov_b32 s21, 0
	s_waitcnt lgkmcnt(0)
	v_cmp_eq_f16_e64 s[8:9], s13, 0
	s_and_b64 vcc, exec, s[8:9]
	s_cbranch_vccnz .LBB226_3
; %bb.1:
	s_load_dwordx2 s[10:11], s[0:1], 0x10
	s_lshl_b64 s[14:15], s[20:21], 3
	s_waitcnt lgkmcnt(0)
	s_add_u32 s10, s10, s14
	s_addc_u32 s11, s11, s15
	s_load_dwordx2 s[10:11], s[10:11], 0x0
	s_lshl_b64 s[4:5], s[4:5], 1
	s_waitcnt lgkmcnt(0)
	s_add_u32 s14, s10, s4
	s_addc_u32 s15, s11, s5
	s_andn2_b64 vcc, exec, s[8:9]
	s_cbranch_vccnz .LBB226_4
.LBB226_2:
	s_mov_b64 s[16:17], 0
	s_cbranch_execz .LBB226_5
	s_branch .LBB226_6
.LBB226_3:
	s_mov_b64 s[14:15], 0
	s_andn2_b64 vcc, exec, s[8:9]
	s_cbranch_vccz .LBB226_2
.LBB226_4:
                                        ; implicit-def: $sgpr16_sgpr17
.LBB226_5:
	s_lshl_b64 s[8:9], s[20:21], 3
	s_add_u32 s6, s6, s8
	s_load_dwordx2 s[4:5], s[0:1], 0x38
	s_addc_u32 s7, s7, s9
	s_load_dwordx2 s[6:7], s[6:7], 0x0
	s_waitcnt lgkmcnt(0)
	s_lshl_b64 s[4:5], s[4:5], 1
	s_add_u32 s16, s6, s4
	s_addc_u32 s17, s7, s5
.LBB226_6:
	s_load_dword s13, s[0:1], 0x40
	s_load_dwordx4 s[8:11], s[0:1], 0x58
	s_waitcnt lgkmcnt(0)
	v_cmp_eq_f16_e64 s[4:5], s13, 0
	s_and_b64 s[4:5], exec, s[4:5]
	s_mov_b64 vcc, s[4:5]
	s_cbranch_vccnz .LBB226_8
; %bb.7:
	s_load_dwordx2 s[6:7], s[0:1], 0x48
	s_lshl_b64 s[18:19], s[20:21], 3
	s_waitcnt lgkmcnt(0)
	s_add_u32 s6, s6, s18
	s_addc_u32 s7, s7, s19
	s_load_dwordx2 s[6:7], s[6:7], 0x0
	s_lshl_b64 s[8:9], s[8:9], 1
	s_waitcnt lgkmcnt(0)
	s_add_u32 s6, s6, s8
	s_addc_u32 s7, s7, s9
	s_branch .LBB226_9
.LBB226_8:
	s_mov_b64 s[6:7], 0
.LBB226_9:
	s_load_dword s3, s[0:1], 0x0
	s_load_dword s19, s[0:1], 0x18
	;; [unrolled: 1-line block ×3, first 2 shown]
	s_lshl_b64 s[8:9], s[20:21], 3
	s_add_u32 s8, s10, s8
	s_addc_u32 s9, s11, s9
	s_waitcnt lgkmcnt(0)
	s_add_i32 s3, s3, -1
	s_ashr_i32 s10, s3, 31
	s_lshr_b32 s10, s10, 26
	s_add_i32 s3, s3, s10
	s_ashr_i32 s3, s3, 6
	s_add_i32 s10, s3, 1
	v_cvt_f32_u32_e32 v1, s10
	v_and_b32_e32 v41, 0x3ff, v0
	v_bfe_u32 v42, v0, 10, 10
	s_not_b32 s3, s3
	v_rcp_iflag_f32_e32 v1, v1
	v_lshlrev_b32_e32 v40, 3, v42
	v_and_b32_e32 v2, 3, v41
	v_lshlrev_b32_e32 v36, 1, v2
	v_mul_f32_e32 v0, 0x4f7ffffe, v1
	v_cvt_u32_f32_e32 v0, v0
	v_add_u32_e32 v1, v40, v41
	v_and_b32_e32 v7, 63, v1
	v_lshrrev_b32_e32 v6, 2, v1
	v_readfirstlane_b32 s11, v0
	s_mul_i32 s3, s3, s11
	s_mul_hi_u32 s3, s11, s3
	s_add_i32 s11, s11, s3
	s_mul_hi_u32 s3, s2, s11
	s_mul_i32 s11, s3, s10
	s_sub_i32 s11, s2, s11
	s_add_i32 s20, s3, 1
	s_sub_i32 s21, s11, s10
	s_cmp_ge_u32 s11, s10
	s_cselect_b32 s3, s20, s3
	s_cselect_b32 s11, s21, s11
	s_add_i32 s20, s3, 1
	s_cmp_ge_u32 s11, s10
	s_cselect_b32 s3, s20, s3
	s_mul_i32 s10, s3, s10
	s_sub_i32 s2, s2, s10
	s_lshl_b32 s11, s3, 8
	v_lshrrev_b32_e32 v38, 6, v1
	s_lshl_b32 s10, s2, 6
	v_or_b32_e32 v32, s11, v7
	v_add_u32_e32 v0, s10, v6
	v_mad_i64_i32 v[2:3], s[2:3], s18, v38, 0
	v_ashrrev_i32_e32 v33, 31, v32
	v_mad_i64_i32 v[34:35], s[2:3], v0, s19, 0
	v_lshl_add_u64 v[2:3], v[2:3], 1, s[16:17]
	v_lshlrev_b64 v[4:5], 1, v[32:33]
	v_lshl_add_u64 v[0:1], v[34:35], 1, s[14:15]
	v_mov_b32_e32 v37, 0
	v_lshl_add_u64 v[2:3], v[2:3], 0, v[4:5]
	v_lshl_add_u64 v[0:1], v[0:1], 0, v[36:37]
	flat_load_ushort v8, v[2:3]
	flat_load_ushort v9, v[2:3] offset:128
	flat_load_ushort v10, v[2:3] offset:256
	flat_load_ushort v11, v[2:3] offset:384
	flat_load_ushort v12, v[0:1]
	v_add_u32_e32 v2, 4, v38
	s_load_dwordx2 s[2:3], s[8:9], 0x0
	v_mad_i64_i32 v[2:3], s[8:9], s18, v2, 0
	v_lshlrev_b32_e32 v43, 3, v41
	v_lshl_or_b32 v39, v6, 3, v36
	v_lshlrev_b32_e32 v6, 1, v38
	v_lshl_add_u64 v[2:3], v[2:3], 1, s[16:17]
	v_add_u32_e32 v44, 0x1000, v43
	v_lshl_add_u32 v45, v7, 3, v6
	v_lshl_add_u64 v[2:3], v[2:3], 0, v[4:5]
	flat_load_ushort v46, v[2:3]
	flat_load_ushort v47, v[2:3] offset:128
	flat_load_ushort v48, v[2:3] offset:256
	;; [unrolled: 1-line block ×4, first 2 shown]
	s_movk_i32 s19, 0x7c00
	s_cmp_lt_i32 s12, 9
	s_waitcnt vmcnt(0) lgkmcnt(0)
	ds_write_b16 v45, v8
	ds_write_b16 v45, v9 offset:512
	ds_write_b16 v45, v10 offset:1024
	;; [unrolled: 1-line block ×4, first 2 shown]
	s_waitcnt lgkmcnt(0)
	s_barrier
	ds_read2_b64 v[16:19], v44 offset1:8
	ds_read2_b64 v[12:15], v44 offset0:16 offset1:24
	ds_read2_b64 v[8:11], v44 offset0:32 offset1:40
	ds_read2_b64 v[28:31], v40 offset1:32
	ds_read2_b64 v[0:3], v44 offset0:48 offset1:56
	ds_read2_b64 v[24:27], v40 offset0:64 offset1:96
	;; [unrolled: 1-line block ×4, first 2 shown]
	s_waitcnt lgkmcnt(4)
	v_pk_add_f16 v54, v14, v28
	v_pk_add_f16 v50, v16, v28
	v_pk_min_f16 v67, v54, s19 op_sel_hi:[1,0]
	s_waitcnt lgkmcnt(2)
	v_pk_add_f16 v54, v12, v24
	v_pk_add_f16 v58, v16, v30
	v_pk_min_f16 v74, v54, s19 op_sel_hi:[1,0]
	v_pk_add_f16 v54, v14, v24
	v_pk_add_f16 v65, v16, v24
	v_pk_min_f16 v75, v54, s19 op_sel_hi:[1,0]
	;; [unrolled: 3-line block ×12, first 2 shown]
	s_waitcnt lgkmcnt(1)
	v_pk_add_f16 v54, v16, v20
	v_pk_add_f16 v28, v2, v28
	v_pk_min_f16 v86, v54, s19 op_sel_hi:[1,0]
	v_pk_add_f16 v54, v18, v20
	v_pk_add_f16 v62, v8, v30
	v_pk_min_f16 v87, v54, s19 op_sel_hi:[1,0]
	;; [unrolled: 3-line block ×4, first 2 shown]
	v_pk_add_f16 v54, v8, v20
	v_pk_min_f16 v50, v50, s19 op_sel_hi:[1,0]
	v_pk_min_f16 v90, v54, s19 op_sel_hi:[1,0]
	v_pk_add_f16 v54, v10, v20
	v_pk_add_f16 v24, v2, v24
	v_pk_min_f16 v91, v54, s19 op_sel_hi:[1,0]
	v_pk_add_f16 v54, v0, v20
	v_pk_add_f16 v26, v2, v26
	;; [unrolled: 3-line block ×3, first 2 shown]
	v_pk_min_f16 v93, v54, s19 op_sel_hi:[1,0]
	v_pk_add_f16 v54, v18, v22
	v_pk_min_f16 v52, v52, s19 op_sel_hi:[1,0]
	v_pk_min_f16 v95, v54, s19 op_sel_hi:[1,0]
	v_pk_add_f16 v54, v12, v22
	v_pk_min_f16 v53, v53, s19 op_sel_hi:[1,0]
	;; [unrolled: 3-line block ×5, first 2 shown]
	v_pk_min_f16 v99, v54, s19 op_sel_hi:[1,0]
	v_pk_add_f16 v54, v0, v22
	v_pk_add_f16 v22, v2, v22
	v_pk_min_f16 v100, v54, s19 op_sel_hi:[1,0]
	s_waitcnt lgkmcnt(0)
	v_pk_add_f16 v54, v16, v4
	v_pk_min_f16 v28, v28, s19 op_sel_hi:[1,0]
	v_pk_min_f16 v101, v54, s19 op_sel_hi:[1,0]
	v_pk_add_f16 v54, v18, v4
	v_pk_min_f16 v69, v58, s19 op_sel_hi:[1,0]
	v_pk_min_f16 v102, v54, s19 op_sel_hi:[1,0]
	;; [unrolled: 3-line block ×6, first 2 shown]
	v_pk_add_f16 v54, v0, v4
	v_pk_add_f16 v4, v2, v4
	v_pk_add_f16 v0, v0, v6
	v_pk_min_f16 v111, v4, s19 op_sel_hi:[1,0]
	v_pk_add_f16 v4, v16, v6
	v_pk_min_f16 v110, v54, s19 op_sel_hi:[1,0]
	v_pk_min_f16 v16, v4, s19 op_sel_hi:[1,0]
	v_pk_add_f16 v4, v18, v6
	v_pk_min_f16 v61, v61, s19 op_sel_hi:[1,0]
	;; [unrolled: 3-line block ×6, first 2 shown]
	v_pk_min_f16 v8, v4, s19 op_sel_hi:[1,0]
	v_pk_min_f16 v4, v0, s19 op_sel_hi:[1,0]
	v_pk_add_f16 v0, v2, v6
	v_pk_add_f16 v2, v17, v29
	v_pk_min_f16 v24, v24, s19 op_sel_hi:[1,0]
	v_pk_min_f16 v50, v50, v2
	v_pk_add_f16 v2, v19, v29
	v_pk_min_f16 v26, v26, s19 op_sel_hi:[1,0]
	v_pk_min_f16 v52, v52, v2
	;; [unrolled: 3-line block ×5, first 2 shown]
	v_pk_add_f16 v2, v11, v29
	ds_write_b16 v39, v51 offset:4608
	ds_write_b16 v45, v46 offset:2048
	;; [unrolled: 1-line block ×5, first 2 shown]
	v_pk_min_f16 v55, v68, v2
	v_pk_add_f16 v2, v1, v29
	s_waitcnt lgkmcnt(0)
	v_pk_min_f16 v58, v57, v2
	v_pk_add_f16 v2, v3, v29
	s_barrier
	v_pk_min_f16 v57, v28, v2
	v_pk_add_f16 v2, v17, v31
	s_nop 0
	v_pk_min_f16 v66, v69, v2
	v_pk_add_f16 v2, v19, v31
	s_nop 0
	;; [unrolled: 3-line block ×46, first 2 shown]
	v_pk_min_f16 v101, v109, v2
	v_pk_add_f16 v2, v1, v5
	v_pk_add_f16 v1, v1, v7
	v_pk_min_f16 v100, v110, v2
	v_pk_add_f16 v2, v3, v5
	v_pk_min_f16 v113, v4, v1
	v_pk_min_f16 v99, v111, v2
	v_pk_add_f16 v2, v17, v7
	v_pk_add_f16 v1, v3, v7
	v_pk_min_f16 v108, v16, v2
	v_pk_add_f16 v2, v19, v7
	v_pk_min_f16 v114, v0, v1
	v_pk_min_f16 v107, v18, v2
	v_pk_add_f16 v2, v13, v7
	s_nop 0
	v_pk_min_f16 v109, v112, v2
	v_pk_add_f16 v2, v15, v7
	s_nop 0
	;; [unrolled: 3-line block ×4, first 2 shown]
	v_pk_min_f16 v112, v8, v2
	s_cbranch_scc1 .LBB226_12
; %bb.10:
	v_mov_b32_e32 v0, 0x1200
	v_lshl_add_u32 v49, v41, 3, v0
	v_lshl_add_u64 v[0:1], v[34:35], 1, v[36:37]
	v_lshl_add_u64 v[0:1], v[0:1], 0, s[14:15]
	;; [unrolled: 1-line block ×3, first 2 shown]
	v_add_u32_e32 v0, 8, v38
	v_mad_i64_i32 v[0:1], s[8:9], v0, s18, 0
	v_lshlrev_b64 v[36:37], 1, v[0:1]
	v_add_u32_e32 v0, 12, v38
	s_ashr_i32 s19, s18, 31
	v_mad_i64_i32 v[0:1], s[14:15], v0, s18, 0
	v_add_u32_e32 v46, 0x1000, v39
	v_add_u32_e32 v47, 0x1200, v39
	v_or_b32_e32 v48, 0x800, v45
	s_add_i32 s12, s12, -8
	v_add_u32_e32 v51, 0x800, v40
	v_lshl_add_u64 v[32:33], v[32:33], 1, s[16:17]
	s_lshl_b64 s[8:9], s[18:19], 4
	v_lshlrev_b64 v[38:39], 1, v[0:1]
	s_mov_b32 s14, 0
.LBB226_11:                             ; =>This Inner Loop Header: Depth=1
	v_lshl_add_u64 v[0:1], v[32:33], 0, v[36:37]
	flat_load_ushort v115, v[0:1] offset:384
	flat_load_ushort v116, v[0:1] offset:256
	;; [unrolled: 1-line block ×3, first 2 shown]
	flat_load_ushort v118, v[0:1]
	flat_load_ushort v119, v[34:35]
	ds_read2_b64 v[0:3], v49 offset1:8
	ds_read2_b64 v[4:7], v49 offset0:16 offset1:24
	ds_read2_b64 v[8:11], v49 offset0:32 offset1:40
	;; [unrolled: 1-line block ×3, first 2 shown]
	ds_read2_b64 v[12:15], v51 offset1:32
	ds_read2_b64 v[20:23], v51 offset0:64 offset1:96
	ds_read2_b64 v[24:27], v51 offset0:128 offset1:160
	;; [unrolled: 1-line block ×3, first 2 shown]
	v_lshl_add_u64 v[120:121], v[32:33], 0, v[38:39]
	v_pk_max_f16 v114, v114, v114
	v_pk_max_f16 v113, v113, v113
	;; [unrolled: 1-line block ×8, first 2 shown]
	s_add_i32 s14, s14, 8
	v_lshl_add_u64 v[32:33], v[32:33], 0, s[8:9]
	s_cmp_ge_i32 s14, s12
	s_waitcnt vmcnt(0) lgkmcnt(0)
	ds_write_b16 v46, v119
	ds_write_b16 v45, v118
	ds_write_b16 v45, v117 offset:512
	ds_write_b16 v45, v116 offset:1024
	;; [unrolled: 1-line block ×3, first 2 shown]
	s_waitcnt lgkmcnt(0)
	s_barrier
	flat_load_ushort v115, v[120:121] offset:384
	flat_load_ushort v116, v[120:121] offset:256
	;; [unrolled: 1-line block ×3, first 2 shown]
	flat_load_ushort v118, v[120:121]
	flat_load_ushort v119, v[34:35] offset:8
	v_pk_add_f16 v120, v18, v30
	v_lshl_add_u64 v[34:35], v[34:35], 0, 16
	v_pk_min_f16 v114, v114, v120
	v_pk_add_f16 v120, v19, v31
	s_nop 0
	v_pk_min_f16 v114, v114, v120
	v_pk_add_f16 v120, v16, v30
	s_nop 0
	;; [unrolled: 3-line block ×11, first 2 shown]
	v_pk_min_f16 v109, v109, v120
	v_pk_add_f16 v120, v2, v30
	v_pk_add_f16 v30, v0, v30
	v_pk_min_f16 v107, v107, v120
	v_pk_add_f16 v120, v3, v31
	v_pk_min_f16 v30, v108, v30
	;; [unrolled: 2-line block ×3, first 2 shown]
	v_pk_min_f16 v108, v30, v31
	v_pk_add_f16 v30, v18, v28
	v_pk_max_f16 v31, v99, v99
	s_nop 0
	v_pk_min_f16 v30, v31, v30
	v_pk_add_f16 v31, v19, v29
	s_nop 0
	v_pk_min_f16 v99, v30, v31
	v_pk_add_f16 v30, v16, v28
	v_pk_max_f16 v31, v100, v100
	s_nop 0
	v_pk_min_f16 v30, v31, v30
	v_pk_add_f16 v31, v17, v29
	s_nop 0
	v_pk_min_f16 v100, v30, v31
	v_pk_add_f16 v30, v10, v28
	v_pk_max_f16 v31, v101, v101
	s_nop 0
	v_pk_min_f16 v30, v31, v30
	v_pk_add_f16 v31, v11, v29
	s_nop 0
	v_pk_min_f16 v101, v30, v31
	v_pk_add_f16 v30, v8, v28
	v_pk_max_f16 v31, v102, v102
	s_nop 0
	v_pk_min_f16 v30, v31, v30
	v_pk_add_f16 v31, v9, v29
	s_nop 0
	v_pk_min_f16 v102, v30, v31
	v_pk_add_f16 v30, v6, v28
	v_pk_max_f16 v31, v103, v103
	s_nop 0
	v_pk_min_f16 v30, v31, v30
	v_pk_add_f16 v31, v7, v29
	s_nop 0
	v_pk_min_f16 v103, v30, v31
	v_pk_add_f16 v30, v4, v28
	v_pk_max_f16 v31, v104, v104
	s_nop 0
	v_pk_min_f16 v30, v31, v30
	v_pk_add_f16 v31, v5, v29
	s_nop 0
	v_pk_min_f16 v104, v30, v31
	v_pk_add_f16 v30, v2, v28
	v_pk_max_f16 v31, v105, v105
	v_pk_add_f16 v28, v0, v28
	v_pk_min_f16 v30, v31, v30
	v_pk_add_f16 v31, v3, v29
	v_pk_add_f16 v29, v1, v29
	v_pk_min_f16 v105, v30, v31
	v_pk_max_f16 v30, v106, v106
	s_nop 0
	v_pk_min_f16 v28, v30, v28
	s_nop 0
	v_pk_min_f16 v106, v28, v29
	v_pk_add_f16 v28, v18, v26
	v_pk_max_f16 v29, v98, v98
	s_nop 0
	v_pk_min_f16 v28, v29, v28
	v_pk_add_f16 v29, v19, v27
	s_nop 0
	v_pk_min_f16 v98, v28, v29
	v_pk_add_f16 v28, v16, v26
	v_pk_max_f16 v29, v97, v97
	s_nop 0
	v_pk_min_f16 v28, v29, v28
	v_pk_add_f16 v29, v17, v27
	s_nop 0
	v_pk_min_f16 v97, v28, v29
	v_pk_add_f16 v28, v10, v26
	v_pk_max_f16 v29, v96, v96
	s_nop 0
	v_pk_min_f16 v28, v29, v28
	v_pk_add_f16 v29, v11, v27
	s_nop 0
	v_pk_min_f16 v96, v28, v29
	v_pk_add_f16 v28, v8, v26
	v_pk_max_f16 v29, v95, v95
	s_nop 0
	v_pk_min_f16 v28, v29, v28
	v_pk_add_f16 v29, v9, v27
	s_nop 0
	v_pk_min_f16 v95, v28, v29
	v_pk_add_f16 v28, v6, v26
	v_pk_max_f16 v29, v93, v93
	s_nop 0
	v_pk_min_f16 v28, v29, v28
	v_pk_add_f16 v29, v7, v27
	s_nop 0
	v_pk_min_f16 v93, v28, v29
	v_pk_add_f16 v28, v4, v26
	v_pk_max_f16 v29, v91, v91
	s_nop 0
	v_pk_min_f16 v28, v29, v28
	v_pk_add_f16 v29, v5, v27
	s_nop 0
	v_pk_min_f16 v91, v28, v29
	v_pk_add_f16 v28, v2, v26
	v_pk_max_f16 v29, v88, v88
	v_pk_add_f16 v26, v0, v26
	v_pk_min_f16 v28, v29, v28
	v_pk_add_f16 v29, v3, v27
	v_pk_add_f16 v27, v1, v27
	v_pk_min_f16 v88, v28, v29
	v_pk_max_f16 v28, v90, v90
	s_nop 0
	v_pk_min_f16 v26, v28, v26
	s_nop 0
	;; [unrolled: 54-line block ×5, first 2 shown]
	v_pk_min_f16 v68, v20, v21
	v_pk_add_f16 v20, v18, v14
	v_pk_max_f16 v21, v61, v61
	s_nop 0
	v_pk_min_f16 v20, v21, v20
	v_pk_add_f16 v21, v19, v15
	s_nop 0
	v_pk_min_f16 v61, v20, v21
	v_pk_add_f16 v20, v16, v14
	v_pk_max_f16 v21, v59, v59
	s_nop 0
	v_pk_min_f16 v20, v21, v20
	v_pk_add_f16 v21, v17, v15
	s_nop 0
	v_pk_min_f16 v59, v20, v21
	v_pk_add_f16 v20, v10, v14
	v_pk_max_f16 v21, v60, v60
	v_pk_add_f16 v10, v10, v12
	v_pk_min_f16 v20, v21, v20
	v_pk_add_f16 v21, v11, v15
	v_pk_add_f16 v11, v11, v13
	v_pk_min_f16 v60, v20, v21
	v_pk_add_f16 v20, v8, v14
	v_pk_max_f16 v21, v62, v62
	v_pk_add_f16 v8, v8, v12
	v_pk_min_f16 v20, v21, v20
	v_pk_add_f16 v21, v9, v15
	v_pk_add_f16 v9, v9, v13
	;; [unrolled: 7-line block ×5, first 2 shown]
	v_pk_min_f16 v65, v20, v21
	v_pk_max_f16 v20, v66, v66
	v_pk_add_f16 v2, v2, v12
	v_pk_min_f16 v14, v20, v14
	v_pk_add_f16 v3, v3, v13
	v_pk_min_f16 v66, v14, v15
	v_pk_add_f16 v14, v18, v12
	v_pk_max_f16 v15, v57, v57
	v_pk_add_f16 v0, v0, v12
	v_pk_min_f16 v14, v15, v14
	v_pk_add_f16 v15, v19, v13
	v_pk_add_f16 v1, v1, v13
	v_pk_min_f16 v57, v14, v15
	v_pk_add_f16 v14, v16, v12
	v_pk_max_f16 v15, v58, v58
	s_nop 0
	v_pk_min_f16 v14, v15, v14
	v_pk_add_f16 v15, v17, v13
	s_nop 0
	v_pk_min_f16 v58, v14, v15
	v_pk_max_f16 v14, v55, v55
	s_nop 0
	v_pk_min_f16 v10, v14, v10
	s_nop 0
	v_pk_min_f16 v55, v10, v11
	v_pk_max_f16 v10, v56, v56
	s_nop 0
	v_pk_min_f16 v8, v10, v8
	;; [unrolled: 5-line block ×6, first 2 shown]
	s_nop 0
	v_pk_min_f16 v50, v0, v1
	ds_read2_b64 v[16:19], v44 offset1:8
	ds_read2_b64 v[12:15], v44 offset0:16 offset1:24
	ds_read2_b64 v[8:11], v44 offset0:32 offset1:40
	ds_read2_b64 v[0:3], v44 offset0:48 offset1:56
	ds_read2_b64 v[28:31], v40 offset1:32
	ds_read2_b64 v[24:27], v40 offset0:64 offset1:96
	ds_read2_b64 v[20:23], v40 offset0:128 offset1:160
	;; [unrolled: 1-line block ×3, first 2 shown]
	s_waitcnt vmcnt(0) lgkmcnt(0)
	ds_write_b16 v47, v119
	ds_write_b16 v48, v118
	ds_write_b16 v48, v117 offset:512
	ds_write_b16 v48, v116 offset:1024
	;; [unrolled: 1-line block ×3, first 2 shown]
	v_pk_add_f16 v120, v16, v28
	s_waitcnt lgkmcnt(0)
	v_pk_min_f16 v50, v50, v120
	v_pk_add_f16 v120, v18, v28
	s_barrier
	v_pk_min_f16 v52, v52, v120
	v_pk_add_f16 v120, v12, v28
	s_nop 0
	v_pk_min_f16 v54, v54, v120
	v_pk_add_f16 v120, v14, v28
	s_nop 0
	v_pk_min_f16 v53, v53, v120
	v_pk_add_f16 v120, v8, v28
	s_nop 0
	v_pk_min_f16 v56, v56, v120
	v_pk_add_f16 v120, v10, v28
	s_nop 0
	v_pk_min_f16 v55, v55, v120
	v_pk_add_f16 v120, v0, v28
	v_pk_add_f16 v28, v2, v28
	v_pk_min_f16 v58, v58, v120
	v_pk_min_f16 v57, v57, v28
	v_pk_add_f16 v28, v16, v30
	s_nop 0
	v_pk_min_f16 v66, v66, v28
	v_pk_add_f16 v28, v18, v30
	s_nop 0
	v_pk_min_f16 v65, v65, v28
	v_pk_add_f16 v28, v12, v30
	s_nop 0
	v_pk_min_f16 v64, v64, v28
	v_pk_add_f16 v28, v14, v30
	s_nop 0
	v_pk_min_f16 v63, v63, v28
	v_pk_add_f16 v28, v8, v30
	s_nop 0
	v_pk_min_f16 v62, v62, v28
	v_pk_add_f16 v28, v10, v30
	s_nop 0
	v_pk_min_f16 v60, v60, v28
	v_pk_add_f16 v28, v0, v30
	s_nop 0
	v_pk_min_f16 v59, v59, v28
	v_pk_add_f16 v28, v2, v30
	s_nop 0
	v_pk_min_f16 v61, v61, v28
	v_pk_add_f16 v28, v16, v24
	s_nop 0
	v_pk_min_f16 v68, v68, v28
	v_pk_add_f16 v28, v18, v24
	s_nop 0
	v_pk_min_f16 v67, v67, v28
	v_pk_add_f16 v28, v12, v24
	s_nop 0
	v_pk_min_f16 v69, v69, v28
	v_pk_add_f16 v28, v14, v24
	s_nop 0
	v_pk_min_f16 v70, v70, v28
	v_pk_add_f16 v28, v8, v24
	s_nop 0
	v_pk_min_f16 v71, v71, v28
	v_pk_add_f16 v28, v10, v24
	s_nop 0
	v_pk_min_f16 v73, v73, v28
	v_pk_add_f16 v28, v0, v24
	v_pk_add_f16 v24, v2, v24
	v_pk_min_f16 v76, v76, v28
	v_pk_min_f16 v78, v78, v24
	v_pk_add_f16 v24, v16, v26
	s_nop 0
	v_pk_min_f16 v74, v74, v24
	v_pk_add_f16 v24, v18, v26
	s_nop 0
	v_pk_min_f16 v72, v72, v24
	v_pk_add_f16 v24, v12, v26
	s_nop 0
	v_pk_min_f16 v75, v75, v24
	v_pk_add_f16 v24, v14, v26
	s_nop 0
	v_pk_min_f16 v77, v77, v24
	v_pk_add_f16 v24, v8, v26
	s_nop 0
	v_pk_min_f16 v79, v79, v24
	v_pk_add_f16 v24, v10, v26
	s_nop 0
	v_pk_min_f16 v80, v80, v24
	v_pk_add_f16 v24, v0, v26
	s_nop 0
	v_pk_min_f16 v81, v81, v24
	v_pk_add_f16 v24, v2, v26
	s_nop 0
	v_pk_min_f16 v82, v82, v24
	v_pk_add_f16 v24, v16, v20
	s_nop 0
	v_pk_min_f16 v84, v84, v24
	v_pk_add_f16 v24, v18, v20
	s_nop 0
	;; [unrolled: 46-line block ×3, first 2 shown]
	v_pk_min_f16 v22, v105, v20
	v_pk_add_f16 v20, v12, v4
	s_nop 0
	v_pk_min_f16 v24, v104, v20
	v_pk_add_f16 v20, v14, v4
	s_nop 0
	;; [unrolled: 3-line block ×4, first 2 shown]
	v_pk_min_f16 v30, v101, v20
	v_pk_add_f16 v20, v0, v4
	v_pk_add_f16 v4, v2, v4
	v_pk_min_f16 v100, v100, v20
	v_pk_min_f16 v99, v99, v4
	v_pk_add_f16 v4, v16, v6
	v_pk_add_f16 v0, v0, v6
	v_pk_min_f16 v20, v108, v4
	v_pk_add_f16 v4, v18, v6
	s_nop 0
	v_pk_min_f16 v18, v107, v4
	v_pk_add_f16 v4, v12, v6
	s_nop 0
	;; [unrolled: 3-line block ×5, first 2 shown]
	v_pk_min_f16 v8, v112, v4
	v_pk_min_f16 v4, v113, v0
	v_pk_add_f16 v0, v2, v6
	v_pk_add_f16 v2, v17, v29
	v_pk_min_f16 v0, v114, v0
	v_pk_min_f16 v50, v50, v2
	v_pk_add_f16 v2, v19, v29
	s_nop 0
	v_pk_min_f16 v52, v52, v2
	v_pk_add_f16 v2, v13, v29
	s_nop 0
	;; [unrolled: 3-line block ×53, first 2 shown]
	v_pk_min_f16 v101, v30, v2
	v_pk_add_f16 v2, v1, v5
	v_pk_add_f16 v1, v1, v7
	v_pk_min_f16 v100, v100, v2
	v_pk_add_f16 v2, v3, v5
	v_pk_min_f16 v113, v4, v1
	v_pk_min_f16 v99, v99, v2
	v_pk_add_f16 v2, v17, v7
	v_pk_add_f16 v1, v3, v7
	v_pk_min_f16 v108, v20, v2
	v_pk_add_f16 v2, v19, v7
	v_pk_min_f16 v114, v0, v1
	v_pk_min_f16 v107, v18, v2
	v_pk_add_f16 v2, v13, v7
	s_nop 0
	v_pk_min_f16 v109, v16, v2
	v_pk_add_f16 v2, v15, v7
	s_nop 0
	;; [unrolled: 3-line block ×4, first 2 shown]
	v_pk_min_f16 v112, v8, v2
	s_cbranch_scc0 .LBB226_11
.LBB226_12:
	s_load_dword s12, s[0:1], 0x50
	ds_read_b64 v[30:31], v43 offset:4608
	ds_read_b64 v[46:47], v40 offset:2048
	v_add_u32_e32 v115, s11, v42
	v_cmp_neq_f16_e64 s[8:9], s13, 0
	v_add_u32_e32 v28, s10, v41
	s_waitcnt lgkmcnt(0)
	v_mad_i64_i32 v[0:1], s[10:11], v115, s12, 0
	v_ashrrev_i32_e32 v29, 31, v28
	v_lshl_add_u64 v[48:49], v[0:1], 1, s[6:7]
	s_and_b64 vcc, exec, s[8:9]
	v_mov_b32_e32 v36, 0
	v_mov_b32_e32 v34, 0
	s_cbranch_vccz .LBB226_14
; %bb.13:
	v_lshl_add_u64 v[0:1], v[28:29], 1, v[48:49]
	flat_load_ushort v0, v[0:1]
	s_waitcnt vmcnt(0) lgkmcnt(0)
	v_mul_f16_e32 v34, s13, v0
.LBB226_14:
	v_add_u32_e32 v0, 0x1000, v43
	ds_read2_b64 v[8:11], v0 offset0:72 offset1:80
	ds_read2_b64 v[4:7], v0 offset0:88 offset1:96
	ds_read2_b64 v[0:3], v0 offset0:104 offset1:112
	ds_read_b64 v[24:25], v43 offset:5056
	s_load_dword s10, s[0:1], 0x68
	s_load_dwordx2 s[14:15], s[0:1], 0x70
	v_add_u32_e32 v12, 0x800, v40
	ds_read2_b64 v[20:23], v12 offset0:32 offset1:64
	ds_read2_b64 v[16:19], v12 offset0:96 offset1:128
	;; [unrolled: 1-line block ×3, first 2 shown]
	ds_read_b64 v[26:27], v40 offset:3840
	v_pk_add_f16 v32, v30, v46
	v_pk_max_f16 v33, v50, v50
	s_waitcnt lgkmcnt(0)
	s_lshl_b64 s[0:1], s[14:15], 1
	s_add_u32 s2, s2, s0
	v_pk_min_f16 v32, v33, v32
	v_pk_add_f16 v33, v31, v47
	s_addc_u32 s3, s3, s1
	v_pk_min_f16 v35, v32, v33
	v_mad_i64_i32 v[38:39], s[0:1], v115, s10, 0
	v_add_u32_e32 v32, 8, v28
	v_lshl_add_u64 v[50:51], v[38:39], 1, s[2:3]
	v_lshrrev_b32_e32 v37, 16, v35
	v_cndmask_b32_e64 v38, 0, 1, s[8:9]
	v_ashrrev_i32_e32 v33, 31, v32
	v_min3_f16 v37, v34, v35, v37
	v_lshl_add_u64 v[34:35], v[28:29], 1, v[50:51]
	v_cmp_ne_u32_e64 s[0:1], 1, v38
	s_andn2_b64 vcc, exec, s[8:9]
	global_store_short v[34:35], v37, off
	s_cbranch_vccnz .LBB226_16
; %bb.15:
	v_lshl_add_u64 v[34:35], v[32:33], 1, v[48:49]
	flat_load_ushort v34, v[34:35]
	s_waitcnt vmcnt(0) lgkmcnt(0)
	v_mul_f16_e32 v36, s13, v34
.LBB226_16:
	v_pk_add_f16 v34, v8, v46
	v_pk_max_f16 v35, v52, v52
	s_and_b64 vcc, exec, s[0:1]
	v_pk_min_f16 v34, v35, v34
	v_pk_add_f16 v35, v9, v47
	v_mov_b32_e32 v39, 0
	v_pk_min_f16 v37, v34, v35
	v_add_u32_e32 v34, 16, v28
	v_lshrrev_b32_e32 v38, 16, v37
	v_min3_f16 v38, v36, v37, v38
	v_lshl_add_u64 v[36:37], v[32:33], 1, v[50:51]
	v_ashrrev_i32_e32 v35, 31, v34
	global_store_short v[36:37], v38, off
	v_mov_b32_e32 v38, 0
	s_cbranch_vccnz .LBB226_18
; %bb.17:
	v_lshl_add_u64 v[36:37], v[34:35], 1, v[48:49]
	flat_load_ushort v36, v[36:37]
	s_waitcnt vmcnt(0) lgkmcnt(0)
	v_mul_f16_e32 v39, s13, v36
.LBB226_18:
	v_pk_add_f16 v36, v10, v46
	v_pk_max_f16 v37, v54, v54
	s_and_b64 vcc, exec, s[0:1]
	v_pk_min_f16 v36, v37, v36
	v_pk_add_f16 v37, v11, v47
	s_nop 0
	v_pk_min_f16 v40, v36, v37
	v_add_u32_e32 v36, 24, v28
	v_lshrrev_b32_e32 v41, 16, v40
	v_ashrrev_i32_e32 v37, 31, v36
	v_min3_f16 v39, v39, v40, v41
	v_lshl_add_u64 v[40:41], v[34:35], 1, v[50:51]
	global_store_short v[40:41], v39, off
	s_cbranch_vccnz .LBB226_20
; %bb.19:
	v_lshl_add_u64 v[38:39], v[36:37], 1, v[48:49]
	flat_load_ushort v38, v[38:39]
	s_waitcnt vmcnt(0) lgkmcnt(0)
	v_mul_f16_e32 v38, s13, v38
.LBB226_20:
	v_pk_add_f16 v39, v4, v46
	v_pk_max_f16 v40, v53, v53
	v_add_u32_e32 v44, 32, v28
	v_pk_min_f16 v39, v40, v39
	v_pk_add_f16 v40, v5, v47
	v_ashrrev_i32_e32 v45, 31, v44
	v_pk_min_f16 v39, v39, v40
	s_and_b64 vcc, exec, s[0:1]
	v_lshrrev_b32_e32 v40, 16, v39
	v_min3_f16 v40, v38, v39, v40
	v_lshl_add_u64 v[38:39], v[36:37], 1, v[50:51]
	global_store_short v[38:39], v40, off
	v_mov_b32_e32 v38, 0
	v_mov_b32_e32 v39, 0
	s_cbranch_vccnz .LBB226_22
; %bb.21:
	v_lshl_add_u64 v[40:41], v[44:45], 1, v[48:49]
	flat_load_ushort v39, v[40:41]
	s_waitcnt vmcnt(0) lgkmcnt(0)
	v_mul_f16_e32 v39, s13, v39
.LBB226_22:
	v_pk_add_f16 v40, v6, v46
	v_pk_max_f16 v41, v56, v56
	v_add_u32_e32 v42, 40, v28
	v_pk_min_f16 v40, v41, v40
	v_pk_add_f16 v41, v7, v47
	v_ashrrev_i32_e32 v43, 31, v42
	v_pk_min_f16 v40, v40, v41
	s_and_b64 vcc, exec, s[0:1]
	v_lshrrev_b32_e32 v41, 16, v40
	v_min3_f16 v39, v39, v40, v41
	v_lshl_add_u64 v[40:41], v[44:45], 1, v[50:51]
	global_store_short v[40:41], v39, off
	s_cbranch_vccnz .LBB226_24
; %bb.23:
	v_lshl_add_u64 v[38:39], v[42:43], 1, v[48:49]
	flat_load_ushort v38, v[38:39]
	s_waitcnt vmcnt(0) lgkmcnt(0)
	v_mul_f16_e32 v38, s13, v38
.LBB226_24:
	v_pk_add_f16 v39, v0, v46
	v_pk_max_f16 v40, v55, v55
	s_and_b64 vcc, exec, s[0:1]
	v_pk_min_f16 v39, v40, v39
	v_pk_add_f16 v40, v1, v47
	v_mov_b32_e32 v53, 0
	v_pk_min_f16 v39, v39, v40
	v_add_u32_e32 v40, 48, v28
	v_lshrrev_b32_e32 v52, 16, v39
	v_min3_f16 v52, v38, v39, v52
	v_lshl_add_u64 v[38:39], v[42:43], 1, v[50:51]
	v_ashrrev_i32_e32 v41, 31, v40
	global_store_short v[38:39], v52, off
	v_mov_b32_e32 v52, 0
	s_cbranch_vccnz .LBB226_26
; %bb.25:
	v_lshl_add_u64 v[38:39], v[40:41], 1, v[48:49]
	flat_load_ushort v38, v[38:39]
	s_waitcnt vmcnt(0) lgkmcnt(0)
	v_mul_f16_e32 v53, s13, v38
.LBB226_26:
	v_pk_add_f16 v38, v2, v46
	v_pk_max_f16 v39, v58, v58
	s_and_b64 vcc, exec, s[0:1]
	v_pk_min_f16 v38, v39, v38
	v_pk_add_f16 v39, v3, v47
	s_nop 0
	v_pk_min_f16 v54, v38, v39
	v_add_u32_e32 v38, 56, v28
	v_lshrrev_b32_e32 v55, 16, v54
	v_ashrrev_i32_e32 v39, 31, v38
	v_min3_f16 v53, v53, v54, v55
	v_lshl_add_u64 v[54:55], v[40:41], 1, v[50:51]
	global_store_short v[54:55], v53, off
	s_cbranch_vccnz .LBB226_28
; %bb.27:
	v_lshl_add_u64 v[48:49], v[38:39], 1, v[48:49]
	flat_load_ushort v48, v[48:49]
	s_waitcnt vmcnt(0) lgkmcnt(0)
	v_mul_f16_e32 v52, s13, v48
.LBB226_28:
	v_pk_add_f16 v46, v24, v46
	v_pk_max_f16 v48, v57, v57
	v_pk_add_f16 v47, v25, v47
	v_pk_min_f16 v46, v48, v46
	s_and_b64 vcc, exec, s[0:1]
	v_pk_min_f16 v46, v46, v47
	s_nop 0
	v_lshrrev_b32_e32 v47, 16, v46
	v_min3_f16 v48, v52, v46, v47
	v_lshl_add_u64 v[46:47], v[38:39], 1, v[50:51]
	global_store_short v[46:47], v48, off
	v_add_u32_e32 v48, 32, v115
	v_mad_i64_i32 v[46:47], s[8:9], v48, s12, 0
	v_lshl_add_u64 v[46:47], v[46:47], 1, s[6:7]
	v_mov_b32_e32 v50, 0
	v_mov_b32_e32 v51, 0
	s_cbranch_vccnz .LBB226_30
; %bb.29:
	v_lshl_add_u64 v[52:53], v[28:29], 1, v[46:47]
	flat_load_ushort v49, v[52:53]
	s_waitcnt vmcnt(0) lgkmcnt(0)
	v_mul_f16_e32 v51, s13, v49
.LBB226_30:
	v_pk_add_f16 v49, v30, v20
	v_pk_max_f16 v52, v66, v66
	s_and_b64 vcc, exec, s[0:1]
	v_pk_min_f16 v49, v52, v49
	v_pk_add_f16 v52, v31, v21
	s_nop 0
	v_pk_min_f16 v52, v49, v52
	v_mad_i64_i32 v[48:49], s[8:9], v48, s10, 0
	v_lshl_add_u64 v[48:49], v[48:49], 1, s[2:3]
	v_lshrrev_b32_e32 v53, 16, v52
	v_min3_f16 v51, v51, v52, v53
	v_lshl_add_u64 v[52:53], v[28:29], 1, v[48:49]
	global_store_short v[52:53], v51, off
	s_cbranch_vccnz .LBB226_32
; %bb.31:
	v_lshl_add_u64 v[50:51], v[32:33], 1, v[46:47]
	flat_load_ushort v50, v[50:51]
	s_waitcnt vmcnt(0) lgkmcnt(0)
	v_mul_f16_e32 v50, s13, v50
.LBB226_32:
	v_pk_add_f16 v51, v8, v20
	v_pk_max_f16 v52, v65, v65
	s_and_b64 vcc, exec, s[0:1]
	v_pk_min_f16 v51, v52, v51
	v_pk_add_f16 v52, v9, v21
	s_nop 0
	v_pk_min_f16 v51, v51, v52
	s_nop 0
	v_lshrrev_b32_e32 v52, 16, v51
	v_min3_f16 v52, v50, v51, v52
	v_lshl_add_u64 v[50:51], v[32:33], 1, v[48:49]
	global_store_short v[50:51], v52, off
	v_mov_b32_e32 v50, 0
	v_mov_b32_e32 v51, 0
	s_cbranch_vccnz .LBB226_34
; %bb.33:
	v_lshl_add_u64 v[52:53], v[34:35], 1, v[46:47]
	flat_load_ushort v51, v[52:53]
	s_waitcnt vmcnt(0) lgkmcnt(0)
	v_mul_f16_e32 v51, s13, v51
.LBB226_34:
	v_pk_add_f16 v52, v10, v20
	v_pk_max_f16 v53, v64, v64
	s_and_b64 vcc, exec, s[0:1]
	v_pk_min_f16 v52, v53, v52
	v_pk_add_f16 v53, v11, v21
	s_nop 0
	v_pk_min_f16 v52, v52, v53
	s_nop 0
	v_lshrrev_b32_e32 v53, 16, v52
	v_min3_f16 v51, v51, v52, v53
	v_lshl_add_u64 v[52:53], v[34:35], 1, v[48:49]
	global_store_short v[52:53], v51, off
	s_cbranch_vccnz .LBB226_36
; %bb.35:
	v_lshl_add_u64 v[50:51], v[36:37], 1, v[46:47]
	flat_load_ushort v50, v[50:51]
	s_waitcnt vmcnt(0) lgkmcnt(0)
	v_mul_f16_e32 v50, s13, v50
.LBB226_36:
	v_pk_add_f16 v51, v4, v20
	v_pk_max_f16 v52, v63, v63
	s_and_b64 vcc, exec, s[0:1]
	v_pk_min_f16 v51, v52, v51
	v_pk_add_f16 v52, v5, v21
	s_nop 0
	v_pk_min_f16 v51, v51, v52
	s_nop 0
	v_lshrrev_b32_e32 v52, 16, v51
	v_min3_f16 v52, v50, v51, v52
	v_lshl_add_u64 v[50:51], v[36:37], 1, v[48:49]
	global_store_short v[50:51], v52, off
	v_mov_b32_e32 v50, 0
	v_mov_b32_e32 v51, 0
	s_cbranch_vccnz .LBB226_38
; %bb.37:
	v_lshl_add_u64 v[52:53], v[44:45], 1, v[46:47]
	flat_load_ushort v51, v[52:53]
	s_waitcnt vmcnt(0) lgkmcnt(0)
	v_mul_f16_e32 v51, s13, v51
.LBB226_38:
	v_pk_add_f16 v52, v6, v20
	v_pk_max_f16 v53, v62, v62
	s_and_b64 vcc, exec, s[0:1]
	v_pk_min_f16 v52, v53, v52
	v_pk_add_f16 v53, v7, v21
	s_nop 0
	v_pk_min_f16 v52, v52, v53
	s_nop 0
	;; [unrolled: 40-line block ×3, first 2 shown]
	v_lshrrev_b32_e32 v53, 16, v52
	v_min3_f16 v51, v51, v52, v53
	v_lshl_add_u64 v[52:53], v[40:41], 1, v[48:49]
	global_store_short v[52:53], v51, off
	s_cbranch_vccnz .LBB226_44
; %bb.43:
	v_lshl_add_u64 v[46:47], v[38:39], 1, v[46:47]
	flat_load_ushort v46, v[46:47]
	s_waitcnt vmcnt(0) lgkmcnt(0)
	v_mul_f16_e32 v50, s13, v46
.LBB226_44:
	v_pk_add_f16 v20, v24, v20
	v_pk_max_f16 v46, v61, v61
	v_pk_add_f16 v21, v25, v21
	v_pk_min_f16 v20, v46, v20
	s_and_b64 vcc, exec, s[0:1]
	v_pk_min_f16 v20, v20, v21
	s_nop 0
	v_lshrrev_b32_e32 v21, 16, v20
	v_min3_f16 v46, v50, v20, v21
	v_lshl_add_u64 v[20:21], v[38:39], 1, v[48:49]
	global_store_short v[20:21], v46, off
	v_add_u32_e32 v46, 64, v115
	v_mad_i64_i32 v[20:21], s[8:9], v46, s12, 0
	v_lshl_add_u64 v[20:21], v[20:21], 1, s[6:7]
	v_mov_b32_e32 v48, 0
	v_mov_b32_e32 v49, 0
	s_cbranch_vccnz .LBB226_46
; %bb.45:
	v_lshl_add_u64 v[50:51], v[28:29], 1, v[20:21]
	flat_load_ushort v47, v[50:51]
	s_waitcnt vmcnt(0) lgkmcnt(0)
	v_mul_f16_e32 v49, s13, v47
.LBB226_46:
	v_pk_add_f16 v47, v30, v22
	v_pk_max_f16 v50, v68, v68
	s_and_b64 vcc, exec, s[0:1]
	v_pk_min_f16 v47, v50, v47
	v_pk_add_f16 v50, v31, v23
	s_nop 0
	v_pk_min_f16 v50, v47, v50
	v_mad_i64_i32 v[46:47], s[8:9], v46, s10, 0
	v_lshl_add_u64 v[46:47], v[46:47], 1, s[2:3]
	v_lshrrev_b32_e32 v51, 16, v50
	v_min3_f16 v49, v49, v50, v51
	v_lshl_add_u64 v[50:51], v[28:29], 1, v[46:47]
	global_store_short v[50:51], v49, off
	s_cbranch_vccnz .LBB226_48
; %bb.47:
	v_lshl_add_u64 v[48:49], v[32:33], 1, v[20:21]
	flat_load_ushort v48, v[48:49]
	s_waitcnt vmcnt(0) lgkmcnt(0)
	v_mul_f16_e32 v48, s13, v48
.LBB226_48:
	v_pk_add_f16 v49, v8, v22
	v_pk_max_f16 v50, v67, v67
	s_and_b64 vcc, exec, s[0:1]
	v_pk_min_f16 v49, v50, v49
	v_pk_add_f16 v50, v9, v23
	s_nop 0
	v_pk_min_f16 v49, v49, v50
	s_nop 0
	v_lshrrev_b32_e32 v50, 16, v49
	v_min3_f16 v50, v48, v49, v50
	v_lshl_add_u64 v[48:49], v[32:33], 1, v[46:47]
	global_store_short v[48:49], v50, off
	v_mov_b32_e32 v48, 0
	v_mov_b32_e32 v49, 0
	s_cbranch_vccnz .LBB226_50
; %bb.49:
	v_lshl_add_u64 v[50:51], v[34:35], 1, v[20:21]
	flat_load_ushort v49, v[50:51]
	s_waitcnt vmcnt(0) lgkmcnt(0)
	v_mul_f16_e32 v49, s13, v49
.LBB226_50:
	v_pk_add_f16 v50, v10, v22
	v_pk_max_f16 v51, v69, v69
	s_and_b64 vcc, exec, s[0:1]
	v_pk_min_f16 v50, v51, v50
	v_pk_add_f16 v51, v11, v23
	s_nop 0
	v_pk_min_f16 v50, v50, v51
	s_nop 0
	v_lshrrev_b32_e32 v51, 16, v50
	v_min3_f16 v49, v49, v50, v51
	v_lshl_add_u64 v[50:51], v[34:35], 1, v[46:47]
	global_store_short v[50:51], v49, off
	s_cbranch_vccnz .LBB226_52
; %bb.51:
	v_lshl_add_u64 v[48:49], v[36:37], 1, v[20:21]
	flat_load_ushort v48, v[48:49]
	s_waitcnt vmcnt(0) lgkmcnt(0)
	v_mul_f16_e32 v48, s13, v48
.LBB226_52:
	v_pk_add_f16 v49, v4, v22
	v_pk_max_f16 v50, v70, v70
	s_and_b64 vcc, exec, s[0:1]
	v_pk_min_f16 v49, v50, v49
	v_pk_add_f16 v50, v5, v23
	s_nop 0
	v_pk_min_f16 v49, v49, v50
	s_nop 0
	v_lshrrev_b32_e32 v50, 16, v49
	v_min3_f16 v50, v48, v49, v50
	v_lshl_add_u64 v[48:49], v[36:37], 1, v[46:47]
	global_store_short v[48:49], v50, off
	v_mov_b32_e32 v48, 0
	v_mov_b32_e32 v49, 0
	s_cbranch_vccnz .LBB226_54
; %bb.53:
	v_lshl_add_u64 v[50:51], v[44:45], 1, v[20:21]
	flat_load_ushort v49, v[50:51]
	s_waitcnt vmcnt(0) lgkmcnt(0)
	v_mul_f16_e32 v49, s13, v49
.LBB226_54:
	v_pk_add_f16 v50, v6, v22
	v_pk_max_f16 v51, v71, v71
	s_and_b64 vcc, exec, s[0:1]
	v_pk_min_f16 v50, v51, v50
	v_pk_add_f16 v51, v7, v23
	s_nop 0
	v_pk_min_f16 v50, v50, v51
	s_nop 0
	v_lshrrev_b32_e32 v51, 16, v50
	v_min3_f16 v49, v49, v50, v51
	v_lshl_add_u64 v[50:51], v[44:45], 1, v[46:47]
	global_store_short v[50:51], v49, off
	s_cbranch_vccnz .LBB226_56
; %bb.55:
	v_lshl_add_u64 v[48:49], v[42:43], 1, v[20:21]
	flat_load_ushort v48, v[48:49]
	s_waitcnt vmcnt(0) lgkmcnt(0)
	v_mul_f16_e32 v48, s13, v48
.LBB226_56:
	v_pk_add_f16 v49, v0, v22
	v_pk_max_f16 v50, v73, v73
	s_and_b64 vcc, exec, s[0:1]
	v_pk_min_f16 v49, v50, v49
	v_pk_add_f16 v50, v1, v23
	s_nop 0
	v_pk_min_f16 v49, v49, v50
	s_nop 0
	v_lshrrev_b32_e32 v50, 16, v49
	v_min3_f16 v50, v48, v49, v50
	v_lshl_add_u64 v[48:49], v[42:43], 1, v[46:47]
	global_store_short v[48:49], v50, off
	v_mov_b32_e32 v48, 0
	v_mov_b32_e32 v49, 0
	s_cbranch_vccnz .LBB226_58
; %bb.57:
	v_lshl_add_u64 v[50:51], v[40:41], 1, v[20:21]
	flat_load_ushort v49, v[50:51]
	s_waitcnt vmcnt(0) lgkmcnt(0)
	v_mul_f16_e32 v49, s13, v49
.LBB226_58:
	v_pk_add_f16 v50, v2, v22
	v_pk_max_f16 v51, v76, v76
	s_and_b64 vcc, exec, s[0:1]
	v_pk_min_f16 v50, v51, v50
	v_pk_add_f16 v51, v3, v23
	s_nop 0
	v_pk_min_f16 v50, v50, v51
	s_nop 0
	v_lshrrev_b32_e32 v51, 16, v50
	v_min3_f16 v49, v49, v50, v51
	v_lshl_add_u64 v[50:51], v[40:41], 1, v[46:47]
	global_store_short v[50:51], v49, off
	s_cbranch_vccnz .LBB226_60
; %bb.59:
	v_lshl_add_u64 v[20:21], v[38:39], 1, v[20:21]
	flat_load_ushort v20, v[20:21]
	s_waitcnt vmcnt(0) lgkmcnt(0)
	v_mul_f16_e32 v48, s13, v20
.LBB226_60:
	v_pk_add_f16 v20, v24, v22
	v_pk_max_f16 v21, v78, v78
	s_and_b64 vcc, exec, s[0:1]
	v_pk_min_f16 v20, v21, v20
	v_pk_add_f16 v21, v25, v23
	s_nop 0
	v_pk_min_f16 v20, v20, v21
	s_nop 0
	v_lshrrev_b32_e32 v21, 16, v20
	v_min3_f16 v22, v48, v20, v21
	v_lshl_add_u64 v[20:21], v[38:39], 1, v[46:47]
	global_store_short v[20:21], v22, off
	v_add_u32_e32 v22, 0x60, v115
	v_mad_i64_i32 v[20:21], s[8:9], v22, s12, 0
	v_lshl_add_u64 v[20:21], v[20:21], 1, s[6:7]
	v_mov_b32_e32 v46, 0
	v_mov_b32_e32 v47, 0
	s_cbranch_vccnz .LBB226_62
; %bb.61:
	v_lshl_add_u64 v[48:49], v[28:29], 1, v[20:21]
	flat_load_ushort v23, v[48:49]
	s_waitcnt vmcnt(0) lgkmcnt(0)
	v_mul_f16_e32 v47, s13, v23
.LBB226_62:
	v_pk_add_f16 v23, v30, v16
	v_pk_max_f16 v48, v74, v74
	s_and_b64 vcc, exec, s[0:1]
	v_pk_min_f16 v23, v48, v23
	v_pk_add_f16 v48, v31, v17
	s_nop 0
	v_pk_min_f16 v48, v23, v48
	v_mad_i64_i32 v[22:23], s[8:9], v22, s10, 0
	v_lshl_add_u64 v[22:23], v[22:23], 1, s[2:3]
	v_lshrrev_b32_e32 v49, 16, v48
	v_min3_f16 v47, v47, v48, v49
	v_lshl_add_u64 v[48:49], v[28:29], 1, v[22:23]
	global_store_short v[48:49], v47, off
	s_cbranch_vccnz .LBB226_64
; %bb.63:
	v_lshl_add_u64 v[46:47], v[32:33], 1, v[20:21]
	flat_load_ushort v46, v[46:47]
	s_waitcnt vmcnt(0) lgkmcnt(0)
	v_mul_f16_e32 v46, s13, v46
.LBB226_64:
	v_pk_add_f16 v47, v8, v16
	v_pk_max_f16 v48, v72, v72
	s_and_b64 vcc, exec, s[0:1]
	v_pk_min_f16 v47, v48, v47
	v_pk_add_f16 v48, v9, v17
	s_nop 0
	v_pk_min_f16 v47, v47, v48
	s_nop 0
	v_lshrrev_b32_e32 v48, 16, v47
	v_min3_f16 v48, v46, v47, v48
	v_lshl_add_u64 v[46:47], v[32:33], 1, v[22:23]
	global_store_short v[46:47], v48, off
	v_mov_b32_e32 v46, 0
	v_mov_b32_e32 v47, 0
	s_cbranch_vccnz .LBB226_66
; %bb.65:
	v_lshl_add_u64 v[48:49], v[34:35], 1, v[20:21]
	flat_load_ushort v47, v[48:49]
	s_waitcnt vmcnt(0) lgkmcnt(0)
	v_mul_f16_e32 v47, s13, v47
.LBB226_66:
	v_pk_add_f16 v48, v10, v16
	v_pk_max_f16 v49, v75, v75
	s_and_b64 vcc, exec, s[0:1]
	v_pk_min_f16 v48, v49, v48
	v_pk_add_f16 v49, v11, v17
	s_nop 0
	v_pk_min_f16 v48, v48, v49
	s_nop 0
	v_lshrrev_b32_e32 v49, 16, v48
	v_min3_f16 v47, v47, v48, v49
	v_lshl_add_u64 v[48:49], v[34:35], 1, v[22:23]
	global_store_short v[48:49], v47, off
	s_cbranch_vccnz .LBB226_68
; %bb.67:
	v_lshl_add_u64 v[46:47], v[36:37], 1, v[20:21]
	flat_load_ushort v46, v[46:47]
	s_waitcnt vmcnt(0) lgkmcnt(0)
	v_mul_f16_e32 v46, s13, v46
.LBB226_68:
	v_pk_add_f16 v47, v4, v16
	v_pk_max_f16 v48, v77, v77
	s_and_b64 vcc, exec, s[0:1]
	v_pk_min_f16 v47, v48, v47
	v_pk_add_f16 v48, v5, v17
	s_nop 0
	v_pk_min_f16 v47, v47, v48
	s_nop 0
	v_lshrrev_b32_e32 v48, 16, v47
	v_min3_f16 v48, v46, v47, v48
	v_lshl_add_u64 v[46:47], v[36:37], 1, v[22:23]
	global_store_short v[46:47], v48, off
	v_mov_b32_e32 v46, 0
	v_mov_b32_e32 v47, 0
	s_cbranch_vccnz .LBB226_70
; %bb.69:
	v_lshl_add_u64 v[48:49], v[44:45], 1, v[20:21]
	flat_load_ushort v47, v[48:49]
	s_waitcnt vmcnt(0) lgkmcnt(0)
	v_mul_f16_e32 v47, s13, v47
.LBB226_70:
	v_pk_add_f16 v48, v6, v16
	v_pk_max_f16 v49, v79, v79
	s_and_b64 vcc, exec, s[0:1]
	v_pk_min_f16 v48, v49, v48
	v_pk_add_f16 v49, v7, v17
	s_nop 0
	v_pk_min_f16 v48, v48, v49
	s_nop 0
	;; [unrolled: 40-line block ×3, first 2 shown]
	v_lshrrev_b32_e32 v49, 16, v48
	v_min3_f16 v47, v47, v48, v49
	v_lshl_add_u64 v[48:49], v[40:41], 1, v[22:23]
	global_store_short v[48:49], v47, off
	s_cbranch_vccnz .LBB226_76
; %bb.75:
	v_lshl_add_u64 v[20:21], v[38:39], 1, v[20:21]
	flat_load_ushort v20, v[20:21]
	s_waitcnt vmcnt(0) lgkmcnt(0)
	v_mul_f16_e32 v46, s13, v20
.LBB226_76:
	v_pk_add_f16 v16, v24, v16
	v_pk_max_f16 v20, v82, v82
	v_pk_add_f16 v17, v25, v17
	v_pk_min_f16 v16, v20, v16
	s_and_b64 vcc, exec, s[0:1]
	v_pk_min_f16 v16, v16, v17
	s_nop 0
	v_lshrrev_b32_e32 v17, 16, v16
	v_min3_f16 v20, v46, v16, v17
	v_lshl_add_u64 v[16:17], v[38:39], 1, v[22:23]
	global_store_short v[16:17], v20, off
	v_add_u32_e32 v20, 0x80, v115
	v_mad_i64_i32 v[16:17], s[8:9], v20, s12, 0
	v_lshl_add_u64 v[16:17], v[16:17], 1, s[6:7]
	v_mov_b32_e32 v22, 0
	v_mov_b32_e32 v23, 0
	s_cbranch_vccnz .LBB226_78
; %bb.77:
	v_lshl_add_u64 v[46:47], v[28:29], 1, v[16:17]
	flat_load_ushort v21, v[46:47]
	s_waitcnt vmcnt(0) lgkmcnt(0)
	v_mul_f16_e32 v23, s13, v21
.LBB226_78:
	v_pk_add_f16 v21, v30, v18
	v_pk_max_f16 v46, v84, v84
	s_and_b64 vcc, exec, s[0:1]
	v_pk_min_f16 v21, v46, v21
	v_pk_add_f16 v46, v31, v19
	s_nop 0
	v_pk_min_f16 v46, v21, v46
	v_mad_i64_i32 v[20:21], s[8:9], v20, s10, 0
	v_lshl_add_u64 v[20:21], v[20:21], 1, s[2:3]
	v_lshrrev_b32_e32 v47, 16, v46
	v_min3_f16 v23, v23, v46, v47
	v_lshl_add_u64 v[46:47], v[28:29], 1, v[20:21]
	global_store_short v[46:47], v23, off
	s_cbranch_vccnz .LBB226_80
; %bb.79:
	v_lshl_add_u64 v[22:23], v[32:33], 1, v[16:17]
	flat_load_ushort v22, v[22:23]
	s_waitcnt vmcnt(0) lgkmcnt(0)
	v_mul_f16_e32 v22, s13, v22
.LBB226_80:
	v_pk_add_f16 v23, v8, v18
	v_pk_max_f16 v46, v83, v83
	s_and_b64 vcc, exec, s[0:1]
	v_pk_min_f16 v23, v46, v23
	v_pk_add_f16 v46, v9, v19
	s_nop 0
	v_pk_min_f16 v23, v23, v46
	s_nop 0
	v_lshrrev_b32_e32 v46, 16, v23
	v_min3_f16 v46, v22, v23, v46
	v_lshl_add_u64 v[22:23], v[32:33], 1, v[20:21]
	global_store_short v[22:23], v46, off
	v_mov_b32_e32 v22, 0
	v_mov_b32_e32 v23, 0
	s_cbranch_vccnz .LBB226_82
; %bb.81:
	v_lshl_add_u64 v[46:47], v[34:35], 1, v[16:17]
	flat_load_ushort v23, v[46:47]
	s_waitcnt vmcnt(0) lgkmcnt(0)
	v_mul_f16_e32 v23, s13, v23
.LBB226_82:
	v_pk_add_f16 v46, v10, v18
	v_pk_max_f16 v47, v85, v85
	s_and_b64 vcc, exec, s[0:1]
	v_pk_min_f16 v46, v47, v46
	v_pk_add_f16 v47, v11, v19
	s_nop 0
	v_pk_min_f16 v46, v46, v47
	s_nop 0
	v_lshrrev_b32_e32 v47, 16, v46
	v_min3_f16 v23, v23, v46, v47
	v_lshl_add_u64 v[46:47], v[34:35], 1, v[20:21]
	global_store_short v[46:47], v23, off
	s_cbranch_vccnz .LBB226_84
; %bb.83:
	v_lshl_add_u64 v[22:23], v[36:37], 1, v[16:17]
	flat_load_ushort v22, v[22:23]
	s_waitcnt vmcnt(0) lgkmcnt(0)
	v_mul_f16_e32 v22, s13, v22
.LBB226_84:
	v_pk_add_f16 v23, v4, v18
	v_pk_max_f16 v46, v86, v86
	s_and_b64 vcc, exec, s[0:1]
	v_pk_min_f16 v23, v46, v23
	v_pk_add_f16 v46, v5, v19
	s_nop 0
	v_pk_min_f16 v23, v23, v46
	s_nop 0
	v_lshrrev_b32_e32 v46, 16, v23
	v_min3_f16 v46, v22, v23, v46
	v_lshl_add_u64 v[22:23], v[36:37], 1, v[20:21]
	global_store_short v[22:23], v46, off
	v_mov_b32_e32 v22, 0
	v_mov_b32_e32 v23, 0
	s_cbranch_vccnz .LBB226_86
; %bb.85:
	v_lshl_add_u64 v[46:47], v[44:45], 1, v[16:17]
	flat_load_ushort v23, v[46:47]
	s_waitcnt vmcnt(0) lgkmcnt(0)
	v_mul_f16_e32 v23, s13, v23
.LBB226_86:
	v_pk_add_f16 v46, v6, v18
	v_pk_max_f16 v47, v87, v87
	s_and_b64 vcc, exec, s[0:1]
	v_pk_min_f16 v46, v47, v46
	v_pk_add_f16 v47, v7, v19
	s_nop 0
	v_pk_min_f16 v46, v46, v47
	s_nop 0
	;; [unrolled: 40-line block ×3, first 2 shown]
	v_lshrrev_b32_e32 v47, 16, v46
	v_min3_f16 v23, v23, v46, v47
	v_lshl_add_u64 v[46:47], v[40:41], 1, v[20:21]
	global_store_short v[46:47], v23, off
	s_cbranch_vccnz .LBB226_92
; %bb.91:
	v_lshl_add_u64 v[16:17], v[38:39], 1, v[16:17]
	flat_load_ushort v16, v[16:17]
	s_waitcnt vmcnt(0) lgkmcnt(0)
	v_mul_f16_e32 v22, s13, v16
.LBB226_92:
	v_pk_add_f16 v16, v24, v18
	v_pk_max_f16 v17, v94, v94
	s_and_b64 vcc, exec, s[0:1]
	v_pk_min_f16 v16, v17, v16
	v_pk_add_f16 v17, v25, v19
	s_nop 0
	v_pk_min_f16 v16, v16, v17
	s_nop 0
	v_lshrrev_b32_e32 v17, 16, v16
	v_min3_f16 v18, v22, v16, v17
	v_lshl_add_u64 v[16:17], v[38:39], 1, v[20:21]
	global_store_short v[16:17], v18, off
	v_add_u32_e32 v18, 0xa0, v115
	v_mad_i64_i32 v[16:17], s[8:9], v18, s12, 0
	v_lshl_add_u64 v[16:17], v[16:17], 1, s[6:7]
	v_mov_b32_e32 v20, 0
	v_mov_b32_e32 v21, 0
	s_cbranch_vccnz .LBB226_94
; %bb.93:
	v_lshl_add_u64 v[22:23], v[28:29], 1, v[16:17]
	flat_load_ushort v19, v[22:23]
	s_waitcnt vmcnt(0) lgkmcnt(0)
	v_mul_f16_e32 v21, s13, v19
.LBB226_94:
	v_pk_add_f16 v19, v30, v12
	v_pk_max_f16 v22, v90, v90
	s_and_b64 vcc, exec, s[0:1]
	v_pk_min_f16 v19, v22, v19
	v_pk_add_f16 v22, v31, v13
	s_nop 0
	v_pk_min_f16 v22, v19, v22
	v_mad_i64_i32 v[18:19], s[8:9], v18, s10, 0
	v_lshl_add_u64 v[18:19], v[18:19], 1, s[2:3]
	v_lshrrev_b32_e32 v23, 16, v22
	v_min3_f16 v21, v21, v22, v23
	v_lshl_add_u64 v[22:23], v[28:29], 1, v[18:19]
	global_store_short v[22:23], v21, off
	s_cbranch_vccnz .LBB226_96
; %bb.95:
	v_lshl_add_u64 v[20:21], v[32:33], 1, v[16:17]
	flat_load_ushort v20, v[20:21]
	s_waitcnt vmcnt(0) lgkmcnt(0)
	v_mul_f16_e32 v20, s13, v20
.LBB226_96:
	v_pk_add_f16 v21, v8, v12
	v_pk_max_f16 v22, v88, v88
	s_and_b64 vcc, exec, s[0:1]
	v_pk_min_f16 v21, v22, v21
	v_pk_add_f16 v22, v9, v13
	s_nop 0
	v_pk_min_f16 v21, v21, v22
	s_nop 0
	v_lshrrev_b32_e32 v22, 16, v21
	v_min3_f16 v22, v20, v21, v22
	v_lshl_add_u64 v[20:21], v[32:33], 1, v[18:19]
	global_store_short v[20:21], v22, off
	v_mov_b32_e32 v20, 0
	v_mov_b32_e32 v21, 0
	s_cbranch_vccnz .LBB226_98
; %bb.97:
	v_lshl_add_u64 v[22:23], v[34:35], 1, v[16:17]
	flat_load_ushort v21, v[22:23]
	s_waitcnt vmcnt(0) lgkmcnt(0)
	v_mul_f16_e32 v21, s13, v21
.LBB226_98:
	v_pk_add_f16 v22, v10, v12
	v_pk_max_f16 v23, v91, v91
	s_and_b64 vcc, exec, s[0:1]
	v_pk_min_f16 v22, v23, v22
	v_pk_add_f16 v23, v11, v13
	s_nop 0
	v_pk_min_f16 v22, v22, v23
	s_nop 0
	v_lshrrev_b32_e32 v23, 16, v22
	v_min3_f16 v21, v21, v22, v23
	v_lshl_add_u64 v[22:23], v[34:35], 1, v[18:19]
	global_store_short v[22:23], v21, off
	s_cbranch_vccnz .LBB226_100
; %bb.99:
	v_lshl_add_u64 v[20:21], v[36:37], 1, v[16:17]
	flat_load_ushort v20, v[20:21]
	s_waitcnt vmcnt(0) lgkmcnt(0)
	v_mul_f16_e32 v20, s13, v20
.LBB226_100:
	v_pk_add_f16 v21, v4, v12
	v_pk_max_f16 v22, v93, v93
	s_and_b64 vcc, exec, s[0:1]
	v_pk_min_f16 v21, v22, v21
	v_pk_add_f16 v22, v5, v13
	s_nop 0
	v_pk_min_f16 v21, v21, v22
	s_nop 0
	v_lshrrev_b32_e32 v22, 16, v21
	v_min3_f16 v22, v20, v21, v22
	v_lshl_add_u64 v[20:21], v[36:37], 1, v[18:19]
	global_store_short v[20:21], v22, off
	v_mov_b32_e32 v20, 0
	v_mov_b32_e32 v21, 0
	s_cbranch_vccnz .LBB226_102
; %bb.101:
	v_lshl_add_u64 v[22:23], v[44:45], 1, v[16:17]
	flat_load_ushort v21, v[22:23]
	s_waitcnt vmcnt(0) lgkmcnt(0)
	v_mul_f16_e32 v21, s13, v21
.LBB226_102:
	v_pk_add_f16 v22, v6, v12
	v_pk_max_f16 v23, v95, v95
	s_and_b64 vcc, exec, s[0:1]
	v_pk_min_f16 v22, v23, v22
	v_pk_add_f16 v23, v7, v13
	s_nop 0
	v_pk_min_f16 v22, v22, v23
	s_nop 0
	;; [unrolled: 40-line block ×3, first 2 shown]
	v_lshrrev_b32_e32 v23, 16, v22
	v_min3_f16 v21, v21, v22, v23
	v_lshl_add_u64 v[22:23], v[40:41], 1, v[18:19]
	global_store_short v[22:23], v21, off
	s_cbranch_vccnz .LBB226_108
; %bb.107:
	v_lshl_add_u64 v[16:17], v[38:39], 1, v[16:17]
	flat_load_ushort v16, v[16:17]
	s_waitcnt vmcnt(0) lgkmcnt(0)
	v_mul_f16_e32 v20, s13, v16
.LBB226_108:
	v_pk_add_f16 v12, v24, v12
	v_pk_max_f16 v16, v98, v98
	v_pk_add_f16 v13, v25, v13
	v_pk_min_f16 v12, v16, v12
	s_and_b64 vcc, exec, s[0:1]
	v_pk_min_f16 v12, v12, v13
	s_nop 0
	v_lshrrev_b32_e32 v13, 16, v12
	v_min3_f16 v16, v20, v12, v13
	v_lshl_add_u64 v[12:13], v[38:39], 1, v[18:19]
	global_store_short v[12:13], v16, off
	v_add_u32_e32 v16, 0xc0, v115
	v_mad_i64_i32 v[12:13], s[8:9], v16, s12, 0
	v_lshl_add_u64 v[12:13], v[12:13], 1, s[6:7]
	v_mov_b32_e32 v18, 0
	v_mov_b32_e32 v19, 0
	s_cbranch_vccnz .LBB226_110
; %bb.109:
	v_lshl_add_u64 v[20:21], v[28:29], 1, v[12:13]
	flat_load_ushort v17, v[20:21]
	s_waitcnt vmcnt(0) lgkmcnt(0)
	v_mul_f16_e32 v19, s13, v17
.LBB226_110:
	v_pk_add_f16 v17, v30, v14
	v_pk_max_f16 v20, v106, v106
	s_and_b64 vcc, exec, s[0:1]
	v_pk_min_f16 v17, v20, v17
	v_pk_add_f16 v20, v31, v15
	s_nop 0
	v_pk_min_f16 v20, v17, v20
	v_mad_i64_i32 v[16:17], s[8:9], v16, s10, 0
	v_lshl_add_u64 v[16:17], v[16:17], 1, s[2:3]
	v_lshrrev_b32_e32 v21, 16, v20
	v_min3_f16 v19, v19, v20, v21
	v_lshl_add_u64 v[20:21], v[28:29], 1, v[16:17]
	global_store_short v[20:21], v19, off
	s_cbranch_vccnz .LBB226_112
; %bb.111:
	v_lshl_add_u64 v[18:19], v[32:33], 1, v[12:13]
	flat_load_ushort v18, v[18:19]
	s_waitcnt vmcnt(0) lgkmcnt(0)
	v_mul_f16_e32 v18, s13, v18
.LBB226_112:
	v_pk_add_f16 v19, v8, v14
	v_pk_max_f16 v20, v105, v105
	s_and_b64 vcc, exec, s[0:1]
	v_pk_min_f16 v19, v20, v19
	v_pk_add_f16 v20, v9, v15
	s_nop 0
	v_pk_min_f16 v19, v19, v20
	s_nop 0
	v_lshrrev_b32_e32 v20, 16, v19
	v_min3_f16 v20, v18, v19, v20
	v_lshl_add_u64 v[18:19], v[32:33], 1, v[16:17]
	global_store_short v[18:19], v20, off
	v_mov_b32_e32 v18, 0
	v_mov_b32_e32 v19, 0
	s_cbranch_vccnz .LBB226_114
; %bb.113:
	v_lshl_add_u64 v[20:21], v[34:35], 1, v[12:13]
	flat_load_ushort v19, v[20:21]
	s_waitcnt vmcnt(0) lgkmcnt(0)
	v_mul_f16_e32 v19, s13, v19
.LBB226_114:
	v_pk_add_f16 v20, v10, v14
	v_pk_max_f16 v21, v104, v104
	s_and_b64 vcc, exec, s[0:1]
	v_pk_min_f16 v20, v21, v20
	v_pk_add_f16 v21, v11, v15
	s_nop 0
	v_pk_min_f16 v20, v20, v21
	s_nop 0
	v_lshrrev_b32_e32 v21, 16, v20
	v_min3_f16 v19, v19, v20, v21
	v_lshl_add_u64 v[20:21], v[34:35], 1, v[16:17]
	global_store_short v[20:21], v19, off
	s_cbranch_vccnz .LBB226_116
; %bb.115:
	v_lshl_add_u64 v[18:19], v[36:37], 1, v[12:13]
	flat_load_ushort v18, v[18:19]
	s_waitcnt vmcnt(0) lgkmcnt(0)
	v_mul_f16_e32 v18, s13, v18
.LBB226_116:
	v_pk_add_f16 v19, v4, v14
	v_pk_max_f16 v20, v103, v103
	s_and_b64 vcc, exec, s[0:1]
	v_pk_min_f16 v19, v20, v19
	v_pk_add_f16 v20, v5, v15
	s_nop 0
	v_pk_min_f16 v19, v19, v20
	s_nop 0
	v_lshrrev_b32_e32 v20, 16, v19
	v_min3_f16 v20, v18, v19, v20
	v_lshl_add_u64 v[18:19], v[36:37], 1, v[16:17]
	global_store_short v[18:19], v20, off
	v_mov_b32_e32 v18, 0
	v_mov_b32_e32 v19, 0
	s_cbranch_vccnz .LBB226_118
; %bb.117:
	v_lshl_add_u64 v[20:21], v[44:45], 1, v[12:13]
	flat_load_ushort v19, v[20:21]
	s_waitcnt vmcnt(0) lgkmcnt(0)
	v_mul_f16_e32 v19, s13, v19
.LBB226_118:
	v_pk_add_f16 v20, v6, v14
	v_pk_max_f16 v21, v102, v102
	s_and_b64 vcc, exec, s[0:1]
	v_pk_min_f16 v20, v21, v20
	v_pk_add_f16 v21, v7, v15
	s_nop 0
	v_pk_min_f16 v20, v20, v21
	s_nop 0
	;; [unrolled: 40-line block ×3, first 2 shown]
	v_lshrrev_b32_e32 v21, 16, v20
	v_min3_f16 v19, v19, v20, v21
	v_lshl_add_u64 v[20:21], v[40:41], 1, v[16:17]
	global_store_short v[20:21], v19, off
	s_cbranch_vccnz .LBB226_124
; %bb.123:
	v_lshl_add_u64 v[12:13], v[38:39], 1, v[12:13]
	flat_load_ushort v12, v[12:13]
	s_waitcnt vmcnt(0) lgkmcnt(0)
	v_mul_f16_e32 v18, s13, v12
.LBB226_124:
	v_pk_add_f16 v12, v24, v14
	v_pk_max_f16 v13, v99, v99
	s_and_b64 vcc, exec, s[0:1]
	v_pk_min_f16 v12, v13, v12
	v_pk_add_f16 v13, v25, v15
	s_nop 0
	v_pk_min_f16 v12, v12, v13
	s_nop 0
	v_lshrrev_b32_e32 v13, 16, v12
	v_min3_f16 v14, v18, v12, v13
	v_lshl_add_u64 v[12:13], v[38:39], 1, v[16:17]
	global_store_short v[12:13], v14, off
	v_add_u32_e32 v14, 0xe0, v115
	v_mad_i64_i32 v[12:13], s[8:9], v14, s12, 0
	v_lshl_add_u64 v[12:13], v[12:13], 1, s[6:7]
	v_mov_b32_e32 v16, 0
	v_mov_b32_e32 v17, 0
	s_cbranch_vccnz .LBB226_126
; %bb.125:
	v_lshl_add_u64 v[18:19], v[28:29], 1, v[12:13]
	flat_load_ushort v15, v[18:19]
	s_waitcnt vmcnt(0) lgkmcnt(0)
	v_mul_f16_e32 v17, s13, v15
.LBB226_126:
	v_pk_add_f16 v15, v30, v26
	v_pk_max_f16 v18, v108, v108
	s_and_b64 vcc, exec, s[0:1]
	v_pk_min_f16 v15, v18, v15
	v_pk_add_f16 v18, v31, v27
	s_nop 0
	v_pk_min_f16 v18, v15, v18
	v_mad_i64_i32 v[14:15], s[6:7], v14, s10, 0
	v_lshl_add_u64 v[14:15], v[14:15], 1, s[2:3]
	v_lshrrev_b32_e32 v19, 16, v18
	v_min3_f16 v17, v17, v18, v19
	v_lshl_add_u64 v[18:19], v[28:29], 1, v[14:15]
	global_store_short v[18:19], v17, off
	s_cbranch_vccnz .LBB226_128
; %bb.127:
	v_lshl_add_u64 v[16:17], v[32:33], 1, v[12:13]
	flat_load_ushort v16, v[16:17]
	s_waitcnt vmcnt(0) lgkmcnt(0)
	v_mul_f16_e32 v16, s13, v16
.LBB226_128:
	v_pk_add_f16 v8, v8, v26
	v_pk_max_f16 v17, v107, v107
	v_pk_add_f16 v9, v9, v27
	v_pk_min_f16 v8, v17, v8
	s_and_b64 vcc, exec, s[0:1]
	v_pk_min_f16 v8, v8, v9
	s_nop 0
	v_lshrrev_b32_e32 v9, 16, v8
	v_min3_f16 v16, v16, v8, v9
	v_lshl_add_u64 v[8:9], v[32:33], 1, v[14:15]
	global_store_short v[8:9], v16, off
	v_mov_b32_e32 v8, 0
	v_mov_b32_e32 v9, 0
	s_cbranch_vccnz .LBB226_130
; %bb.129:
	v_lshl_add_u64 v[16:17], v[34:35], 1, v[12:13]
	flat_load_ushort v9, v[16:17]
	s_waitcnt vmcnt(0) lgkmcnt(0)
	v_mul_f16_e32 v9, s13, v9
.LBB226_130:
	v_pk_add_f16 v10, v10, v26
	v_pk_max_f16 v16, v109, v109
	v_pk_add_f16 v11, v11, v27
	v_pk_min_f16 v10, v16, v10
	s_and_b64 vcc, exec, s[0:1]
	v_pk_min_f16 v10, v10, v11
	s_nop 0
	v_lshrrev_b32_e32 v11, 16, v10
	v_min3_f16 v9, v9, v10, v11
	v_lshl_add_u64 v[10:11], v[34:35], 1, v[14:15]
	global_store_short v[10:11], v9, off
	s_cbranch_vccnz .LBB226_132
; %bb.131:
	v_lshl_add_u64 v[8:9], v[36:37], 1, v[12:13]
	flat_load_ushort v8, v[8:9]
	s_waitcnt vmcnt(0) lgkmcnt(0)
	v_mul_f16_e32 v8, s13, v8
.LBB226_132:
	v_pk_add_f16 v4, v4, v26
	v_pk_max_f16 v9, v110, v110
	v_pk_add_f16 v5, v5, v27
	v_pk_min_f16 v4, v9, v4
	s_and_b64 vcc, exec, s[0:1]
	v_pk_min_f16 v4, v4, v5
	s_nop 0
	v_lshrrev_b32_e32 v5, 16, v4
	v_min3_f16 v8, v8, v4, v5
	v_lshl_add_u64 v[4:5], v[36:37], 1, v[14:15]
	global_store_short v[4:5], v8, off
	v_mov_b32_e32 v4, 0
	v_mov_b32_e32 v5, 0
	s_cbranch_vccnz .LBB226_134
; %bb.133:
	v_lshl_add_u64 v[8:9], v[44:45], 1, v[12:13]
	flat_load_ushort v5, v[8:9]
	s_waitcnt vmcnt(0) lgkmcnt(0)
	v_mul_f16_e32 v5, s13, v5
.LBB226_134:
	v_pk_add_f16 v6, v6, v26
	v_pk_max_f16 v8, v111, v111
	v_pk_add_f16 v7, v7, v27
	v_pk_min_f16 v6, v8, v6
	s_and_b64 vcc, exec, s[0:1]
	v_pk_min_f16 v6, v6, v7
	s_nop 0
	v_lshrrev_b32_e32 v7, 16, v6
	v_min3_f16 v5, v5, v6, v7
	v_lshl_add_u64 v[6:7], v[44:45], 1, v[14:15]
	global_store_short v[6:7], v5, off
	s_cbranch_vccnz .LBB226_136
; %bb.135:
	v_lshl_add_u64 v[4:5], v[42:43], 1, v[12:13]
	flat_load_ushort v4, v[4:5]
	s_waitcnt vmcnt(0) lgkmcnt(0)
	v_mul_f16_e32 v4, s13, v4
.LBB226_136:
	v_pk_add_f16 v0, v0, v26
	v_pk_max_f16 v5, v112, v112
	v_pk_add_f16 v2, v2, v26
	v_pk_min_f16 v0, v5, v0
	v_pk_max_f16 v5, v113, v113
	v_pk_add_f16 v1, v1, v27
	v_pk_min_f16 v2, v5, v2
	v_pk_min_f16 v0, v0, v1
	v_pk_add_f16 v1, v3, v27
	s_mov_b64 vcc, s[4:5]
	v_pk_min_f16 v2, v2, v1
	v_lshrrev_b32_e32 v1, 16, v0
	v_min3_f16 v3, v4, v0, v1
	v_lshl_add_u64 v[0:1], v[42:43], 1, v[14:15]
	global_store_short v[0:1], v3, off
	v_min_f16_sdwa v0, v2, v2 dst_sel:DWORD dst_unused:UNUSED_PAD src0_sel:DWORD src1_sel:WORD_1
	v_max_f16_e32 v0, v0, v0
	s_cbranch_vccz .LBB226_139
; %bb.137:
	v_min_f16_e32 v1, 0, v0
	v_lshl_add_u64 v[2:3], v[40:41], 1, v[14:15]
	s_mov_b32 s2, 0
	global_store_short v[2:3], v1, off
	s_cbranch_execz .LBB226_140
; %bb.138:
	v_mov_b32_e32 v0, s2
	s_branch .LBB226_141
.LBB226_139:
                                        ; implicit-def: $sgpr2
.LBB226_140:
	v_lshlrev_b64 v[2:3], 1, v[40:41]
	v_lshl_add_u64 v[4:5], v[12:13], 0, v[2:3]
	flat_load_ushort v1, v[4:5]
	v_lshl_add_u64 v[2:3], v[14:15], 0, v[2:3]
	s_waitcnt vmcnt(0) lgkmcnt(0)
	v_mul_f16_e32 v1, s13, v1
	v_min_f16_e32 v0, v1, v0
	global_store_short v[2:3], v0, off
	v_lshl_add_u64 v[0:1], v[38:39], 1, v[12:13]
	flat_load_ushort v0, v[0:1]
	s_waitcnt vmcnt(0) lgkmcnt(0)
	v_mul_f16_e32 v0, s13, v0
.LBB226_141:
	v_pk_add_f16 v1, v24, v26
	v_pk_max_f16 v2, v114, v114
	s_nop 0
	v_pk_min_f16 v1, v2, v1
	v_pk_add_f16 v2, v25, v27
	s_nop 0
	v_pk_min_f16 v1, v1, v2
	s_nop 0
	v_lshrrev_b32_e32 v2, 16, v1
	v_min3_f16 v2, v0, v1, v2
	v_lshl_add_u64 v[0:1], v[38:39], 1, v[14:15]
	global_store_short v[0:1], v2, off
	s_endpgm
	.section	.rodata,"a",@progbits
	.p2align	6, 0x0
	.amdhsa_kernel _ZN12_GLOBAL__N_120geam_min_plus_kernelIDF16_Dv2_DF16_S1_Li8ELi32ELi64ELi256ELi4ELi4ELi64ELi64ELi4ELc84ELc84ELb1ELb0ELb1EDF16_KPKDF16_KPDF16_EEviiiT16_PT17_ilS9_ilS7_S9_ilPT18_ili26rocblas_geam_ex_operation_
		.amdhsa_group_segment_fixed_size 5120
		.amdhsa_private_segment_fixed_size 0
		.amdhsa_kernarg_size 128
		.amdhsa_user_sgpr_count 2
		.amdhsa_user_sgpr_dispatch_ptr 0
		.amdhsa_user_sgpr_queue_ptr 0
		.amdhsa_user_sgpr_kernarg_segment_ptr 1
		.amdhsa_user_sgpr_dispatch_id 0
		.amdhsa_user_sgpr_kernarg_preload_length 0
		.amdhsa_user_sgpr_kernarg_preload_offset 0
		.amdhsa_user_sgpr_private_segment_size 0
		.amdhsa_uses_dynamic_stack 0
		.amdhsa_enable_private_segment 0
		.amdhsa_system_sgpr_workgroup_id_x 1
		.amdhsa_system_sgpr_workgroup_id_y 0
		.amdhsa_system_sgpr_workgroup_id_z 1
		.amdhsa_system_sgpr_workgroup_info 0
		.amdhsa_system_vgpr_workitem_id 1
		.amdhsa_next_free_vgpr 122
		.amdhsa_next_free_sgpr 22
		.amdhsa_accum_offset 124
		.amdhsa_reserve_vcc 1
		.amdhsa_float_round_mode_32 0
		.amdhsa_float_round_mode_16_64 0
		.amdhsa_float_denorm_mode_32 3
		.amdhsa_float_denorm_mode_16_64 3
		.amdhsa_dx10_clamp 1
		.amdhsa_ieee_mode 1
		.amdhsa_fp16_overflow 0
		.amdhsa_tg_split 0
		.amdhsa_exception_fp_ieee_invalid_op 0
		.amdhsa_exception_fp_denorm_src 0
		.amdhsa_exception_fp_ieee_div_zero 0
		.amdhsa_exception_fp_ieee_overflow 0
		.amdhsa_exception_fp_ieee_underflow 0
		.amdhsa_exception_fp_ieee_inexact 0
		.amdhsa_exception_int_div_zero 0
	.end_amdhsa_kernel
	.section	.text._ZN12_GLOBAL__N_120geam_min_plus_kernelIDF16_Dv2_DF16_S1_Li8ELi32ELi64ELi256ELi4ELi4ELi64ELi64ELi4ELc84ELc84ELb1ELb0ELb1EDF16_KPKDF16_KPDF16_EEviiiT16_PT17_ilS9_ilS7_S9_ilPT18_ili26rocblas_geam_ex_operation_,"axG",@progbits,_ZN12_GLOBAL__N_120geam_min_plus_kernelIDF16_Dv2_DF16_S1_Li8ELi32ELi64ELi256ELi4ELi4ELi64ELi64ELi4ELc84ELc84ELb1ELb0ELb1EDF16_KPKDF16_KPDF16_EEviiiT16_PT17_ilS9_ilS7_S9_ilPT18_ili26rocblas_geam_ex_operation_,comdat
.Lfunc_end226:
	.size	_ZN12_GLOBAL__N_120geam_min_plus_kernelIDF16_Dv2_DF16_S1_Li8ELi32ELi64ELi256ELi4ELi4ELi64ELi64ELi4ELc84ELc84ELb1ELb0ELb1EDF16_KPKDF16_KPDF16_EEviiiT16_PT17_ilS9_ilS7_S9_ilPT18_ili26rocblas_geam_ex_operation_, .Lfunc_end226-_ZN12_GLOBAL__N_120geam_min_plus_kernelIDF16_Dv2_DF16_S1_Li8ELi32ELi64ELi256ELi4ELi4ELi64ELi64ELi4ELc84ELc84ELb1ELb0ELb1EDF16_KPKDF16_KPDF16_EEviiiT16_PT17_ilS9_ilS7_S9_ilPT18_ili26rocblas_geam_ex_operation_
                                        ; -- End function
	.section	.AMDGPU.csdata,"",@progbits
; Kernel info:
; codeLenInByte = 16680
; NumSgprs: 28
; NumVgprs: 122
; NumAgprs: 0
; TotalNumVgprs: 122
; ScratchSize: 0
; MemoryBound: 0
; FloatMode: 240
; IeeeMode: 1
; LDSByteSize: 5120 bytes/workgroup (compile time only)
; SGPRBlocks: 3
; VGPRBlocks: 15
; NumSGPRsForWavesPerEU: 28
; NumVGPRsForWavesPerEU: 122
; AccumOffset: 124
; Occupancy: 4
; WaveLimiterHint : 1
; COMPUTE_PGM_RSRC2:SCRATCH_EN: 0
; COMPUTE_PGM_RSRC2:USER_SGPR: 2
; COMPUTE_PGM_RSRC2:TRAP_HANDLER: 0
; COMPUTE_PGM_RSRC2:TGID_X_EN: 1
; COMPUTE_PGM_RSRC2:TGID_Y_EN: 0
; COMPUTE_PGM_RSRC2:TGID_Z_EN: 1
; COMPUTE_PGM_RSRC2:TIDIG_COMP_CNT: 1
; COMPUTE_PGM_RSRC3_GFX90A:ACCUM_OFFSET: 30
; COMPUTE_PGM_RSRC3_GFX90A:TG_SPLIT: 0
	.section	.text._ZN12_GLOBAL__N_120geam_min_plus_kernelIDF16_Dv2_DF16_S1_Li8ELi32ELi64ELi256ELi4ELi4ELi64ELi64ELi4ELc84ELc84ELb0ELb0ELb1EDF16_KPKDF16_KPDF16_EEviiiT16_PT17_ilS9_ilS7_S9_ilPT18_ili26rocblas_geam_ex_operation_,"axG",@progbits,_ZN12_GLOBAL__N_120geam_min_plus_kernelIDF16_Dv2_DF16_S1_Li8ELi32ELi64ELi256ELi4ELi4ELi64ELi64ELi4ELc84ELc84ELb0ELb0ELb1EDF16_KPKDF16_KPDF16_EEviiiT16_PT17_ilS9_ilS7_S9_ilPT18_ili26rocblas_geam_ex_operation_,comdat
	.globl	_ZN12_GLOBAL__N_120geam_min_plus_kernelIDF16_Dv2_DF16_S1_Li8ELi32ELi64ELi256ELi4ELi4ELi64ELi64ELi4ELc84ELc84ELb0ELb0ELb1EDF16_KPKDF16_KPDF16_EEviiiT16_PT17_ilS9_ilS7_S9_ilPT18_ili26rocblas_geam_ex_operation_ ; -- Begin function _ZN12_GLOBAL__N_120geam_min_plus_kernelIDF16_Dv2_DF16_S1_Li8ELi32ELi64ELi256ELi4ELi4ELi64ELi64ELi4ELc84ELc84ELb0ELb0ELb1EDF16_KPKDF16_KPDF16_EEviiiT16_PT17_ilS9_ilS7_S9_ilPT18_ili26rocblas_geam_ex_operation_
	.p2align	8
	.type	_ZN12_GLOBAL__N_120geam_min_plus_kernelIDF16_Dv2_DF16_S1_Li8ELi32ELi64ELi256ELi4ELi4ELi64ELi64ELi4ELc84ELc84ELb0ELb0ELb1EDF16_KPKDF16_KPDF16_EEviiiT16_PT17_ilS9_ilS7_S9_ilPT18_ili26rocblas_geam_ex_operation_,@function
_ZN12_GLOBAL__N_120geam_min_plus_kernelIDF16_Dv2_DF16_S1_Li8ELi32ELi64ELi256ELi4ELi4ELi64ELi64ELi4ELc84ELc84ELb0ELb0ELb1EDF16_KPKDF16_KPDF16_EEviiiT16_PT17_ilS9_ilS7_S9_ilPT18_ili26rocblas_geam_ex_operation_: ; @_ZN12_GLOBAL__N_120geam_min_plus_kernelIDF16_Dv2_DF16_S1_Li8ELi32ELi64ELi256ELi4ELi4ELi64ELi64ELi4ELc84ELc84ELb0ELb0ELb1EDF16_KPKDF16_KPDF16_EEviiiT16_PT17_ilS9_ilS7_S9_ilPT18_ili26rocblas_geam_ex_operation_
; %bb.0:
	s_load_dwordx2 s[12:13], s[0:1], 0x8
	s_load_dwordx4 s[4:7], s[0:1], 0x20
	s_mov_b32 s14, s3
	s_mov_b32 s15, 0
	s_waitcnt lgkmcnt(0)
	v_cmp_eq_f16_e64 s[8:9], s13, 0
	s_and_b64 vcc, exec, s[8:9]
	s_cbranch_vccnz .LBB227_3
; %bb.1:
	s_load_dwordx2 s[10:11], s[0:1], 0x10
	s_lshl_b64 s[16:17], s[14:15], 3
	s_waitcnt lgkmcnt(0)
	s_add_u32 s10, s10, s16
	s_addc_u32 s11, s11, s17
	s_load_dwordx2 s[10:11], s[10:11], 0x0
	s_lshl_b64 s[4:5], s[4:5], 1
	s_waitcnt lgkmcnt(0)
	s_add_u32 s16, s10, s4
	s_addc_u32 s17, s11, s5
	s_andn2_b64 vcc, exec, s[8:9]
	s_cbranch_vccnz .LBB227_4
.LBB227_2:
	s_mov_b64 s[18:19], 0
	s_cbranch_execz .LBB227_5
	s_branch .LBB227_6
.LBB227_3:
	s_mov_b64 s[16:17], 0
	s_andn2_b64 vcc, exec, s[8:9]
	s_cbranch_vccz .LBB227_2
.LBB227_4:
                                        ; implicit-def: $sgpr18_sgpr19
.LBB227_5:
	s_lshl_b64 s[8:9], s[14:15], 3
	s_add_u32 s6, s6, s8
	s_load_dwordx2 s[4:5], s[0:1], 0x38
	s_addc_u32 s7, s7, s9
	s_load_dwordx2 s[6:7], s[6:7], 0x0
	s_waitcnt lgkmcnt(0)
	s_lshl_b64 s[4:5], s[4:5], 1
	s_add_u32 s18, s6, s4
	s_addc_u32 s19, s7, s5
.LBB227_6:
	s_load_dword s22, s[0:1], 0x40
	s_load_dwordx4 s[4:7], s[0:1], 0x58
	v_cmp_neq_f16_e64 s[20:21], s13, 0
	s_waitcnt lgkmcnt(0)
	v_cmp_eq_f16_e64 s[8:9], s22, 0
	s_and_b64 s[8:9], exec, s[8:9]
	s_mov_b64 vcc, s[8:9]
	s_cbranch_vccnz .LBB227_8
; %bb.7:
	s_load_dwordx2 s[10:11], s[0:1], 0x48
	s_lshl_b64 s[24:25], s[14:15], 3
	s_waitcnt lgkmcnt(0)
	s_add_u32 s10, s10, s24
	s_addc_u32 s11, s11, s25
	s_load_dwordx2 s[10:11], s[10:11], 0x0
	s_lshl_b64 s[4:5], s[4:5], 1
	s_waitcnt lgkmcnt(0)
	s_add_u32 s10, s10, s4
	s_addc_u32 s11, s11, s5
	s_branch .LBB227_9
.LBB227_8:
	s_mov_b64 s[10:11], 0
.LBB227_9:
	s_load_dword s23, s[0:1], 0x0
	s_load_dword s3, s[0:1], 0x18
	s_lshl_b64 s[4:5], s[14:15], 3
	s_add_u32 s14, s6, s4
	s_addc_u32 s15, s7, s5
	s_waitcnt lgkmcnt(0)
	s_add_i32 s4, s23, -1
	s_ashr_i32 s5, s4, 31
	s_lshr_b32 s5, s5, 26
	s_add_i32 s4, s4, s5
	s_ashr_i32 s4, s4, 6
	s_add_i32 s5, s4, 1
	v_cvt_f32_u32_e32 v1, s5
	s_not_b32 s4, s4
	v_and_b32_e32 v42, 0x3ff, v0
	v_bfe_u32 v43, v0, 10, 10
	v_rcp_iflag_f32_e32 v1, v1
	v_lshl_add_u32 v0, v43, 3, v42
	v_cndmask_b32_e64 v2, 0, 1, s[20:21]
	v_and_b32_e32 v3, 3, v42
	v_mul_f32_e32 v1, 0x4f7ffffe, v1
	v_cvt_u32_f32_e32 v1, v1
	v_lshrrev_b32_e32 v34, 2, v0
	v_lshlrev_b32_e32 v32, 1, v3
	v_readfirstlane_b32 s6, v1
	s_mul_i32 s4, s4, s6
	s_mul_hi_u32 s4, s6, s4
	s_add_i32 s6, s6, s4
	s_mul_hi_u32 s4, s2, s6
	s_mul_i32 s6, s4, s5
	s_sub_i32 s6, s2, s6
	s_add_i32 s7, s4, 1
	s_sub_i32 s23, s6, s5
	s_cmp_ge_u32 s6, s5
	s_cselect_b32 s4, s7, s4
	s_cselect_b32 s6, s23, s6
	s_add_i32 s7, s4, 1
	s_cmp_ge_u32 s6, s5
	s_cselect_b32 s7, s7, s4
	s_mul_i32 s25, s7, s5
	s_sub_i32 s4, s2, s25
	s_lshl_b32 s23, s4, 6
	v_cmp_ne_u32_e64 s[4:5], 1, v2
	s_andn2_b64 vcc, exec, s[20:21]
	v_add_u32_e32 v9, s23, v34
	s_cbranch_vccnz .LBB227_11
; %bb.10:
	v_mad_i64_i32 v[2:3], s[26:27], v9, s3, 0
	v_lshl_add_u64 v[2:3], v[2:3], 1, s[16:17]
	v_mov_b32_e32 v33, 0
	v_lshl_add_u64 v[2:3], v[2:3], 0, v[32:33]
	flat_load_ushort v1, v[2:3]
	s_waitcnt vmcnt(0) lgkmcnt(0)
	v_mul_f16_e32 v4, s13, v1
	s_branch .LBB227_12
.LBB227_11:
	v_mov_b32_e32 v4, 0
.LBB227_12:
	s_load_dword s6, s[0:1], 0x30
	v_and_b32_e32 v36, 63, v0
	v_lshrrev_b32_e32 v38, 6, v0
	s_lshl_b32 s24, s7, 8
	v_or_b32_e32 v0, s24, v36
	s_waitcnt lgkmcnt(0)
	v_mad_i64_i32 v[2:3], s[26:27], s6, v38, 0
	s_ashr_i32 s7, s6, 31
	v_lshl_add_u64 v[2:3], v[2:3], 1, s[18:19]
	s_and_b64 vcc, exec, s[4:5]
	v_ashrrev_i32_e32 v1, 31, v0
	s_cbranch_vccnz .LBB227_16
; %bb.13:
	v_lshl_add_u64 v[6:7], v[0:1], 1, v[2:3]
	flat_load_ushort v5, v[6:7]
	flat_load_ushort v8, v[6:7] offset:128
	s_waitcnt vmcnt(0) lgkmcnt(0)
	v_mul_f16_e32 v5, s13, v5
	v_mul_f16_e32 v6, s13, v8
	s_and_b64 vcc, exec, s[4:5]
	s_cbranch_vccnz .LBB227_17
.LBB227_14:
	v_lshl_add_u64 v[2:3], v[0:1], 1, v[2:3]
	flat_load_ushort v7, v[2:3] offset:256
	flat_load_ushort v8, v[2:3] offset:384
	s_waitcnt vmcnt(0) lgkmcnt(0)
	v_mul_f16_e32 v7, s13, v7
	v_mul_f16_e32 v8, s13, v8
	s_and_b64 vcc, exec, s[4:5]
	s_cbranch_vccnz .LBB227_18
.LBB227_15:
	v_mad_i64_i32 v[2:3], s[26:27], v9, s3, 0
	v_lshl_add_u64 v[2:3], v[2:3], 1, s[16:17]
	v_mov_b32_e32 v33, 0
	v_lshl_add_u64 v[2:3], v[2:3], 0, v[32:33]
	flat_load_ushort v2, v[2:3] offset:8
	s_waitcnt vmcnt(0) lgkmcnt(0)
	v_mul_f16_e32 v33, s13, v2
	s_branch .LBB227_19
.LBB227_16:
	v_mov_b32_e32 v5, 0
	v_mov_b32_e32 v6, 0
	s_and_b64 vcc, exec, s[4:5]
	s_cbranch_vccz .LBB227_14
.LBB227_17:
	v_mov_b32_e32 v7, 0
	v_mov_b32_e32 v8, 0
	s_and_b64 vcc, exec, s[4:5]
	s_cbranch_vccz .LBB227_15
.LBB227_18:
	v_mov_b32_e32 v33, 0
.LBB227_19:
	v_add_u32_e32 v2, 4, v38
	v_mad_i64_i32 v[2:3], s[26:27], s6, v2, 0
	s_and_b64 vcc, exec, s[4:5]
	v_lshl_add_u64 v[2:3], v[2:3], 1, s[18:19]
	s_cbranch_vccnz .LBB227_22
; %bb.20:
	v_lshl_add_u64 v[10:11], v[0:1], 1, v[2:3]
	flat_load_ushort v9, v[10:11]
	flat_load_ushort v12, v[10:11] offset:128
	s_waitcnt vmcnt(0) lgkmcnt(0)
	v_mul_f16_e32 v35, s13, v9
	v_mul_f16_e32 v37, s13, v12
	s_and_b64 vcc, exec, s[4:5]
	s_cbranch_vccnz .LBB227_23
.LBB227_21:
	v_lshl_add_u64 v[0:1], v[0:1], 1, v[2:3]
	flat_load_ushort v2, v[0:1] offset:256
	flat_load_ushort v3, v[0:1] offset:384
	s_waitcnt vmcnt(0) lgkmcnt(0)
	v_mul_f16_e32 v40, s13, v2
	v_mul_f16_e32 v41, s13, v3
	s_branch .LBB227_24
.LBB227_22:
	v_mov_b32_e32 v35, 0
	v_mov_b32_e32 v37, 0
	s_and_b64 vcc, exec, s[4:5]
	s_cbranch_vccz .LBB227_21
.LBB227_23:
	v_mov_b32_e32 v40, 0
	v_mov_b32_e32 v41, 0
.LBB227_24:
	v_lshlrev_b32_e32 v0, 1, v38
	v_lshlrev_b32_e32 v44, 3, v42
	v_lshl_or_b32 v39, v34, 3, v32
	v_lshl_add_u32 v46, v36, 3, v0
	v_add_u32_e32 v47, 0x1000, v44
	s_load_dwordx2 s[14:15], s[14:15], 0x0
	ds_write_b16 v39, v4 offset:4096
	ds_write_b16 v46, v5
	ds_write_b16 v46, v6 offset:512
	ds_write_b16 v46, v7 offset:1024
	;; [unrolled: 1-line block ×3, first 2 shown]
	s_waitcnt lgkmcnt(0)
	s_barrier
	ds_read2_b64 v[16:19], v47 offset1:8
	ds_read2_b64 v[12:15], v47 offset0:16 offset1:24
	ds_read2_b64 v[4:7], v47 offset0:32 offset1:40
	v_lshlrev_b32_e32 v45, 3, v43
	ds_read2_b64 v[28:31], v45 offset1:32
	ds_read2_b64 v[0:3], v47 offset0:48 offset1:56
	ds_read2_b64 v[24:27], v45 offset0:64 offset1:96
	;; [unrolled: 1-line block ×4, first 2 shown]
	s_movk_i32 s26, 0x7c00
	s_waitcnt lgkmcnt(4)
	v_pk_add_f16 v50, v12, v28
	v_pk_add_f16 v48, v16, v28
	v_pk_min_f16 v51, v50, s26 op_sel_hi:[1,0]
	v_pk_add_f16 v50, v14, v28
	v_pk_add_f16 v49, v18, v28
	v_pk_min_f16 v52, v50, s26 op_sel_hi:[1,0]
	v_pk_add_f16 v50, v4, v28
	v_pk_min_f16 v48, v48, s26 op_sel_hi:[1,0]
	v_pk_min_f16 v53, v50, s26 op_sel_hi:[1,0]
	v_pk_add_f16 v50, v6, v28
	v_pk_min_f16 v49, v49, s26 op_sel_hi:[1,0]
	v_pk_min_f16 v54, v50, s26 op_sel_hi:[1,0]
	s_waitcnt lgkmcnt(3)
	v_pk_add_f16 v50, v0, v28
	v_pk_add_f16 v28, v2, v28
	v_pk_min_f16 v55, v50, s26 op_sel_hi:[1,0]
	v_pk_add_f16 v50, v16, v30
	v_pk_min_f16 v28, v28, s26 op_sel_hi:[1,0]
	v_pk_min_f16 v56, v50, s26 op_sel_hi:[1,0]
	v_pk_add_f16 v50, v18, v30
	s_cmp_lt_i32 s12, 9
	v_pk_min_f16 v57, v50, s26 op_sel_hi:[1,0]
	v_pk_add_f16 v50, v12, v30
	ds_write_b16 v39, v33 offset:4608
	ds_write_b16 v46, v35 offset:2048
	;; [unrolled: 1-line block ×5, first 2 shown]
	v_pk_min_f16 v58, v50, s26 op_sel_hi:[1,0]
	v_pk_add_f16 v50, v14, v30
	s_waitcnt lgkmcnt(0)
	v_pk_min_f16 v59, v50, s26 op_sel_hi:[1,0]
	v_pk_add_f16 v50, v4, v30
	s_barrier
	v_pk_min_f16 v60, v50, s26 op_sel_hi:[1,0]
	v_pk_add_f16 v50, v6, v30
	s_nop 0
	v_pk_min_f16 v61, v50, s26 op_sel_hi:[1,0]
	v_pk_add_f16 v50, v0, v30
	v_pk_add_f16 v30, v2, v30
	v_pk_min_f16 v62, v50, s26 op_sel_hi:[1,0]
	v_pk_add_f16 v50, v16, v24
	v_pk_min_f16 v30, v30, s26 op_sel_hi:[1,0]
	v_pk_min_f16 v63, v50, s26 op_sel_hi:[1,0]
	v_pk_add_f16 v50, v18, v24
	s_nop 0
	v_pk_min_f16 v64, v50, s26 op_sel_hi:[1,0]
	v_pk_add_f16 v50, v12, v24
	s_nop 0
	v_pk_min_f16 v65, v50, s26 op_sel_hi:[1,0]
	v_pk_add_f16 v50, v14, v24
	s_nop 0
	v_pk_min_f16 v66, v50, s26 op_sel_hi:[1,0]
	v_pk_add_f16 v50, v4, v24
	s_nop 0
	v_pk_min_f16 v67, v50, s26 op_sel_hi:[1,0]
	v_pk_add_f16 v50, v6, v24
	s_nop 0
	v_pk_min_f16 v68, v50, s26 op_sel_hi:[1,0]
	v_pk_add_f16 v50, v0, v24
	v_pk_add_f16 v24, v2, v24
	v_pk_min_f16 v69, v50, s26 op_sel_hi:[1,0]
	v_pk_add_f16 v50, v16, v26
	v_pk_min_f16 v24, v24, s26 op_sel_hi:[1,0]
	v_pk_min_f16 v70, v50, s26 op_sel_hi:[1,0]
	v_pk_add_f16 v50, v18, v26
	s_nop 0
	v_pk_min_f16 v71, v50, s26 op_sel_hi:[1,0]
	v_pk_add_f16 v50, v12, v26
	s_nop 0
	v_pk_min_f16 v72, v50, s26 op_sel_hi:[1,0]
	v_pk_add_f16 v50, v14, v26
	s_nop 0
	v_pk_min_f16 v73, v50, s26 op_sel_hi:[1,0]
	v_pk_add_f16 v50, v4, v26
	s_nop 0
	;; [unrolled: 21-line block ×4, first 2 shown]
	v_pk_min_f16 v122, v50, s26 op_sel_hi:[1,0]
	v_pk_add_f16 v50, v6, v22
	s_nop 0
	v_pk_min_f16 v123, v50, s26 op_sel_hi:[1,0]
	v_pk_add_f16 v50, v0, v22
	v_pk_add_f16 v22, v2, v22
	v_pk_min_f16 v124, v50, s26 op_sel_hi:[1,0]
	v_pk_add_f16 v50, v16, v8
	v_pk_min_f16 v22, v22, s26 op_sel_hi:[1,0]
	v_pk_min_f16 v125, v50, s26 op_sel_hi:[1,0]
	v_pk_add_f16 v50, v18, v8
	s_nop 0
	v_pk_min_f16 v126, v50, s26 op_sel_hi:[1,0]
	v_pk_add_f16 v50, v12, v8
	s_nop 0
	;; [unrolled: 3-line block ×3, first 2 shown]
	v_pk_min_f16 v128, v50, s26 op_sel_hi:[1,0]
	v_pk_add_f16 v50, v4, v8
	v_pk_add_f16 v4, v4, v10
	v_pk_min_f16 v129, v50, s26 op_sel_hi:[1,0]
	v_pk_add_f16 v50, v6, v8
	s_nop 0
	v_pk_min_f16 v130, v50, s26 op_sel_hi:[1,0]
	v_pk_add_f16 v50, v0, v8
	v_pk_add_f16 v8, v2, v8
	;; [unrolled: 1-line block ×3, first 2 shown]
	v_pk_min_f16 v132, v8, s26 op_sel_hi:[1,0]
	v_pk_add_f16 v8, v16, v10
	v_pk_min_f16 v131, v50, s26 op_sel_hi:[1,0]
	v_pk_min_f16 v16, v8, s26 op_sel_hi:[1,0]
	v_pk_add_f16 v8, v18, v10
	s_nop 0
	v_pk_min_f16 v18, v8, s26 op_sel_hi:[1,0]
	v_pk_add_f16 v8, v12, v10
	s_nop 0
	;; [unrolled: 3-line block ×3, first 2 shown]
	v_pk_min_f16 v14, v8, s26 op_sel_hi:[1,0]
	v_pk_min_f16 v8, v4, s26 op_sel_hi:[1,0]
	v_pk_add_f16 v4, v6, v10
	s_nop 0
	v_pk_min_f16 v6, v4, s26 op_sel_hi:[1,0]
	v_pk_min_f16 v4, v0, s26 op_sel_hi:[1,0]
	v_pk_add_f16 v0, v2, v10
	v_pk_add_f16 v2, v17, v29
	v_pk_min_f16 v0, v0, s26 op_sel_hi:[1,0]
	v_pk_min_f16 v50, v48, v2
	v_pk_add_f16 v2, v19, v29
	s_nop 0
	v_pk_min_f16 v114, v49, v2
	v_pk_add_f16 v2, v13, v29
	s_nop 0
	;; [unrolled: 3-line block ×53, first 2 shown]
	v_pk_min_f16 v61, v130, v2
	v_pk_add_f16 v2, v1, v9
	v_pk_add_f16 v1, v1, v11
	v_pk_min_f16 v60, v131, v2
	v_pk_add_f16 v2, v3, v9
	v_pk_min_f16 v53, v4, v1
	v_pk_min_f16 v58, v132, v2
	v_pk_add_f16 v2, v17, v11
	v_pk_add_f16 v1, v3, v11
	v_pk_min_f16 v59, v16, v2
	v_pk_add_f16 v2, v19, v11
	v_pk_min_f16 v67, v0, v1
	v_pk_min_f16 v57, v18, v2
	v_pk_add_f16 v2, v13, v11
	s_nop 0
	v_pk_min_f16 v56, v12, v2
	v_pk_add_f16 v2, v15, v11
	s_nop 0
	;; [unrolled: 3-line block ×4, first 2 shown]
	v_pk_min_f16 v52, v6, v2
	s_cbranch_scc1 .LBB227_42
; %bb.25:
	v_mov_b32_e32 v0, 0x1200
	v_lshl_add_u32 v115, v42, 3, v0
	v_mov_b32_e32 v0, 0x800
	v_lshl_add_u32 v116, v43, 3, v0
	v_lshl_add_u32 v0, s2, 6, v34
	s_lshl_b32 s2, s25, 6
	v_subrev_u32_e32 v0, s2, v0
	v_mad_i64_i32 v[0:1], s[2:3], s3, v0, 0
	v_mov_b32_e32 v33, 0
	v_lshl_add_u64 v[0:1], v[0:1], 1, v[32:33]
	v_lshl_add_u64 v[0:1], v[0:1], 0, s[16:17]
	;; [unrolled: 1-line block ×3, first 2 shown]
	v_add_u32_e32 v0, 12, v38
	v_mad_i64_i32 v[0:1], s[2:3], v0, s6, 0
	v_lshlrev_b64 v[34:35], 1, v[0:1]
	v_add_u32_e32 v0, s24, v36
	v_ashrrev_i32_e32 v1, 31, v0
	v_lshl_add_u64 v[36:37], v[0:1], 1, s[18:19]
	v_add_u32_e32 v0, 8, v38
	s_lshl_b64 s[2:3], s[6:7], 4
	v_mad_i64_i32 v[0:1], s[6:7], v0, s6, 0
	v_add_u32_e32 v48, 0x1000, v39
	v_add_u32_e32 v49, 0x1200, v39
	v_or_b32_e32 v51, 0x800, v46
	s_add_i32 s12, s12, -8
	v_lshlrev_b64 v[38:39], 1, v[0:1]
	s_mov_b32 s16, 0
	s_and_b64 s[6:7], exec, s[20:21]
	s_branch .LBB227_28
.LBB227_26:                             ;   in Loop: Header=BB227_28 Depth=1
	flat_load_ushort v0, v[40:41] offset:256
	flat_load_ushort v1, v[40:41] offset:384
	s_waitcnt vmcnt(0) lgkmcnt(0)
	v_mul_f16_e32 v28, s13, v0
	v_mul_f16_e32 v29, s13, v1
.LBB227_27:                             ;   in Loop: Header=BB227_28 Depth=1
	ds_read2_b64 v[8:11], v47 offset1:8
	ds_read2_b64 v[4:7], v47 offset0:16 offset1:24
	ds_read2_b64 v[0:3], v47 offset0:32 offset1:40
	ds_read2_b64 v[120:123], v45 offset1:32
	ds_read2_b64 v[12:15], v47 offset0:48 offset1:56
	ds_read2_b64 v[24:27], v45 offset0:64 offset1:96
	;; [unrolled: 1-line block ×4, first 2 shown]
	s_waitcnt lgkmcnt(4)
	v_pk_add_f16 v40, v8, v120
	v_pk_max_f16 v41, v112, v112
	v_pk_max_f16 v111, v111, v111
	v_pk_min_f16 v40, v41, v40
	v_pk_add_f16 v41, v10, v120
	v_pk_max_f16 v110, v110, v110
	v_pk_min_f16 v41, v111, v41
	v_pk_add_f16 v111, v4, v120
	;; [unrolled: 3-line block ×5, first 2 shown]
	v_pk_max_f16 v106, v106, v106
	v_pk_min_f16 v107, v107, v111
	s_waitcnt lgkmcnt(3)
	v_pk_add_f16 v111, v12, v120
	v_pk_max_f16 v105, v105, v105
	v_pk_min_f16 v106, v106, v111
	v_pk_add_f16 v111, v14, v120
	v_pk_max_f16 v104, v104, v104
	v_pk_min_f16 v105, v105, v111
	;; [unrolled: 3-line block ×10, first 2 shown]
	s_waitcnt lgkmcnt(2)
	v_pk_add_f16 v111, v8, v24
	v_pk_max_f16 v95, v95, v95
	v_pk_min_f16 v96, v96, v111
	v_pk_add_f16 v111, v10, v24
	v_pk_max_f16 v94, v94, v94
	v_pk_min_f16 v95, v95, v111
	;; [unrolled: 3-line block ×6, first 2 shown]
	v_pk_add_f16 v111, v12, v24
	v_pk_add_f16 v24, v14, v24
	v_pk_max_f16 v88, v88, v88
	v_pk_min_f16 v24, v89, v24
	v_pk_add_f16 v89, v8, v26
	v_pk_max_f16 v87, v87, v87
	v_pk_min_f16 v88, v88, v89
	;; [unrolled: 3-line block ×7, first 2 shown]
	v_pk_add_f16 v89, v12, v26
	v_pk_add_f16 v26, v14, v26
	v_pk_max_f16 v80, v80, v80
	v_pk_min_f16 v26, v81, v26
	s_waitcnt lgkmcnt(1)
	v_pk_add_f16 v81, v8, v20
	v_pk_max_f16 v79, v79, v79
	v_pk_min_f16 v80, v80, v81
	v_pk_add_f16 v81, v10, v20
	v_pk_max_f16 v78, v78, v78
	v_pk_min_f16 v79, v79, v81
	;; [unrolled: 3-line block ×6, first 2 shown]
	v_pk_add_f16 v81, v12, v20
	v_pk_add_f16 v20, v14, v20
	v_pk_max_f16 v72, v72, v72
	v_pk_min_f16 v20, v73, v20
	v_pk_add_f16 v73, v8, v22
	v_pk_max_f16 v71, v71, v71
	v_pk_min_f16 v72, v72, v73
	;; [unrolled: 3-line block ×7, first 2 shown]
	v_pk_add_f16 v73, v12, v22
	v_pk_add_f16 v22, v14, v22
	v_pk_max_f16 v64, v64, v64
	v_pk_min_f16 v22, v65, v22
	s_waitcnt lgkmcnt(0)
	v_pk_add_f16 v65, v8, v16
	v_pk_max_f16 v63, v63, v63
	v_pk_min_f16 v64, v64, v65
	v_pk_add_f16 v65, v10, v16
	v_pk_max_f16 v62, v62, v62
	v_pk_min_f16 v63, v63, v65
	;; [unrolled: 3-line block ×5, first 2 shown]
	v_pk_add_f16 v65, v2, v16
	v_pk_add_f16 v8, v8, v18
	v_pk_min_f16 v59, v59, v65
	v_pk_add_f16 v65, v12, v16
	v_pk_add_f16 v16, v14, v16
	;; [unrolled: 1-line block ×9, first 2 shown]
	v_pk_max_f16 v18, v50, v50
	v_pk_max_f16 v90, v90, v90
	v_pk_min_f16 v14, v18, v14
	v_pk_add_f16 v18, v9, v121
	v_pk_min_f16 v90, v90, v111
	v_pk_min_f16 v50, v40, v18
	v_pk_add_f16 v18, v11, v121
	v_pk_max_f16 v82, v82, v82
	v_pk_min_f16 v114, v41, v18
	v_pk_add_f16 v18, v5, v121
	v_pk_min_f16 v82, v82, v89
	v_pk_min_f16 v113, v110, v18
	v_pk_add_f16 v18, v7, v121
	;; [unrolled: 6-line block ×5, first 2 shown]
	v_pk_max_f16 v52, v52, v52
	v_pk_min_f16 v106, v103, v18
	v_pk_add_f16 v18, v5, v123
	v_pk_max_f16 v54, v54, v54
	v_pk_min_f16 v105, v102, v18
	v_pk_add_f16 v18, v7, v123
	v_pk_min_f16 v0, v52, v0
	v_pk_min_f16 v104, v101, v18
	v_pk_add_f16 v18, v1, v123
	v_pk_max_f16 v31, v31, v31
	v_pk_min_f16 v103, v100, v18
	v_pk_add_f16 v18, v3, v123
	v_pk_max_f16 v56, v56, v56
	v_pk_min_f16 v102, v99, v18
	v_pk_add_f16 v18, v13, v123
	v_pk_min_f16 v4, v54, v4
	v_pk_min_f16 v101, v98, v18
	v_pk_add_f16 v18, v15, v123
	v_pk_min_f16 v2, v31, v2
	v_pk_min_f16 v100, v97, v18
	v_pk_add_f16 v18, v9, v25
	v_pk_max_f16 v30, v30, v30
	v_pk_min_f16 v99, v96, v18
	v_pk_add_f16 v18, v11, v25
	v_pk_max_f16 v57, v57, v57
	v_pk_min_f16 v98, v95, v18
	v_pk_add_f16 v18, v5, v25
	v_pk_min_f16 v8, v56, v8
	v_pk_min_f16 v97, v94, v18
	v_pk_add_f16 v18, v7, v25
	v_pk_max_f16 v55, v55, v55
	v_pk_min_f16 v96, v93, v18
	v_pk_add_f16 v18, v1, v25
	v_pk_max_f16 v53, v53, v53
	v_pk_min_f16 v95, v92, v18
	v_pk_add_f16 v18, v3, v25
	v_pk_min_f16 v12, v30, v12
	v_pk_min_f16 v94, v91, v18
	v_pk_add_f16 v18, v13, v25
	v_pk_min_f16 v16, v57, v16
	;; [unrolled: 3-line block ×4, first 2 shown]
	v_pk_min_f16 v91, v88, v18
	v_pk_add_f16 v18, v11, v27
	s_add_i32 s16, s16, 8
	v_pk_min_f16 v90, v87, v18
	v_pk_add_f16 v18, v5, v27
	v_lshl_add_u64 v[32:33], v[32:33], 0, 16
	v_pk_min_f16 v89, v86, v18
	v_pk_add_f16 v18, v7, v27
	s_cmp_ge_i32 s16, s12
	v_pk_min_f16 v88, v85, v18
	v_pk_add_f16 v18, v1, v27
	v_lshl_add_u64 v[36:37], v[36:37], 0, s[2:3]
	v_pk_min_f16 v87, v84, v18
	v_pk_add_f16 v18, v3, v27
	ds_write_b16 v49, v117
	ds_write_b16 v51, v118
	ds_write_b16 v51, v119 offset:512
	ds_write_b16 v51, v28 offset:1024
	;; [unrolled: 1-line block ×3, first 2 shown]
	v_pk_min_f16 v86, v83, v18
	v_pk_add_f16 v18, v13, v27
	s_waitcnt lgkmcnt(0)
	v_pk_min_f16 v85, v82, v18
	v_pk_add_f16 v18, v15, v27
	s_barrier
	v_pk_min_f16 v83, v26, v18
	v_pk_add_f16 v18, v9, v21
	s_nop 0
	v_pk_min_f16 v84, v80, v18
	v_pk_add_f16 v18, v11, v21
	s_nop 0
	;; [unrolled: 3-line block ×16, first 2 shown]
	v_pk_min_f16 v68, v22, v18
	v_pk_add_f16 v18, v9, v17
	v_pk_add_f16 v9, v9, v19
	v_pk_min_f16 v66, v64, v18
	v_pk_add_f16 v18, v11, v17
	s_nop 0
	v_pk_min_f16 v65, v63, v18
	v_pk_add_f16 v18, v5, v17
	v_pk_add_f16 v5, v5, v19
	v_pk_min_f16 v64, v62, v18
	v_pk_add_f16 v18, v7, v17
	v_pk_min_f16 v56, v4, v5
	v_pk_min_f16 v63, v61, v18
	v_pk_add_f16 v18, v1, v17
	v_pk_add_f16 v1, v1, v19
	v_pk_min_f16 v62, v60, v18
	v_pk_min_f16 v54, v0, v1
	v_pk_add_f16 v0, v3, v19
	v_pk_add_f16 v18, v3, v17
	v_pk_min_f16 v52, v2, v0
	v_pk_add_f16 v0, v13, v19
	v_pk_min_f16 v61, v59, v18
	v_pk_add_f16 v18, v13, v17
	v_pk_add_f16 v17, v15, v17
	v_pk_min_f16 v59, v8, v9
	v_pk_add_f16 v8, v11, v19
	;; [unrolled: 3-line block ×3, first 2 shown]
	v_pk_min_f16 v60, v58, v18
	v_pk_min_f16 v58, v16, v17
	;; [unrolled: 1-line block ×5, first 2 shown]
	s_cbranch_scc1 .LBB227_42
.LBB227_28:                             ; =>This Inner Loop Header: Depth=1
	s_and_b64 vcc, exec, s[4:5]
	v_mov_b32_e32 v40, 0
	s_cbranch_vccnz .LBB227_30
; %bb.29:                               ;   in Loop: Header=BB227_28 Depth=1
	flat_load_ushort v0, v[32:33]
	s_waitcnt vmcnt(0) lgkmcnt(0)
	v_mul_f16_e32 v40, s13, v0
.LBB227_30:                             ;   in Loop: Header=BB227_28 Depth=1
	s_and_b64 vcc, exec, s[4:5]
	v_lshl_add_u64 v[0:1], v[36:37], 0, v[38:39]
	s_cbranch_vccnz .LBB227_33
; %bb.31:                               ;   in Loop: Header=BB227_28 Depth=1
	flat_load_ushort v2, v[0:1]
	flat_load_ushort v3, v[0:1] offset:128
	s_waitcnt vmcnt(0) lgkmcnt(0)
	v_mul_f16_e32 v41, s13, v2
	v_mul_f16_e32 v117, s13, v3
	s_and_b64 vcc, exec, s[4:5]
	s_cbranch_vccnz .LBB227_34
.LBB227_32:                             ;   in Loop: Header=BB227_28 Depth=1
	flat_load_ushort v2, v[0:1] offset:256
	flat_load_ushort v3, v[0:1] offset:384
	s_waitcnt vmcnt(0) lgkmcnt(0)
	v_mul_f16_e32 v118, s13, v2
	v_mul_f16_e32 v119, s13, v3
	s_branch .LBB227_35
.LBB227_33:                             ;   in Loop: Header=BB227_28 Depth=1
	v_mov_b32_e32 v41, 0
	v_mov_b32_e32 v117, 0
	s_and_b64 vcc, exec, s[4:5]
	s_cbranch_vccz .LBB227_32
.LBB227_34:                             ;   in Loop: Header=BB227_28 Depth=1
	v_mov_b32_e32 v118, 0
	v_mov_b32_e32 v119, 0
.LBB227_35:                             ;   in Loop: Header=BB227_28 Depth=1
	ds_read2_b64 v[12:15], v115 offset1:8
	ds_read2_b64 v[8:11], v115 offset0:16 offset1:24
	ds_read2_b64 v[4:7], v115 offset0:32 offset1:40
	;; [unrolled: 1-line block ×3, first 2 shown]
	ds_read2_b64 v[28:31], v116 offset1:32
	ds_read2_b64 v[24:27], v116 offset0:64 offset1:96
	ds_read2_b64 v[20:23], v116 offset0:128 offset1:160
	ds_read2_b64 v[16:19], v116 offset0:192 offset1:224
	s_mov_b64 vcc, s[6:7]
	ds_write_b16 v48, v40
	ds_write_b16 v46, v41
	ds_write_b16 v46, v117 offset:512
	ds_write_b16 v46, v118 offset:1024
	;; [unrolled: 1-line block ×3, first 2 shown]
	s_waitcnt lgkmcnt(0)
	s_barrier
	s_cbranch_vccz .LBB227_38
; %bb.36:                               ;   in Loop: Header=BB227_28 Depth=1
	flat_load_ushort v40, v[32:33] offset:8
	s_waitcnt vmcnt(0) lgkmcnt(0)
	v_mul_f16_e32 v117, s13, v40
	s_and_b64 vcc, exec, s[4:5]
	v_lshl_add_u64 v[40:41], v[36:37], 0, v[34:35]
	s_cbranch_vccnz .LBB227_39
.LBB227_37:                             ;   in Loop: Header=BB227_28 Depth=1
	flat_load_ushort v118, v[40:41]
	flat_load_ushort v119, v[40:41] offset:128
	s_waitcnt vmcnt(0) lgkmcnt(0)
	v_mul_f16_e32 v118, s13, v118
	v_mul_f16_e32 v119, s13, v119
	s_branch .LBB227_40
.LBB227_38:                             ;   in Loop: Header=BB227_28 Depth=1
	v_mov_b32_e32 v117, 0
	s_and_b64 vcc, exec, s[4:5]
	v_lshl_add_u64 v[40:41], v[36:37], 0, v[34:35]
	s_cbranch_vccz .LBB227_37
.LBB227_39:                             ;   in Loop: Header=BB227_28 Depth=1
	v_mov_b32_e32 v118, 0
	v_mov_b32_e32 v119, 0
.LBB227_40:                             ;   in Loop: Header=BB227_28 Depth=1
	v_pk_add_f16 v120, v12, v28
	v_pk_max_f16 v50, v50, v50
	v_pk_max_f16 v114, v114, v114
	v_pk_min_f16 v50, v50, v120
	v_pk_add_f16 v120, v14, v28
	v_pk_max_f16 v113, v113, v113
	v_pk_min_f16 v114, v114, v120
	v_pk_add_f16 v120, v8, v28
	v_pk_max_f16 v112, v112, v112
	v_pk_min_f16 v113, v113, v120
	v_pk_add_f16 v120, v10, v28
	v_pk_max_f16 v111, v111, v111
	v_pk_min_f16 v120, v112, v120
	v_pk_add_f16 v112, v4, v28
	v_pk_max_f16 v110, v110, v110
	v_pk_min_f16 v121, v111, v112
	v_pk_add_f16 v111, v6, v28
	v_pk_max_f16 v108, v108, v108
	v_pk_min_f16 v122, v110, v111
	v_pk_add_f16 v110, v0, v28
	v_pk_add_f16 v28, v2, v28
	v_pk_max_f16 v107, v107, v107
	v_pk_min_f16 v28, v108, v28
	v_pk_add_f16 v108, v12, v30
	v_pk_max_f16 v106, v106, v106
	v_pk_min_f16 v124, v107, v108
	v_pk_add_f16 v107, v14, v30
	v_pk_max_f16 v105, v105, v105
	v_pk_min_f16 v125, v106, v107
	v_pk_add_f16 v106, v8, v30
	v_pk_max_f16 v104, v104, v104
	v_pk_min_f16 v126, v105, v106
	v_pk_add_f16 v105, v10, v30
	v_pk_max_f16 v103, v103, v103
	v_pk_min_f16 v127, v104, v105
	v_pk_add_f16 v104, v4, v30
	v_pk_max_f16 v102, v102, v102
	v_pk_min_f16 v128, v103, v104
	v_pk_add_f16 v103, v6, v30
	v_pk_max_f16 v100, v100, v100
	v_pk_min_f16 v129, v102, v103
	v_pk_add_f16 v102, v0, v30
	v_pk_add_f16 v30, v2, v30
	v_pk_max_f16 v99, v99, v99
	v_pk_min_f16 v30, v100, v30
	v_pk_add_f16 v100, v12, v24
	;; [unrolled: 22-line block ×6, first 2 shown]
	v_pk_max_f16 v65, v65, v65
	v_pk_min_f16 v159, v66, v68
	v_pk_add_f16 v66, v14, v16
	v_pk_max_f16 v64, v64, v64
	v_pk_min_f16 v160, v65, v66
	v_pk_add_f16 v65, v8, v16
	;; [unrolled: 3-line block ×5, first 2 shown]
	v_pk_add_f16 v12, v12, v18
	v_pk_min_f16 v164, v61, v62
	v_pk_add_f16 v61, v0, v16
	v_pk_add_f16 v16, v2, v16
	;; [unrolled: 1-line block ×9, first 2 shown]
	v_pk_max_f16 v18, v67, v67
	v_pk_max_f16 v109, v109, v109
	v_pk_min_f16 v2, v18, v2
	v_pk_add_f16 v18, v13, v29
	v_pk_min_f16 v123, v109, v110
	v_pk_min_f16 v112, v50, v18
	v_pk_add_f16 v18, v15, v29
	v_pk_max_f16 v101, v101, v101
	v_pk_min_f16 v111, v114, v18
	v_pk_add_f16 v18, v9, v29
	v_pk_min_f16 v130, v101, v102
	v_pk_min_f16 v110, v113, v18
	v_pk_add_f16 v18, v11, v29
	;; [unrolled: 6-line block ×7, first 2 shown]
	v_pk_max_f16 v58, v58, v58
	v_pk_min_f16 v99, v129, v18
	v_pk_add_f16 v18, v1, v31
	v_pk_max_f16 v52, v52, v52
	v_pk_min_f16 v98, v130, v18
	v_pk_add_f16 v18, v3, v31
	v_pk_min_f16 v16, v58, v16
	v_pk_min_f16 v97, v30, v18
	v_pk_add_f16 v18, v13, v25
	v_pk_max_f16 v58, v59, v59
	v_pk_min_f16 v96, v131, v18
	v_pk_add_f16 v18, v15, v25
	v_pk_max_f16 v56, v56, v56
	;; [unrolled: 3-line block ×3, first 2 shown]
	v_pk_min_f16 v94, v133, v18
	v_pk_add_f16 v18, v11, v25
	v_pk_min_f16 v6, v52, v6
	v_pk_min_f16 v93, v134, v18
	v_pk_add_f16 v18, v5, v25
	v_pk_max_f16 v52, v53, v53
	v_pk_min_f16 v92, v135, v18
	v_pk_add_f16 v18, v7, v25
	v_pk_min_f16 v12, v58, v12
	v_pk_min_f16 v91, v136, v18
	v_pk_add_f16 v18, v1, v25
	v_pk_max_f16 v57, v57, v57
	;; [unrolled: 6-line block ×3, first 2 shown]
	v_pk_min_f16 v88, v138, v18
	v_pk_add_f16 v18, v15, v27
	v_pk_min_f16 v4, v54, v4
	v_pk_min_f16 v87, v139, v18
	v_pk_add_f16 v18, v9, v27
	v_pk_min_f16 v0, v52, v0
	;; [unrolled: 3-line block ×4, first 2 shown]
	v_pk_min_f16 v84, v142, v18
	v_pk_add_f16 v18, v7, v27
	s_and_b64 vcc, exec, s[4:5]
	v_pk_min_f16 v83, v143, v18
	v_pk_add_f16 v18, v1, v27
	s_nop 0
	v_pk_min_f16 v82, v144, v18
	v_pk_add_f16 v18, v3, v27
	s_nop 0
	;; [unrolled: 3-line block ×18, first 2 shown]
	v_pk_min_f16 v65, v22, v18
	v_pk_add_f16 v18, v13, v17
	v_pk_add_f16 v13, v13, v19
	v_pk_min_f16 v64, v159, v18
	v_pk_add_f16 v18, v15, v17
	v_pk_min_f16 v56, v12, v13
	v_pk_min_f16 v63, v160, v18
	v_pk_add_f16 v18, v9, v17
	v_pk_add_f16 v9, v9, v19
	v_pk_min_f16 v62, v161, v18
	v_pk_add_f16 v18, v11, v17
	v_pk_add_f16 v12, v15, v19
	;; [unrolled: 3-line block ×3, first 2 shown]
	v_pk_min_f16 v60, v163, v18
	v_pk_add_f16 v18, v7, v17
	v_pk_min_f16 v54, v8, v9
	v_pk_min_f16 v59, v164, v18
	v_pk_add_f16 v18, v1, v17
	v_pk_add_f16 v1, v1, v19
	;; [unrolled: 1-line block ×4, first 2 shown]
	v_pk_min_f16 v52, v4, v5
	v_pk_add_f16 v4, v7, v19
	v_pk_min_f16 v30, v0, v1
	v_pk_add_f16 v0, v3, v19
	v_pk_min_f16 v58, v165, v18
	v_pk_min_f16 v57, v16, v17
	;; [unrolled: 1-line block ×6, first 2 shown]
	s_cbranch_vccz .LBB227_26
; %bb.41:                               ;   in Loop: Header=BB227_28 Depth=1
	v_mov_b32_e32 v28, 0
	v_mov_b32_e32 v29, 0
	s_branch .LBB227_27
.LBB227_42:
	s_load_dword s6, s[0:1], 0x50
	ds_read_b64 v[30:31], v44 offset:4608
	ds_read_b64 v[46:47], v45 offset:2048
	v_add_u32_e32 v115, s24, v43
	v_cmp_neq_f16_e64 s[4:5], s22, 0
	v_add_u32_e32 v28, s23, v42
	s_waitcnt lgkmcnt(0)
	v_mad_i64_i32 v[0:1], s[2:3], v115, s6, 0
	v_ashrrev_i32_e32 v29, 31, v28
	v_lshl_add_u64 v[48:49], v[0:1], 1, s[10:11]
	s_and_b64 vcc, exec, s[4:5]
	v_mov_b32_e32 v36, 0
	v_mov_b32_e32 v34, 0
	s_cbranch_vccz .LBB227_44
; %bb.43:
	v_lshl_add_u64 v[0:1], v[28:29], 1, v[48:49]
	flat_load_ushort v0, v[0:1]
	s_waitcnt vmcnt(0) lgkmcnt(0)
	v_mul_f16_e32 v34, s22, v0
.LBB227_44:
	v_add_u32_e32 v0, 0x1000, v44
	ds_read2_b64 v[8:11], v0 offset0:72 offset1:80
	ds_read2_b64 v[4:7], v0 offset0:88 offset1:96
	;; [unrolled: 1-line block ×3, first 2 shown]
	ds_read_b64 v[24:25], v44 offset:5056
	s_load_dword s7, s[0:1], 0x68
	s_load_dwordx2 s[2:3], s[0:1], 0x70
	v_add_u32_e32 v12, 0x800, v45
	ds_read2_b64 v[20:23], v12 offset0:32 offset1:64
	ds_read2_b64 v[16:19], v12 offset0:96 offset1:128
	;; [unrolled: 1-line block ×3, first 2 shown]
	ds_read_b64 v[26:27], v45 offset:3840
	v_pk_add_f16 v32, v30, v46
	v_pk_max_f16 v33, v50, v50
	s_waitcnt lgkmcnt(0)
	s_lshl_b64 s[0:1], s[2:3], 1
	s_add_u32 s2, s14, s0
	v_pk_min_f16 v32, v33, v32
	v_pk_add_f16 v33, v31, v47
	s_addc_u32 s3, s15, s1
	v_pk_min_f16 v35, v32, v33
	v_mad_i64_i32 v[38:39], s[0:1], v115, s7, 0
	v_add_u32_e32 v32, 8, v28
	v_lshl_add_u64 v[50:51], v[38:39], 1, s[2:3]
	v_lshrrev_b32_e32 v37, 16, v35
	v_cndmask_b32_e64 v38, 0, 1, s[4:5]
	v_ashrrev_i32_e32 v33, 31, v32
	v_min3_f16 v37, v34, v35, v37
	v_lshl_add_u64 v[34:35], v[28:29], 1, v[50:51]
	v_cmp_ne_u32_e64 s[0:1], 1, v38
	s_andn2_b64 vcc, exec, s[4:5]
	global_store_short v[34:35], v37, off
	s_cbranch_vccnz .LBB227_46
; %bb.45:
	v_lshl_add_u64 v[34:35], v[32:33], 1, v[48:49]
	flat_load_ushort v34, v[34:35]
	s_waitcnt vmcnt(0) lgkmcnt(0)
	v_mul_f16_e32 v36, s22, v34
.LBB227_46:
	v_pk_add_f16 v34, v8, v46
	v_pk_max_f16 v35, v114, v114
	s_and_b64 vcc, exec, s[0:1]
	v_pk_min_f16 v34, v35, v34
	v_pk_add_f16 v35, v9, v47
	v_mov_b32_e32 v39, 0
	v_pk_min_f16 v37, v34, v35
	v_add_u32_e32 v34, 16, v28
	v_lshrrev_b32_e32 v38, 16, v37
	v_min3_f16 v38, v36, v37, v38
	v_lshl_add_u64 v[36:37], v[32:33], 1, v[50:51]
	v_ashrrev_i32_e32 v35, 31, v34
	global_store_short v[36:37], v38, off
	v_mov_b32_e32 v38, 0
	s_cbranch_vccnz .LBB227_48
; %bb.47:
	v_lshl_add_u64 v[36:37], v[34:35], 1, v[48:49]
	flat_load_ushort v36, v[36:37]
	s_waitcnt vmcnt(0) lgkmcnt(0)
	v_mul_f16_e32 v39, s22, v36
.LBB227_48:
	v_pk_add_f16 v36, v10, v46
	v_pk_max_f16 v37, v113, v113
	s_and_b64 vcc, exec, s[0:1]
	v_pk_min_f16 v36, v37, v36
	v_pk_add_f16 v37, v11, v47
	s_nop 0
	v_pk_min_f16 v40, v36, v37
	v_add_u32_e32 v36, 24, v28
	v_lshrrev_b32_e32 v41, 16, v40
	v_ashrrev_i32_e32 v37, 31, v36
	v_min3_f16 v39, v39, v40, v41
	v_lshl_add_u64 v[40:41], v[34:35], 1, v[50:51]
	global_store_short v[40:41], v39, off
	s_cbranch_vccnz .LBB227_50
; %bb.49:
	v_lshl_add_u64 v[38:39], v[36:37], 1, v[48:49]
	flat_load_ushort v38, v[38:39]
	s_waitcnt vmcnt(0) lgkmcnt(0)
	v_mul_f16_e32 v38, s22, v38
.LBB227_50:
	v_pk_add_f16 v39, v4, v46
	v_pk_max_f16 v40, v112, v112
	v_add_u32_e32 v44, 32, v28
	v_pk_min_f16 v39, v40, v39
	v_pk_add_f16 v40, v5, v47
	v_ashrrev_i32_e32 v45, 31, v44
	v_pk_min_f16 v39, v39, v40
	s_and_b64 vcc, exec, s[0:1]
	v_lshrrev_b32_e32 v40, 16, v39
	v_min3_f16 v40, v38, v39, v40
	v_lshl_add_u64 v[38:39], v[36:37], 1, v[50:51]
	global_store_short v[38:39], v40, off
	v_mov_b32_e32 v38, 0
	v_mov_b32_e32 v39, 0
	s_cbranch_vccnz .LBB227_52
; %bb.51:
	v_lshl_add_u64 v[40:41], v[44:45], 1, v[48:49]
	flat_load_ushort v39, v[40:41]
	s_waitcnt vmcnt(0) lgkmcnt(0)
	v_mul_f16_e32 v39, s22, v39
.LBB227_52:
	v_pk_add_f16 v40, v6, v46
	v_pk_max_f16 v41, v111, v111
	v_add_u32_e32 v42, 40, v28
	v_pk_min_f16 v40, v41, v40
	v_pk_add_f16 v41, v7, v47
	v_ashrrev_i32_e32 v43, 31, v42
	v_pk_min_f16 v40, v40, v41
	s_and_b64 vcc, exec, s[0:1]
	v_lshrrev_b32_e32 v41, 16, v40
	v_min3_f16 v39, v39, v40, v41
	v_lshl_add_u64 v[40:41], v[44:45], 1, v[50:51]
	global_store_short v[40:41], v39, off
	s_cbranch_vccnz .LBB227_54
; %bb.53:
	v_lshl_add_u64 v[38:39], v[42:43], 1, v[48:49]
	flat_load_ushort v38, v[38:39]
	s_waitcnt vmcnt(0) lgkmcnt(0)
	v_mul_f16_e32 v38, s22, v38
.LBB227_54:
	v_pk_add_f16 v39, v0, v46
	v_pk_max_f16 v40, v110, v110
	s_and_b64 vcc, exec, s[0:1]
	v_pk_min_f16 v39, v40, v39
	v_pk_add_f16 v40, v1, v47
	v_mov_b32_e32 v111, 0
	v_pk_min_f16 v39, v39, v40
	v_add_u32_e32 v40, 48, v28
	v_lshrrev_b32_e32 v110, 16, v39
	v_min3_f16 v110, v38, v39, v110
	v_lshl_add_u64 v[38:39], v[42:43], 1, v[50:51]
	v_ashrrev_i32_e32 v41, 31, v40
	global_store_short v[38:39], v110, off
	v_mov_b32_e32 v110, 0
	s_cbranch_vccnz .LBB227_56
; %bb.55:
	v_lshl_add_u64 v[38:39], v[40:41], 1, v[48:49]
	flat_load_ushort v38, v[38:39]
	s_waitcnt vmcnt(0) lgkmcnt(0)
	v_mul_f16_e32 v111, s22, v38
.LBB227_56:
	v_pk_add_f16 v38, v2, v46
	v_pk_max_f16 v39, v109, v109
	s_and_b64 vcc, exec, s[0:1]
	v_pk_min_f16 v38, v39, v38
	v_pk_add_f16 v39, v3, v47
	s_nop 0
	v_pk_min_f16 v109, v38, v39
	v_add_u32_e32 v38, 56, v28
	v_lshrrev_b32_e32 v112, 16, v109
	v_ashrrev_i32_e32 v39, 31, v38
	v_min3_f16 v109, v111, v109, v112
	v_lshl_add_u64 v[112:113], v[40:41], 1, v[50:51]
	global_store_short v[112:113], v109, off
	s_cbranch_vccnz .LBB227_58
; %bb.57:
	v_lshl_add_u64 v[48:49], v[38:39], 1, v[48:49]
	flat_load_ushort v48, v[48:49]
	s_waitcnt vmcnt(0) lgkmcnt(0)
	v_mul_f16_e32 v110, s22, v48
.LBB227_58:
	v_pk_add_f16 v46, v24, v46
	v_pk_max_f16 v48, v108, v108
	v_pk_add_f16 v47, v25, v47
	v_pk_min_f16 v46, v48, v46
	s_and_b64 vcc, exec, s[0:1]
	v_pk_min_f16 v46, v46, v47
	s_nop 0
	v_lshrrev_b32_e32 v47, 16, v46
	v_min3_f16 v48, v110, v46, v47
	v_lshl_add_u64 v[46:47], v[38:39], 1, v[50:51]
	global_store_short v[46:47], v48, off
	v_add_u32_e32 v48, 32, v115
	v_mad_i64_i32 v[46:47], s[4:5], v48, s6, 0
	v_lshl_add_u64 v[46:47], v[46:47], 1, s[10:11]
	v_mov_b32_e32 v50, 0
	v_mov_b32_e32 v51, 0
	s_cbranch_vccnz .LBB227_60
; %bb.59:
	v_lshl_add_u64 v[108:109], v[28:29], 1, v[46:47]
	flat_load_ushort v49, v[108:109]
	s_waitcnt vmcnt(0) lgkmcnt(0)
	v_mul_f16_e32 v51, s22, v49
.LBB227_60:
	v_pk_add_f16 v49, v30, v20
	v_pk_max_f16 v107, v107, v107
	s_and_b64 vcc, exec, s[0:1]
	v_pk_min_f16 v49, v107, v49
	v_pk_add_f16 v107, v31, v21
	s_nop 0
	v_pk_min_f16 v107, v49, v107
	v_mad_i64_i32 v[48:49], s[4:5], v48, s7, 0
	v_lshl_add_u64 v[48:49], v[48:49], 1, s[2:3]
	v_lshrrev_b32_e32 v108, 16, v107
	v_min3_f16 v51, v51, v107, v108
	v_lshl_add_u64 v[108:109], v[28:29], 1, v[48:49]
	global_store_short v[108:109], v51, off
	s_cbranch_vccnz .LBB227_62
; %bb.61:
	v_lshl_add_u64 v[50:51], v[32:33], 1, v[46:47]
	flat_load_ushort v50, v[50:51]
	s_waitcnt vmcnt(0) lgkmcnt(0)
	v_mul_f16_e32 v50, s22, v50
.LBB227_62:
	v_pk_add_f16 v51, v8, v20
	v_pk_max_f16 v106, v106, v106
	s_and_b64 vcc, exec, s[0:1]
	v_pk_min_f16 v51, v106, v51
	v_pk_add_f16 v106, v9, v21
	s_nop 0
	v_pk_min_f16 v51, v51, v106
	s_nop 0
	v_lshrrev_b32_e32 v106, 16, v51
	v_min3_f16 v106, v50, v51, v106
	v_lshl_add_u64 v[50:51], v[32:33], 1, v[48:49]
	global_store_short v[50:51], v106, off
	v_mov_b32_e32 v50, 0
	v_mov_b32_e32 v51, 0
	s_cbranch_vccnz .LBB227_64
; %bb.63:
	v_lshl_add_u64 v[106:107], v[34:35], 1, v[46:47]
	flat_load_ushort v51, v[106:107]
	s_waitcnt vmcnt(0) lgkmcnt(0)
	v_mul_f16_e32 v51, s22, v51
.LBB227_64:
	v_pk_add_f16 v106, v10, v20
	v_pk_max_f16 v105, v105, v105
	s_and_b64 vcc, exec, s[0:1]
	v_pk_min_f16 v105, v105, v106
	v_pk_add_f16 v106, v11, v21
	s_nop 0
	v_pk_min_f16 v105, v105, v106
	s_nop 0
	v_lshrrev_b32_e32 v106, 16, v105
	v_min3_f16 v51, v51, v105, v106
	v_lshl_add_u64 v[106:107], v[34:35], 1, v[48:49]
	global_store_short v[106:107], v51, off
	s_cbranch_vccnz .LBB227_66
; %bb.65:
	v_lshl_add_u64 v[50:51], v[36:37], 1, v[46:47]
	flat_load_ushort v50, v[50:51]
	s_waitcnt vmcnt(0) lgkmcnt(0)
	v_mul_f16_e32 v50, s22, v50
.LBB227_66:
	v_pk_add_f16 v51, v4, v20
	v_pk_max_f16 v104, v104, v104
	s_and_b64 vcc, exec, s[0:1]
	v_pk_min_f16 v51, v104, v51
	v_pk_add_f16 v104, v5, v21
	s_nop 0
	v_pk_min_f16 v51, v51, v104
	s_nop 0
	v_lshrrev_b32_e32 v104, 16, v51
	v_min3_f16 v104, v50, v51, v104
	v_lshl_add_u64 v[50:51], v[36:37], 1, v[48:49]
	global_store_short v[50:51], v104, off
	v_mov_b32_e32 v50, 0
	v_mov_b32_e32 v51, 0
	s_cbranch_vccnz .LBB227_68
; %bb.67:
	v_lshl_add_u64 v[104:105], v[44:45], 1, v[46:47]
	flat_load_ushort v51, v[104:105]
	s_waitcnt vmcnt(0) lgkmcnt(0)
	v_mul_f16_e32 v51, s22, v51
.LBB227_68:
	v_pk_add_f16 v104, v6, v20
	v_pk_max_f16 v103, v103, v103
	s_and_b64 vcc, exec, s[0:1]
	v_pk_min_f16 v103, v103, v104
	v_pk_add_f16 v104, v7, v21
	s_nop 0
	v_pk_min_f16 v103, v103, v104
	s_nop 0
	;; [unrolled: 40-line block ×3, first 2 shown]
	v_lshrrev_b32_e32 v102, 16, v101
	v_min3_f16 v51, v51, v101, v102
	v_lshl_add_u64 v[102:103], v[40:41], 1, v[48:49]
	global_store_short v[102:103], v51, off
	s_cbranch_vccnz .LBB227_74
; %bb.73:
	v_lshl_add_u64 v[46:47], v[38:39], 1, v[46:47]
	flat_load_ushort v46, v[46:47]
	s_waitcnt vmcnt(0) lgkmcnt(0)
	v_mul_f16_e32 v50, s22, v46
.LBB227_74:
	v_pk_add_f16 v20, v24, v20
	v_pk_max_f16 v46, v100, v100
	v_pk_add_f16 v21, v25, v21
	v_pk_min_f16 v20, v46, v20
	s_and_b64 vcc, exec, s[0:1]
	v_pk_min_f16 v20, v20, v21
	s_nop 0
	v_lshrrev_b32_e32 v21, 16, v20
	v_min3_f16 v46, v50, v20, v21
	v_lshl_add_u64 v[20:21], v[38:39], 1, v[48:49]
	global_store_short v[20:21], v46, off
	v_add_u32_e32 v46, 64, v115
	v_mad_i64_i32 v[20:21], s[4:5], v46, s6, 0
	v_lshl_add_u64 v[20:21], v[20:21], 1, s[10:11]
	v_mov_b32_e32 v48, 0
	v_mov_b32_e32 v49, 0
	s_cbranch_vccnz .LBB227_76
; %bb.75:
	v_lshl_add_u64 v[50:51], v[28:29], 1, v[20:21]
	flat_load_ushort v47, v[50:51]
	s_waitcnt vmcnt(0) lgkmcnt(0)
	v_mul_f16_e32 v49, s22, v47
.LBB227_76:
	v_pk_add_f16 v47, v30, v22
	v_pk_max_f16 v50, v99, v99
	s_and_b64 vcc, exec, s[0:1]
	v_pk_min_f16 v47, v50, v47
	v_pk_add_f16 v50, v31, v23
	s_nop 0
	v_pk_min_f16 v50, v47, v50
	v_mad_i64_i32 v[46:47], s[4:5], v46, s7, 0
	v_lshl_add_u64 v[46:47], v[46:47], 1, s[2:3]
	v_lshrrev_b32_e32 v51, 16, v50
	v_min3_f16 v49, v49, v50, v51
	v_lshl_add_u64 v[50:51], v[28:29], 1, v[46:47]
	global_store_short v[50:51], v49, off
	s_cbranch_vccnz .LBB227_78
; %bb.77:
	v_lshl_add_u64 v[48:49], v[32:33], 1, v[20:21]
	flat_load_ushort v48, v[48:49]
	s_waitcnt vmcnt(0) lgkmcnt(0)
	v_mul_f16_e32 v48, s22, v48
.LBB227_78:
	v_pk_add_f16 v49, v8, v22
	v_pk_max_f16 v50, v98, v98
	s_and_b64 vcc, exec, s[0:1]
	v_pk_min_f16 v49, v50, v49
	v_pk_add_f16 v50, v9, v23
	s_nop 0
	v_pk_min_f16 v49, v49, v50
	s_nop 0
	v_lshrrev_b32_e32 v50, 16, v49
	v_min3_f16 v50, v48, v49, v50
	v_lshl_add_u64 v[48:49], v[32:33], 1, v[46:47]
	global_store_short v[48:49], v50, off
	v_mov_b32_e32 v48, 0
	v_mov_b32_e32 v49, 0
	s_cbranch_vccnz .LBB227_80
; %bb.79:
	v_lshl_add_u64 v[50:51], v[34:35], 1, v[20:21]
	flat_load_ushort v49, v[50:51]
	s_waitcnt vmcnt(0) lgkmcnt(0)
	v_mul_f16_e32 v49, s22, v49
.LBB227_80:
	v_pk_add_f16 v50, v10, v22
	v_pk_max_f16 v51, v97, v97
	s_and_b64 vcc, exec, s[0:1]
	v_pk_min_f16 v50, v51, v50
	v_pk_add_f16 v51, v11, v23
	s_nop 0
	v_pk_min_f16 v50, v50, v51
	s_nop 0
	v_lshrrev_b32_e32 v51, 16, v50
	v_min3_f16 v49, v49, v50, v51
	v_lshl_add_u64 v[50:51], v[34:35], 1, v[46:47]
	global_store_short v[50:51], v49, off
	s_cbranch_vccnz .LBB227_82
; %bb.81:
	v_lshl_add_u64 v[48:49], v[36:37], 1, v[20:21]
	flat_load_ushort v48, v[48:49]
	s_waitcnt vmcnt(0) lgkmcnt(0)
	v_mul_f16_e32 v48, s22, v48
.LBB227_82:
	v_pk_add_f16 v49, v4, v22
	v_pk_max_f16 v50, v96, v96
	s_and_b64 vcc, exec, s[0:1]
	v_pk_min_f16 v49, v50, v49
	v_pk_add_f16 v50, v5, v23
	s_nop 0
	v_pk_min_f16 v49, v49, v50
	s_nop 0
	v_lshrrev_b32_e32 v50, 16, v49
	v_min3_f16 v50, v48, v49, v50
	v_lshl_add_u64 v[48:49], v[36:37], 1, v[46:47]
	global_store_short v[48:49], v50, off
	v_mov_b32_e32 v48, 0
	v_mov_b32_e32 v49, 0
	s_cbranch_vccnz .LBB227_84
; %bb.83:
	v_lshl_add_u64 v[50:51], v[44:45], 1, v[20:21]
	flat_load_ushort v49, v[50:51]
	s_waitcnt vmcnt(0) lgkmcnt(0)
	v_mul_f16_e32 v49, s22, v49
.LBB227_84:
	v_pk_add_f16 v50, v6, v22
	v_pk_max_f16 v51, v95, v95
	s_and_b64 vcc, exec, s[0:1]
	v_pk_min_f16 v50, v51, v50
	v_pk_add_f16 v51, v7, v23
	s_nop 0
	v_pk_min_f16 v50, v50, v51
	s_nop 0
	;; [unrolled: 40-line block ×3, first 2 shown]
	v_lshrrev_b32_e32 v51, 16, v50
	v_min3_f16 v49, v49, v50, v51
	v_lshl_add_u64 v[50:51], v[40:41], 1, v[46:47]
	global_store_short v[50:51], v49, off
	s_cbranch_vccnz .LBB227_90
; %bb.89:
	v_lshl_add_u64 v[20:21], v[38:39], 1, v[20:21]
	flat_load_ushort v20, v[20:21]
	s_waitcnt vmcnt(0) lgkmcnt(0)
	v_mul_f16_e32 v48, s22, v20
.LBB227_90:
	v_pk_add_f16 v20, v24, v22
	v_pk_max_f16 v21, v92, v92
	s_and_b64 vcc, exec, s[0:1]
	v_pk_min_f16 v20, v21, v20
	v_pk_add_f16 v21, v25, v23
	s_nop 0
	v_pk_min_f16 v20, v20, v21
	s_nop 0
	v_lshrrev_b32_e32 v21, 16, v20
	v_min3_f16 v22, v48, v20, v21
	v_lshl_add_u64 v[20:21], v[38:39], 1, v[46:47]
	global_store_short v[20:21], v22, off
	v_add_u32_e32 v22, 0x60, v115
	v_mad_i64_i32 v[20:21], s[4:5], v22, s6, 0
	v_lshl_add_u64 v[20:21], v[20:21], 1, s[10:11]
	v_mov_b32_e32 v46, 0
	v_mov_b32_e32 v47, 0
	s_cbranch_vccnz .LBB227_92
; %bb.91:
	v_lshl_add_u64 v[48:49], v[28:29], 1, v[20:21]
	flat_load_ushort v23, v[48:49]
	s_waitcnt vmcnt(0) lgkmcnt(0)
	v_mul_f16_e32 v47, s22, v23
.LBB227_92:
	v_pk_add_f16 v23, v30, v16
	v_pk_max_f16 v48, v91, v91
	s_and_b64 vcc, exec, s[0:1]
	v_pk_min_f16 v23, v48, v23
	v_pk_add_f16 v48, v31, v17
	s_nop 0
	v_pk_min_f16 v48, v23, v48
	v_mad_i64_i32 v[22:23], s[4:5], v22, s7, 0
	v_lshl_add_u64 v[22:23], v[22:23], 1, s[2:3]
	v_lshrrev_b32_e32 v49, 16, v48
	v_min3_f16 v47, v47, v48, v49
	v_lshl_add_u64 v[48:49], v[28:29], 1, v[22:23]
	global_store_short v[48:49], v47, off
	s_cbranch_vccnz .LBB227_94
; %bb.93:
	v_lshl_add_u64 v[46:47], v[32:33], 1, v[20:21]
	flat_load_ushort v46, v[46:47]
	s_waitcnt vmcnt(0) lgkmcnt(0)
	v_mul_f16_e32 v46, s22, v46
.LBB227_94:
	v_pk_add_f16 v47, v8, v16
	v_pk_max_f16 v48, v90, v90
	s_and_b64 vcc, exec, s[0:1]
	v_pk_min_f16 v47, v48, v47
	v_pk_add_f16 v48, v9, v17
	s_nop 0
	v_pk_min_f16 v47, v47, v48
	s_nop 0
	v_lshrrev_b32_e32 v48, 16, v47
	v_min3_f16 v48, v46, v47, v48
	v_lshl_add_u64 v[46:47], v[32:33], 1, v[22:23]
	global_store_short v[46:47], v48, off
	v_mov_b32_e32 v46, 0
	v_mov_b32_e32 v47, 0
	s_cbranch_vccnz .LBB227_96
; %bb.95:
	v_lshl_add_u64 v[48:49], v[34:35], 1, v[20:21]
	flat_load_ushort v47, v[48:49]
	s_waitcnt vmcnt(0) lgkmcnt(0)
	v_mul_f16_e32 v47, s22, v47
.LBB227_96:
	v_pk_add_f16 v48, v10, v16
	v_pk_max_f16 v49, v89, v89
	s_and_b64 vcc, exec, s[0:1]
	v_pk_min_f16 v48, v49, v48
	v_pk_add_f16 v49, v11, v17
	s_nop 0
	v_pk_min_f16 v48, v48, v49
	s_nop 0
	v_lshrrev_b32_e32 v49, 16, v48
	v_min3_f16 v47, v47, v48, v49
	v_lshl_add_u64 v[48:49], v[34:35], 1, v[22:23]
	global_store_short v[48:49], v47, off
	s_cbranch_vccnz .LBB227_98
; %bb.97:
	v_lshl_add_u64 v[46:47], v[36:37], 1, v[20:21]
	flat_load_ushort v46, v[46:47]
	s_waitcnt vmcnt(0) lgkmcnt(0)
	v_mul_f16_e32 v46, s22, v46
.LBB227_98:
	v_pk_add_f16 v47, v4, v16
	v_pk_max_f16 v48, v88, v88
	s_and_b64 vcc, exec, s[0:1]
	v_pk_min_f16 v47, v48, v47
	v_pk_add_f16 v48, v5, v17
	s_nop 0
	v_pk_min_f16 v47, v47, v48
	s_nop 0
	v_lshrrev_b32_e32 v48, 16, v47
	v_min3_f16 v48, v46, v47, v48
	v_lshl_add_u64 v[46:47], v[36:37], 1, v[22:23]
	global_store_short v[46:47], v48, off
	v_mov_b32_e32 v46, 0
	v_mov_b32_e32 v47, 0
	s_cbranch_vccnz .LBB227_100
; %bb.99:
	v_lshl_add_u64 v[48:49], v[44:45], 1, v[20:21]
	flat_load_ushort v47, v[48:49]
	s_waitcnt vmcnt(0) lgkmcnt(0)
	v_mul_f16_e32 v47, s22, v47
.LBB227_100:
	v_pk_add_f16 v48, v6, v16
	v_pk_max_f16 v49, v87, v87
	s_and_b64 vcc, exec, s[0:1]
	v_pk_min_f16 v48, v49, v48
	v_pk_add_f16 v49, v7, v17
	s_nop 0
	v_pk_min_f16 v48, v48, v49
	s_nop 0
	;; [unrolled: 40-line block ×3, first 2 shown]
	v_lshrrev_b32_e32 v49, 16, v48
	v_min3_f16 v47, v47, v48, v49
	v_lshl_add_u64 v[48:49], v[40:41], 1, v[22:23]
	global_store_short v[48:49], v47, off
	s_cbranch_vccnz .LBB227_106
; %bb.105:
	v_lshl_add_u64 v[20:21], v[38:39], 1, v[20:21]
	flat_load_ushort v20, v[20:21]
	s_waitcnt vmcnt(0) lgkmcnt(0)
	v_mul_f16_e32 v46, s22, v20
.LBB227_106:
	v_pk_add_f16 v16, v24, v16
	v_pk_max_f16 v20, v83, v83
	v_pk_add_f16 v17, v25, v17
	v_pk_min_f16 v16, v20, v16
	s_and_b64 vcc, exec, s[0:1]
	v_pk_min_f16 v16, v16, v17
	s_nop 0
	v_lshrrev_b32_e32 v17, 16, v16
	v_min3_f16 v20, v46, v16, v17
	v_lshl_add_u64 v[16:17], v[38:39], 1, v[22:23]
	global_store_short v[16:17], v20, off
	v_add_u32_e32 v20, 0x80, v115
	v_mad_i64_i32 v[16:17], s[4:5], v20, s6, 0
	v_lshl_add_u64 v[16:17], v[16:17], 1, s[10:11]
	v_mov_b32_e32 v22, 0
	v_mov_b32_e32 v23, 0
	s_cbranch_vccnz .LBB227_108
; %bb.107:
	v_lshl_add_u64 v[46:47], v[28:29], 1, v[16:17]
	flat_load_ushort v21, v[46:47]
	s_waitcnt vmcnt(0) lgkmcnt(0)
	v_mul_f16_e32 v23, s22, v21
.LBB227_108:
	v_pk_add_f16 v21, v30, v18
	v_pk_max_f16 v46, v84, v84
	s_and_b64 vcc, exec, s[0:1]
	v_pk_min_f16 v21, v46, v21
	v_pk_add_f16 v46, v31, v19
	s_nop 0
	v_pk_min_f16 v46, v21, v46
	v_mad_i64_i32 v[20:21], s[4:5], v20, s7, 0
	v_lshl_add_u64 v[20:21], v[20:21], 1, s[2:3]
	v_lshrrev_b32_e32 v47, 16, v46
	v_min3_f16 v23, v23, v46, v47
	v_lshl_add_u64 v[46:47], v[28:29], 1, v[20:21]
	global_store_short v[46:47], v23, off
	s_cbranch_vccnz .LBB227_110
; %bb.109:
	v_lshl_add_u64 v[22:23], v[32:33], 1, v[16:17]
	flat_load_ushort v22, v[22:23]
	s_waitcnt vmcnt(0) lgkmcnt(0)
	v_mul_f16_e32 v22, s22, v22
.LBB227_110:
	v_pk_add_f16 v23, v8, v18
	v_pk_max_f16 v46, v82, v82
	s_and_b64 vcc, exec, s[0:1]
	v_pk_min_f16 v23, v46, v23
	v_pk_add_f16 v46, v9, v19
	s_nop 0
	v_pk_min_f16 v23, v23, v46
	s_nop 0
	v_lshrrev_b32_e32 v46, 16, v23
	v_min3_f16 v46, v22, v23, v46
	v_lshl_add_u64 v[22:23], v[32:33], 1, v[20:21]
	global_store_short v[22:23], v46, off
	v_mov_b32_e32 v22, 0
	v_mov_b32_e32 v23, 0
	s_cbranch_vccnz .LBB227_112
; %bb.111:
	v_lshl_add_u64 v[46:47], v[34:35], 1, v[16:17]
	flat_load_ushort v23, v[46:47]
	s_waitcnt vmcnt(0) lgkmcnt(0)
	v_mul_f16_e32 v23, s22, v23
.LBB227_112:
	v_pk_add_f16 v46, v10, v18
	v_pk_max_f16 v47, v81, v81
	s_and_b64 vcc, exec, s[0:1]
	v_pk_min_f16 v46, v47, v46
	v_pk_add_f16 v47, v11, v19
	s_nop 0
	v_pk_min_f16 v46, v46, v47
	s_nop 0
	v_lshrrev_b32_e32 v47, 16, v46
	v_min3_f16 v23, v23, v46, v47
	v_lshl_add_u64 v[46:47], v[34:35], 1, v[20:21]
	global_store_short v[46:47], v23, off
	s_cbranch_vccnz .LBB227_114
; %bb.113:
	v_lshl_add_u64 v[22:23], v[36:37], 1, v[16:17]
	flat_load_ushort v22, v[22:23]
	s_waitcnt vmcnt(0) lgkmcnt(0)
	v_mul_f16_e32 v22, s22, v22
.LBB227_114:
	v_pk_add_f16 v23, v4, v18
	v_pk_max_f16 v46, v80, v80
	s_and_b64 vcc, exec, s[0:1]
	v_pk_min_f16 v23, v46, v23
	v_pk_add_f16 v46, v5, v19
	s_nop 0
	v_pk_min_f16 v23, v23, v46
	s_nop 0
	v_lshrrev_b32_e32 v46, 16, v23
	v_min3_f16 v46, v22, v23, v46
	v_lshl_add_u64 v[22:23], v[36:37], 1, v[20:21]
	global_store_short v[22:23], v46, off
	v_mov_b32_e32 v22, 0
	v_mov_b32_e32 v23, 0
	s_cbranch_vccnz .LBB227_116
; %bb.115:
	v_lshl_add_u64 v[46:47], v[44:45], 1, v[16:17]
	flat_load_ushort v23, v[46:47]
	s_waitcnt vmcnt(0) lgkmcnt(0)
	v_mul_f16_e32 v23, s22, v23
.LBB227_116:
	v_pk_add_f16 v46, v6, v18
	v_pk_max_f16 v47, v79, v79
	s_and_b64 vcc, exec, s[0:1]
	v_pk_min_f16 v46, v47, v46
	v_pk_add_f16 v47, v7, v19
	s_nop 0
	v_pk_min_f16 v46, v46, v47
	s_nop 0
	;; [unrolled: 40-line block ×3, first 2 shown]
	v_lshrrev_b32_e32 v47, 16, v46
	v_min3_f16 v23, v23, v46, v47
	v_lshl_add_u64 v[46:47], v[40:41], 1, v[20:21]
	global_store_short v[46:47], v23, off
	s_cbranch_vccnz .LBB227_122
; %bb.121:
	v_lshl_add_u64 v[16:17], v[38:39], 1, v[16:17]
	flat_load_ushort v16, v[16:17]
	s_waitcnt vmcnt(0) lgkmcnt(0)
	v_mul_f16_e32 v22, s22, v16
.LBB227_122:
	v_pk_add_f16 v16, v24, v18
	v_pk_max_f16 v17, v76, v76
	s_and_b64 vcc, exec, s[0:1]
	v_pk_min_f16 v16, v17, v16
	v_pk_add_f16 v17, v25, v19
	s_nop 0
	v_pk_min_f16 v16, v16, v17
	s_nop 0
	v_lshrrev_b32_e32 v17, 16, v16
	v_min3_f16 v18, v22, v16, v17
	v_lshl_add_u64 v[16:17], v[38:39], 1, v[20:21]
	global_store_short v[16:17], v18, off
	v_add_u32_e32 v18, 0xa0, v115
	v_mad_i64_i32 v[16:17], s[4:5], v18, s6, 0
	v_lshl_add_u64 v[16:17], v[16:17], 1, s[10:11]
	v_mov_b32_e32 v20, 0
	v_mov_b32_e32 v21, 0
	s_cbranch_vccnz .LBB227_124
; %bb.123:
	v_lshl_add_u64 v[22:23], v[28:29], 1, v[16:17]
	flat_load_ushort v19, v[22:23]
	s_waitcnt vmcnt(0) lgkmcnt(0)
	v_mul_f16_e32 v21, s22, v19
.LBB227_124:
	v_pk_add_f16 v19, v30, v12
	v_pk_max_f16 v22, v75, v75
	s_and_b64 vcc, exec, s[0:1]
	v_pk_min_f16 v19, v22, v19
	v_pk_add_f16 v22, v31, v13
	s_nop 0
	v_pk_min_f16 v22, v19, v22
	v_mad_i64_i32 v[18:19], s[4:5], v18, s7, 0
	v_lshl_add_u64 v[18:19], v[18:19], 1, s[2:3]
	v_lshrrev_b32_e32 v23, 16, v22
	v_min3_f16 v21, v21, v22, v23
	v_lshl_add_u64 v[22:23], v[28:29], 1, v[18:19]
	global_store_short v[22:23], v21, off
	s_cbranch_vccnz .LBB227_126
; %bb.125:
	v_lshl_add_u64 v[20:21], v[32:33], 1, v[16:17]
	flat_load_ushort v20, v[20:21]
	s_waitcnt vmcnt(0) lgkmcnt(0)
	v_mul_f16_e32 v20, s22, v20
.LBB227_126:
	v_pk_add_f16 v21, v8, v12
	v_pk_max_f16 v22, v74, v74
	s_and_b64 vcc, exec, s[0:1]
	v_pk_min_f16 v21, v22, v21
	v_pk_add_f16 v22, v9, v13
	s_nop 0
	v_pk_min_f16 v21, v21, v22
	s_nop 0
	v_lshrrev_b32_e32 v22, 16, v21
	v_min3_f16 v22, v20, v21, v22
	v_lshl_add_u64 v[20:21], v[32:33], 1, v[18:19]
	global_store_short v[20:21], v22, off
	v_mov_b32_e32 v20, 0
	v_mov_b32_e32 v21, 0
	s_cbranch_vccnz .LBB227_128
; %bb.127:
	v_lshl_add_u64 v[22:23], v[34:35], 1, v[16:17]
	flat_load_ushort v21, v[22:23]
	s_waitcnt vmcnt(0) lgkmcnt(0)
	v_mul_f16_e32 v21, s22, v21
.LBB227_128:
	v_pk_add_f16 v22, v10, v12
	v_pk_max_f16 v23, v73, v73
	s_and_b64 vcc, exec, s[0:1]
	v_pk_min_f16 v22, v23, v22
	v_pk_add_f16 v23, v11, v13
	s_nop 0
	v_pk_min_f16 v22, v22, v23
	s_nop 0
	v_lshrrev_b32_e32 v23, 16, v22
	v_min3_f16 v21, v21, v22, v23
	v_lshl_add_u64 v[22:23], v[34:35], 1, v[18:19]
	global_store_short v[22:23], v21, off
	s_cbranch_vccnz .LBB227_130
; %bb.129:
	v_lshl_add_u64 v[20:21], v[36:37], 1, v[16:17]
	flat_load_ushort v20, v[20:21]
	s_waitcnt vmcnt(0) lgkmcnt(0)
	v_mul_f16_e32 v20, s22, v20
.LBB227_130:
	v_pk_add_f16 v21, v4, v12
	v_pk_max_f16 v22, v72, v72
	s_and_b64 vcc, exec, s[0:1]
	v_pk_min_f16 v21, v22, v21
	v_pk_add_f16 v22, v5, v13
	s_nop 0
	v_pk_min_f16 v21, v21, v22
	s_nop 0
	v_lshrrev_b32_e32 v22, 16, v21
	v_min3_f16 v22, v20, v21, v22
	v_lshl_add_u64 v[20:21], v[36:37], 1, v[18:19]
	global_store_short v[20:21], v22, off
	v_mov_b32_e32 v20, 0
	v_mov_b32_e32 v21, 0
	s_cbranch_vccnz .LBB227_132
; %bb.131:
	v_lshl_add_u64 v[22:23], v[44:45], 1, v[16:17]
	flat_load_ushort v21, v[22:23]
	s_waitcnt vmcnt(0) lgkmcnt(0)
	v_mul_f16_e32 v21, s22, v21
.LBB227_132:
	v_pk_add_f16 v22, v6, v12
	v_pk_max_f16 v23, v71, v71
	s_and_b64 vcc, exec, s[0:1]
	v_pk_min_f16 v22, v23, v22
	v_pk_add_f16 v23, v7, v13
	s_nop 0
	v_pk_min_f16 v22, v22, v23
	s_nop 0
	;; [unrolled: 40-line block ×3, first 2 shown]
	v_lshrrev_b32_e32 v23, 16, v22
	v_min3_f16 v21, v21, v22, v23
	v_lshl_add_u64 v[22:23], v[40:41], 1, v[18:19]
	global_store_short v[22:23], v21, off
	s_cbranch_vccnz .LBB227_138
; %bb.137:
	v_lshl_add_u64 v[16:17], v[38:39], 1, v[16:17]
	flat_load_ushort v16, v[16:17]
	s_waitcnt vmcnt(0) lgkmcnt(0)
	v_mul_f16_e32 v20, s22, v16
.LBB227_138:
	v_pk_add_f16 v12, v24, v12
	v_pk_max_f16 v16, v68, v68
	v_pk_add_f16 v13, v25, v13
	v_pk_min_f16 v12, v16, v12
	s_and_b64 vcc, exec, s[0:1]
	v_pk_min_f16 v12, v12, v13
	s_nop 0
	v_lshrrev_b32_e32 v13, 16, v12
	v_min3_f16 v16, v20, v12, v13
	v_lshl_add_u64 v[12:13], v[38:39], 1, v[18:19]
	global_store_short v[12:13], v16, off
	v_add_u32_e32 v16, 0xc0, v115
	v_mad_i64_i32 v[12:13], s[4:5], v16, s6, 0
	v_lshl_add_u64 v[12:13], v[12:13], 1, s[10:11]
	v_mov_b32_e32 v18, 0
	v_mov_b32_e32 v19, 0
	s_cbranch_vccnz .LBB227_140
; %bb.139:
	v_lshl_add_u64 v[20:21], v[28:29], 1, v[12:13]
	flat_load_ushort v17, v[20:21]
	s_waitcnt vmcnt(0) lgkmcnt(0)
	v_mul_f16_e32 v19, s22, v17
.LBB227_140:
	v_pk_add_f16 v17, v30, v14
	v_pk_max_f16 v20, v66, v66
	s_and_b64 vcc, exec, s[0:1]
	v_pk_min_f16 v17, v20, v17
	v_pk_add_f16 v20, v31, v15
	s_nop 0
	v_pk_min_f16 v20, v17, v20
	v_mad_i64_i32 v[16:17], s[4:5], v16, s7, 0
	v_lshl_add_u64 v[16:17], v[16:17], 1, s[2:3]
	v_lshrrev_b32_e32 v21, 16, v20
	v_min3_f16 v19, v19, v20, v21
	v_lshl_add_u64 v[20:21], v[28:29], 1, v[16:17]
	global_store_short v[20:21], v19, off
	s_cbranch_vccnz .LBB227_142
; %bb.141:
	v_lshl_add_u64 v[18:19], v[32:33], 1, v[12:13]
	flat_load_ushort v18, v[18:19]
	s_waitcnt vmcnt(0) lgkmcnt(0)
	v_mul_f16_e32 v18, s22, v18
.LBB227_142:
	v_pk_add_f16 v19, v8, v14
	v_pk_max_f16 v20, v65, v65
	s_and_b64 vcc, exec, s[0:1]
	v_pk_min_f16 v19, v20, v19
	v_pk_add_f16 v20, v9, v15
	s_nop 0
	v_pk_min_f16 v19, v19, v20
	s_nop 0
	v_lshrrev_b32_e32 v20, 16, v19
	v_min3_f16 v20, v18, v19, v20
	v_lshl_add_u64 v[18:19], v[32:33], 1, v[16:17]
	global_store_short v[18:19], v20, off
	v_mov_b32_e32 v18, 0
	v_mov_b32_e32 v19, 0
	s_cbranch_vccnz .LBB227_144
; %bb.143:
	v_lshl_add_u64 v[20:21], v[34:35], 1, v[12:13]
	flat_load_ushort v19, v[20:21]
	s_waitcnt vmcnt(0) lgkmcnt(0)
	v_mul_f16_e32 v19, s22, v19
.LBB227_144:
	v_pk_add_f16 v20, v10, v14
	v_pk_max_f16 v21, v64, v64
	s_and_b64 vcc, exec, s[0:1]
	v_pk_min_f16 v20, v21, v20
	v_pk_add_f16 v21, v11, v15
	s_nop 0
	v_pk_min_f16 v20, v20, v21
	s_nop 0
	v_lshrrev_b32_e32 v21, 16, v20
	v_min3_f16 v19, v19, v20, v21
	v_lshl_add_u64 v[20:21], v[34:35], 1, v[16:17]
	global_store_short v[20:21], v19, off
	s_cbranch_vccnz .LBB227_146
; %bb.145:
	v_lshl_add_u64 v[18:19], v[36:37], 1, v[12:13]
	flat_load_ushort v18, v[18:19]
	s_waitcnt vmcnt(0) lgkmcnt(0)
	v_mul_f16_e32 v18, s22, v18
.LBB227_146:
	v_pk_add_f16 v19, v4, v14
	v_pk_max_f16 v20, v63, v63
	s_and_b64 vcc, exec, s[0:1]
	v_pk_min_f16 v19, v20, v19
	v_pk_add_f16 v20, v5, v15
	s_nop 0
	v_pk_min_f16 v19, v19, v20
	s_nop 0
	v_lshrrev_b32_e32 v20, 16, v19
	v_min3_f16 v20, v18, v19, v20
	v_lshl_add_u64 v[18:19], v[36:37], 1, v[16:17]
	global_store_short v[18:19], v20, off
	v_mov_b32_e32 v18, 0
	v_mov_b32_e32 v19, 0
	s_cbranch_vccnz .LBB227_148
; %bb.147:
	v_lshl_add_u64 v[20:21], v[44:45], 1, v[12:13]
	flat_load_ushort v19, v[20:21]
	s_waitcnt vmcnt(0) lgkmcnt(0)
	v_mul_f16_e32 v19, s22, v19
.LBB227_148:
	v_pk_add_f16 v20, v6, v14
	v_pk_max_f16 v21, v62, v62
	s_and_b64 vcc, exec, s[0:1]
	v_pk_min_f16 v20, v21, v20
	v_pk_add_f16 v21, v7, v15
	s_nop 0
	v_pk_min_f16 v20, v20, v21
	s_nop 0
	;; [unrolled: 40-line block ×3, first 2 shown]
	v_lshrrev_b32_e32 v21, 16, v20
	v_min3_f16 v19, v19, v20, v21
	v_lshl_add_u64 v[20:21], v[40:41], 1, v[16:17]
	global_store_short v[20:21], v19, off
	s_cbranch_vccnz .LBB227_154
; %bb.153:
	v_lshl_add_u64 v[12:13], v[38:39], 1, v[12:13]
	flat_load_ushort v12, v[12:13]
	s_waitcnt vmcnt(0) lgkmcnt(0)
	v_mul_f16_e32 v18, s22, v12
.LBB227_154:
	v_pk_add_f16 v12, v24, v14
	v_pk_max_f16 v13, v58, v58
	s_and_b64 vcc, exec, s[0:1]
	v_pk_min_f16 v12, v13, v12
	v_pk_add_f16 v13, v25, v15
	s_nop 0
	v_pk_min_f16 v12, v12, v13
	s_nop 0
	v_lshrrev_b32_e32 v13, 16, v12
	v_min3_f16 v14, v18, v12, v13
	v_lshl_add_u64 v[12:13], v[38:39], 1, v[16:17]
	global_store_short v[12:13], v14, off
	v_add_u32_e32 v14, 0xe0, v115
	v_mad_i64_i32 v[12:13], s[4:5], v14, s6, 0
	v_lshl_add_u64 v[12:13], v[12:13], 1, s[10:11]
	v_mov_b32_e32 v16, 0
	v_mov_b32_e32 v17, 0
	s_cbranch_vccnz .LBB227_156
; %bb.155:
	v_lshl_add_u64 v[18:19], v[28:29], 1, v[12:13]
	flat_load_ushort v15, v[18:19]
	s_waitcnt vmcnt(0) lgkmcnt(0)
	v_mul_f16_e32 v17, s22, v15
.LBB227_156:
	v_pk_add_f16 v15, v30, v26
	v_pk_max_f16 v18, v59, v59
	s_and_b64 vcc, exec, s[0:1]
	v_pk_min_f16 v15, v18, v15
	v_pk_add_f16 v18, v31, v27
	s_nop 0
	v_pk_min_f16 v18, v15, v18
	v_mad_i64_i32 v[14:15], s[4:5], v14, s7, 0
	v_lshl_add_u64 v[14:15], v[14:15], 1, s[2:3]
	v_lshrrev_b32_e32 v19, 16, v18
	v_min3_f16 v17, v17, v18, v19
	v_lshl_add_u64 v[18:19], v[28:29], 1, v[14:15]
	global_store_short v[18:19], v17, off
	s_cbranch_vccnz .LBB227_158
; %bb.157:
	v_lshl_add_u64 v[16:17], v[32:33], 1, v[12:13]
	flat_load_ushort v16, v[16:17]
	s_waitcnt vmcnt(0) lgkmcnt(0)
	v_mul_f16_e32 v16, s22, v16
.LBB227_158:
	v_pk_add_f16 v8, v8, v26
	v_pk_max_f16 v17, v57, v57
	v_pk_add_f16 v9, v9, v27
	v_pk_min_f16 v8, v17, v8
	s_and_b64 vcc, exec, s[0:1]
	v_pk_min_f16 v8, v8, v9
	s_nop 0
	v_lshrrev_b32_e32 v9, 16, v8
	v_min3_f16 v16, v16, v8, v9
	v_lshl_add_u64 v[8:9], v[32:33], 1, v[14:15]
	global_store_short v[8:9], v16, off
	v_mov_b32_e32 v8, 0
	v_mov_b32_e32 v9, 0
	s_cbranch_vccnz .LBB227_160
; %bb.159:
	v_lshl_add_u64 v[16:17], v[34:35], 1, v[12:13]
	flat_load_ushort v9, v[16:17]
	s_waitcnt vmcnt(0) lgkmcnt(0)
	v_mul_f16_e32 v9, s22, v9
.LBB227_160:
	v_pk_add_f16 v10, v10, v26
	v_pk_max_f16 v16, v56, v56
	v_pk_add_f16 v11, v11, v27
	v_pk_min_f16 v10, v16, v10
	s_and_b64 vcc, exec, s[0:1]
	v_pk_min_f16 v10, v10, v11
	s_nop 0
	v_lshrrev_b32_e32 v11, 16, v10
	v_min3_f16 v9, v9, v10, v11
	v_lshl_add_u64 v[10:11], v[34:35], 1, v[14:15]
	global_store_short v[10:11], v9, off
	s_cbranch_vccnz .LBB227_162
; %bb.161:
	v_lshl_add_u64 v[8:9], v[36:37], 1, v[12:13]
	flat_load_ushort v8, v[8:9]
	s_waitcnt vmcnt(0) lgkmcnt(0)
	v_mul_f16_e32 v8, s22, v8
.LBB227_162:
	v_pk_add_f16 v4, v4, v26
	v_pk_max_f16 v9, v55, v55
	v_pk_add_f16 v5, v5, v27
	v_pk_min_f16 v4, v9, v4
	s_and_b64 vcc, exec, s[0:1]
	v_pk_min_f16 v4, v4, v5
	s_nop 0
	v_lshrrev_b32_e32 v5, 16, v4
	v_min3_f16 v8, v8, v4, v5
	v_lshl_add_u64 v[4:5], v[36:37], 1, v[14:15]
	global_store_short v[4:5], v8, off
	v_mov_b32_e32 v4, 0
	v_mov_b32_e32 v5, 0
	s_cbranch_vccnz .LBB227_164
; %bb.163:
	v_lshl_add_u64 v[8:9], v[44:45], 1, v[12:13]
	flat_load_ushort v5, v[8:9]
	s_waitcnt vmcnt(0) lgkmcnt(0)
	v_mul_f16_e32 v5, s22, v5
.LBB227_164:
	v_pk_add_f16 v6, v6, v26
	v_pk_max_f16 v8, v54, v54
	v_pk_add_f16 v7, v7, v27
	v_pk_min_f16 v6, v8, v6
	s_and_b64 vcc, exec, s[0:1]
	v_pk_min_f16 v6, v6, v7
	s_nop 0
	v_lshrrev_b32_e32 v7, 16, v6
	v_min3_f16 v5, v5, v6, v7
	v_lshl_add_u64 v[6:7], v[44:45], 1, v[14:15]
	global_store_short v[6:7], v5, off
	s_cbranch_vccnz .LBB227_166
; %bb.165:
	v_lshl_add_u64 v[4:5], v[42:43], 1, v[12:13]
	flat_load_ushort v4, v[4:5]
	s_waitcnt vmcnt(0) lgkmcnt(0)
	v_mul_f16_e32 v4, s22, v4
.LBB227_166:
	v_pk_add_f16 v0, v0, v26
	v_pk_max_f16 v5, v52, v52
	v_pk_add_f16 v2, v2, v26
	v_pk_min_f16 v0, v5, v0
	v_pk_max_f16 v5, v53, v53
	v_pk_add_f16 v1, v1, v27
	v_pk_min_f16 v2, v5, v2
	v_pk_min_f16 v0, v0, v1
	v_pk_add_f16 v1, v3, v27
	s_mov_b64 vcc, s[8:9]
	v_pk_min_f16 v2, v2, v1
	v_lshrrev_b32_e32 v1, 16, v0
	v_min3_f16 v3, v4, v0, v1
	v_lshl_add_u64 v[0:1], v[42:43], 1, v[14:15]
	global_store_short v[0:1], v3, off
	v_min_f16_sdwa v0, v2, v2 dst_sel:DWORD dst_unused:UNUSED_PAD src0_sel:DWORD src1_sel:WORD_1
	v_max_f16_e32 v0, v0, v0
	s_cbranch_vccz .LBB227_169
; %bb.167:
	v_min_f16_e32 v1, 0, v0
	v_lshl_add_u64 v[2:3], v[40:41], 1, v[14:15]
	s_mov_b32 s2, 0
	global_store_short v[2:3], v1, off
	s_cbranch_execz .LBB227_170
; %bb.168:
	v_mov_b32_e32 v0, s2
	s_branch .LBB227_171
.LBB227_169:
                                        ; implicit-def: $sgpr2
.LBB227_170:
	v_lshlrev_b64 v[2:3], 1, v[40:41]
	v_lshl_add_u64 v[4:5], v[12:13], 0, v[2:3]
	flat_load_ushort v1, v[4:5]
	v_lshl_add_u64 v[2:3], v[14:15], 0, v[2:3]
	s_waitcnt vmcnt(0) lgkmcnt(0)
	v_mul_f16_e32 v1, s22, v1
	v_min_f16_e32 v0, v1, v0
	global_store_short v[2:3], v0, off
	v_lshl_add_u64 v[0:1], v[38:39], 1, v[12:13]
	flat_load_ushort v0, v[0:1]
	s_waitcnt vmcnt(0) lgkmcnt(0)
	v_mul_f16_e32 v0, s22, v0
.LBB227_171:
	v_pk_add_f16 v1, v24, v26
	v_pk_max_f16 v2, v67, v67
	s_nop 0
	v_pk_min_f16 v1, v2, v1
	v_pk_add_f16 v2, v25, v27
	s_nop 0
	v_pk_min_f16 v1, v1, v2
	s_nop 0
	v_lshrrev_b32_e32 v2, 16, v1
	v_min3_f16 v2, v0, v1, v2
	v_lshl_add_u64 v[0:1], v[38:39], 1, v[14:15]
	global_store_short v[0:1], v2, off
	s_endpgm
	.section	.rodata,"a",@progbits
	.p2align	6, 0x0
	.amdhsa_kernel _ZN12_GLOBAL__N_120geam_min_plus_kernelIDF16_Dv2_DF16_S1_Li8ELi32ELi64ELi256ELi4ELi4ELi64ELi64ELi4ELc84ELc84ELb0ELb0ELb1EDF16_KPKDF16_KPDF16_EEviiiT16_PT17_ilS9_ilS7_S9_ilPT18_ili26rocblas_geam_ex_operation_
		.amdhsa_group_segment_fixed_size 5120
		.amdhsa_private_segment_fixed_size 0
		.amdhsa_kernarg_size 128
		.amdhsa_user_sgpr_count 2
		.amdhsa_user_sgpr_dispatch_ptr 0
		.amdhsa_user_sgpr_queue_ptr 0
		.amdhsa_user_sgpr_kernarg_segment_ptr 1
		.amdhsa_user_sgpr_dispatch_id 0
		.amdhsa_user_sgpr_kernarg_preload_length 0
		.amdhsa_user_sgpr_kernarg_preload_offset 0
		.amdhsa_user_sgpr_private_segment_size 0
		.amdhsa_uses_dynamic_stack 0
		.amdhsa_enable_private_segment 0
		.amdhsa_system_sgpr_workgroup_id_x 1
		.amdhsa_system_sgpr_workgroup_id_y 0
		.amdhsa_system_sgpr_workgroup_id_z 1
		.amdhsa_system_sgpr_workgroup_info 0
		.amdhsa_system_vgpr_workitem_id 1
		.amdhsa_next_free_vgpr 166
		.amdhsa_next_free_sgpr 28
		.amdhsa_accum_offset 168
		.amdhsa_reserve_vcc 1
		.amdhsa_float_round_mode_32 0
		.amdhsa_float_round_mode_16_64 0
		.amdhsa_float_denorm_mode_32 3
		.amdhsa_float_denorm_mode_16_64 3
		.amdhsa_dx10_clamp 1
		.amdhsa_ieee_mode 1
		.amdhsa_fp16_overflow 0
		.amdhsa_tg_split 0
		.amdhsa_exception_fp_ieee_invalid_op 0
		.amdhsa_exception_fp_denorm_src 0
		.amdhsa_exception_fp_ieee_div_zero 0
		.amdhsa_exception_fp_ieee_overflow 0
		.amdhsa_exception_fp_ieee_underflow 0
		.amdhsa_exception_fp_ieee_inexact 0
		.amdhsa_exception_int_div_zero 0
	.end_amdhsa_kernel
	.section	.text._ZN12_GLOBAL__N_120geam_min_plus_kernelIDF16_Dv2_DF16_S1_Li8ELi32ELi64ELi256ELi4ELi4ELi64ELi64ELi4ELc84ELc84ELb0ELb0ELb1EDF16_KPKDF16_KPDF16_EEviiiT16_PT17_ilS9_ilS7_S9_ilPT18_ili26rocblas_geam_ex_operation_,"axG",@progbits,_ZN12_GLOBAL__N_120geam_min_plus_kernelIDF16_Dv2_DF16_S1_Li8ELi32ELi64ELi256ELi4ELi4ELi64ELi64ELi4ELc84ELc84ELb0ELb0ELb1EDF16_KPKDF16_KPDF16_EEviiiT16_PT17_ilS9_ilS7_S9_ilPT18_ili26rocblas_geam_ex_operation_,comdat
.Lfunc_end227:
	.size	_ZN12_GLOBAL__N_120geam_min_plus_kernelIDF16_Dv2_DF16_S1_Li8ELi32ELi64ELi256ELi4ELi4ELi64ELi64ELi4ELc84ELc84ELb0ELb0ELb1EDF16_KPKDF16_KPDF16_EEviiiT16_PT17_ilS9_ilS7_S9_ilPT18_ili26rocblas_geam_ex_operation_, .Lfunc_end227-_ZN12_GLOBAL__N_120geam_min_plus_kernelIDF16_Dv2_DF16_S1_Li8ELi32ELi64ELi256ELi4ELi4ELi64ELi64ELi4ELc84ELc84ELb0ELb0ELb1EDF16_KPKDF16_KPDF16_EEviiiT16_PT17_ilS9_ilS7_S9_ilPT18_ili26rocblas_geam_ex_operation_
                                        ; -- End function
	.section	.AMDGPU.csdata,"",@progbits
; Kernel info:
; codeLenInByte = 17144
; NumSgprs: 34
; NumVgprs: 166
; NumAgprs: 0
; TotalNumVgprs: 166
; ScratchSize: 0
; MemoryBound: 0
; FloatMode: 240
; IeeeMode: 1
; LDSByteSize: 5120 bytes/workgroup (compile time only)
; SGPRBlocks: 4
; VGPRBlocks: 20
; NumSGPRsForWavesPerEU: 34
; NumVGPRsForWavesPerEU: 166
; AccumOffset: 168
; Occupancy: 3
; WaveLimiterHint : 1
; COMPUTE_PGM_RSRC2:SCRATCH_EN: 0
; COMPUTE_PGM_RSRC2:USER_SGPR: 2
; COMPUTE_PGM_RSRC2:TRAP_HANDLER: 0
; COMPUTE_PGM_RSRC2:TGID_X_EN: 1
; COMPUTE_PGM_RSRC2:TGID_Y_EN: 0
; COMPUTE_PGM_RSRC2:TGID_Z_EN: 1
; COMPUTE_PGM_RSRC2:TIDIG_COMP_CNT: 1
; COMPUTE_PGM_RSRC3_GFX90A:ACCUM_OFFSET: 41
; COMPUTE_PGM_RSRC3_GFX90A:TG_SPLIT: 0
	.section	.text._ZN12_GLOBAL__N_120geam_min_plus_kernelIDF16_Dv2_DF16_S1_Li8ELi32ELi64ELi256ELi4ELi4ELi64ELi64ELi4ELc84ELc84ELb0ELb1ELb1EPKDF16_KS3_KPDF16_EEviiiT16_PT17_ilS9_ilS7_S9_ilPT18_ili26rocblas_geam_ex_operation_,"axG",@progbits,_ZN12_GLOBAL__N_120geam_min_plus_kernelIDF16_Dv2_DF16_S1_Li8ELi32ELi64ELi256ELi4ELi4ELi64ELi64ELi4ELc84ELc84ELb0ELb1ELb1EPKDF16_KS3_KPDF16_EEviiiT16_PT17_ilS9_ilS7_S9_ilPT18_ili26rocblas_geam_ex_operation_,comdat
	.globl	_ZN12_GLOBAL__N_120geam_min_plus_kernelIDF16_Dv2_DF16_S1_Li8ELi32ELi64ELi256ELi4ELi4ELi64ELi64ELi4ELc84ELc84ELb0ELb1ELb1EPKDF16_KS3_KPDF16_EEviiiT16_PT17_ilS9_ilS7_S9_ilPT18_ili26rocblas_geam_ex_operation_ ; -- Begin function _ZN12_GLOBAL__N_120geam_min_plus_kernelIDF16_Dv2_DF16_S1_Li8ELi32ELi64ELi256ELi4ELi4ELi64ELi64ELi4ELc84ELc84ELb0ELb1ELb1EPKDF16_KS3_KPDF16_EEviiiT16_PT17_ilS9_ilS7_S9_ilPT18_ili26rocblas_geam_ex_operation_
	.p2align	8
	.type	_ZN12_GLOBAL__N_120geam_min_plus_kernelIDF16_Dv2_DF16_S1_Li8ELi32ELi64ELi256ELi4ELi4ELi64ELi64ELi4ELc84ELc84ELb0ELb1ELb1EPKDF16_KS3_KPDF16_EEviiiT16_PT17_ilS9_ilS7_S9_ilPT18_ili26rocblas_geam_ex_operation_,@function
_ZN12_GLOBAL__N_120geam_min_plus_kernelIDF16_Dv2_DF16_S1_Li8ELi32ELi64ELi256ELi4ELi4ELi64ELi64ELi4ELc84ELc84ELb0ELb1ELb1EPKDF16_KS3_KPDF16_EEviiiT16_PT17_ilS9_ilS7_S9_ilPT18_ili26rocblas_geam_ex_operation_: ; @_ZN12_GLOBAL__N_120geam_min_plus_kernelIDF16_Dv2_DF16_S1_Li8ELi32ELi64ELi256ELi4ELi4ELi64ELi64ELi4ELc84ELc84ELb0ELb1ELb1EPKDF16_KS3_KPDF16_EEviiiT16_PT17_ilS9_ilS7_S9_ilPT18_ili26rocblas_geam_ex_operation_
; %bb.0:
	s_load_dwordx4 s[16:19], s[0:1], 0x10
	s_load_dwordx4 s[8:11], s[0:1], 0x28
	;; [unrolled: 1-line block ×3, first 2 shown]
	s_load_dwordx2 s[20:21], s[0:1], 0x50
	s_mov_b32 s30, s3
	s_mov_b32 s31, 0
	s_lshl_b64 s[4:5], s[30:31], 1
	s_waitcnt lgkmcnt(0)
	s_add_u32 s6, s16, s4
	s_addc_u32 s7, s17, s5
	v_mov_b32_e32 v1, 0
	global_load_ushort v46, v1, s[6:7]
	s_add_u32 s4, s14, s4
	s_addc_u32 s5, s15, s5
	global_load_ushort v52, v1, s[4:5]
	s_mov_b64 s[26:27], 0
	s_mov_b64 s[28:29], 0
	s_waitcnt vmcnt(1)
	v_cmp_eq_f16_e64 s[4:5], 0, v46
	v_cmp_neq_f16_e64 s[6:7], 0, v46
	s_and_b64 vcc, exec, s[4:5]
	s_cbranch_vccnz .LBB228_2
; %bb.1:
	s_lshl_b64 s[14:15], s[30:31], 3
	s_add_u32 s14, s18, s14
	s_addc_u32 s15, s19, s15
	s_load_dwordx2 s[14:15], s[14:15], 0x0
	s_lshl_b64 s[8:9], s[8:9], 1
	s_waitcnt lgkmcnt(0)
	s_add_u32 s28, s14, s8
	s_addc_u32 s29, s15, s9
.LBB228_2:
	s_andn2_b64 vcc, exec, s[6:7]
	s_cbranch_vccnz .LBB228_4
; %bb.3:
	s_lshl_b64 s[6:7], s[30:31], 3
	s_add_u32 s6, s10, s6
	s_addc_u32 s7, s11, s7
	s_load_dwordx2 s[6:7], s[6:7], 0x0
	s_lshl_b64 s[8:9], s[12:13], 1
	s_waitcnt lgkmcnt(0)
	s_add_u32 s26, s6, s8
	s_addc_u32 s27, s7, s9
.LBB228_4:
	s_load_dwordx4 s[8:11], s[0:1], 0x60
	s_waitcnt vmcnt(0)
	v_cmp_eq_f16_e32 vcc, 0, v52
	v_cmp_neq_f16_e64 s[16:17], 0, v52
	s_cbranch_vccnz .LBB228_6
; %bb.5:
	s_lshl_b64 s[6:7], s[30:31], 3
	s_add_u32 s6, s20, s6
	s_addc_u32 s7, s21, s7
	s_load_dwordx2 s[6:7], s[6:7], 0x0
	s_waitcnt lgkmcnt(0)
	s_lshl_b64 s[8:9], s[8:9], 1
	s_add_u32 s24, s6, s8
	s_addc_u32 s25, s7, s9
	s_branch .LBB228_7
.LBB228_6:
	s_mov_b64 s[24:25], 0
.LBB228_7:
	s_load_dwordx4 s[20:23], s[0:1], 0x0
	s_load_dword s35, s[0:1], 0x20
	s_lshl_b64 s[6:7], s[30:31], 3
	s_waitcnt lgkmcnt(0)
	s_add_u32 s6, s10, s6
	s_addc_u32 s7, s11, s7
	s_add_i32 s8, s20, -1
	s_ashr_i32 s3, s8, 31
	s_lshr_b32 s3, s3, 26
	s_add_i32 s3, s8, s3
	s_ashr_i32 s3, s3, 6
	s_add_i32 s9, s3, 1
	v_cvt_f32_u32_e32 v1, s9
	s_load_dwordx2 s[18:19], s[6:7], 0x0
	s_not_b32 s3, s3
	v_and_b32_e32 v44, 0x3ff, v0
	v_rcp_iflag_f32_e32 v1, v1
	v_bfe_u32 v45, v0, 10, 10
	v_lshl_add_u32 v0, v45, 3, v44
	v_lshrrev_b32_e32 v2, 2, v0
	v_mul_f32_e32 v1, 0x4f7ffffe, v1
	v_cvt_u32_f32_e32 v1, v1
	v_and_b32_e32 v47, 3, v44
	v_mov_b32_e32 v5, 0x7c00
	v_lshlrev_b32_e32 v40, 1, v47
	v_readfirstlane_b32 s6, v1
	s_mul_i32 s3, s3, s6
	s_mul_hi_u32 s3, s6, s3
	s_add_i32 s6, s6, s3
	s_mul_hi_u32 s3, s2, s6
	s_mul_i32 s6, s3, s9
	s_sub_i32 s6, s2, s6
	s_add_i32 s7, s3, 1
	s_sub_i32 s10, s6, s9
	s_cmp_ge_u32 s6, s9
	s_cselect_b32 s3, s7, s3
	s_cselect_b32 s6, s10, s6
	s_add_i32 s7, s3, 1
	s_cmp_ge_u32 s6, s9
	s_cselect_b32 s6, s7, s3
	s_mul_i32 s3, s6, s9
	s_sub_i32 s2, s2, s3
	s_lshl_b32 s30, s2, 6
	v_add_u32_e32 v1, s30, v2
	v_cmp_le_i32_e64 s[2:3], s22, v47
	v_cmp_le_i32_e32 vcc, s20, v1
	s_or_b64 s[2:3], s[2:3], vcc
	v_cndmask_b32_e64 v3, 0, v5, s[2:3]
	s_or_b64 s[2:3], s[4:5], s[2:3]
	v_min_i32_e32 v42, s8, v1
	s_xor_b64 s[8:9], s[2:3], -1
	s_and_saveexec_b64 s[2:3], s[8:9]
	s_cbranch_execz .LBB228_9
; %bb.8:
	v_mad_i64_i32 v[6:7], s[8:9], v42, s35, 0
	v_lshl_add_u64 v[6:7], v[6:7], 1, s[28:29]
	v_mov_b32_e32 v41, 0
	v_lshl_add_u64 v[6:7], v[6:7], 0, v[40:41]
	flat_load_ushort v1, v[6:7]
	s_waitcnt vmcnt(0) lgkmcnt(0)
	v_mul_f16_e32 v3, v46, v1
.LBB228_9:
	s_or_b64 exec, exec, s[2:3]
	s_load_dword s23, s[0:1], 0x38
	v_and_b32_e32 v4, 63, v0
	v_lshrrev_b32_e32 v48, 6, v0
	s_lshl_b32 s31, s6, 8
	s_add_i32 s33, s22, -1
	v_or_b32_e32 v32, s31, v4
	v_min_i32_e32 v0, s33, v48
	v_cmp_le_i32_e64 s[14:15], s22, v48
	s_waitcnt lgkmcnt(0)
	v_mad_i64_i32 v[0:1], s[2:3], s23, v0, 0
	v_cmp_le_i32_e64 s[6:7], s21, v32
	s_or_b64 s[2:3], s[6:7], s[14:15]
	v_cndmask_b32_e64 v5, 0, v5, s[2:3]
	s_or_b64 s[2:3], s[4:5], s[2:3]
	v_lshl_add_u64 v[0:1], v[0:1], 1, s[26:27]
	s_xor_b64 s[8:9], s[2:3], -1
	v_ashrrev_i32_e32 v33, 31, v32
	s_and_saveexec_b64 s[2:3], s[8:9]
	s_cbranch_execz .LBB228_11
; %bb.10:
	v_lshl_add_u64 v[6:7], v[32:33], 1, v[0:1]
	flat_load_ushort v5, v[6:7]
	s_waitcnt vmcnt(0) lgkmcnt(0)
	v_mul_f16_e32 v5, v46, v5
.LBB228_11:
	s_or_b64 exec, exec, s[2:3]
	v_or_b32_e32 v6, 64, v32
	v_cmp_le_i32_e64 s[8:9], s21, v6
	s_add_i32 s34, s21, -1
	v_mov_b32_e32 v7, 0x7c00
	s_or_b64 s[2:3], s[8:9], s[14:15]
	v_min_i32_e32 v34, s34, v6
	v_cndmask_b32_e64 v6, 0, v7, s[2:3]
	s_or_b64 s[2:3], s[4:5], s[2:3]
	s_xor_b64 s[10:11], s[2:3], -1
	v_ashrrev_i32_e32 v35, 31, v34
	s_and_saveexec_b64 s[2:3], s[10:11]
	s_cbranch_execz .LBB228_13
; %bb.12:
	v_lshl_add_u64 v[8:9], v[34:35], 1, v[0:1]
	flat_load_ushort v6, v[8:9]
	s_waitcnt vmcnt(0) lgkmcnt(0)
	v_mul_f16_e32 v6, v46, v6
.LBB228_13:
	s_or_b64 exec, exec, s[2:3]
	v_or_b32_e32 v8, 0x80, v32
	v_cmp_le_i32_e64 s[10:11], s21, v8
	s_or_b64 s[2:3], s[10:11], s[14:15]
	v_min_i32_e32 v36, s34, v8
	v_cndmask_b32_e64 v7, 0, v7, s[2:3]
	s_or_b64 s[2:3], s[4:5], s[2:3]
	s_xor_b64 s[12:13], s[2:3], -1
	v_ashrrev_i32_e32 v37, 31, v36
	s_and_saveexec_b64 s[2:3], s[12:13]
	s_cbranch_execz .LBB228_15
; %bb.14:
	v_lshl_add_u64 v[8:9], v[36:37], 1, v[0:1]
	flat_load_ushort v7, v[8:9]
	s_waitcnt vmcnt(0) lgkmcnt(0)
	v_mul_f16_e32 v7, v46, v7
.LBB228_15:
	s_or_b64 exec, exec, s[2:3]
	v_or_b32_e32 v8, 0xc0, v32
	v_cmp_le_i32_e64 s[12:13], s21, v8
	v_mov_b32_e32 v9, 0x7c00
	s_or_b64 s[2:3], s[12:13], s[14:15]
	v_min_i32_e32 v38, s34, v8
	v_cndmask_b32_e64 v8, 0, v9, s[2:3]
	s_or_b64 s[2:3], s[4:5], s[2:3]
	s_xor_b64 s[14:15], s[2:3], -1
	v_ashrrev_i32_e32 v39, 31, v38
	s_and_saveexec_b64 s[2:3], s[14:15]
	s_cbranch_execz .LBB228_17
; %bb.16:
	v_lshl_add_u64 v[0:1], v[38:39], 1, v[0:1]
	flat_load_ushort v0, v[0:1]
	s_waitcnt vmcnt(0) lgkmcnt(0)
	v_mul_f16_e32 v8, v46, v0
.LBB228_17:
	s_or_b64 exec, exec, s[2:3]
	v_or_b32_e32 v0, 4, v47
	v_cmp_le_i32_e64 s[2:3], s22, v0
	s_or_b64 s[2:3], s[2:3], vcc
	s_nop 0
	v_cndmask_b32_e64 v41, 0, v9, s[2:3]
	s_or_b64 s[2:3], s[4:5], s[2:3]
	s_xor_b64 s[14:15], s[2:3], -1
	s_and_saveexec_b64 s[2:3], s[14:15]
	s_cbranch_execz .LBB228_19
; %bb.18:
	v_mad_i64_i32 v[0:1], s[14:15], v42, s35, 0
	v_lshl_add_u64 v[0:1], v[0:1], 1, s[28:29]
	v_mov_b32_e32 v41, 0
	v_lshl_add_u64 v[0:1], v[0:1], 0, v[40:41]
	flat_load_ushort v0, v[0:1] offset:8
	s_waitcnt vmcnt(0) lgkmcnt(0)
	v_mul_f16_e32 v41, v46, v0
.LBB228_19:
	s_or_b64 exec, exec, s[2:3]
	v_add_u32_e32 v0, 4, v48
	v_cmp_le_i32_e64 s[14:15], s22, v0
	v_min_i32_e32 v0, s33, v0
	v_mad_i64_i32 v[0:1], s[2:3], s23, v0, 0
	v_mov_b32_e32 v9, 0x7c00
	s_or_b64 s[2:3], s[6:7], s[14:15]
	v_cndmask_b32_e64 v43, 0, v9, s[2:3]
	s_or_b64 s[2:3], s[4:5], s[2:3]
	v_lshl_add_u64 v[0:1], v[0:1], 1, s[26:27]
	s_xor_b64 s[36:37], s[2:3], -1
	s_and_saveexec_b64 s[2:3], s[36:37]
	s_cbranch_execz .LBB228_21
; %bb.20:
	v_lshl_add_u64 v[10:11], v[32:33], 1, v[0:1]
	flat_load_ushort v10, v[10:11]
	s_waitcnt vmcnt(0) lgkmcnt(0)
	v_mul_f16_e32 v43, v46, v10
.LBB228_21:
	s_or_b64 exec, exec, s[2:3]
	s_or_b64 s[2:3], s[8:9], s[14:15]
	v_cndmask_b32_e64 v118, 0, v9, s[2:3]
	s_or_b64 s[2:3], s[4:5], s[2:3]
	s_xor_b64 s[36:37], s[2:3], -1
	s_and_saveexec_b64 s[2:3], s[36:37]
	s_cbranch_execz .LBB228_23
; %bb.22:
	v_lshl_add_u64 v[10:11], v[34:35], 1, v[0:1]
	flat_load_ushort v9, v[10:11]
	s_waitcnt vmcnt(0) lgkmcnt(0)
	v_mul_f16_e32 v118, v46, v9
.LBB228_23:
	s_or_b64 exec, exec, s[2:3]
	v_mov_b32_e32 v9, 0x7c00
	s_or_b64 s[2:3], s[10:11], s[14:15]
	v_cndmask_b32_e64 v119, 0, v9, s[2:3]
	s_or_b64 s[2:3], s[4:5], s[2:3]
	s_xor_b64 s[36:37], s[2:3], -1
	s_and_saveexec_b64 s[2:3], s[36:37]
	s_cbranch_execz .LBB228_25
; %bb.24:
	v_lshl_add_u64 v[10:11], v[36:37], 1, v[0:1]
	flat_load_ushort v10, v[10:11]
	s_waitcnt vmcnt(0) lgkmcnt(0)
	v_mul_f16_e32 v119, v46, v10
.LBB228_25:
	s_or_b64 exec, exec, s[2:3]
	s_or_b64 s[2:3], s[12:13], s[14:15]
	v_cndmask_b32_e64 v120, 0, v9, s[2:3]
	s_or_b64 s[2:3], s[4:5], s[2:3]
	s_xor_b64 s[36:37], s[2:3], -1
	s_movk_i32 s14, 0x7c00
	s_and_saveexec_b64 s[2:3], s[36:37]
	s_cbranch_execz .LBB228_27
; %bb.26:
	v_lshl_add_u64 v[0:1], v[38:39], 1, v[0:1]
	flat_load_ushort v0, v[0:1]
	s_waitcnt vmcnt(0) lgkmcnt(0)
	v_mul_f16_e32 v120, v46, v0
.LBB228_27:
	s_or_b64 exec, exec, s[2:3]
	v_lshlrev_b32_e32 v0, 1, v48
	v_lshlrev_b32_e32 v49, 3, v44
	v_lshl_or_b32 v121, v2, 3, v40
	v_lshl_add_u32 v51, v4, 3, v0
	v_add_u32_e32 v94, 0x1000, v49
	v_lshlrev_b32_e32 v50, 3, v45
	ds_write_b16 v121, v3 offset:4096
	ds_write_b16 v51, v5
	ds_write_b16 v51, v6 offset:512
	ds_write_b16 v51, v7 offset:1024
	;; [unrolled: 1-line block ×3, first 2 shown]
	s_waitcnt lgkmcnt(0)
	s_barrier
	ds_read2_b64 v[16:19], v94 offset1:8
	ds_read2_b64 v[12:15], v94 offset0:16 offset1:24
	ds_read2_b64 v[0:3], v94 offset0:32 offset1:40
	ds_read2_b64 v[28:31], v50 offset1:32
	ds_read2_b64 v[4:7], v94 offset0:48 offset1:56
	ds_read2_b64 v[24:27], v50 offset0:64 offset1:96
	;; [unrolled: 1-line block ×4, first 2 shown]
	s_cmp_lt_i32 s22, 9
	s_waitcnt lgkmcnt(4)
	v_pk_add_f16 v53, v16, v28
	v_pk_add_f16 v54, v18, v28
	s_waitcnt lgkmcnt(1)
	v_pk_add_f16 v83, v12, v20
	v_pk_min_f16 v53, v53, s14 op_sel_hi:[1,0]
	v_pk_min_f16 v122, v83, s14 op_sel_hi:[1,0]
	v_pk_add_f16 v83, v14, v20
	v_pk_add_f16 v55, v12, v28
	v_pk_min_f16 v123, v83, s14 op_sel_hi:[1,0]
	v_pk_add_f16 v83, v0, v20
	v_pk_add_f16 v56, v14, v28
	;; [unrolled: 3-line block ×11, first 2 shown]
	v_pk_min_f16 v133, v83, s14 op_sel_hi:[1,0]
	s_waitcnt lgkmcnt(0)
	v_pk_add_f16 v83, v16, v8
	v_pk_add_f16 v65, v2, v30
	v_pk_min_f16 v134, v83, s14 op_sel_hi:[1,0]
	v_pk_add_f16 v83, v18, v8
	v_pk_add_f16 v66, v4, v30
	v_pk_min_f16 v135, v83, s14 op_sel_hi:[1,0]
	;; [unrolled: 3-line block ×5, first 2 shown]
	v_pk_add_f16 v83, v2, v8
	v_pk_add_f16 v69, v12, v24
	;; [unrolled: 1-line block ×19, first 2 shown]
	v_pk_min_f16 v139, v83, s14 op_sel_hi:[1,0]
	v_pk_add_f16 v83, v4, v8
	v_pk_add_f16 v8, v6, v8
	v_pk_add_f16 v16, v16, v10
	v_pk_add_f16 v18, v18, v10
	v_pk_add_f16 v12, v12, v10
	v_pk_add_f16 v14, v14, v10
	v_pk_add_f16 v0, v0, v10
	v_pk_add_f16 v2, v2, v10
	v_pk_add_f16 v4, v4, v10
	v_pk_add_f16 v6, v6, v10
	v_pk_add_f16 v10, v17, v29
	v_pk_min_f16 v54, v54, s14 op_sel_hi:[1,0]
	v_pk_min_f16 v117, v53, v10
	v_pk_add_f16 v10, v19, v29
	v_pk_min_f16 v55, v55, s14 op_sel_hi:[1,0]
	v_pk_min_f16 v116, v54, v10
	v_pk_add_f16 v10, v13, v29
	;; [unrolled: 3-line block ×45, first 2 shown]
	ds_write_b16 v121, v41 offset:4608
	ds_write_b16 v51, v43 offset:2048
	;; [unrolled: 1-line block ×5, first 2 shown]
	v_pk_min_f16 v71, v132, v10
	v_pk_add_f16 v10, v5, v23
	s_waitcnt lgkmcnt(0)
	v_pk_min_f16 v70, v133, v10
	v_pk_add_f16 v10, v7, v23
	s_barrier
	v_pk_min_f16 v69, v22, v10
	v_pk_add_f16 v10, v17, v9
	s_nop 0
	v_pk_min_f16 v68, v134, v10
	v_pk_add_f16 v10, v19, v9
	s_nop 0
	;; [unrolled: 3-line block ×4, first 2 shown]
	v_pk_min_f16 v65, v137, v10
	v_pk_add_f16 v10, v1, v9
	v_pk_add_f16 v1, v1, v11
	v_pk_min_f16 v64, v138, v10
	v_pk_add_f16 v10, v3, v9
	v_pk_min_f16 v55, v0, v1
	v_pk_min_f16 v63, v139, v10
	v_pk_add_f16 v10, v5, v9
	v_pk_add_f16 v9, v7, v9
	;; [unrolled: 1-line block ×3, first 2 shown]
	v_pk_min_f16 v61, v8, v9
	v_pk_add_f16 v8, v17, v11
	v_pk_min_f16 v54, v2, v0
	v_pk_min_f16 v60, v16, v8
	v_pk_add_f16 v8, v19, v11
	v_pk_add_f16 v0, v5, v11
	v_pk_min_f16 v59, v18, v8
	v_pk_add_f16 v8, v13, v11
	v_pk_min_f16 v53, v4, v0
	v_pk_min_f16 v58, v12, v8
	v_pk_add_f16 v8, v15, v11
	v_pk_add_f16 v0, v7, v11
	v_pk_min_f16 v62, v140, v10
	v_pk_min_f16 v56, v14, v8
	;; [unrolled: 1-line block ×3, first 2 shown]
	s_cbranch_scc1 .LBB228_50
; %bb.28:
	v_mov_b32_e32 v0, 0x1200
	v_add_u32_e32 v118, 0x1000, v121
	v_add_u32_e32 v119, 0x1200, v121
	v_lshl_add_u32 v121, v44, 3, v0
	v_mov_b32_e32 v0, 0x800
	v_lshl_add_u32 v122, v45, 3, v0
	v_mad_i64_i32 v[0:1], s[2:3], v42, s35, 0
	v_mov_b32_e32 v41, 0
	v_lshl_add_u64 v[0:1], v[0:1], 1, v[40:41]
	v_lshl_add_u64 v[0:1], v[0:1], 0, s[28:29]
	v_or_b32_e32 v120, 0x800, v51
	s_add_i32 s34, s22, -8
	v_lshl_add_u64 v[40:41], v[0:1], 0, 24
	s_mov_b32 s28, 0
	v_mov_b32_e32 v123, 0x7c00
	s_branch .LBB228_30
.LBB228_29:                             ;   in Loop: Header=BB228_30 Depth=1
	s_or_b64 exec, exec, s[2:3]
	ds_read2_b64 v[8:11], v94 offset1:8
	ds_read2_b64 v[4:7], v94 offset0:16 offset1:24
	ds_read2_b64 v[0:3], v94 offset0:32 offset1:40
	ds_read2_b64 v[128:131], v50 offset1:32
	ds_read2_b64 v[12:15], v94 offset0:48 offset1:56
	ds_read2_b64 v[24:27], v50 offset0:64 offset1:96
	;; [unrolled: 1-line block ×4, first 2 shown]
	s_waitcnt lgkmcnt(4)
	v_pk_add_f16 v42, v8, v128
	v_pk_max_f16 v43, v114, v114
	v_pk_max_f16 v113, v113, v113
	v_pk_min_f16 v42, v43, v42
	v_pk_add_f16 v43, v10, v128
	v_pk_max_f16 v112, v112, v112
	v_pk_min_f16 v43, v113, v43
	v_pk_add_f16 v113, v4, v128
	;; [unrolled: 3-line block ×5, first 2 shown]
	v_pk_max_f16 v108, v108, v108
	v_pk_min_f16 v109, v109, v113
	s_waitcnt lgkmcnt(3)
	v_pk_add_f16 v113, v12, v128
	v_pk_max_f16 v107, v107, v107
	v_pk_min_f16 v108, v108, v113
	v_pk_add_f16 v113, v14, v128
	v_pk_max_f16 v106, v106, v106
	v_pk_min_f16 v107, v107, v113
	;; [unrolled: 3-line block ×10, first 2 shown]
	s_waitcnt lgkmcnt(2)
	v_pk_add_f16 v113, v8, v24
	v_pk_max_f16 v97, v97, v97
	v_pk_min_f16 v98, v98, v113
	v_pk_add_f16 v113, v10, v24
	v_pk_max_f16 v96, v96, v96
	v_pk_min_f16 v97, v97, v113
	;; [unrolled: 3-line block ×6, first 2 shown]
	v_pk_add_f16 v113, v12, v24
	v_pk_add_f16 v24, v14, v24
	v_pk_max_f16 v89, v89, v89
	v_pk_min_f16 v24, v90, v24
	v_pk_add_f16 v90, v8, v26
	v_pk_max_f16 v88, v88, v88
	v_pk_min_f16 v89, v89, v90
	;; [unrolled: 3-line block ×7, first 2 shown]
	v_pk_add_f16 v90, v12, v26
	v_pk_add_f16 v26, v14, v26
	v_pk_max_f16 v81, v81, v81
	v_pk_min_f16 v26, v82, v26
	s_waitcnt lgkmcnt(1)
	v_pk_add_f16 v82, v8, v20
	v_pk_max_f16 v80, v80, v80
	v_pk_min_f16 v81, v81, v82
	v_pk_add_f16 v82, v10, v20
	v_pk_max_f16 v79, v79, v79
	v_pk_min_f16 v80, v80, v82
	;; [unrolled: 3-line block ×6, first 2 shown]
	v_pk_add_f16 v82, v12, v20
	v_pk_add_f16 v20, v14, v20
	v_pk_max_f16 v73, v73, v73
	v_pk_min_f16 v20, v74, v20
	v_pk_add_f16 v74, v8, v22
	v_pk_max_f16 v72, v72, v72
	v_pk_min_f16 v73, v73, v74
	v_pk_add_f16 v74, v10, v22
	v_pk_max_f16 v71, v71, v71
	v_pk_min_f16 v72, v72, v74
	v_pk_add_f16 v74, v4, v22
	v_pk_max_f16 v70, v70, v70
	v_pk_min_f16 v71, v71, v74
	v_pk_add_f16 v74, v6, v22
	v_pk_max_f16 v69, v69, v69
	v_pk_min_f16 v70, v70, v74
	v_pk_add_f16 v74, v0, v22
	v_pk_max_f16 v68, v68, v68
	v_pk_min_f16 v69, v69, v74
	v_pk_add_f16 v74, v2, v22
	v_pk_max_f16 v66, v66, v66
	v_pk_min_f16 v68, v68, v74
	v_pk_add_f16 v74, v12, v22
	v_pk_add_f16 v22, v14, v22
	v_pk_max_f16 v65, v65, v65
	v_pk_min_f16 v22, v66, v22
	s_waitcnt lgkmcnt(0)
	v_pk_add_f16 v66, v8, v16
	v_pk_max_f16 v64, v64, v64
	v_pk_min_f16 v65, v65, v66
	v_pk_add_f16 v66, v10, v16
	v_pk_max_f16 v63, v63, v63
	v_pk_min_f16 v64, v64, v66
	;; [unrolled: 3-line block ×5, first 2 shown]
	v_pk_add_f16 v66, v2, v16
	v_pk_add_f16 v8, v8, v18
	v_pk_min_f16 v60, v60, v66
	v_pk_add_f16 v66, v12, v16
	v_pk_add_f16 v16, v14, v16
	;; [unrolled: 1-line block ×9, first 2 shown]
	v_pk_max_f16 v18, v29, v29
	v_pk_max_f16 v91, v91, v91
	v_pk_min_f16 v14, v18, v14
	v_pk_add_f16 v18, v9, v129
	v_pk_min_f16 v91, v91, v113
	v_pk_min_f16 v117, v42, v18
	v_pk_add_f16 v18, v11, v129
	v_pk_max_f16 v83, v83, v83
	v_pk_min_f16 v116, v43, v18
	v_pk_add_f16 v18, v5, v129
	v_pk_min_f16 v83, v83, v90
	v_pk_min_f16 v115, v112, v18
	v_pk_add_f16 v18, v7, v129
	;; [unrolled: 6-line block ×5, first 2 shown]
	v_pk_max_f16 v53, v53, v53
	v_pk_min_f16 v108, v105, v18
	v_pk_add_f16 v18, v5, v131
	v_pk_max_f16 v55, v55, v55
	v_pk_min_f16 v107, v104, v18
	v_pk_add_f16 v18, v7, v131
	v_pk_min_f16 v0, v53, v0
	v_pk_min_f16 v106, v103, v18
	v_pk_add_f16 v18, v1, v131
	v_pk_max_f16 v31, v31, v31
	v_pk_min_f16 v105, v102, v18
	v_pk_add_f16 v18, v3, v131
	v_pk_max_f16 v57, v57, v57
	v_pk_min_f16 v104, v101, v18
	v_pk_add_f16 v18, v13, v131
	v_pk_min_f16 v4, v55, v4
	v_pk_min_f16 v103, v100, v18
	v_pk_add_f16 v18, v15, v131
	v_pk_max_f16 v54, v54, v54
	v_pk_min_f16 v102, v99, v18
	v_pk_add_f16 v18, v9, v25
	v_pk_min_f16 v2, v31, v2
	v_pk_min_f16 v101, v98, v18
	v_pk_add_f16 v18, v11, v25
	v_pk_max_f16 v30, v30, v30
	v_pk_min_f16 v100, v97, v18
	v_pk_add_f16 v18, v5, v25
	v_pk_max_f16 v58, v58, v58
	v_pk_min_f16 v99, v96, v18
	v_pk_add_f16 v18, v7, v25
	v_pk_min_f16 v8, v57, v8
	v_pk_min_f16 v98, v95, v18
	v_pk_add_f16 v18, v1, v25
	v_pk_max_f16 v56, v56, v56
	v_pk_min_f16 v97, v93, v18
	v_pk_add_f16 v18, v3, v25
	v_pk_min_f16 v6, v54, v6
	v_pk_min_f16 v96, v92, v18
	v_pk_add_f16 v18, v13, v25
	v_pk_min_f16 v12, v30, v12
	;; [unrolled: 3-line block ×4, first 2 shown]
	v_pk_min_f16 v92, v89, v18
	v_pk_add_f16 v18, v11, v27
	s_add_i32 s28, s28, 8
	v_pk_min_f16 v91, v88, v18
	v_pk_add_f16 v18, v5, v27
	s_cmp_ge_i32 s28, s34
	v_pk_min_f16 v90, v87, v18
	v_pk_add_f16 v18, v7, v27
	v_lshl_add_u64 v[40:41], v[40:41], 0, 16
	v_pk_min_f16 v89, v86, v18
	v_pk_add_f16 v18, v1, v27
	ds_write_b16 v119, v124
	ds_write_b16 v120, v125
	ds_write_b16 v120, v126 offset:512
	ds_write_b16 v120, v127 offset:1024
	;; [unrolled: 1-line block ×3, first 2 shown]
	v_pk_min_f16 v88, v85, v18
	v_pk_add_f16 v18, v3, v27
	s_waitcnt lgkmcnt(0)
	v_pk_min_f16 v87, v84, v18
	v_pk_add_f16 v18, v13, v27
	s_barrier
	v_pk_min_f16 v86, v83, v18
	v_pk_add_f16 v18, v15, v27
	s_nop 0
	v_pk_min_f16 v85, v26, v18
	v_pk_add_f16 v18, v9, v21
	s_nop 0
	;; [unrolled: 3-line block ×17, first 2 shown]
	v_pk_min_f16 v69, v22, v18
	v_pk_add_f16 v18, v9, v17
	v_pk_add_f16 v9, v9, v19
	v_pk_min_f16 v68, v65, v18
	v_pk_add_f16 v18, v11, v17
	s_nop 0
	v_pk_min_f16 v67, v64, v18
	v_pk_add_f16 v18, v5, v17
	v_pk_add_f16 v5, v5, v19
	v_pk_min_f16 v66, v63, v18
	v_pk_add_f16 v18, v7, v17
	v_pk_min_f16 v58, v4, v5
	v_pk_min_f16 v65, v62, v18
	v_pk_add_f16 v18, v1, v17
	v_pk_add_f16 v1, v1, v19
	v_pk_min_f16 v64, v61, v18
	v_pk_min_f16 v55, v0, v1
	v_pk_add_f16 v0, v3, v19
	v_pk_add_f16 v18, v3, v17
	v_pk_min_f16 v54, v2, v0
	v_pk_add_f16 v0, v13, v19
	v_pk_min_f16 v63, v60, v18
	v_pk_add_f16 v18, v13, v17
	v_pk_add_f16 v17, v15, v17
	v_pk_min_f16 v60, v8, v9
	v_pk_add_f16 v8, v11, v19
	;; [unrolled: 3-line block ×3, first 2 shown]
	v_pk_min_f16 v62, v59, v18
	v_pk_min_f16 v61, v16, v17
	v_pk_min_f16 v59, v10, v8
	v_pk_min_f16 v56, v6, v4
	v_pk_min_f16 v57, v14, v0
	s_cbranch_scc1 .LBB228_50
.LBB228_30:                             ; =>This Inner Loop Header: Depth=1
	v_add_u32_e32 v42, s28, v47
	v_add_u32_e32 v0, 8, v42
	v_cmp_le_i32_e64 s[2:3], s22, v0
	s_or_b64 s[2:3], s[2:3], vcc
	s_nop 0
	v_cndmask_b32_e64 v124, 0, v123, s[2:3]
	s_or_b64 s[2:3], s[4:5], s[2:3]
	s_xor_b64 s[2:3], s[2:3], -1
	s_and_saveexec_b64 s[14:15], s[2:3]
	s_cbranch_execz .LBB228_32
; %bb.31:                               ;   in Loop: Header=BB228_30 Depth=1
	v_add_co_u32_e64 v0, s[2:3], -8, v40
	s_nop 1
	v_addc_co_u32_e64 v1, s[2:3], -1, v41, s[2:3]
	flat_load_ushort v0, v[0:1]
	s_waitcnt vmcnt(0) lgkmcnt(0)
	v_mul_f16_e32 v124, v46, v0
.LBB228_32:                             ;   in Loop: Header=BB228_30 Depth=1
	s_or_b64 exec, exec, s[14:15]
	v_add_u32_e32 v43, s28, v48
	v_add_u32_e32 v0, 8, v43
	v_cmp_le_i32_e64 s[14:15], s22, v0
	v_min_i32_e32 v0, s33, v0
	v_mad_i64_i32 v[0:1], s[2:3], v0, s23, 0
	s_or_b64 s[2:3], s[6:7], s[14:15]
	s_nop 0
	v_cndmask_b32_e64 v125, 0, v123, s[2:3]
	s_or_b64 s[2:3], s[4:5], s[2:3]
	v_lshl_add_u64 v[0:1], v[0:1], 1, s[26:27]
	s_xor_b64 s[36:37], s[2:3], -1
	s_and_saveexec_b64 s[2:3], s[36:37]
	s_cbranch_execz .LBB228_34
; %bb.33:                               ;   in Loop: Header=BB228_30 Depth=1
	v_lshl_add_u64 v[2:3], v[32:33], 1, v[0:1]
	flat_load_ushort v2, v[2:3]
	s_waitcnt vmcnt(0) lgkmcnt(0)
	v_mul_f16_e32 v125, v46, v2
.LBB228_34:                             ;   in Loop: Header=BB228_30 Depth=1
	s_or_b64 exec, exec, s[2:3]
	s_or_b64 s[2:3], s[8:9], s[14:15]
	v_cndmask_b32_e64 v126, 0, v123, s[2:3]
	s_or_b64 s[2:3], s[4:5], s[2:3]
	s_xor_b64 s[36:37], s[2:3], -1
	s_and_saveexec_b64 s[2:3], s[36:37]
	s_cbranch_execz .LBB228_36
; %bb.35:                               ;   in Loop: Header=BB228_30 Depth=1
	v_lshl_add_u64 v[2:3], v[34:35], 1, v[0:1]
	flat_load_ushort v2, v[2:3]
	s_waitcnt vmcnt(0) lgkmcnt(0)
	v_mul_f16_e32 v126, v46, v2
.LBB228_36:                             ;   in Loop: Header=BB228_30 Depth=1
	s_or_b64 exec, exec, s[2:3]
	s_or_b64 s[2:3], s[10:11], s[14:15]
	v_cndmask_b32_e64 v127, 0, v123, s[2:3]
	s_or_b64 s[2:3], s[4:5], s[2:3]
	;; [unrolled: 13-line block ×3, first 2 shown]
	s_xor_b64 s[14:15], s[2:3], -1
	s_and_saveexec_b64 s[2:3], s[14:15]
	s_cbranch_execz .LBB228_40
; %bb.39:                               ;   in Loop: Header=BB228_30 Depth=1
	v_lshl_add_u64 v[0:1], v[38:39], 1, v[0:1]
	flat_load_ushort v0, v[0:1]
	s_waitcnt vmcnt(0) lgkmcnt(0)
	v_mul_f16_e32 v128, v46, v0
.LBB228_40:                             ;   in Loop: Header=BB228_30 Depth=1
	s_or_b64 exec, exec, s[2:3]
	ds_read2_b64 v[12:15], v121 offset1:8
	ds_read2_b64 v[8:11], v121 offset0:16 offset1:24
	ds_read2_b64 v[4:7], v121 offset0:32 offset1:40
	;; [unrolled: 1-line block ×3, first 2 shown]
	ds_read2_b64 v[28:31], v122 offset1:32
	ds_read2_b64 v[24:27], v122 offset0:64 offset1:96
	ds_read2_b64 v[20:23], v122 offset0:128 offset1:160
	;; [unrolled: 1-line block ×3, first 2 shown]
	v_add_u32_e32 v42, 12, v42
	v_cmp_le_i32_e64 s[2:3], s22, v42
	s_or_b64 s[2:3], s[2:3], vcc
	ds_write_b16 v118, v124
	ds_write_b16 v51, v125
	ds_write_b16 v51, v126 offset:512
	ds_write_b16 v51, v127 offset:1024
	;; [unrolled: 1-line block ×3, first 2 shown]
	v_cndmask_b32_e64 v124, 0, v123, s[2:3]
	s_or_b64 s[2:3], s[4:5], s[2:3]
	s_xor_b64 s[2:3], s[2:3], -1
	s_waitcnt lgkmcnt(0)
	s_barrier
	s_and_saveexec_b64 s[14:15], s[2:3]
	s_xor_b64 s[2:3], exec, s[14:15]
	s_cbranch_execz .LBB228_42
; %bb.41:                               ;   in Loop: Header=BB228_30 Depth=1
	flat_load_ushort v42, v[40:41]
	s_waitcnt vmcnt(0) lgkmcnt(0)
	v_mul_f16_e32 v124, v46, v42
.LBB228_42:                             ;   in Loop: Header=BB228_30 Depth=1
	s_or_b64 exec, exec, s[2:3]
	v_add_u32_e32 v42, 12, v43
	v_cmp_le_i32_e64 s[14:15], s22, v42
	v_min_i32_e32 v42, s33, v42
	v_mad_i64_i32 v[42:43], s[2:3], v42, s23, 0
	s_or_b64 s[2:3], s[6:7], s[14:15]
	s_nop 0
	v_cndmask_b32_e64 v125, 0, v123, s[2:3]
	s_or_b64 s[2:3], s[4:5], s[2:3]
	v_lshl_add_u64 v[42:43], v[42:43], 1, s[26:27]
	s_xor_b64 s[36:37], s[2:3], -1
	s_and_saveexec_b64 s[2:3], s[36:37]
	s_cbranch_execz .LBB228_44
; %bb.43:                               ;   in Loop: Header=BB228_30 Depth=1
	v_lshl_add_u64 v[126:127], v[32:33], 1, v[42:43]
	flat_load_ushort v125, v[126:127]
	s_waitcnt vmcnt(0) lgkmcnt(0)
	v_mul_f16_e32 v125, v46, v125
.LBB228_44:                             ;   in Loop: Header=BB228_30 Depth=1
	s_or_b64 exec, exec, s[2:3]
	s_or_b64 s[2:3], s[8:9], s[14:15]
	v_cndmask_b32_e64 v126, 0, v123, s[2:3]
	s_or_b64 s[2:3], s[4:5], s[2:3]
	s_xor_b64 s[36:37], s[2:3], -1
	s_and_saveexec_b64 s[2:3], s[36:37]
	s_cbranch_execz .LBB228_46
; %bb.45:                               ;   in Loop: Header=BB228_30 Depth=1
	v_lshl_add_u64 v[126:127], v[34:35], 1, v[42:43]
	flat_load_ushort v126, v[126:127]
	s_waitcnt vmcnt(0) lgkmcnt(0)
	v_mul_f16_e32 v126, v46, v126
.LBB228_46:                             ;   in Loop: Header=BB228_30 Depth=1
	s_or_b64 exec, exec, s[2:3]
	s_or_b64 s[2:3], s[10:11], s[14:15]
	v_cndmask_b32_e64 v127, 0, v123, s[2:3]
	s_or_b64 s[2:3], s[4:5], s[2:3]
	s_xor_b64 s[36:37], s[2:3], -1
	s_and_saveexec_b64 s[2:3], s[36:37]
	s_cbranch_execz .LBB228_48
; %bb.47:                               ;   in Loop: Header=BB228_30 Depth=1
	v_lshl_add_u64 v[128:129], v[36:37], 1, v[42:43]
	flat_load_ushort v127, v[128:129]
	s_waitcnt vmcnt(0) lgkmcnt(0)
	v_mul_f16_e32 v127, v46, v127
.LBB228_48:                             ;   in Loop: Header=BB228_30 Depth=1
	s_or_b64 exec, exec, s[2:3]
	v_pk_add_f16 v128, v12, v28
	v_pk_max_f16 v117, v117, v117
	v_pk_max_f16 v116, v116, v116
	v_pk_min_f16 v117, v117, v128
	v_pk_add_f16 v128, v14, v28
	v_pk_max_f16 v115, v115, v115
	v_pk_min_f16 v116, v116, v128
	v_pk_add_f16 v128, v8, v28
	v_pk_max_f16 v114, v114, v114
	v_pk_min_f16 v115, v115, v128
	v_pk_add_f16 v128, v10, v28
	v_pk_max_f16 v113, v113, v113
	v_pk_min_f16 v128, v114, v128
	v_pk_add_f16 v114, v4, v28
	v_pk_max_f16 v112, v112, v112
	v_pk_min_f16 v129, v113, v114
	v_pk_add_f16 v113, v6, v28
	v_pk_max_f16 v110, v110, v110
	v_pk_min_f16 v130, v112, v113
	v_pk_add_f16 v112, v0, v28
	v_pk_add_f16 v28, v2, v28
	v_pk_max_f16 v109, v109, v109
	v_pk_min_f16 v28, v110, v28
	v_pk_add_f16 v110, v12, v30
	v_pk_max_f16 v108, v108, v108
	v_pk_min_f16 v132, v109, v110
	v_pk_add_f16 v109, v14, v30
	v_pk_max_f16 v107, v107, v107
	v_pk_min_f16 v133, v108, v109
	v_pk_add_f16 v108, v8, v30
	v_pk_max_f16 v106, v106, v106
	v_pk_min_f16 v134, v107, v108
	v_pk_add_f16 v107, v10, v30
	v_pk_max_f16 v105, v105, v105
	v_pk_min_f16 v135, v106, v107
	v_pk_add_f16 v106, v4, v30
	v_pk_max_f16 v104, v104, v104
	v_pk_min_f16 v136, v105, v106
	v_pk_add_f16 v105, v6, v30
	v_pk_max_f16 v102, v102, v102
	v_pk_min_f16 v137, v104, v105
	v_pk_add_f16 v104, v0, v30
	v_pk_add_f16 v30, v2, v30
	v_pk_max_f16 v101, v101, v101
	v_pk_min_f16 v30, v102, v30
	v_pk_add_f16 v102, v12, v24
	;; [unrolled: 22-line block ×6, first 2 shown]
	v_pk_max_f16 v67, v67, v67
	v_pk_min_f16 v167, v68, v69
	v_pk_add_f16 v68, v14, v16
	v_pk_max_f16 v66, v66, v66
	v_pk_min_f16 v168, v67, v68
	v_pk_add_f16 v67, v8, v16
	;; [unrolled: 3-line block ×5, first 2 shown]
	v_pk_add_f16 v12, v12, v18
	v_pk_min_f16 v172, v63, v64
	v_pk_add_f16 v63, v0, v16
	v_pk_add_f16 v16, v2, v16
	;; [unrolled: 1-line block ×9, first 2 shown]
	v_pk_max_f16 v18, v57, v57
	v_pk_max_f16 v111, v111, v111
	v_pk_min_f16 v2, v18, v2
	v_pk_add_f16 v18, v13, v29
	v_pk_min_f16 v131, v111, v112
	v_pk_min_f16 v114, v117, v18
	v_pk_add_f16 v18, v15, v29
	v_pk_max_f16 v103, v103, v103
	v_pk_min_f16 v113, v116, v18
	v_pk_add_f16 v18, v9, v29
	v_pk_min_f16 v138, v103, v104
	v_pk_min_f16 v112, v115, v18
	v_pk_add_f16 v18, v11, v29
	;; [unrolled: 6-line block ×8, first 2 shown]
	v_pk_max_f16 v60, v60, v60
	v_pk_min_f16 v99, v30, v18
	v_pk_add_f16 v18, v13, v25
	v_pk_max_f16 v58, v58, v58
	v_pk_min_f16 v98, v139, v18
	v_pk_add_f16 v18, v15, v25
	;; [unrolled: 3-line block ×4, first 2 shown]
	v_pk_min_f16 v12, v60, v12
	v_pk_min_f16 v95, v142, v18
	v_pk_add_f16 v18, v5, v25
	v_pk_max_f16 v59, v59, v59
	v_pk_min_f16 v93, v143, v18
	v_pk_add_f16 v18, v7, v25
	v_pk_min_f16 v8, v58, v8
	v_pk_min_f16 v92, v144, v18
	v_pk_add_f16 v18, v1, v25
	v_pk_max_f16 v56, v56, v56
	v_pk_min_f16 v91, v145, v18
	v_pk_add_f16 v18, v3, v25
	v_pk_min_f16 v4, v55, v4
	v_pk_min_f16 v90, v24, v18
	v_pk_add_f16 v18, v13, v27
	v_pk_max_f16 v54, v54, v54
	v_pk_min_f16 v89, v146, v18
	v_pk_add_f16 v18, v15, v27
	v_pk_min_f16 v0, v53, v0
	v_pk_min_f16 v88, v147, v18
	v_pk_add_f16 v18, v9, v27
	s_or_b64 s[2:3], s[12:13], s[14:15]
	v_pk_min_f16 v87, v148, v18
	v_pk_add_f16 v18, v11, v27
	v_pk_min_f16 v14, v59, v14
	v_pk_min_f16 v86, v149, v18
	v_pk_add_f16 v18, v5, v27
	v_pk_min_f16 v10, v56, v10
	;; [unrolled: 3-line block ×3, first 2 shown]
	v_pk_min_f16 v84, v151, v18
	v_pk_add_f16 v18, v1, v27
	v_cndmask_b32_e64 v28, 0, v123, s[2:3]
	v_pk_min_f16 v83, v152, v18
	v_pk_add_f16 v18, v3, v27
	s_or_b64 s[2:3], s[4:5], s[2:3]
	v_pk_min_f16 v82, v26, v18
	v_pk_add_f16 v18, v13, v21
	s_xor_b64 s[14:15], s[2:3], -1
	v_pk_min_f16 v81, v153, v18
	v_pk_add_f16 v18, v15, v21
	s_nop 0
	v_pk_min_f16 v80, v154, v18
	v_pk_add_f16 v18, v9, v21
	s_nop 0
	;; [unrolled: 3-line block ×15, first 2 shown]
	v_pk_min_f16 v66, v22, v18
	v_pk_add_f16 v18, v13, v17
	v_pk_add_f16 v13, v13, v19
	v_pk_min_f16 v65, v167, v18
	v_pk_add_f16 v18, v15, v17
	v_pk_min_f16 v57, v12, v13
	v_pk_min_f16 v64, v168, v18
	v_pk_add_f16 v18, v9, v17
	v_pk_add_f16 v9, v9, v19
	v_pk_min_f16 v63, v169, v18
	v_pk_add_f16 v18, v11, v17
	v_pk_add_f16 v12, v15, v19
	;; [unrolled: 3-line block ×3, first 2 shown]
	v_pk_min_f16 v61, v171, v18
	v_pk_add_f16 v18, v7, v17
	v_pk_min_f16 v55, v8, v9
	v_pk_min_f16 v60, v172, v18
	v_pk_add_f16 v18, v1, v17
	v_pk_add_f16 v1, v1, v19
	;; [unrolled: 1-line block ×4, first 2 shown]
	v_pk_min_f16 v53, v4, v5
	v_pk_add_f16 v4, v7, v19
	v_pk_min_f16 v30, v0, v1
	v_pk_add_f16 v0, v3, v19
	v_pk_min_f16 v59, v173, v18
	v_pk_min_f16 v58, v16, v17
	;; [unrolled: 1-line block ×6, first 2 shown]
	s_and_saveexec_b64 s[2:3], s[14:15]
	s_cbranch_execz .LBB228_29
; %bb.49:                               ;   in Loop: Header=BB228_30 Depth=1
	v_lshl_add_u64 v[0:1], v[38:39], 1, v[42:43]
	flat_load_ushort v0, v[0:1]
	s_waitcnt vmcnt(0) lgkmcnt(0)
	v_mul_f16_e32 v28, v46, v0
	s_branch .LBB228_29
.LBB228_50:
	s_load_dwordx2 s[2:3], s[0:1], 0x78
	s_load_dword s29, s[0:1], 0x58
	s_load_dword s28, s[0:1], 0x70
	v_add_u32_e32 v0, 0x1000, v49
	v_add_u32_e32 v4, 0x800, v50
	ds_read2_b64 v[16:19], v0 offset0:64 offset1:72
	ds_read2_b64 v[12:15], v0 offset0:80 offset1:88
	;; [unrolled: 1-line block ×4, first 2 shown]
	ds_read2_b64 v[28:31], v4 offset1:32
	ds_read2_b64 v[24:27], v4 offset0:64 offset1:96
	ds_read2_b64 v[20:23], v4 offset0:128 offset1:160
	;; [unrolled: 1-line block ×3, first 2 shown]
	s_waitcnt lgkmcnt(0)
	s_lshl_b64 s[0:1], s[2:3], 1
	s_add_u32 s22, s18, s0
	v_add_u32_e32 v94, s31, v45
	s_addc_u32 s23, s19, s1
	v_mad_i64_i32 v[34:35], s[0:1], v94, s29, 0
	v_add_u32_e32 v32, s30, v44
	v_lshl_add_u64 v[50:51], v[34:35], 1, s[24:25]
	v_mad_i64_i32 v[34:35], s[0:1], v94, s28, 0
	v_cmp_gt_i32_e64 s[4:5], s20, v32
	v_cmp_gt_i32_e64 s[18:19], s21, v94
	v_lshl_add_u64 v[48:49], v[34:35], 1, s[22:23]
	v_cndmask_b32_e64 v34, 0, 1, s[16:17]
	v_ashrrev_i32_e32 v33, 31, v32
	s_and_b64 s[2:3], s[4:5], s[18:19]
	v_cmp_ne_u32_e64 s[0:1], 1, v34
	s_and_saveexec_b64 s[6:7], s[2:3]
	s_xor_b64 s[2:3], exec, s[6:7]
	s_cbranch_execz .LBB228_55
; %bb.51:
	s_and_b64 vcc, exec, s[0:1]
	s_cbranch_vccnz .LBB228_53
; %bb.52:
	v_lshl_add_u64 v[34:35], v[32:33], 1, v[50:51]
	flat_load_ushort v34, v[34:35]
	s_waitcnt vmcnt(0) lgkmcnt(0)
	v_mul_f16_e32 v34, v52, v34
	s_branch .LBB228_54
.LBB228_53:
	v_mov_b32_e32 v34, 0
.LBB228_54:
	v_pk_add_f16 v35, v16, v28
	v_pk_max_f16 v36, v117, v117
	s_nop 0
	v_pk_min_f16 v35, v36, v35
	v_pk_add_f16 v36, v17, v29
	s_nop 0
	v_pk_min_f16 v35, v35, v36
	s_nop 0
	v_lshrrev_b32_e32 v36, 16, v35
	v_min3_f16 v36, v34, v35, v36
	v_lshl_add_u64 v[34:35], v[32:33], 1, v[48:49]
	global_store_short v[34:35], v36, off
.LBB228_55:
	s_or_b64 exec, exec, s[2:3]
	v_add_u32_e32 v34, 8, v32
	v_cmp_gt_i32_e64 s[2:3], s20, v34
	v_ashrrev_i32_e32 v35, 31, v34
	s_and_b64 s[8:9], s[2:3], s[18:19]
	s_and_saveexec_b64 s[6:7], s[8:9]
	s_cbranch_execz .LBB228_60
; %bb.56:
	s_and_b64 vcc, exec, s[0:1]
	s_cbranch_vccnz .LBB228_58
; %bb.57:
	v_lshl_add_u64 v[36:37], v[34:35], 1, v[50:51]
	flat_load_ushort v36, v[36:37]
	s_waitcnt vmcnt(0) lgkmcnt(0)
	v_mul_f16_e32 v36, v52, v36
	s_branch .LBB228_59
.LBB228_58:
	v_mov_b32_e32 v36, 0
.LBB228_59:
	v_pk_add_f16 v37, v18, v28
	v_pk_max_f16 v38, v116, v116
	s_nop 0
	v_pk_min_f16 v37, v38, v37
	v_pk_add_f16 v38, v19, v29
	s_nop 0
	v_pk_min_f16 v37, v37, v38
	s_nop 0
	v_lshrrev_b32_e32 v38, 16, v37
	v_min3_f16 v38, v36, v37, v38
	v_lshl_add_u64 v[36:37], v[34:35], 1, v[48:49]
	global_store_short v[36:37], v38, off
.LBB228_60:
	s_or_b64 exec, exec, s[6:7]
	v_add_u32_e32 v36, 16, v32
	v_cmp_gt_i32_e64 s[6:7], s20, v36
	v_ashrrev_i32_e32 v37, 31, v36
	s_and_b64 s[10:11], s[6:7], s[18:19]
	s_and_saveexec_b64 s[8:9], s[10:11]
	;; [unrolled: 32-line block ×7, first 2 shown]
	s_cbranch_execz .LBB228_90
; %bb.86:
	s_and_b64 vcc, exec, s[0:1]
	s_cbranch_vccnz .LBB228_88
; %bb.87:
	v_lshl_add_u64 v[50:51], v[46:47], 1, v[50:51]
	flat_load_ushort v50, v[50:51]
	s_waitcnt vmcnt(0) lgkmcnt(0)
	v_mul_f16_e32 v50, v52, v50
	s_branch .LBB228_89
.LBB228_88:
	v_mov_b32_e32 v50, 0
.LBB228_89:
	v_pk_add_f16 v28, v2, v28
	v_pk_max_f16 v51, v110, v110
	v_pk_add_f16 v29, v3, v29
	v_pk_min_f16 v28, v51, v28
	s_nop 0
	v_pk_min_f16 v28, v28, v29
	s_nop 0
	v_lshrrev_b32_e32 v29, 16, v28
	v_min3_f16 v50, v50, v28, v29
	v_lshl_add_u64 v[28:29], v[46:47], 1, v[48:49]
	global_store_short v[28:29], v50, off
.LBB228_90:
	s_or_b64 exec, exec, s[18:19]
	v_add_u32_e32 v50, 32, v94
	v_mad_i64_i32 v[28:29], s[26:27], v50, s29, 0
	v_cmp_gt_i32_e64 s[18:19], s21, v50
	v_lshl_add_u64 v[48:49], v[28:29], 1, s[24:25]
	v_mad_i64_i32 v[28:29], s[26:27], v50, s28, 0
	v_lshl_add_u64 v[28:29], v[28:29], 1, s[22:23]
	s_and_b64 s[30:31], s[4:5], s[18:19]
	s_and_saveexec_b64 s[26:27], s[30:31]
	s_cbranch_execnz .LBB228_98
; %bb.91:
	s_or_b64 exec, exec, s[26:27]
	s_and_b64 s[30:31], s[2:3], s[18:19]
	s_and_saveexec_b64 s[26:27], s[30:31]
	s_cbranch_execnz .LBB228_102
.LBB228_92:
	s_or_b64 exec, exec, s[26:27]
	s_and_b64 s[30:31], s[6:7], s[18:19]
	s_and_saveexec_b64 s[26:27], s[30:31]
	s_cbranch_execnz .LBB228_106
.LBB228_93:
	s_or_b64 exec, exec, s[26:27]
	s_and_b64 s[30:31], s[8:9], s[18:19]
	s_and_saveexec_b64 s[26:27], s[30:31]
	s_cbranch_execnz .LBB228_110
.LBB228_94:
	s_or_b64 exec, exec, s[26:27]
	s_and_b64 s[30:31], s[10:11], s[18:19]
	s_and_saveexec_b64 s[26:27], s[30:31]
	s_cbranch_execnz .LBB228_114
.LBB228_95:
	s_or_b64 exec, exec, s[26:27]
	s_and_b64 s[30:31], s[12:13], s[18:19]
	s_and_saveexec_b64 s[26:27], s[30:31]
	s_cbranch_execnz .LBB228_118
.LBB228_96:
	s_or_b64 exec, exec, s[26:27]
	s_and_b64 s[30:31], s[14:15], s[18:19]
	s_and_saveexec_b64 s[26:27], s[30:31]
	s_cbranch_execnz .LBB228_122
.LBB228_97:
	s_or_b64 exec, exec, s[26:27]
	s_and_b64 s[26:27], s[16:17], s[18:19]
	s_and_saveexec_b64 s[18:19], s[26:27]
	s_cbranch_execnz .LBB228_126
	s_branch .LBB228_130
.LBB228_98:
	s_and_b64 vcc, exec, s[0:1]
	s_cbranch_vccnz .LBB228_100
; %bb.99:
	v_lshl_add_u64 v[50:51], v[32:33], 1, v[48:49]
	flat_load_ushort v50, v[50:51]
	s_waitcnt vmcnt(0) lgkmcnt(0)
	v_mul_f16_e32 v50, v52, v50
	s_branch .LBB228_101
.LBB228_100:
	v_mov_b32_e32 v50, 0
.LBB228_101:
	v_pk_add_f16 v51, v16, v30
	v_pk_max_f16 v109, v109, v109
	s_nop 0
	v_pk_min_f16 v51, v109, v51
	v_pk_add_f16 v109, v17, v31
	s_nop 0
	v_pk_min_f16 v51, v51, v109
	s_nop 0
	v_lshrrev_b32_e32 v109, 16, v51
	v_min3_f16 v109, v50, v51, v109
	v_lshl_add_u64 v[50:51], v[32:33], 1, v[28:29]
	global_store_short v[50:51], v109, off
	s_or_b64 exec, exec, s[26:27]
	s_and_b64 s[30:31], s[2:3], s[18:19]
	s_and_saveexec_b64 s[26:27], s[30:31]
	s_cbranch_execz .LBB228_92
.LBB228_102:
	s_and_b64 vcc, exec, s[0:1]
	s_cbranch_vccnz .LBB228_104
; %bb.103:
	v_lshl_add_u64 v[50:51], v[34:35], 1, v[48:49]
	flat_load_ushort v50, v[50:51]
	s_waitcnt vmcnt(0) lgkmcnt(0)
	v_mul_f16_e32 v50, v52, v50
	s_branch .LBB228_105
.LBB228_104:
	v_mov_b32_e32 v50, 0
.LBB228_105:
	v_pk_add_f16 v51, v18, v30
	v_pk_max_f16 v108, v108, v108
	s_nop 0
	v_pk_min_f16 v51, v108, v51
	v_pk_add_f16 v108, v19, v31
	s_nop 0
	v_pk_min_f16 v51, v51, v108
	s_nop 0
	v_lshrrev_b32_e32 v108, 16, v51
	v_min3_f16 v108, v50, v51, v108
	v_lshl_add_u64 v[50:51], v[34:35], 1, v[28:29]
	global_store_short v[50:51], v108, off
	s_or_b64 exec, exec, s[26:27]
	s_and_b64 s[30:31], s[6:7], s[18:19]
	s_and_saveexec_b64 s[26:27], s[30:31]
	s_cbranch_execz .LBB228_93
.LBB228_106:
	s_and_b64 vcc, exec, s[0:1]
	s_cbranch_vccnz .LBB228_108
; %bb.107:
	v_lshl_add_u64 v[50:51], v[36:37], 1, v[48:49]
	flat_load_ushort v50, v[50:51]
	s_waitcnt vmcnt(0) lgkmcnt(0)
	v_mul_f16_e32 v50, v52, v50
	s_branch .LBB228_109
.LBB228_108:
	v_mov_b32_e32 v50, 0
.LBB228_109:
	v_pk_add_f16 v51, v12, v30
	v_pk_max_f16 v107, v107, v107
	s_nop 0
	v_pk_min_f16 v51, v107, v51
	v_pk_add_f16 v107, v13, v31
	s_nop 0
	v_pk_min_f16 v51, v51, v107
	s_nop 0
	v_lshrrev_b32_e32 v107, 16, v51
	v_min3_f16 v107, v50, v51, v107
	v_lshl_add_u64 v[50:51], v[36:37], 1, v[28:29]
	global_store_short v[50:51], v107, off
	s_or_b64 exec, exec, s[26:27]
	s_and_b64 s[30:31], s[8:9], s[18:19]
	s_and_saveexec_b64 s[26:27], s[30:31]
	s_cbranch_execz .LBB228_94
.LBB228_110:
	s_and_b64 vcc, exec, s[0:1]
	s_cbranch_vccnz .LBB228_112
; %bb.111:
	v_lshl_add_u64 v[50:51], v[38:39], 1, v[48:49]
	flat_load_ushort v50, v[50:51]
	s_waitcnt vmcnt(0) lgkmcnt(0)
	v_mul_f16_e32 v50, v52, v50
	s_branch .LBB228_113
.LBB228_112:
	v_mov_b32_e32 v50, 0
.LBB228_113:
	v_pk_add_f16 v51, v14, v30
	v_pk_max_f16 v106, v106, v106
	s_nop 0
	v_pk_min_f16 v51, v106, v51
	v_pk_add_f16 v106, v15, v31
	s_nop 0
	v_pk_min_f16 v51, v51, v106
	s_nop 0
	v_lshrrev_b32_e32 v106, 16, v51
	v_min3_f16 v106, v50, v51, v106
	v_lshl_add_u64 v[50:51], v[38:39], 1, v[28:29]
	global_store_short v[50:51], v106, off
	s_or_b64 exec, exec, s[26:27]
	s_and_b64 s[30:31], s[10:11], s[18:19]
	s_and_saveexec_b64 s[26:27], s[30:31]
	s_cbranch_execz .LBB228_95
.LBB228_114:
	s_and_b64 vcc, exec, s[0:1]
	s_cbranch_vccnz .LBB228_116
; %bb.115:
	v_lshl_add_u64 v[50:51], v[40:41], 1, v[48:49]
	flat_load_ushort v50, v[50:51]
	s_waitcnt vmcnt(0) lgkmcnt(0)
	v_mul_f16_e32 v50, v52, v50
	s_branch .LBB228_117
.LBB228_116:
	v_mov_b32_e32 v50, 0
.LBB228_117:
	v_pk_add_f16 v51, v8, v30
	v_pk_max_f16 v105, v105, v105
	s_nop 0
	v_pk_min_f16 v51, v105, v51
	v_pk_add_f16 v105, v9, v31
	s_nop 0
	v_pk_min_f16 v51, v51, v105
	s_nop 0
	v_lshrrev_b32_e32 v105, 16, v51
	v_min3_f16 v105, v50, v51, v105
	v_lshl_add_u64 v[50:51], v[40:41], 1, v[28:29]
	global_store_short v[50:51], v105, off
	s_or_b64 exec, exec, s[26:27]
	s_and_b64 s[30:31], s[12:13], s[18:19]
	s_and_saveexec_b64 s[26:27], s[30:31]
	s_cbranch_execz .LBB228_96
.LBB228_118:
	s_and_b64 vcc, exec, s[0:1]
	s_cbranch_vccnz .LBB228_120
; %bb.119:
	v_lshl_add_u64 v[50:51], v[42:43], 1, v[48:49]
	flat_load_ushort v50, v[50:51]
	s_waitcnt vmcnt(0) lgkmcnt(0)
	v_mul_f16_e32 v50, v52, v50
	s_branch .LBB228_121
.LBB228_120:
	v_mov_b32_e32 v50, 0
.LBB228_121:
	v_pk_add_f16 v51, v10, v30
	v_pk_max_f16 v104, v104, v104
	s_nop 0
	v_pk_min_f16 v51, v104, v51
	v_pk_add_f16 v104, v11, v31
	s_nop 0
	v_pk_min_f16 v51, v51, v104
	s_nop 0
	v_lshrrev_b32_e32 v104, 16, v51
	v_min3_f16 v104, v50, v51, v104
	v_lshl_add_u64 v[50:51], v[42:43], 1, v[28:29]
	global_store_short v[50:51], v104, off
	s_or_b64 exec, exec, s[26:27]
	s_and_b64 s[30:31], s[14:15], s[18:19]
	s_and_saveexec_b64 s[26:27], s[30:31]
	s_cbranch_execz .LBB228_97
.LBB228_122:
	s_and_b64 vcc, exec, s[0:1]
	s_cbranch_vccnz .LBB228_124
; %bb.123:
	v_lshl_add_u64 v[50:51], v[44:45], 1, v[48:49]
	flat_load_ushort v50, v[50:51]
	s_waitcnt vmcnt(0) lgkmcnt(0)
	v_mul_f16_e32 v50, v52, v50
	s_branch .LBB228_125
.LBB228_124:
	v_mov_b32_e32 v50, 0
.LBB228_125:
	v_pk_add_f16 v51, v0, v30
	v_pk_max_f16 v103, v103, v103
	s_nop 0
	v_pk_min_f16 v51, v103, v51
	v_pk_add_f16 v103, v1, v31
	s_nop 0
	v_pk_min_f16 v51, v51, v103
	s_nop 0
	v_lshrrev_b32_e32 v103, 16, v51
	v_min3_f16 v103, v50, v51, v103
	v_lshl_add_u64 v[50:51], v[44:45], 1, v[28:29]
	global_store_short v[50:51], v103, off
	s_or_b64 exec, exec, s[26:27]
	s_and_b64 s[26:27], s[16:17], s[18:19]
	s_and_saveexec_b64 s[18:19], s[26:27]
	s_cbranch_execz .LBB228_130
.LBB228_126:
	s_and_b64 vcc, exec, s[0:1]
	s_cbranch_vccnz .LBB228_128
; %bb.127:
	v_lshl_add_u64 v[48:49], v[46:47], 1, v[48:49]
	flat_load_ushort v48, v[48:49]
	s_waitcnt vmcnt(0) lgkmcnt(0)
	v_mul_f16_e32 v48, v52, v48
	s_branch .LBB228_129
.LBB228_128:
	v_mov_b32_e32 v48, 0
.LBB228_129:
	v_pk_add_f16 v30, v2, v30
	v_pk_max_f16 v49, v102, v102
	v_pk_add_f16 v31, v3, v31
	v_pk_min_f16 v30, v49, v30
	v_lshl_add_u64 v[28:29], v[46:47], 1, v[28:29]
	v_pk_min_f16 v30, v30, v31
	s_nop 0
	v_lshrrev_b32_e32 v31, 16, v30
	v_min3_f16 v30, v48, v30, v31
	global_store_short v[28:29], v30, off
.LBB228_130:
	s_or_b64 exec, exec, s[18:19]
	v_add_u32_e32 v48, 64, v94
	v_mad_i64_i32 v[28:29], s[26:27], v48, s29, 0
	v_cmp_gt_i32_e64 s[18:19], s21, v48
	v_lshl_add_u64 v[30:31], v[28:29], 1, s[24:25]
	v_mad_i64_i32 v[28:29], s[26:27], v48, s28, 0
	v_lshl_add_u64 v[28:29], v[28:29], 1, s[22:23]
	s_and_b64 s[30:31], s[4:5], s[18:19]
	s_and_saveexec_b64 s[26:27], s[30:31]
	s_cbranch_execnz .LBB228_138
; %bb.131:
	s_or_b64 exec, exec, s[26:27]
	s_and_b64 s[30:31], s[2:3], s[18:19]
	s_and_saveexec_b64 s[26:27], s[30:31]
	s_cbranch_execnz .LBB228_142
.LBB228_132:
	s_or_b64 exec, exec, s[26:27]
	s_and_b64 s[30:31], s[6:7], s[18:19]
	s_and_saveexec_b64 s[26:27], s[30:31]
	s_cbranch_execnz .LBB228_146
.LBB228_133:
	s_or_b64 exec, exec, s[26:27]
	s_and_b64 s[30:31], s[8:9], s[18:19]
	s_and_saveexec_b64 s[26:27], s[30:31]
	s_cbranch_execnz .LBB228_150
.LBB228_134:
	s_or_b64 exec, exec, s[26:27]
	s_and_b64 s[30:31], s[10:11], s[18:19]
	s_and_saveexec_b64 s[26:27], s[30:31]
	s_cbranch_execnz .LBB228_154
.LBB228_135:
	s_or_b64 exec, exec, s[26:27]
	s_and_b64 s[30:31], s[12:13], s[18:19]
	s_and_saveexec_b64 s[26:27], s[30:31]
	s_cbranch_execnz .LBB228_158
.LBB228_136:
	s_or_b64 exec, exec, s[26:27]
	s_and_b64 s[30:31], s[14:15], s[18:19]
	s_and_saveexec_b64 s[26:27], s[30:31]
	s_cbranch_execnz .LBB228_162
.LBB228_137:
	s_or_b64 exec, exec, s[26:27]
	s_and_b64 s[26:27], s[16:17], s[18:19]
	s_and_saveexec_b64 s[18:19], s[26:27]
	s_cbranch_execnz .LBB228_166
	s_branch .LBB228_170
.LBB228_138:
	s_and_b64 vcc, exec, s[0:1]
	s_cbranch_vccnz .LBB228_140
; %bb.139:
	v_lshl_add_u64 v[48:49], v[32:33], 1, v[30:31]
	flat_load_ushort v48, v[48:49]
	s_waitcnt vmcnt(0) lgkmcnt(0)
	v_mul_f16_e32 v48, v52, v48
	s_branch .LBB228_141
.LBB228_140:
	v_mov_b32_e32 v48, 0
.LBB228_141:
	v_pk_add_f16 v49, v16, v24
	v_pk_max_f16 v50, v101, v101
	s_nop 0
	v_pk_min_f16 v49, v50, v49
	v_pk_add_f16 v50, v17, v25
	s_nop 0
	v_pk_min_f16 v49, v49, v50
	s_nop 0
	v_lshrrev_b32_e32 v50, 16, v49
	v_min3_f16 v50, v48, v49, v50
	v_lshl_add_u64 v[48:49], v[32:33], 1, v[28:29]
	global_store_short v[48:49], v50, off
	s_or_b64 exec, exec, s[26:27]
	s_and_b64 s[30:31], s[2:3], s[18:19]
	s_and_saveexec_b64 s[26:27], s[30:31]
	s_cbranch_execz .LBB228_132
.LBB228_142:
	s_and_b64 vcc, exec, s[0:1]
	s_cbranch_vccnz .LBB228_144
; %bb.143:
	v_lshl_add_u64 v[48:49], v[34:35], 1, v[30:31]
	flat_load_ushort v48, v[48:49]
	s_waitcnt vmcnt(0) lgkmcnt(0)
	v_mul_f16_e32 v48, v52, v48
	s_branch .LBB228_145
.LBB228_144:
	v_mov_b32_e32 v48, 0
.LBB228_145:
	v_pk_add_f16 v49, v18, v24
	v_pk_max_f16 v50, v100, v100
	s_nop 0
	v_pk_min_f16 v49, v50, v49
	v_pk_add_f16 v50, v19, v25
	s_nop 0
	v_pk_min_f16 v49, v49, v50
	s_nop 0
	v_lshrrev_b32_e32 v50, 16, v49
	v_min3_f16 v50, v48, v49, v50
	v_lshl_add_u64 v[48:49], v[34:35], 1, v[28:29]
	global_store_short v[48:49], v50, off
	s_or_b64 exec, exec, s[26:27]
	s_and_b64 s[30:31], s[6:7], s[18:19]
	s_and_saveexec_b64 s[26:27], s[30:31]
	s_cbranch_execz .LBB228_133
.LBB228_146:
	s_and_b64 vcc, exec, s[0:1]
	s_cbranch_vccnz .LBB228_148
; %bb.147:
	v_lshl_add_u64 v[48:49], v[36:37], 1, v[30:31]
	flat_load_ushort v48, v[48:49]
	s_waitcnt vmcnt(0) lgkmcnt(0)
	v_mul_f16_e32 v48, v52, v48
	s_branch .LBB228_149
.LBB228_148:
	v_mov_b32_e32 v48, 0
.LBB228_149:
	v_pk_add_f16 v49, v12, v24
	v_pk_max_f16 v50, v99, v99
	s_nop 0
	v_pk_min_f16 v49, v50, v49
	v_pk_add_f16 v50, v13, v25
	s_nop 0
	v_pk_min_f16 v49, v49, v50
	s_nop 0
	v_lshrrev_b32_e32 v50, 16, v49
	v_min3_f16 v50, v48, v49, v50
	v_lshl_add_u64 v[48:49], v[36:37], 1, v[28:29]
	global_store_short v[48:49], v50, off
	s_or_b64 exec, exec, s[26:27]
	s_and_b64 s[30:31], s[8:9], s[18:19]
	s_and_saveexec_b64 s[26:27], s[30:31]
	s_cbranch_execz .LBB228_134
.LBB228_150:
	s_and_b64 vcc, exec, s[0:1]
	s_cbranch_vccnz .LBB228_152
; %bb.151:
	v_lshl_add_u64 v[48:49], v[38:39], 1, v[30:31]
	flat_load_ushort v48, v[48:49]
	s_waitcnt vmcnt(0) lgkmcnt(0)
	v_mul_f16_e32 v48, v52, v48
	s_branch .LBB228_153
.LBB228_152:
	v_mov_b32_e32 v48, 0
.LBB228_153:
	v_pk_add_f16 v49, v14, v24
	v_pk_max_f16 v50, v98, v98
	s_nop 0
	v_pk_min_f16 v49, v50, v49
	v_pk_add_f16 v50, v15, v25
	s_nop 0
	v_pk_min_f16 v49, v49, v50
	s_nop 0
	v_lshrrev_b32_e32 v50, 16, v49
	v_min3_f16 v50, v48, v49, v50
	v_lshl_add_u64 v[48:49], v[38:39], 1, v[28:29]
	global_store_short v[48:49], v50, off
	s_or_b64 exec, exec, s[26:27]
	s_and_b64 s[30:31], s[10:11], s[18:19]
	s_and_saveexec_b64 s[26:27], s[30:31]
	s_cbranch_execz .LBB228_135
.LBB228_154:
	s_and_b64 vcc, exec, s[0:1]
	s_cbranch_vccnz .LBB228_156
; %bb.155:
	v_lshl_add_u64 v[48:49], v[40:41], 1, v[30:31]
	flat_load_ushort v48, v[48:49]
	s_waitcnt vmcnt(0) lgkmcnt(0)
	v_mul_f16_e32 v48, v52, v48
	s_branch .LBB228_157
.LBB228_156:
	v_mov_b32_e32 v48, 0
.LBB228_157:
	v_pk_add_f16 v49, v8, v24
	v_pk_max_f16 v50, v97, v97
	s_nop 0
	v_pk_min_f16 v49, v50, v49
	v_pk_add_f16 v50, v9, v25
	s_nop 0
	v_pk_min_f16 v49, v49, v50
	s_nop 0
	v_lshrrev_b32_e32 v50, 16, v49
	v_min3_f16 v50, v48, v49, v50
	v_lshl_add_u64 v[48:49], v[40:41], 1, v[28:29]
	global_store_short v[48:49], v50, off
	s_or_b64 exec, exec, s[26:27]
	s_and_b64 s[30:31], s[12:13], s[18:19]
	s_and_saveexec_b64 s[26:27], s[30:31]
	s_cbranch_execz .LBB228_136
.LBB228_158:
	s_and_b64 vcc, exec, s[0:1]
	s_cbranch_vccnz .LBB228_160
; %bb.159:
	v_lshl_add_u64 v[48:49], v[42:43], 1, v[30:31]
	flat_load_ushort v48, v[48:49]
	s_waitcnt vmcnt(0) lgkmcnt(0)
	v_mul_f16_e32 v48, v52, v48
	s_branch .LBB228_161
.LBB228_160:
	v_mov_b32_e32 v48, 0
.LBB228_161:
	v_pk_add_f16 v49, v10, v24
	v_pk_max_f16 v50, v96, v96
	s_nop 0
	v_pk_min_f16 v49, v50, v49
	v_pk_add_f16 v50, v11, v25
	s_nop 0
	v_pk_min_f16 v49, v49, v50
	s_nop 0
	v_lshrrev_b32_e32 v50, 16, v49
	v_min3_f16 v50, v48, v49, v50
	v_lshl_add_u64 v[48:49], v[42:43], 1, v[28:29]
	global_store_short v[48:49], v50, off
	s_or_b64 exec, exec, s[26:27]
	s_and_b64 s[30:31], s[14:15], s[18:19]
	s_and_saveexec_b64 s[26:27], s[30:31]
	s_cbranch_execz .LBB228_137
.LBB228_162:
	s_and_b64 vcc, exec, s[0:1]
	s_cbranch_vccnz .LBB228_164
; %bb.163:
	v_lshl_add_u64 v[48:49], v[44:45], 1, v[30:31]
	flat_load_ushort v48, v[48:49]
	s_waitcnt vmcnt(0) lgkmcnt(0)
	v_mul_f16_e32 v48, v52, v48
	s_branch .LBB228_165
.LBB228_164:
	v_mov_b32_e32 v48, 0
.LBB228_165:
	v_pk_add_f16 v49, v0, v24
	v_pk_max_f16 v50, v95, v95
	s_nop 0
	v_pk_min_f16 v49, v50, v49
	v_pk_add_f16 v50, v1, v25
	s_nop 0
	v_pk_min_f16 v49, v49, v50
	s_nop 0
	v_lshrrev_b32_e32 v50, 16, v49
	v_min3_f16 v50, v48, v49, v50
	v_lshl_add_u64 v[48:49], v[44:45], 1, v[28:29]
	global_store_short v[48:49], v50, off
	s_or_b64 exec, exec, s[26:27]
	s_and_b64 s[26:27], s[16:17], s[18:19]
	s_and_saveexec_b64 s[18:19], s[26:27]
	s_cbranch_execz .LBB228_170
.LBB228_166:
	s_and_b64 vcc, exec, s[0:1]
	s_cbranch_vccnz .LBB228_168
; %bb.167:
	v_lshl_add_u64 v[30:31], v[46:47], 1, v[30:31]
	flat_load_ushort v30, v[30:31]
	s_waitcnt vmcnt(0) lgkmcnt(0)
	v_mul_f16_e32 v30, v52, v30
	s_branch .LBB228_169
.LBB228_168:
	v_mov_b32_e32 v30, 0
.LBB228_169:
	v_pk_add_f16 v24, v2, v24
	v_pk_max_f16 v31, v93, v93
	v_pk_add_f16 v25, v3, v25
	v_pk_min_f16 v24, v31, v24
	s_nop 0
	v_pk_min_f16 v24, v24, v25
	s_nop 0
	v_lshrrev_b32_e32 v25, 16, v24
	v_min3_f16 v30, v30, v24, v25
	v_lshl_add_u64 v[24:25], v[46:47], 1, v[28:29]
	global_store_short v[24:25], v30, off
.LBB228_170:
	s_or_b64 exec, exec, s[18:19]
	v_add_u32_e32 v30, 0x60, v94
	v_mad_i64_i32 v[24:25], s[26:27], v30, s29, 0
	v_cmp_gt_i32_e64 s[18:19], s21, v30
	v_lshl_add_u64 v[28:29], v[24:25], 1, s[24:25]
	v_mad_i64_i32 v[24:25], s[26:27], v30, s28, 0
	v_lshl_add_u64 v[24:25], v[24:25], 1, s[22:23]
	s_and_b64 s[30:31], s[4:5], s[18:19]
	s_and_saveexec_b64 s[26:27], s[30:31]
	s_cbranch_execnz .LBB228_178
; %bb.171:
	s_or_b64 exec, exec, s[26:27]
	s_and_b64 s[30:31], s[2:3], s[18:19]
	s_and_saveexec_b64 s[26:27], s[30:31]
	s_cbranch_execnz .LBB228_182
.LBB228_172:
	s_or_b64 exec, exec, s[26:27]
	s_and_b64 s[30:31], s[6:7], s[18:19]
	s_and_saveexec_b64 s[26:27], s[30:31]
	s_cbranch_execnz .LBB228_186
.LBB228_173:
	s_or_b64 exec, exec, s[26:27]
	s_and_b64 s[30:31], s[8:9], s[18:19]
	s_and_saveexec_b64 s[26:27], s[30:31]
	s_cbranch_execnz .LBB228_190
.LBB228_174:
	s_or_b64 exec, exec, s[26:27]
	s_and_b64 s[30:31], s[10:11], s[18:19]
	s_and_saveexec_b64 s[26:27], s[30:31]
	s_cbranch_execnz .LBB228_194
.LBB228_175:
	s_or_b64 exec, exec, s[26:27]
	s_and_b64 s[30:31], s[12:13], s[18:19]
	s_and_saveexec_b64 s[26:27], s[30:31]
	s_cbranch_execnz .LBB228_198
.LBB228_176:
	s_or_b64 exec, exec, s[26:27]
	s_and_b64 s[30:31], s[14:15], s[18:19]
	s_and_saveexec_b64 s[26:27], s[30:31]
	s_cbranch_execnz .LBB228_202
.LBB228_177:
	s_or_b64 exec, exec, s[26:27]
	s_and_b64 s[26:27], s[16:17], s[18:19]
	s_and_saveexec_b64 s[18:19], s[26:27]
	s_cbranch_execnz .LBB228_206
	s_branch .LBB228_210
.LBB228_178:
	s_and_b64 vcc, exec, s[0:1]
	s_cbranch_vccnz .LBB228_180
; %bb.179:
	v_lshl_add_u64 v[30:31], v[32:33], 1, v[28:29]
	flat_load_ushort v30, v[30:31]
	s_waitcnt vmcnt(0) lgkmcnt(0)
	v_mul_f16_e32 v30, v52, v30
	s_branch .LBB228_181
.LBB228_180:
	v_mov_b32_e32 v30, 0
.LBB228_181:
	v_pk_add_f16 v31, v16, v26
	v_pk_max_f16 v48, v92, v92
	s_nop 0
	v_pk_min_f16 v31, v48, v31
	v_pk_add_f16 v48, v17, v27
	s_nop 0
	v_pk_min_f16 v31, v31, v48
	s_nop 0
	v_lshrrev_b32_e32 v48, 16, v31
	v_min3_f16 v48, v30, v31, v48
	v_lshl_add_u64 v[30:31], v[32:33], 1, v[24:25]
	global_store_short v[30:31], v48, off
	s_or_b64 exec, exec, s[26:27]
	s_and_b64 s[30:31], s[2:3], s[18:19]
	s_and_saveexec_b64 s[26:27], s[30:31]
	s_cbranch_execz .LBB228_172
.LBB228_182:
	s_and_b64 vcc, exec, s[0:1]
	s_cbranch_vccnz .LBB228_184
; %bb.183:
	v_lshl_add_u64 v[30:31], v[34:35], 1, v[28:29]
	flat_load_ushort v30, v[30:31]
	s_waitcnt vmcnt(0) lgkmcnt(0)
	v_mul_f16_e32 v30, v52, v30
	s_branch .LBB228_185
.LBB228_184:
	v_mov_b32_e32 v30, 0
.LBB228_185:
	v_pk_add_f16 v31, v18, v26
	v_pk_max_f16 v48, v91, v91
	s_nop 0
	v_pk_min_f16 v31, v48, v31
	v_pk_add_f16 v48, v19, v27
	s_nop 0
	v_pk_min_f16 v31, v31, v48
	s_nop 0
	v_lshrrev_b32_e32 v48, 16, v31
	v_min3_f16 v48, v30, v31, v48
	v_lshl_add_u64 v[30:31], v[34:35], 1, v[24:25]
	global_store_short v[30:31], v48, off
	s_or_b64 exec, exec, s[26:27]
	s_and_b64 s[30:31], s[6:7], s[18:19]
	s_and_saveexec_b64 s[26:27], s[30:31]
	s_cbranch_execz .LBB228_173
.LBB228_186:
	s_and_b64 vcc, exec, s[0:1]
	s_cbranch_vccnz .LBB228_188
; %bb.187:
	v_lshl_add_u64 v[30:31], v[36:37], 1, v[28:29]
	flat_load_ushort v30, v[30:31]
	s_waitcnt vmcnt(0) lgkmcnt(0)
	v_mul_f16_e32 v30, v52, v30
	s_branch .LBB228_189
.LBB228_188:
	v_mov_b32_e32 v30, 0
.LBB228_189:
	v_pk_add_f16 v31, v12, v26
	v_pk_max_f16 v48, v90, v90
	s_nop 0
	v_pk_min_f16 v31, v48, v31
	v_pk_add_f16 v48, v13, v27
	s_nop 0
	v_pk_min_f16 v31, v31, v48
	s_nop 0
	v_lshrrev_b32_e32 v48, 16, v31
	v_min3_f16 v48, v30, v31, v48
	v_lshl_add_u64 v[30:31], v[36:37], 1, v[24:25]
	global_store_short v[30:31], v48, off
	s_or_b64 exec, exec, s[26:27]
	s_and_b64 s[30:31], s[8:9], s[18:19]
	s_and_saveexec_b64 s[26:27], s[30:31]
	s_cbranch_execz .LBB228_174
.LBB228_190:
	s_and_b64 vcc, exec, s[0:1]
	s_cbranch_vccnz .LBB228_192
; %bb.191:
	v_lshl_add_u64 v[30:31], v[38:39], 1, v[28:29]
	flat_load_ushort v30, v[30:31]
	s_waitcnt vmcnt(0) lgkmcnt(0)
	v_mul_f16_e32 v30, v52, v30
	s_branch .LBB228_193
.LBB228_192:
	v_mov_b32_e32 v30, 0
.LBB228_193:
	v_pk_add_f16 v31, v14, v26
	v_pk_max_f16 v48, v89, v89
	s_nop 0
	v_pk_min_f16 v31, v48, v31
	v_pk_add_f16 v48, v15, v27
	s_nop 0
	v_pk_min_f16 v31, v31, v48
	s_nop 0
	v_lshrrev_b32_e32 v48, 16, v31
	v_min3_f16 v48, v30, v31, v48
	v_lshl_add_u64 v[30:31], v[38:39], 1, v[24:25]
	global_store_short v[30:31], v48, off
	s_or_b64 exec, exec, s[26:27]
	s_and_b64 s[30:31], s[10:11], s[18:19]
	s_and_saveexec_b64 s[26:27], s[30:31]
	s_cbranch_execz .LBB228_175
.LBB228_194:
	s_and_b64 vcc, exec, s[0:1]
	s_cbranch_vccnz .LBB228_196
; %bb.195:
	v_lshl_add_u64 v[30:31], v[40:41], 1, v[28:29]
	flat_load_ushort v30, v[30:31]
	s_waitcnt vmcnt(0) lgkmcnt(0)
	v_mul_f16_e32 v30, v52, v30
	s_branch .LBB228_197
.LBB228_196:
	v_mov_b32_e32 v30, 0
.LBB228_197:
	v_pk_add_f16 v31, v8, v26
	v_pk_max_f16 v48, v88, v88
	s_nop 0
	v_pk_min_f16 v31, v48, v31
	v_pk_add_f16 v48, v9, v27
	s_nop 0
	v_pk_min_f16 v31, v31, v48
	s_nop 0
	v_lshrrev_b32_e32 v48, 16, v31
	v_min3_f16 v48, v30, v31, v48
	v_lshl_add_u64 v[30:31], v[40:41], 1, v[24:25]
	global_store_short v[30:31], v48, off
	s_or_b64 exec, exec, s[26:27]
	s_and_b64 s[30:31], s[12:13], s[18:19]
	s_and_saveexec_b64 s[26:27], s[30:31]
	s_cbranch_execz .LBB228_176
.LBB228_198:
	s_and_b64 vcc, exec, s[0:1]
	s_cbranch_vccnz .LBB228_200
; %bb.199:
	v_lshl_add_u64 v[30:31], v[42:43], 1, v[28:29]
	flat_load_ushort v30, v[30:31]
	s_waitcnt vmcnt(0) lgkmcnt(0)
	v_mul_f16_e32 v30, v52, v30
	s_branch .LBB228_201
.LBB228_200:
	v_mov_b32_e32 v30, 0
.LBB228_201:
	v_pk_add_f16 v31, v10, v26
	v_pk_max_f16 v48, v87, v87
	s_nop 0
	v_pk_min_f16 v31, v48, v31
	v_pk_add_f16 v48, v11, v27
	s_nop 0
	v_pk_min_f16 v31, v31, v48
	s_nop 0
	v_lshrrev_b32_e32 v48, 16, v31
	v_min3_f16 v48, v30, v31, v48
	v_lshl_add_u64 v[30:31], v[42:43], 1, v[24:25]
	global_store_short v[30:31], v48, off
	s_or_b64 exec, exec, s[26:27]
	s_and_b64 s[30:31], s[14:15], s[18:19]
	s_and_saveexec_b64 s[26:27], s[30:31]
	s_cbranch_execz .LBB228_177
.LBB228_202:
	s_and_b64 vcc, exec, s[0:1]
	s_cbranch_vccnz .LBB228_204
; %bb.203:
	v_lshl_add_u64 v[30:31], v[44:45], 1, v[28:29]
	flat_load_ushort v30, v[30:31]
	s_waitcnt vmcnt(0) lgkmcnt(0)
	v_mul_f16_e32 v30, v52, v30
	s_branch .LBB228_205
.LBB228_204:
	v_mov_b32_e32 v30, 0
.LBB228_205:
	v_pk_add_f16 v31, v0, v26
	v_pk_max_f16 v48, v86, v86
	s_nop 0
	v_pk_min_f16 v31, v48, v31
	v_pk_add_f16 v48, v1, v27
	s_nop 0
	v_pk_min_f16 v31, v31, v48
	s_nop 0
	v_lshrrev_b32_e32 v48, 16, v31
	v_min3_f16 v48, v30, v31, v48
	v_lshl_add_u64 v[30:31], v[44:45], 1, v[24:25]
	global_store_short v[30:31], v48, off
	s_or_b64 exec, exec, s[26:27]
	s_and_b64 s[26:27], s[16:17], s[18:19]
	s_and_saveexec_b64 s[18:19], s[26:27]
	s_cbranch_execz .LBB228_210
.LBB228_206:
	s_and_b64 vcc, exec, s[0:1]
	s_cbranch_vccnz .LBB228_208
; %bb.207:
	v_lshl_add_u64 v[28:29], v[46:47], 1, v[28:29]
	flat_load_ushort v28, v[28:29]
	s_waitcnt vmcnt(0) lgkmcnt(0)
	v_mul_f16_e32 v28, v52, v28
	s_branch .LBB228_209
.LBB228_208:
	v_mov_b32_e32 v28, 0
.LBB228_209:
	v_pk_add_f16 v26, v2, v26
	v_pk_max_f16 v29, v85, v85
	v_pk_add_f16 v27, v3, v27
	v_pk_min_f16 v26, v29, v26
	v_lshl_add_u64 v[24:25], v[46:47], 1, v[24:25]
	v_pk_min_f16 v26, v26, v27
	s_nop 0
	v_lshrrev_b32_e32 v27, 16, v26
	v_min3_f16 v26, v28, v26, v27
	global_store_short v[24:25], v26, off
.LBB228_210:
	s_or_b64 exec, exec, s[18:19]
	v_add_u32_e32 v28, 0x80, v94
	v_mad_i64_i32 v[24:25], s[26:27], v28, s29, 0
	v_cmp_gt_i32_e64 s[18:19], s21, v28
	v_lshl_add_u64 v[26:27], v[24:25], 1, s[24:25]
	v_mad_i64_i32 v[24:25], s[26:27], v28, s28, 0
	v_lshl_add_u64 v[24:25], v[24:25], 1, s[22:23]
	s_and_b64 s[30:31], s[4:5], s[18:19]
	s_and_saveexec_b64 s[26:27], s[30:31]
	s_cbranch_execnz .LBB228_218
; %bb.211:
	s_or_b64 exec, exec, s[26:27]
	s_and_b64 s[30:31], s[2:3], s[18:19]
	s_and_saveexec_b64 s[26:27], s[30:31]
	s_cbranch_execnz .LBB228_222
.LBB228_212:
	s_or_b64 exec, exec, s[26:27]
	s_and_b64 s[30:31], s[6:7], s[18:19]
	s_and_saveexec_b64 s[26:27], s[30:31]
	s_cbranch_execnz .LBB228_226
.LBB228_213:
	s_or_b64 exec, exec, s[26:27]
	s_and_b64 s[30:31], s[8:9], s[18:19]
	s_and_saveexec_b64 s[26:27], s[30:31]
	s_cbranch_execnz .LBB228_230
.LBB228_214:
	s_or_b64 exec, exec, s[26:27]
	s_and_b64 s[30:31], s[10:11], s[18:19]
	s_and_saveexec_b64 s[26:27], s[30:31]
	s_cbranch_execnz .LBB228_234
.LBB228_215:
	s_or_b64 exec, exec, s[26:27]
	s_and_b64 s[30:31], s[12:13], s[18:19]
	s_and_saveexec_b64 s[26:27], s[30:31]
	s_cbranch_execnz .LBB228_238
.LBB228_216:
	s_or_b64 exec, exec, s[26:27]
	s_and_b64 s[30:31], s[14:15], s[18:19]
	s_and_saveexec_b64 s[26:27], s[30:31]
	s_cbranch_execnz .LBB228_242
.LBB228_217:
	s_or_b64 exec, exec, s[26:27]
	s_and_b64 s[26:27], s[16:17], s[18:19]
	s_and_saveexec_b64 s[18:19], s[26:27]
	s_cbranch_execnz .LBB228_246
	s_branch .LBB228_250
.LBB228_218:
	s_and_b64 vcc, exec, s[0:1]
	s_cbranch_vccnz .LBB228_220
; %bb.219:
	v_lshl_add_u64 v[28:29], v[32:33], 1, v[26:27]
	flat_load_ushort v28, v[28:29]
	s_waitcnt vmcnt(0) lgkmcnt(0)
	v_mul_f16_e32 v28, v52, v28
	s_branch .LBB228_221
.LBB228_220:
	v_mov_b32_e32 v28, 0
.LBB228_221:
	v_pk_add_f16 v29, v16, v20
	v_pk_max_f16 v30, v84, v84
	s_nop 0
	v_pk_min_f16 v29, v30, v29
	v_pk_add_f16 v30, v17, v21
	s_nop 0
	v_pk_min_f16 v29, v29, v30
	s_nop 0
	v_lshrrev_b32_e32 v30, 16, v29
	v_min3_f16 v30, v28, v29, v30
	v_lshl_add_u64 v[28:29], v[32:33], 1, v[24:25]
	global_store_short v[28:29], v30, off
	s_or_b64 exec, exec, s[26:27]
	s_and_b64 s[30:31], s[2:3], s[18:19]
	s_and_saveexec_b64 s[26:27], s[30:31]
	s_cbranch_execz .LBB228_212
.LBB228_222:
	s_and_b64 vcc, exec, s[0:1]
	s_cbranch_vccnz .LBB228_224
; %bb.223:
	v_lshl_add_u64 v[28:29], v[34:35], 1, v[26:27]
	flat_load_ushort v28, v[28:29]
	s_waitcnt vmcnt(0) lgkmcnt(0)
	v_mul_f16_e32 v28, v52, v28
	s_branch .LBB228_225
.LBB228_224:
	v_mov_b32_e32 v28, 0
.LBB228_225:
	v_pk_add_f16 v29, v18, v20
	v_pk_max_f16 v30, v83, v83
	s_nop 0
	v_pk_min_f16 v29, v30, v29
	v_pk_add_f16 v30, v19, v21
	s_nop 0
	v_pk_min_f16 v29, v29, v30
	s_nop 0
	v_lshrrev_b32_e32 v30, 16, v29
	v_min3_f16 v30, v28, v29, v30
	v_lshl_add_u64 v[28:29], v[34:35], 1, v[24:25]
	global_store_short v[28:29], v30, off
	s_or_b64 exec, exec, s[26:27]
	s_and_b64 s[30:31], s[6:7], s[18:19]
	s_and_saveexec_b64 s[26:27], s[30:31]
	s_cbranch_execz .LBB228_213
.LBB228_226:
	s_and_b64 vcc, exec, s[0:1]
	s_cbranch_vccnz .LBB228_228
; %bb.227:
	v_lshl_add_u64 v[28:29], v[36:37], 1, v[26:27]
	flat_load_ushort v28, v[28:29]
	s_waitcnt vmcnt(0) lgkmcnt(0)
	v_mul_f16_e32 v28, v52, v28
	s_branch .LBB228_229
.LBB228_228:
	v_mov_b32_e32 v28, 0
.LBB228_229:
	v_pk_add_f16 v29, v12, v20
	v_pk_max_f16 v30, v82, v82
	s_nop 0
	v_pk_min_f16 v29, v30, v29
	v_pk_add_f16 v30, v13, v21
	s_nop 0
	v_pk_min_f16 v29, v29, v30
	s_nop 0
	v_lshrrev_b32_e32 v30, 16, v29
	v_min3_f16 v30, v28, v29, v30
	v_lshl_add_u64 v[28:29], v[36:37], 1, v[24:25]
	global_store_short v[28:29], v30, off
	s_or_b64 exec, exec, s[26:27]
	s_and_b64 s[30:31], s[8:9], s[18:19]
	s_and_saveexec_b64 s[26:27], s[30:31]
	s_cbranch_execz .LBB228_214
.LBB228_230:
	s_and_b64 vcc, exec, s[0:1]
	s_cbranch_vccnz .LBB228_232
; %bb.231:
	v_lshl_add_u64 v[28:29], v[38:39], 1, v[26:27]
	flat_load_ushort v28, v[28:29]
	s_waitcnt vmcnt(0) lgkmcnt(0)
	v_mul_f16_e32 v28, v52, v28
	s_branch .LBB228_233
.LBB228_232:
	v_mov_b32_e32 v28, 0
.LBB228_233:
	v_pk_add_f16 v29, v14, v20
	v_pk_max_f16 v30, v81, v81
	s_nop 0
	v_pk_min_f16 v29, v30, v29
	v_pk_add_f16 v30, v15, v21
	s_nop 0
	v_pk_min_f16 v29, v29, v30
	s_nop 0
	v_lshrrev_b32_e32 v30, 16, v29
	v_min3_f16 v30, v28, v29, v30
	v_lshl_add_u64 v[28:29], v[38:39], 1, v[24:25]
	global_store_short v[28:29], v30, off
	s_or_b64 exec, exec, s[26:27]
	s_and_b64 s[30:31], s[10:11], s[18:19]
	s_and_saveexec_b64 s[26:27], s[30:31]
	s_cbranch_execz .LBB228_215
.LBB228_234:
	s_and_b64 vcc, exec, s[0:1]
	s_cbranch_vccnz .LBB228_236
; %bb.235:
	v_lshl_add_u64 v[28:29], v[40:41], 1, v[26:27]
	flat_load_ushort v28, v[28:29]
	s_waitcnt vmcnt(0) lgkmcnt(0)
	v_mul_f16_e32 v28, v52, v28
	s_branch .LBB228_237
.LBB228_236:
	v_mov_b32_e32 v28, 0
.LBB228_237:
	v_pk_add_f16 v29, v8, v20
	v_pk_max_f16 v30, v80, v80
	s_nop 0
	v_pk_min_f16 v29, v30, v29
	v_pk_add_f16 v30, v9, v21
	s_nop 0
	v_pk_min_f16 v29, v29, v30
	s_nop 0
	v_lshrrev_b32_e32 v30, 16, v29
	v_min3_f16 v30, v28, v29, v30
	v_lshl_add_u64 v[28:29], v[40:41], 1, v[24:25]
	global_store_short v[28:29], v30, off
	s_or_b64 exec, exec, s[26:27]
	s_and_b64 s[30:31], s[12:13], s[18:19]
	s_and_saveexec_b64 s[26:27], s[30:31]
	s_cbranch_execz .LBB228_216
.LBB228_238:
	s_and_b64 vcc, exec, s[0:1]
	s_cbranch_vccnz .LBB228_240
; %bb.239:
	v_lshl_add_u64 v[28:29], v[42:43], 1, v[26:27]
	flat_load_ushort v28, v[28:29]
	s_waitcnt vmcnt(0) lgkmcnt(0)
	v_mul_f16_e32 v28, v52, v28
	s_branch .LBB228_241
.LBB228_240:
	v_mov_b32_e32 v28, 0
.LBB228_241:
	v_pk_add_f16 v29, v10, v20
	v_pk_max_f16 v30, v79, v79
	s_nop 0
	v_pk_min_f16 v29, v30, v29
	v_pk_add_f16 v30, v11, v21
	s_nop 0
	v_pk_min_f16 v29, v29, v30
	s_nop 0
	v_lshrrev_b32_e32 v30, 16, v29
	v_min3_f16 v30, v28, v29, v30
	v_lshl_add_u64 v[28:29], v[42:43], 1, v[24:25]
	global_store_short v[28:29], v30, off
	s_or_b64 exec, exec, s[26:27]
	s_and_b64 s[30:31], s[14:15], s[18:19]
	s_and_saveexec_b64 s[26:27], s[30:31]
	s_cbranch_execz .LBB228_217
.LBB228_242:
	s_and_b64 vcc, exec, s[0:1]
	s_cbranch_vccnz .LBB228_244
; %bb.243:
	v_lshl_add_u64 v[28:29], v[44:45], 1, v[26:27]
	flat_load_ushort v28, v[28:29]
	s_waitcnt vmcnt(0) lgkmcnt(0)
	v_mul_f16_e32 v28, v52, v28
	s_branch .LBB228_245
.LBB228_244:
	v_mov_b32_e32 v28, 0
.LBB228_245:
	v_pk_add_f16 v29, v0, v20
	v_pk_max_f16 v30, v78, v78
	s_nop 0
	v_pk_min_f16 v29, v30, v29
	v_pk_add_f16 v30, v1, v21
	s_nop 0
	v_pk_min_f16 v29, v29, v30
	s_nop 0
	v_lshrrev_b32_e32 v30, 16, v29
	v_min3_f16 v30, v28, v29, v30
	v_lshl_add_u64 v[28:29], v[44:45], 1, v[24:25]
	global_store_short v[28:29], v30, off
	s_or_b64 exec, exec, s[26:27]
	s_and_b64 s[26:27], s[16:17], s[18:19]
	s_and_saveexec_b64 s[18:19], s[26:27]
	s_cbranch_execz .LBB228_250
.LBB228_246:
	s_and_b64 vcc, exec, s[0:1]
	s_cbranch_vccnz .LBB228_248
; %bb.247:
	v_lshl_add_u64 v[26:27], v[46:47], 1, v[26:27]
	flat_load_ushort v26, v[26:27]
	s_waitcnt vmcnt(0) lgkmcnt(0)
	v_mul_f16_e32 v26, v52, v26
	s_branch .LBB228_249
.LBB228_248:
	v_mov_b32_e32 v26, 0
.LBB228_249:
	v_pk_add_f16 v20, v2, v20
	v_pk_max_f16 v27, v77, v77
	v_pk_add_f16 v21, v3, v21
	v_pk_min_f16 v20, v27, v20
	s_nop 0
	v_pk_min_f16 v20, v20, v21
	s_nop 0
	v_lshrrev_b32_e32 v21, 16, v20
	v_min3_f16 v26, v26, v20, v21
	v_lshl_add_u64 v[20:21], v[46:47], 1, v[24:25]
	global_store_short v[20:21], v26, off
.LBB228_250:
	s_or_b64 exec, exec, s[18:19]
	v_add_u32_e32 v26, 0xa0, v94
	v_mad_i64_i32 v[20:21], s[26:27], v26, s29, 0
	v_cmp_gt_i32_e64 s[18:19], s21, v26
	v_lshl_add_u64 v[24:25], v[20:21], 1, s[24:25]
	v_mad_i64_i32 v[20:21], s[26:27], v26, s28, 0
	v_lshl_add_u64 v[20:21], v[20:21], 1, s[22:23]
	s_and_b64 s[30:31], s[4:5], s[18:19]
	s_and_saveexec_b64 s[26:27], s[30:31]
	s_cbranch_execnz .LBB228_258
; %bb.251:
	s_or_b64 exec, exec, s[26:27]
	s_and_b64 s[30:31], s[2:3], s[18:19]
	s_and_saveexec_b64 s[26:27], s[30:31]
	s_cbranch_execnz .LBB228_262
.LBB228_252:
	s_or_b64 exec, exec, s[26:27]
	s_and_b64 s[30:31], s[6:7], s[18:19]
	s_and_saveexec_b64 s[26:27], s[30:31]
	s_cbranch_execnz .LBB228_266
.LBB228_253:
	s_or_b64 exec, exec, s[26:27]
	s_and_b64 s[30:31], s[8:9], s[18:19]
	s_and_saveexec_b64 s[26:27], s[30:31]
	s_cbranch_execnz .LBB228_270
.LBB228_254:
	s_or_b64 exec, exec, s[26:27]
	s_and_b64 s[30:31], s[10:11], s[18:19]
	s_and_saveexec_b64 s[26:27], s[30:31]
	s_cbranch_execnz .LBB228_274
.LBB228_255:
	s_or_b64 exec, exec, s[26:27]
	s_and_b64 s[30:31], s[12:13], s[18:19]
	s_and_saveexec_b64 s[26:27], s[30:31]
	s_cbranch_execnz .LBB228_278
.LBB228_256:
	s_or_b64 exec, exec, s[26:27]
	s_and_b64 s[30:31], s[14:15], s[18:19]
	s_and_saveexec_b64 s[26:27], s[30:31]
	s_cbranch_execnz .LBB228_282
.LBB228_257:
	s_or_b64 exec, exec, s[26:27]
	s_and_b64 s[26:27], s[16:17], s[18:19]
	s_and_saveexec_b64 s[18:19], s[26:27]
	s_cbranch_execnz .LBB228_286
	s_branch .LBB228_290
.LBB228_258:
	s_and_b64 vcc, exec, s[0:1]
	s_cbranch_vccnz .LBB228_260
; %bb.259:
	v_lshl_add_u64 v[26:27], v[32:33], 1, v[24:25]
	flat_load_ushort v26, v[26:27]
	s_waitcnt vmcnt(0) lgkmcnt(0)
	v_mul_f16_e32 v26, v52, v26
	s_branch .LBB228_261
.LBB228_260:
	v_mov_b32_e32 v26, 0
.LBB228_261:
	v_pk_add_f16 v27, v16, v22
	v_pk_max_f16 v28, v76, v76
	s_nop 0
	v_pk_min_f16 v27, v28, v27
	v_pk_add_f16 v28, v17, v23
	s_nop 0
	v_pk_min_f16 v27, v27, v28
	s_nop 0
	v_lshrrev_b32_e32 v28, 16, v27
	v_min3_f16 v28, v26, v27, v28
	v_lshl_add_u64 v[26:27], v[32:33], 1, v[20:21]
	global_store_short v[26:27], v28, off
	s_or_b64 exec, exec, s[26:27]
	s_and_b64 s[30:31], s[2:3], s[18:19]
	s_and_saveexec_b64 s[26:27], s[30:31]
	s_cbranch_execz .LBB228_252
.LBB228_262:
	s_and_b64 vcc, exec, s[0:1]
	s_cbranch_vccnz .LBB228_264
; %bb.263:
	v_lshl_add_u64 v[26:27], v[34:35], 1, v[24:25]
	flat_load_ushort v26, v[26:27]
	s_waitcnt vmcnt(0) lgkmcnt(0)
	v_mul_f16_e32 v26, v52, v26
	s_branch .LBB228_265
.LBB228_264:
	v_mov_b32_e32 v26, 0
.LBB228_265:
	v_pk_add_f16 v27, v18, v22
	v_pk_max_f16 v28, v75, v75
	s_nop 0
	v_pk_min_f16 v27, v28, v27
	v_pk_add_f16 v28, v19, v23
	s_nop 0
	v_pk_min_f16 v27, v27, v28
	s_nop 0
	v_lshrrev_b32_e32 v28, 16, v27
	v_min3_f16 v28, v26, v27, v28
	v_lshl_add_u64 v[26:27], v[34:35], 1, v[20:21]
	global_store_short v[26:27], v28, off
	s_or_b64 exec, exec, s[26:27]
	s_and_b64 s[30:31], s[6:7], s[18:19]
	s_and_saveexec_b64 s[26:27], s[30:31]
	s_cbranch_execz .LBB228_253
.LBB228_266:
	s_and_b64 vcc, exec, s[0:1]
	s_cbranch_vccnz .LBB228_268
; %bb.267:
	v_lshl_add_u64 v[26:27], v[36:37], 1, v[24:25]
	flat_load_ushort v26, v[26:27]
	s_waitcnt vmcnt(0) lgkmcnt(0)
	v_mul_f16_e32 v26, v52, v26
	s_branch .LBB228_269
.LBB228_268:
	v_mov_b32_e32 v26, 0
.LBB228_269:
	v_pk_add_f16 v27, v12, v22
	v_pk_max_f16 v28, v74, v74
	s_nop 0
	v_pk_min_f16 v27, v28, v27
	v_pk_add_f16 v28, v13, v23
	s_nop 0
	v_pk_min_f16 v27, v27, v28
	s_nop 0
	v_lshrrev_b32_e32 v28, 16, v27
	v_min3_f16 v28, v26, v27, v28
	v_lshl_add_u64 v[26:27], v[36:37], 1, v[20:21]
	global_store_short v[26:27], v28, off
	s_or_b64 exec, exec, s[26:27]
	s_and_b64 s[30:31], s[8:9], s[18:19]
	s_and_saveexec_b64 s[26:27], s[30:31]
	s_cbranch_execz .LBB228_254
.LBB228_270:
	s_and_b64 vcc, exec, s[0:1]
	s_cbranch_vccnz .LBB228_272
; %bb.271:
	v_lshl_add_u64 v[26:27], v[38:39], 1, v[24:25]
	flat_load_ushort v26, v[26:27]
	s_waitcnt vmcnt(0) lgkmcnt(0)
	v_mul_f16_e32 v26, v52, v26
	s_branch .LBB228_273
.LBB228_272:
	v_mov_b32_e32 v26, 0
.LBB228_273:
	v_pk_add_f16 v27, v14, v22
	v_pk_max_f16 v28, v73, v73
	s_nop 0
	v_pk_min_f16 v27, v28, v27
	v_pk_add_f16 v28, v15, v23
	s_nop 0
	v_pk_min_f16 v27, v27, v28
	s_nop 0
	v_lshrrev_b32_e32 v28, 16, v27
	v_min3_f16 v28, v26, v27, v28
	v_lshl_add_u64 v[26:27], v[38:39], 1, v[20:21]
	global_store_short v[26:27], v28, off
	s_or_b64 exec, exec, s[26:27]
	s_and_b64 s[30:31], s[10:11], s[18:19]
	s_and_saveexec_b64 s[26:27], s[30:31]
	s_cbranch_execz .LBB228_255
.LBB228_274:
	s_and_b64 vcc, exec, s[0:1]
	s_cbranch_vccnz .LBB228_276
; %bb.275:
	v_lshl_add_u64 v[26:27], v[40:41], 1, v[24:25]
	flat_load_ushort v26, v[26:27]
	s_waitcnt vmcnt(0) lgkmcnt(0)
	v_mul_f16_e32 v26, v52, v26
	s_branch .LBB228_277
.LBB228_276:
	v_mov_b32_e32 v26, 0
.LBB228_277:
	v_pk_add_f16 v27, v8, v22
	v_pk_max_f16 v28, v72, v72
	s_nop 0
	v_pk_min_f16 v27, v28, v27
	v_pk_add_f16 v28, v9, v23
	s_nop 0
	v_pk_min_f16 v27, v27, v28
	s_nop 0
	v_lshrrev_b32_e32 v28, 16, v27
	v_min3_f16 v28, v26, v27, v28
	v_lshl_add_u64 v[26:27], v[40:41], 1, v[20:21]
	global_store_short v[26:27], v28, off
	s_or_b64 exec, exec, s[26:27]
	s_and_b64 s[30:31], s[12:13], s[18:19]
	s_and_saveexec_b64 s[26:27], s[30:31]
	s_cbranch_execz .LBB228_256
.LBB228_278:
	s_and_b64 vcc, exec, s[0:1]
	s_cbranch_vccnz .LBB228_280
; %bb.279:
	v_lshl_add_u64 v[26:27], v[42:43], 1, v[24:25]
	flat_load_ushort v26, v[26:27]
	s_waitcnt vmcnt(0) lgkmcnt(0)
	v_mul_f16_e32 v26, v52, v26
	s_branch .LBB228_281
.LBB228_280:
	v_mov_b32_e32 v26, 0
.LBB228_281:
	v_pk_add_f16 v27, v10, v22
	v_pk_max_f16 v28, v71, v71
	s_nop 0
	v_pk_min_f16 v27, v28, v27
	v_pk_add_f16 v28, v11, v23
	s_nop 0
	v_pk_min_f16 v27, v27, v28
	s_nop 0
	v_lshrrev_b32_e32 v28, 16, v27
	v_min3_f16 v28, v26, v27, v28
	v_lshl_add_u64 v[26:27], v[42:43], 1, v[20:21]
	global_store_short v[26:27], v28, off
	s_or_b64 exec, exec, s[26:27]
	s_and_b64 s[30:31], s[14:15], s[18:19]
	s_and_saveexec_b64 s[26:27], s[30:31]
	s_cbranch_execz .LBB228_257
.LBB228_282:
	s_and_b64 vcc, exec, s[0:1]
	s_cbranch_vccnz .LBB228_284
; %bb.283:
	v_lshl_add_u64 v[26:27], v[44:45], 1, v[24:25]
	flat_load_ushort v26, v[26:27]
	s_waitcnt vmcnt(0) lgkmcnt(0)
	v_mul_f16_e32 v26, v52, v26
	s_branch .LBB228_285
.LBB228_284:
	v_mov_b32_e32 v26, 0
.LBB228_285:
	v_pk_add_f16 v27, v0, v22
	v_pk_max_f16 v28, v70, v70
	s_nop 0
	v_pk_min_f16 v27, v28, v27
	v_pk_add_f16 v28, v1, v23
	s_nop 0
	v_pk_min_f16 v27, v27, v28
	s_nop 0
	v_lshrrev_b32_e32 v28, 16, v27
	v_min3_f16 v28, v26, v27, v28
	v_lshl_add_u64 v[26:27], v[44:45], 1, v[20:21]
	global_store_short v[26:27], v28, off
	s_or_b64 exec, exec, s[26:27]
	s_and_b64 s[26:27], s[16:17], s[18:19]
	s_and_saveexec_b64 s[18:19], s[26:27]
	s_cbranch_execz .LBB228_290
.LBB228_286:
	s_and_b64 vcc, exec, s[0:1]
	s_cbranch_vccnz .LBB228_288
; %bb.287:
	v_lshl_add_u64 v[24:25], v[46:47], 1, v[24:25]
	flat_load_ushort v24, v[24:25]
	s_waitcnt vmcnt(0) lgkmcnt(0)
	v_mul_f16_e32 v24, v52, v24
	s_branch .LBB228_289
.LBB228_288:
	v_mov_b32_e32 v24, 0
.LBB228_289:
	v_pk_add_f16 v22, v2, v22
	v_pk_max_f16 v25, v69, v69
	v_pk_add_f16 v23, v3, v23
	v_pk_min_f16 v22, v25, v22
	v_lshl_add_u64 v[20:21], v[46:47], 1, v[20:21]
	v_pk_min_f16 v22, v22, v23
	s_nop 0
	v_lshrrev_b32_e32 v23, 16, v22
	v_min3_f16 v22, v24, v22, v23
	global_store_short v[20:21], v22, off
.LBB228_290:
	s_or_b64 exec, exec, s[18:19]
	v_add_u32_e32 v24, 0xc0, v94
	v_mad_i64_i32 v[20:21], s[26:27], v24, s29, 0
	v_cmp_gt_i32_e64 s[18:19], s21, v24
	v_lshl_add_u64 v[22:23], v[20:21], 1, s[24:25]
	v_mad_i64_i32 v[20:21], s[26:27], v24, s28, 0
	v_lshl_add_u64 v[20:21], v[20:21], 1, s[22:23]
	s_and_b64 s[30:31], s[4:5], s[18:19]
	s_and_saveexec_b64 s[26:27], s[30:31]
	s_cbranch_execnz .LBB228_298
; %bb.291:
	s_or_b64 exec, exec, s[26:27]
	s_and_b64 s[30:31], s[2:3], s[18:19]
	s_and_saveexec_b64 s[26:27], s[30:31]
	s_cbranch_execnz .LBB228_302
.LBB228_292:
	s_or_b64 exec, exec, s[26:27]
	s_and_b64 s[30:31], s[6:7], s[18:19]
	s_and_saveexec_b64 s[26:27], s[30:31]
	s_cbranch_execnz .LBB228_306
.LBB228_293:
	s_or_b64 exec, exec, s[26:27]
	s_and_b64 s[30:31], s[8:9], s[18:19]
	s_and_saveexec_b64 s[26:27], s[30:31]
	s_cbranch_execnz .LBB228_310
.LBB228_294:
	s_or_b64 exec, exec, s[26:27]
	s_and_b64 s[30:31], s[10:11], s[18:19]
	s_and_saveexec_b64 s[26:27], s[30:31]
	s_cbranch_execnz .LBB228_314
.LBB228_295:
	s_or_b64 exec, exec, s[26:27]
	s_and_b64 s[30:31], s[12:13], s[18:19]
	s_and_saveexec_b64 s[26:27], s[30:31]
	s_cbranch_execnz .LBB228_318
.LBB228_296:
	s_or_b64 exec, exec, s[26:27]
	s_and_b64 s[30:31], s[14:15], s[18:19]
	s_and_saveexec_b64 s[26:27], s[30:31]
	s_cbranch_execnz .LBB228_322
.LBB228_297:
	s_or_b64 exec, exec, s[26:27]
	s_and_b64 s[26:27], s[16:17], s[18:19]
	s_and_saveexec_b64 s[18:19], s[26:27]
	s_cbranch_execnz .LBB228_326
	s_branch .LBB228_330
.LBB228_298:
	s_and_b64 vcc, exec, s[0:1]
	s_cbranch_vccnz .LBB228_300
; %bb.299:
	v_lshl_add_u64 v[24:25], v[32:33], 1, v[22:23]
	flat_load_ushort v24, v[24:25]
	s_waitcnt vmcnt(0) lgkmcnt(0)
	v_mul_f16_e32 v24, v52, v24
	s_branch .LBB228_301
.LBB228_300:
	v_mov_b32_e32 v24, 0
.LBB228_301:
	v_pk_add_f16 v25, v16, v4
	v_pk_max_f16 v26, v68, v68
	s_nop 0
	v_pk_min_f16 v25, v26, v25
	v_pk_add_f16 v26, v17, v5
	s_nop 0
	v_pk_min_f16 v25, v25, v26
	s_nop 0
	v_lshrrev_b32_e32 v26, 16, v25
	v_min3_f16 v26, v24, v25, v26
	v_lshl_add_u64 v[24:25], v[32:33], 1, v[20:21]
	global_store_short v[24:25], v26, off
	s_or_b64 exec, exec, s[26:27]
	s_and_b64 s[30:31], s[2:3], s[18:19]
	s_and_saveexec_b64 s[26:27], s[30:31]
	s_cbranch_execz .LBB228_292
.LBB228_302:
	s_and_b64 vcc, exec, s[0:1]
	s_cbranch_vccnz .LBB228_304
; %bb.303:
	v_lshl_add_u64 v[24:25], v[34:35], 1, v[22:23]
	flat_load_ushort v24, v[24:25]
	s_waitcnt vmcnt(0) lgkmcnt(0)
	v_mul_f16_e32 v24, v52, v24
	s_branch .LBB228_305
.LBB228_304:
	v_mov_b32_e32 v24, 0
.LBB228_305:
	v_pk_add_f16 v25, v18, v4
	v_pk_max_f16 v26, v67, v67
	s_nop 0
	v_pk_min_f16 v25, v26, v25
	v_pk_add_f16 v26, v19, v5
	s_nop 0
	v_pk_min_f16 v25, v25, v26
	s_nop 0
	v_lshrrev_b32_e32 v26, 16, v25
	v_min3_f16 v26, v24, v25, v26
	v_lshl_add_u64 v[24:25], v[34:35], 1, v[20:21]
	global_store_short v[24:25], v26, off
	s_or_b64 exec, exec, s[26:27]
	s_and_b64 s[30:31], s[6:7], s[18:19]
	s_and_saveexec_b64 s[26:27], s[30:31]
	s_cbranch_execz .LBB228_293
.LBB228_306:
	s_and_b64 vcc, exec, s[0:1]
	s_cbranch_vccnz .LBB228_308
; %bb.307:
	v_lshl_add_u64 v[24:25], v[36:37], 1, v[22:23]
	flat_load_ushort v24, v[24:25]
	s_waitcnt vmcnt(0) lgkmcnt(0)
	v_mul_f16_e32 v24, v52, v24
	s_branch .LBB228_309
.LBB228_308:
	v_mov_b32_e32 v24, 0
.LBB228_309:
	v_pk_add_f16 v25, v12, v4
	v_pk_max_f16 v26, v66, v66
	s_nop 0
	v_pk_min_f16 v25, v26, v25
	v_pk_add_f16 v26, v13, v5
	s_nop 0
	v_pk_min_f16 v25, v25, v26
	s_nop 0
	v_lshrrev_b32_e32 v26, 16, v25
	v_min3_f16 v26, v24, v25, v26
	v_lshl_add_u64 v[24:25], v[36:37], 1, v[20:21]
	global_store_short v[24:25], v26, off
	s_or_b64 exec, exec, s[26:27]
	s_and_b64 s[30:31], s[8:9], s[18:19]
	s_and_saveexec_b64 s[26:27], s[30:31]
	s_cbranch_execz .LBB228_294
.LBB228_310:
	s_and_b64 vcc, exec, s[0:1]
	s_cbranch_vccnz .LBB228_312
; %bb.311:
	v_lshl_add_u64 v[24:25], v[38:39], 1, v[22:23]
	flat_load_ushort v24, v[24:25]
	s_waitcnt vmcnt(0) lgkmcnt(0)
	v_mul_f16_e32 v24, v52, v24
	s_branch .LBB228_313
.LBB228_312:
	v_mov_b32_e32 v24, 0
.LBB228_313:
	v_pk_add_f16 v25, v14, v4
	v_pk_max_f16 v26, v65, v65
	s_nop 0
	v_pk_min_f16 v25, v26, v25
	v_pk_add_f16 v26, v15, v5
	s_nop 0
	v_pk_min_f16 v25, v25, v26
	s_nop 0
	v_lshrrev_b32_e32 v26, 16, v25
	v_min3_f16 v26, v24, v25, v26
	v_lshl_add_u64 v[24:25], v[38:39], 1, v[20:21]
	global_store_short v[24:25], v26, off
	s_or_b64 exec, exec, s[26:27]
	s_and_b64 s[30:31], s[10:11], s[18:19]
	s_and_saveexec_b64 s[26:27], s[30:31]
	s_cbranch_execz .LBB228_295
.LBB228_314:
	s_and_b64 vcc, exec, s[0:1]
	s_cbranch_vccnz .LBB228_316
; %bb.315:
	v_lshl_add_u64 v[24:25], v[40:41], 1, v[22:23]
	flat_load_ushort v24, v[24:25]
	s_waitcnt vmcnt(0) lgkmcnt(0)
	v_mul_f16_e32 v24, v52, v24
	s_branch .LBB228_317
.LBB228_316:
	v_mov_b32_e32 v24, 0
.LBB228_317:
	v_pk_add_f16 v25, v8, v4
	v_pk_max_f16 v26, v64, v64
	s_nop 0
	v_pk_min_f16 v25, v26, v25
	v_pk_add_f16 v26, v9, v5
	s_nop 0
	v_pk_min_f16 v25, v25, v26
	s_nop 0
	v_lshrrev_b32_e32 v26, 16, v25
	v_min3_f16 v26, v24, v25, v26
	v_lshl_add_u64 v[24:25], v[40:41], 1, v[20:21]
	global_store_short v[24:25], v26, off
	s_or_b64 exec, exec, s[26:27]
	s_and_b64 s[30:31], s[12:13], s[18:19]
	s_and_saveexec_b64 s[26:27], s[30:31]
	s_cbranch_execz .LBB228_296
.LBB228_318:
	s_and_b64 vcc, exec, s[0:1]
	s_cbranch_vccnz .LBB228_320
; %bb.319:
	v_lshl_add_u64 v[24:25], v[42:43], 1, v[22:23]
	flat_load_ushort v24, v[24:25]
	s_waitcnt vmcnt(0) lgkmcnt(0)
	v_mul_f16_e32 v24, v52, v24
	s_branch .LBB228_321
.LBB228_320:
	v_mov_b32_e32 v24, 0
.LBB228_321:
	v_pk_add_f16 v25, v10, v4
	v_pk_max_f16 v26, v63, v63
	s_nop 0
	v_pk_min_f16 v25, v26, v25
	v_pk_add_f16 v26, v11, v5
	s_nop 0
	v_pk_min_f16 v25, v25, v26
	s_nop 0
	v_lshrrev_b32_e32 v26, 16, v25
	v_min3_f16 v26, v24, v25, v26
	v_lshl_add_u64 v[24:25], v[42:43], 1, v[20:21]
	global_store_short v[24:25], v26, off
	s_or_b64 exec, exec, s[26:27]
	s_and_b64 s[30:31], s[14:15], s[18:19]
	s_and_saveexec_b64 s[26:27], s[30:31]
	s_cbranch_execz .LBB228_297
.LBB228_322:
	s_and_b64 vcc, exec, s[0:1]
	s_cbranch_vccnz .LBB228_324
; %bb.323:
	v_lshl_add_u64 v[24:25], v[44:45], 1, v[22:23]
	flat_load_ushort v24, v[24:25]
	s_waitcnt vmcnt(0) lgkmcnt(0)
	v_mul_f16_e32 v24, v52, v24
	s_branch .LBB228_325
.LBB228_324:
	v_mov_b32_e32 v24, 0
.LBB228_325:
	v_pk_add_f16 v25, v0, v4
	v_pk_max_f16 v26, v62, v62
	s_nop 0
	v_pk_min_f16 v25, v26, v25
	v_pk_add_f16 v26, v1, v5
	s_nop 0
	v_pk_min_f16 v25, v25, v26
	s_nop 0
	v_lshrrev_b32_e32 v26, 16, v25
	v_min3_f16 v26, v24, v25, v26
	v_lshl_add_u64 v[24:25], v[44:45], 1, v[20:21]
	global_store_short v[24:25], v26, off
	s_or_b64 exec, exec, s[26:27]
	s_and_b64 s[26:27], s[16:17], s[18:19]
	s_and_saveexec_b64 s[18:19], s[26:27]
	s_cbranch_execz .LBB228_330
.LBB228_326:
	s_and_b64 vcc, exec, s[0:1]
	s_cbranch_vccnz .LBB228_328
; %bb.327:
	v_lshl_add_u64 v[22:23], v[46:47], 1, v[22:23]
	flat_load_ushort v22, v[22:23]
	s_waitcnt vmcnt(0) lgkmcnt(0)
	v_mul_f16_e32 v22, v52, v22
	s_branch .LBB228_329
.LBB228_328:
	v_mov_b32_e32 v22, 0
.LBB228_329:
	v_pk_add_f16 v4, v2, v4
	v_pk_max_f16 v23, v61, v61
	v_pk_add_f16 v5, v3, v5
	v_pk_min_f16 v4, v23, v4
	s_nop 0
	v_pk_min_f16 v4, v4, v5
	s_nop 0
	v_lshrrev_b32_e32 v5, 16, v4
	v_min3_f16 v22, v22, v4, v5
	v_lshl_add_u64 v[4:5], v[46:47], 1, v[20:21]
	global_store_short v[4:5], v22, off
.LBB228_330:
	s_or_b64 exec, exec, s[18:19]
	v_add_u32_e32 v22, 0xe0, v94
	v_cmp_gt_i32_e64 s[18:19], s21, v22
	v_mad_i64_i32 v[4:5], s[20:21], v22, s29, 0
	v_lshl_add_u64 v[20:21], v[4:5], 1, s[24:25]
	v_mad_i64_i32 v[4:5], s[20:21], v22, s28, 0
	v_lshl_add_u64 v[4:5], v[4:5], 1, s[22:23]
	s_and_b64 s[20:21], s[4:5], s[18:19]
	s_and_saveexec_b64 s[4:5], s[20:21]
	s_cbranch_execnz .LBB228_339
; %bb.331:
	s_or_b64 exec, exec, s[4:5]
	s_and_b64 s[4:5], s[2:3], s[18:19]
	s_and_saveexec_b64 s[2:3], s[4:5]
	s_cbranch_execnz .LBB228_343
.LBB228_332:
	s_or_b64 exec, exec, s[2:3]
	s_and_b64 s[4:5], s[6:7], s[18:19]
	s_and_saveexec_b64 s[2:3], s[4:5]
	s_cbranch_execnz .LBB228_347
.LBB228_333:
	s_or_b64 exec, exec, s[2:3]
	s_and_b64 s[4:5], s[8:9], s[18:19]
	s_and_saveexec_b64 s[2:3], s[4:5]
	s_cbranch_execnz .LBB228_351
.LBB228_334:
	s_or_b64 exec, exec, s[2:3]
	s_and_b64 s[4:5], s[10:11], s[18:19]
	s_and_saveexec_b64 s[2:3], s[4:5]
	s_cbranch_execnz .LBB228_355
.LBB228_335:
	s_or_b64 exec, exec, s[2:3]
	s_and_b64 s[4:5], s[12:13], s[18:19]
	s_and_saveexec_b64 s[2:3], s[4:5]
	s_cbranch_execnz .LBB228_359
.LBB228_336:
	s_or_b64 exec, exec, s[2:3]
	s_and_b64 s[4:5], s[14:15], s[18:19]
	s_and_saveexec_b64 s[2:3], s[4:5]
	s_cbranch_execnz .LBB228_363
.LBB228_337:
	s_or_b64 exec, exec, s[2:3]
	s_and_b64 s[2:3], s[16:17], s[18:19]
	s_and_saveexec_b64 s[4:5], s[2:3]
	s_cbranch_execnz .LBB228_367
.LBB228_338:
	s_endpgm
.LBB228_339:
	s_and_b64 vcc, exec, s[0:1]
	s_cbranch_vccnz .LBB228_341
; %bb.340:
	v_lshl_add_u64 v[22:23], v[32:33], 1, v[20:21]
	flat_load_ushort v22, v[22:23]
	s_waitcnt vmcnt(0) lgkmcnt(0)
	v_mul_f16_e32 v22, v52, v22
	s_branch .LBB228_342
.LBB228_341:
	v_mov_b32_e32 v22, 0
.LBB228_342:
	v_pk_add_f16 v16, v16, v6
	v_pk_max_f16 v23, v60, v60
	v_pk_add_f16 v17, v17, v7
	v_pk_min_f16 v16, v23, v16
	s_nop 0
	v_pk_min_f16 v16, v16, v17
	s_nop 0
	v_lshrrev_b32_e32 v17, 16, v16
	v_min3_f16 v22, v22, v16, v17
	v_lshl_add_u64 v[16:17], v[32:33], 1, v[4:5]
	global_store_short v[16:17], v22, off
	s_or_b64 exec, exec, s[4:5]
	s_and_b64 s[4:5], s[2:3], s[18:19]
	s_and_saveexec_b64 s[2:3], s[4:5]
	s_cbranch_execz .LBB228_332
.LBB228_343:
	s_and_b64 vcc, exec, s[0:1]
	s_cbranch_vccnz .LBB228_345
; %bb.344:
	v_lshl_add_u64 v[16:17], v[34:35], 1, v[20:21]
	flat_load_ushort v16, v[16:17]
	s_waitcnt vmcnt(0) lgkmcnt(0)
	v_mul_f16_e32 v16, v52, v16
	s_branch .LBB228_346
.LBB228_345:
	v_mov_b32_e32 v16, 0
.LBB228_346:
	v_pk_add_f16 v17, v18, v6
	v_pk_max_f16 v18, v59, v59
	s_nop 0
	v_pk_min_f16 v17, v18, v17
	v_pk_add_f16 v18, v19, v7
	s_nop 0
	v_pk_min_f16 v17, v17, v18
	s_nop 0
	v_lshrrev_b32_e32 v18, 16, v17
	v_min3_f16 v18, v16, v17, v18
	v_lshl_add_u64 v[16:17], v[34:35], 1, v[4:5]
	global_store_short v[16:17], v18, off
	s_or_b64 exec, exec, s[2:3]
	s_and_b64 s[4:5], s[6:7], s[18:19]
	s_and_saveexec_b64 s[2:3], s[4:5]
	s_cbranch_execz .LBB228_333
.LBB228_347:
	s_and_b64 vcc, exec, s[0:1]
	s_cbranch_vccnz .LBB228_349
; %bb.348:
	v_lshl_add_u64 v[16:17], v[36:37], 1, v[20:21]
	flat_load_ushort v16, v[16:17]
	s_waitcnt vmcnt(0) lgkmcnt(0)
	v_mul_f16_e32 v16, v52, v16
	s_branch .LBB228_350
.LBB228_349:
	v_mov_b32_e32 v16, 0
.LBB228_350:
	v_pk_add_f16 v12, v12, v6
	v_pk_max_f16 v17, v58, v58
	v_pk_add_f16 v13, v13, v7
	v_pk_min_f16 v12, v17, v12
	s_nop 0
	v_pk_min_f16 v12, v12, v13
	s_nop 0
	v_lshrrev_b32_e32 v13, 16, v12
	v_min3_f16 v16, v16, v12, v13
	v_lshl_add_u64 v[12:13], v[36:37], 1, v[4:5]
	global_store_short v[12:13], v16, off
	s_or_b64 exec, exec, s[2:3]
	s_and_b64 s[4:5], s[8:9], s[18:19]
	s_and_saveexec_b64 s[2:3], s[4:5]
	s_cbranch_execz .LBB228_334
.LBB228_351:
	s_and_b64 vcc, exec, s[0:1]
	s_cbranch_vccnz .LBB228_353
; %bb.352:
	v_lshl_add_u64 v[12:13], v[38:39], 1, v[20:21]
	flat_load_ushort v12, v[12:13]
	s_waitcnt vmcnt(0) lgkmcnt(0)
	v_mul_f16_e32 v12, v52, v12
	s_branch .LBB228_354
.LBB228_353:
	v_mov_b32_e32 v12, 0
.LBB228_354:
	v_pk_add_f16 v13, v14, v6
	v_pk_max_f16 v14, v56, v56
	s_nop 0
	v_pk_min_f16 v13, v14, v13
	v_pk_add_f16 v14, v15, v7
	s_nop 0
	v_pk_min_f16 v13, v13, v14
	s_nop 0
	v_lshrrev_b32_e32 v14, 16, v13
	v_min3_f16 v14, v12, v13, v14
	v_lshl_add_u64 v[12:13], v[38:39], 1, v[4:5]
	global_store_short v[12:13], v14, off
	s_or_b64 exec, exec, s[2:3]
	s_and_b64 s[4:5], s[10:11], s[18:19]
	s_and_saveexec_b64 s[2:3], s[4:5]
	s_cbranch_execz .LBB228_335
.LBB228_355:
	s_and_b64 vcc, exec, s[0:1]
	s_cbranch_vccnz .LBB228_357
; %bb.356:
	v_lshl_add_u64 v[12:13], v[40:41], 1, v[20:21]
	flat_load_ushort v12, v[12:13]
	s_waitcnt vmcnt(0) lgkmcnt(0)
	v_mul_f16_e32 v12, v52, v12
	s_branch .LBB228_358
.LBB228_357:
	v_mov_b32_e32 v12, 0
.LBB228_358:
	v_pk_add_f16 v8, v8, v6
	v_pk_max_f16 v13, v55, v55
	v_pk_add_f16 v9, v9, v7
	v_pk_min_f16 v8, v13, v8
	s_nop 0
	v_pk_min_f16 v8, v8, v9
	s_nop 0
	v_lshrrev_b32_e32 v9, 16, v8
	v_min3_f16 v12, v12, v8, v9
	v_lshl_add_u64 v[8:9], v[40:41], 1, v[4:5]
	global_store_short v[8:9], v12, off
	s_or_b64 exec, exec, s[2:3]
	s_and_b64 s[4:5], s[12:13], s[18:19]
	s_and_saveexec_b64 s[2:3], s[4:5]
	s_cbranch_execz .LBB228_336
.LBB228_359:
	s_and_b64 vcc, exec, s[0:1]
	s_cbranch_vccnz .LBB228_361
; %bb.360:
	v_lshl_add_u64 v[8:9], v[42:43], 1, v[20:21]
	flat_load_ushort v8, v[8:9]
	s_waitcnt vmcnt(0) lgkmcnt(0)
	v_mul_f16_e32 v8, v52, v8
	s_branch .LBB228_362
.LBB228_361:
	v_mov_b32_e32 v8, 0
.LBB228_362:
	v_pk_add_f16 v9, v10, v6
	v_pk_max_f16 v10, v54, v54
	s_nop 0
	v_pk_min_f16 v9, v10, v9
	v_pk_add_f16 v10, v11, v7
	s_nop 0
	v_pk_min_f16 v9, v9, v10
	s_nop 0
	v_lshrrev_b32_e32 v10, 16, v9
	v_min3_f16 v10, v8, v9, v10
	v_lshl_add_u64 v[8:9], v[42:43], 1, v[4:5]
	global_store_short v[8:9], v10, off
	s_or_b64 exec, exec, s[2:3]
	s_and_b64 s[4:5], s[14:15], s[18:19]
	s_and_saveexec_b64 s[2:3], s[4:5]
	s_cbranch_execz .LBB228_337
.LBB228_363:
	s_and_b64 vcc, exec, s[0:1]
	s_cbranch_vccnz .LBB228_365
; %bb.364:
	v_lshl_add_u64 v[8:9], v[44:45], 1, v[20:21]
	flat_load_ushort v8, v[8:9]
	s_waitcnt vmcnt(0) lgkmcnt(0)
	v_mul_f16_e32 v8, v52, v8
	s_branch .LBB228_366
.LBB228_365:
	v_mov_b32_e32 v8, 0
.LBB228_366:
	v_pk_add_f16 v0, v0, v6
	v_pk_max_f16 v9, v53, v53
	v_pk_add_f16 v1, v1, v7
	v_pk_min_f16 v0, v9, v0
	s_nop 0
	v_pk_min_f16 v0, v0, v1
	s_nop 0
	v_lshrrev_b32_e32 v1, 16, v0
	v_min3_f16 v8, v8, v0, v1
	v_lshl_add_u64 v[0:1], v[44:45], 1, v[4:5]
	global_store_short v[0:1], v8, off
	s_or_b64 exec, exec, s[2:3]
	s_and_b64 s[2:3], s[16:17], s[18:19]
	s_and_saveexec_b64 s[4:5], s[2:3]
	s_cbranch_execz .LBB228_338
.LBB228_367:
	s_and_b64 vcc, exec, s[0:1]
	s_cbranch_vccnz .LBB228_369
; %bb.368:
	v_lshl_add_u64 v[0:1], v[46:47], 1, v[20:21]
	flat_load_ushort v0, v[0:1]
	s_waitcnt vmcnt(0) lgkmcnt(0)
	v_mul_f16_e32 v0, v52, v0
	s_branch .LBB228_370
.LBB228_369:
	v_mov_b32_e32 v0, 0
.LBB228_370:
	v_pk_add_f16 v1, v2, v6
	v_pk_max_f16 v2, v57, v57
	s_nop 0
	v_pk_min_f16 v1, v2, v1
	v_pk_add_f16 v2, v3, v7
	s_nop 0
	v_pk_min_f16 v1, v1, v2
	s_nop 0
	v_lshrrev_b32_e32 v2, 16, v1
	v_min3_f16 v2, v0, v1, v2
	v_lshl_add_u64 v[0:1], v[46:47], 1, v[4:5]
	global_store_short v[0:1], v2, off
	s_endpgm
	.section	.rodata,"a",@progbits
	.p2align	6, 0x0
	.amdhsa_kernel _ZN12_GLOBAL__N_120geam_min_plus_kernelIDF16_Dv2_DF16_S1_Li8ELi32ELi64ELi256ELi4ELi4ELi64ELi64ELi4ELc84ELc84ELb0ELb1ELb1EPKDF16_KS3_KPDF16_EEviiiT16_PT17_ilS9_ilS7_S9_ilPT18_ili26rocblas_geam_ex_operation_
		.amdhsa_group_segment_fixed_size 5120
		.amdhsa_private_segment_fixed_size 0
		.amdhsa_kernarg_size 136
		.amdhsa_user_sgpr_count 2
		.amdhsa_user_sgpr_dispatch_ptr 0
		.amdhsa_user_sgpr_queue_ptr 0
		.amdhsa_user_sgpr_kernarg_segment_ptr 1
		.amdhsa_user_sgpr_dispatch_id 0
		.amdhsa_user_sgpr_kernarg_preload_length 0
		.amdhsa_user_sgpr_kernarg_preload_offset 0
		.amdhsa_user_sgpr_private_segment_size 0
		.amdhsa_uses_dynamic_stack 0
		.amdhsa_enable_private_segment 0
		.amdhsa_system_sgpr_workgroup_id_x 1
		.amdhsa_system_sgpr_workgroup_id_y 0
		.amdhsa_system_sgpr_workgroup_id_z 1
		.amdhsa_system_sgpr_workgroup_info 0
		.amdhsa_system_vgpr_workitem_id 1
		.amdhsa_next_free_vgpr 174
		.amdhsa_next_free_sgpr 38
		.amdhsa_accum_offset 176
		.amdhsa_reserve_vcc 1
		.amdhsa_float_round_mode_32 0
		.amdhsa_float_round_mode_16_64 0
		.amdhsa_float_denorm_mode_32 3
		.amdhsa_float_denorm_mode_16_64 3
		.amdhsa_dx10_clamp 1
		.amdhsa_ieee_mode 1
		.amdhsa_fp16_overflow 0
		.amdhsa_tg_split 0
		.amdhsa_exception_fp_ieee_invalid_op 0
		.amdhsa_exception_fp_denorm_src 0
		.amdhsa_exception_fp_ieee_div_zero 0
		.amdhsa_exception_fp_ieee_overflow 0
		.amdhsa_exception_fp_ieee_underflow 0
		.amdhsa_exception_fp_ieee_inexact 0
		.amdhsa_exception_int_div_zero 0
	.end_amdhsa_kernel
	.section	.text._ZN12_GLOBAL__N_120geam_min_plus_kernelIDF16_Dv2_DF16_S1_Li8ELi32ELi64ELi256ELi4ELi4ELi64ELi64ELi4ELc84ELc84ELb0ELb1ELb1EPKDF16_KS3_KPDF16_EEviiiT16_PT17_ilS9_ilS7_S9_ilPT18_ili26rocblas_geam_ex_operation_,"axG",@progbits,_ZN12_GLOBAL__N_120geam_min_plus_kernelIDF16_Dv2_DF16_S1_Li8ELi32ELi64ELi256ELi4ELi4ELi64ELi64ELi4ELc84ELc84ELb0ELb1ELb1EPKDF16_KS3_KPDF16_EEviiiT16_PT17_ilS9_ilS7_S9_ilPT18_ili26rocblas_geam_ex_operation_,comdat
.Lfunc_end228:
	.size	_ZN12_GLOBAL__N_120geam_min_plus_kernelIDF16_Dv2_DF16_S1_Li8ELi32ELi64ELi256ELi4ELi4ELi64ELi64ELi4ELc84ELc84ELb0ELb1ELb1EPKDF16_KS3_KPDF16_EEviiiT16_PT17_ilS9_ilS7_S9_ilPT18_ili26rocblas_geam_ex_operation_, .Lfunc_end228-_ZN12_GLOBAL__N_120geam_min_plus_kernelIDF16_Dv2_DF16_S1_Li8ELi32ELi64ELi256ELi4ELi4ELi64ELi64ELi4ELc84ELc84ELb0ELb1ELb1EPKDF16_KS3_KPDF16_EEviiiT16_PT17_ilS9_ilS7_S9_ilPT18_ili26rocblas_geam_ex_operation_
                                        ; -- End function
	.section	.AMDGPU.csdata,"",@progbits
; Kernel info:
; codeLenInByte = 20012
; NumSgprs: 44
; NumVgprs: 174
; NumAgprs: 0
; TotalNumVgprs: 174
; ScratchSize: 0
; MemoryBound: 0
; FloatMode: 240
; IeeeMode: 1
; LDSByteSize: 5120 bytes/workgroup (compile time only)
; SGPRBlocks: 5
; VGPRBlocks: 21
; NumSGPRsForWavesPerEU: 44
; NumVGPRsForWavesPerEU: 174
; AccumOffset: 176
; Occupancy: 2
; WaveLimiterHint : 1
; COMPUTE_PGM_RSRC2:SCRATCH_EN: 0
; COMPUTE_PGM_RSRC2:USER_SGPR: 2
; COMPUTE_PGM_RSRC2:TRAP_HANDLER: 0
; COMPUTE_PGM_RSRC2:TGID_X_EN: 1
; COMPUTE_PGM_RSRC2:TGID_Y_EN: 0
; COMPUTE_PGM_RSRC2:TGID_Z_EN: 1
; COMPUTE_PGM_RSRC2:TIDIG_COMP_CNT: 1
; COMPUTE_PGM_RSRC3_GFX90A:ACCUM_OFFSET: 43
; COMPUTE_PGM_RSRC3_GFX90A:TG_SPLIT: 0
	.section	.text._ZN12_GLOBAL__N_120geam_min_plus_kernelIDF16_Dv2_DF16_S1_Li8ELi32ELi64ELi256ELi4ELi4ELi64ELi64ELi4ELc84ELc84ELb1ELb1ELb1EDF16_KPKDF16_KPDF16_EEviiiT16_PT17_ilS9_ilS7_S9_ilPT18_ili26rocblas_geam_ex_operation_,"axG",@progbits,_ZN12_GLOBAL__N_120geam_min_plus_kernelIDF16_Dv2_DF16_S1_Li8ELi32ELi64ELi256ELi4ELi4ELi64ELi64ELi4ELc84ELc84ELb1ELb1ELb1EDF16_KPKDF16_KPDF16_EEviiiT16_PT17_ilS9_ilS7_S9_ilPT18_ili26rocblas_geam_ex_operation_,comdat
	.globl	_ZN12_GLOBAL__N_120geam_min_plus_kernelIDF16_Dv2_DF16_S1_Li8ELi32ELi64ELi256ELi4ELi4ELi64ELi64ELi4ELc84ELc84ELb1ELb1ELb1EDF16_KPKDF16_KPDF16_EEviiiT16_PT17_ilS9_ilS7_S9_ilPT18_ili26rocblas_geam_ex_operation_ ; -- Begin function _ZN12_GLOBAL__N_120geam_min_plus_kernelIDF16_Dv2_DF16_S1_Li8ELi32ELi64ELi256ELi4ELi4ELi64ELi64ELi4ELc84ELc84ELb1ELb1ELb1EDF16_KPKDF16_KPDF16_EEviiiT16_PT17_ilS9_ilS7_S9_ilPT18_ili26rocblas_geam_ex_operation_
	.p2align	8
	.type	_ZN12_GLOBAL__N_120geam_min_plus_kernelIDF16_Dv2_DF16_S1_Li8ELi32ELi64ELi256ELi4ELi4ELi64ELi64ELi4ELc84ELc84ELb1ELb1ELb1EDF16_KPKDF16_KPDF16_EEviiiT16_PT17_ilS9_ilS7_S9_ilPT18_ili26rocblas_geam_ex_operation_,@function
_ZN12_GLOBAL__N_120geam_min_plus_kernelIDF16_Dv2_DF16_S1_Li8ELi32ELi64ELi256ELi4ELi4ELi64ELi64ELi4ELc84ELc84ELb1ELb1ELb1EDF16_KPKDF16_KPDF16_EEviiiT16_PT17_ilS9_ilS7_S9_ilPT18_ili26rocblas_geam_ex_operation_: ; @_ZN12_GLOBAL__N_120geam_min_plus_kernelIDF16_Dv2_DF16_S1_Li8ELi32ELi64ELi256ELi4ELi4ELi64ELi64ELi4ELc84ELc84ELb1ELb1ELb1EDF16_KPKDF16_KPDF16_EEviiiT16_PT17_ilS9_ilS7_S9_ilPT18_ili26rocblas_geam_ex_operation_
; %bb.0:
	s_load_dwordx4 s[20:23], s[0:1], 0x0
	s_load_dwordx4 s[4:7], s[0:1], 0x20
	s_mov_b32 s8, s3
	s_mov_b32 s9, 0
	s_waitcnt lgkmcnt(0)
	v_cmp_eq_f16_e64 s[10:11], s23, 0
	s_and_b64 vcc, exec, s[10:11]
	s_cbranch_vccnz .LBB229_3
; %bb.1:
	s_load_dwordx2 s[12:13], s[0:1], 0x10
	s_lshl_b64 s[14:15], s[8:9], 3
	s_waitcnt lgkmcnt(0)
	s_add_u32 s12, s12, s14
	s_addc_u32 s13, s13, s15
	s_load_dwordx2 s[12:13], s[12:13], 0x0
	s_lshl_b64 s[4:5], s[4:5], 1
	s_waitcnt lgkmcnt(0)
	s_add_u32 s18, s12, s4
	s_addc_u32 s19, s13, s5
	s_andn2_b64 vcc, exec, s[10:11]
	s_cbranch_vccnz .LBB229_4
.LBB229_2:
	s_mov_b64 s[26:27], 0
	s_cbranch_execz .LBB229_5
	s_branch .LBB229_6
.LBB229_3:
	s_mov_b64 s[18:19], 0
	s_andn2_b64 vcc, exec, s[10:11]
	s_cbranch_vccz .LBB229_2
.LBB229_4:
                                        ; implicit-def: $sgpr26_sgpr27
.LBB229_5:
	s_lshl_b64 s[10:11], s[8:9], 3
	s_add_u32 s6, s6, s10
	s_load_dwordx2 s[4:5], s[0:1], 0x38
	s_addc_u32 s7, s7, s11
	s_load_dwordx2 s[6:7], s[6:7], 0x0
	s_waitcnt lgkmcnt(0)
	s_lshl_b64 s[4:5], s[4:5], 1
	s_add_u32 s26, s6, s4
	s_addc_u32 s27, s7, s5
.LBB229_6:
	s_load_dword s33, s[0:1], 0x40
	s_load_dwordx4 s[4:7], s[0:1], 0x58
	s_waitcnt lgkmcnt(0)
	v_cmp_eq_f16_e64 s[10:11], s33, 0
	v_cmp_neq_f16_e64 s[12:13], s33, 0
	s_and_b64 vcc, exec, s[10:11]
	s_cbranch_vccnz .LBB229_8
; %bb.7:
	s_load_dwordx2 s[10:11], s[0:1], 0x48
	s_lshl_b64 s[14:15], s[8:9], 3
	s_waitcnt lgkmcnt(0)
	s_add_u32 s10, s10, s14
	s_addc_u32 s11, s11, s15
	s_load_dwordx2 s[10:11], s[10:11], 0x0
	s_lshl_b64 s[4:5], s[4:5], 1
	s_waitcnt lgkmcnt(0)
	s_add_u32 s24, s10, s4
	s_addc_u32 s25, s11, s5
	s_branch .LBB229_9
.LBB229_8:
	s_mov_b64 s[24:25], 0
.LBB229_9:
	s_lshl_b64 s[4:5], s[8:9], 3
	s_add_u32 s4, s6, s4
	s_addc_u32 s5, s7, s5
	s_add_i32 s3, s20, -1
	s_ashr_i32 s6, s3, 31
	s_lshr_b32 s6, s6, 26
	s_add_i32 s3, s3, s6
	s_ashr_i32 s6, s3, 6
	s_add_i32 s7, s6, 1
	v_cvt_f32_u32_e32 v1, s7
	v_and_b32_e32 v42, 0x3ff, v0
	v_bfe_u32 v43, v0, 10, 10
	s_load_dwordx2 s[14:15], s[4:5], 0x0
	v_rcp_iflag_f32_e32 v1, v1
	s_not_b32 s4, s6
	s_load_dword s3, s[0:1], 0x18
	v_and_b32_e32 v44, 3, v42
	v_mul_f32_e32 v0, 0x4f7ffffe, v1
	v_cvt_u32_f32_e32 v1, v0
	v_lshl_add_u32 v0, v43, 3, v42
	v_lshrrev_b32_e32 v36, 2, v0
	v_cmp_gt_i32_e32 vcc, s22, v44
	v_readfirstlane_b32 s5, v1
	s_mul_i32 s4, s4, s5
	s_mul_hi_u32 s4, s5, s4
	s_add_i32 s5, s5, s4
	s_mul_hi_u32 s4, s2, s5
	s_mul_i32 s5, s4, s7
	s_sub_i32 s5, s2, s5
	s_add_i32 s6, s4, 1
	s_sub_i32 s8, s5, s7
	s_cmp_ge_u32 s5, s7
	s_cselect_b32 s4, s6, s4
	s_cselect_b32 s5, s8, s5
	s_add_i32 s6, s4, 1
	s_cmp_ge_u32 s5, s7
	s_cselect_b32 s6, s6, s4
	s_mul_i32 s23, s6, s7
	s_sub_i32 s4, s2, s23
	s_lshl_b32 s34, s4, 6
	v_add_u32_e32 v7, s34, v36
	v_cmp_le_i32_e64 s[4:5], s20, v7
	s_xor_b64 s[16:17], s[4:5], -1
	s_and_b64 s[8:9], vcc, s[16:17]
	v_mov_b32_e32 v2, 0x7c00
	v_lshlrev_b32_e32 v32, 1, v44
	v_mov_b32_e32 v3, 0x7c00
	s_and_saveexec_b64 s[4:5], s[8:9]
	s_cbranch_execz .LBB229_11
; %bb.10:
	s_waitcnt lgkmcnt(0)
	v_mad_i64_i32 v[4:5], s[8:9], v7, s3, 0
	v_lshl_add_u64 v[4:5], v[4:5], 1, s[18:19]
	v_mov_b32_e32 v33, 0
	v_lshl_add_u64 v[4:5], v[4:5], 0, v[32:33]
	flat_load_ushort v3, v[4:5]
.LBB229_11:
	s_or_b64 exec, exec, s[4:5]
	s_load_dword s28, s[0:1], 0x30
	v_and_b32_e32 v4, 63, v0
	s_lshl_b32 s35, s6, 8
	v_lshrrev_b32_e32 v47, 6, v0
	v_or_b32_e32 v34, s35, v4
	v_cmp_le_i32_e64 s[8:9], s22, v47
	s_waitcnt lgkmcnt(0)
	v_mad_i64_i32 v[0:1], s[4:5], s28, v47, 0
	v_cmp_le_i32_e32 vcc, s21, v34
	s_or_b64 s[4:5], vcc, s[8:9]
	v_lshl_add_u64 v[0:1], v[0:1], 1, s[26:27]
	s_xor_b64 s[6:7], s[4:5], -1
	v_ashrrev_i32_e32 v35, 31, v34
	s_and_saveexec_b64 s[4:5], s[6:7]
	s_cbranch_execz .LBB229_13
; %bb.12:
	v_lshl_add_u64 v[8:9], v[34:35], 1, v[0:1]
	flat_load_ushort v2, v[8:9]
.LBB229_13:
	s_or_b64 exec, exec, s[4:5]
	v_or_b32_e32 v5, 64, v34
	v_cmp_le_i32_e64 s[10:11], s21, v5
	s_or_b64 s[4:5], s[10:11], s[8:9]
	s_xor_b64 s[6:7], s[4:5], -1
	v_mov_b32_e32 v5, 0x7c00
	v_mov_b32_e32 v6, 0x7c00
	s_and_saveexec_b64 s[4:5], s[6:7]
	s_cbranch_execz .LBB229_15
; %bb.14:
	v_lshl_add_u64 v[8:9], v[34:35], 1, v[0:1]
	flat_load_ushort v6, v[8:9] offset:128
.LBB229_15:
	s_or_b64 exec, exec, s[4:5]
	v_or_b32_e32 v8, 0x80, v34
	v_cmp_le_i32_e64 s[4:5], s21, v8
	s_or_b64 s[6:7], s[4:5], s[8:9]
	s_ashr_i32 s29, s28, 31
	s_xor_b64 s[30:31], s[6:7], -1
	s_and_saveexec_b64 s[6:7], s[30:31]
	s_cbranch_execz .LBB229_17
; %bb.16:
	v_lshl_add_u64 v[8:9], v[34:35], 1, v[0:1]
	flat_load_ushort v5, v[8:9] offset:256
.LBB229_17:
	s_or_b64 exec, exec, s[6:7]
	v_or_b32_e32 v8, 0xc0, v34
	v_cmp_le_i32_e64 s[6:7], s21, v8
	s_or_b64 s[8:9], s[6:7], s[8:9]
	s_xor_b64 s[30:31], s[8:9], -1
	v_mov_b32_e32 v33, 0x7c00
	v_mov_b32_e32 v8, 0x7c00
	s_and_saveexec_b64 s[8:9], s[30:31]
	s_cbranch_execz .LBB229_19
; %bb.18:
	v_lshl_add_u64 v[0:1], v[34:35], 1, v[0:1]
	flat_load_ushort v8, v[0:1] offset:384
.LBB229_19:
	s_or_b64 exec, exec, s[8:9]
	v_or_b32_e32 v0, 4, v44
	v_cmp_gt_i32_e64 s[8:9], s22, v0
	s_and_b64 s[30:31], s[8:9], s[16:17]
	s_and_saveexec_b64 s[8:9], s[30:31]
	s_cbranch_execz .LBB229_21
; %bb.20:
	v_mad_i64_i32 v[0:1], s[30:31], v7, s3, 0
	v_lshl_add_u64 v[0:1], v[0:1], 1, s[18:19]
	v_mov_b32_e32 v33, 0
	v_lshl_add_u64 v[0:1], v[0:1], 0, v[32:33]
	flat_load_ushort v33, v[0:1] offset:8
.LBB229_21:
	s_or_b64 exec, exec, s[8:9]
	v_add_u32_e32 v0, 4, v47
	v_cmp_le_i32_e64 s[8:9], s22, v0
	v_mad_i64_i32 v[0:1], s[30:31], s28, v0, 0
	s_or_b64 s[30:31], vcc, s[8:9]
	v_lshl_add_u64 v[0:1], v[0:1], 1, s[26:27]
	s_xor_b64 s[36:37], s[30:31], -1
	v_mov_b32_e32 v37, 0x7c00
	v_mov_b32_e32 v38, 0x7c00
	s_and_saveexec_b64 s[30:31], s[36:37]
	s_cbranch_execz .LBB229_23
; %bb.22:
	v_lshl_add_u64 v[10:11], v[34:35], 1, v[0:1]
	flat_load_ushort v38, v[10:11]
.LBB229_23:
	s_or_b64 exec, exec, s[30:31]
	s_or_b64 s[30:31], s[10:11], s[8:9]
	s_xor_b64 s[36:37], s[30:31], -1
	s_and_saveexec_b64 s[30:31], s[36:37]
	s_cbranch_execz .LBB229_25
; %bb.24:
	v_lshl_add_u64 v[10:11], v[34:35], 1, v[0:1]
	flat_load_ushort v37, v[10:11] offset:128
.LBB229_25:
	s_or_b64 exec, exec, s[30:31]
	s_or_b64 s[30:31], s[4:5], s[8:9]
	s_xor_b64 s[36:37], s[30:31], -1
	v_mov_b32_e32 v39, 0x7c00
	v_mov_b32_e32 v40, 0x7c00
	s_and_saveexec_b64 s[30:31], s[36:37]
	s_cbranch_execz .LBB229_27
; %bb.26:
	v_lshl_add_u64 v[10:11], v[34:35], 1, v[0:1]
	flat_load_ushort v40, v[10:11] offset:256
.LBB229_27:
	s_or_b64 exec, exec, s[30:31]
	s_or_b64 s[8:9], s[6:7], s[8:9]
	s_xor_b64 s[30:31], s[8:9], -1
	s_and_saveexec_b64 s[8:9], s[30:31]
	s_cbranch_execz .LBB229_29
; %bb.28:
	v_lshl_add_u64 v[0:1], v[34:35], 1, v[0:1]
	flat_load_ushort v39, v[0:1] offset:384
.LBB229_29:
	s_or_b64 exec, exec, s[8:9]
	v_lshlrev_b32_e32 v0, 1, v47
	v_lshlrev_b32_e32 v45, 3, v42
	v_lshl_or_b32 v41, v36, 3, v32
	v_lshl_add_u32 v48, v4, 3, v0
	v_add_u32_e32 v49, 0x1000, v45
	v_lshlrev_b32_e32 v46, 3, v43
	s_waitcnt vmcnt(0)
	ds_write_b16 v41, v3 offset:4096
	s_waitcnt lgkmcnt(0)
	ds_write_b16 v48, v2
	ds_write_b16 v48, v6 offset:512
	ds_write_b16 v48, v5 offset:1024
	;; [unrolled: 1-line block ×3, first 2 shown]
	s_waitcnt lgkmcnt(0)
	s_barrier
	ds_read2_b64 v[16:19], v49 offset1:8
	ds_read2_b64 v[12:15], v49 offset0:16 offset1:24
	ds_read2_b64 v[4:7], v49 offset0:32 offset1:40
	ds_read2_b64 v[28:31], v46 offset1:32
	ds_read2_b64 v[0:3], v49 offset0:48 offset1:56
	ds_read2_b64 v[24:27], v46 offset0:64 offset1:96
	;; [unrolled: 1-line block ×4, first 2 shown]
	s_movk_i32 s8, 0x7c00
	s_waitcnt lgkmcnt(4)
	v_pk_add_f16 v50, v16, v28
	v_pk_add_f16 v57, v16, v30
	s_waitcnt lgkmcnt(1)
	v_pk_add_f16 v81, v14, v20
	v_pk_add_f16 v64, v16, v24
	v_pk_min_f16 v98, v81, s8 op_sel_hi:[1,0]
	v_pk_add_f16 v81, v4, v20
	v_pk_add_f16 v71, v16, v26
	v_pk_min_f16 v117, v81, s8 op_sel_hi:[1,0]
	;; [unrolled: 3-line block ×11, first 2 shown]
	s_waitcnt lgkmcnt(0)
	v_pk_add_f16 v81, v16, v8
	v_pk_add_f16 v61, v4, v30
	v_pk_min_f16 v127, v81, s8 op_sel_hi:[1,0]
	v_pk_add_f16 v81, v18, v8
	v_pk_add_f16 v66, v12, v24
	v_pk_min_f16 v128, v81, s8 op_sel_hi:[1,0]
	;; [unrolled: 3-line block ×6, first 2 shown]
	v_pk_add_f16 v81, v0, v8
	v_pk_add_f16 v8, v2, v8
	;; [unrolled: 1-line block ×3, first 2 shown]
	v_pk_min_f16 v134, v8, s8 op_sel_hi:[1,0]
	v_pk_add_f16 v8, v16, v10
	v_pk_add_f16 v53, v14, v28
	v_pk_min_f16 v16, v8, s8 op_sel_hi:[1,0]
	v_pk_add_f16 v8, v18, v10
	v_pk_add_f16 v56, v0, v28
	;; [unrolled: 3-line block ×4, first 2 shown]
	v_pk_add_f16 v67, v14, v24
	v_pk_add_f16 v70, v0, v24
	;; [unrolled: 1-line block ×4, first 2 shown]
	v_pk_min_f16 v14, v8, s8 op_sel_hi:[1,0]
	v_pk_min_f16 v8, v4, s8 op_sel_hi:[1,0]
	v_pk_add_f16 v4, v6, v10
	v_pk_add_f16 v0, v0, v10
	v_pk_min_f16 v50, v50, s8 op_sel_hi:[1,0]
	v_pk_add_f16 v55, v6, v28
	v_pk_add_f16 v28, v2, v28
	v_pk_add_f16 v62, v6, v30
	v_pk_add_f16 v30, v2, v30
	v_pk_add_f16 v69, v6, v24
	v_pk_add_f16 v24, v2, v24
	v_pk_add_f16 v76, v6, v26
	v_pk_add_f16 v26, v2, v26
	v_pk_add_f16 v20, v2, v20
	v_pk_add_f16 v22, v2, v22
	v_pk_min_f16 v6, v4, s8 op_sel_hi:[1,0]
	v_pk_min_f16 v4, v0, s8 op_sel_hi:[1,0]
	v_pk_add_f16 v0, v2, v10
	v_pk_add_f16 v2, v17, v29
	v_pk_min_f16 v51, v51, s8 op_sel_hi:[1,0]
	v_pk_min_f16 v116, v50, v2
	v_pk_add_f16 v2, v19, v29
	v_pk_min_f16 v52, v52, s8 op_sel_hi:[1,0]
	v_pk_min_f16 v115, v51, v2
	;; [unrolled: 3-line block ×38, first 2 shown]
	v_pk_add_f16 v2, v1, v21
	s_cmp_lt_i32 s22, 9
	v_pk_min_f16 v77, v119, v2
	v_pk_add_f16 v2, v3, v21
	ds_write_b16 v41, v33 offset:4608
	ds_write_b16 v48, v38 offset:2048
	;; [unrolled: 1-line block ×5, first 2 shown]
	v_pk_min_f16 v76, v20, v2
	v_pk_add_f16 v2, v17, v23
	s_waitcnt lgkmcnt(0)
	v_pk_min_f16 v75, v120, v2
	v_pk_add_f16 v2, v19, v23
	s_barrier
	v_pk_min_f16 v74, v121, v2
	v_pk_add_f16 v2, v13, v23
	s_nop 0
	v_pk_min_f16 v73, v122, v2
	v_pk_add_f16 v2, v15, v23
	s_nop 0
	;; [unrolled: 3-line block ×12, first 2 shown]
	v_pk_min_f16 v62, v132, v2
	v_pk_add_f16 v2, v1, v9
	v_pk_add_f16 v1, v1, v11
	v_pk_min_f16 v60, v133, v2
	v_pk_add_f16 v2, v3, v9
	v_pk_min_f16 v52, v4, v1
	v_pk_min_f16 v59, v134, v2
	v_pk_add_f16 v2, v17, v11
	v_pk_add_f16 v1, v3, v11
	v_pk_min_f16 v58, v16, v2
	v_pk_add_f16 v2, v19, v11
	v_pk_min_f16 v61, v0, v1
	v_pk_min_f16 v57, v18, v2
	v_pk_add_f16 v2, v13, v11
	s_nop 0
	v_pk_min_f16 v56, v12, v2
	v_pk_add_f16 v2, v15, v11
	s_nop 0
	;; [unrolled: 3-line block ×4, first 2 shown]
	v_pk_min_f16 v53, v6, v2
	s_cbranch_scc1 .LBB229_52
; %bb.30:
	v_mov_b32_e32 v0, 0x1200
	v_lshl_add_u32 v117, v42, 3, v0
	v_mov_b32_e32 v0, 0x800
	v_lshl_add_u32 v118, v43, 3, v0
	v_lshl_add_u32 v0, s2, 6, v36
	s_lshl_b32 s2, s23, 6
	v_subrev_u32_e32 v0, s2, v0
	v_mad_i64_i32 v[0:1], s[2:3], s3, v0, 0
	v_mov_b32_e32 v33, 0
	v_lshl_add_u64 v[0:1], v[0:1], 1, v[32:33]
	v_lshl_add_u64 v[0:1], v[0:1], 0, s[18:19]
	;; [unrolled: 1-line block ×3, first 2 shown]
	v_add_u32_e32 v0, 8, v47
	v_mad_i64_i32 v[0:1], s[2:3], v0, s28, 0
	v_lshlrev_b64 v[36:37], 1, v[0:1]
	v_add_u32_e32 v0, 12, v47
	v_mad_i64_i32 v[0:1], s[2:3], v0, s28, 0
	v_add_u32_e32 v50, 0x1000, v41
	v_add_u32_e32 v51, 0x1200, v41
	v_or_b32_e32 v98, 0x800, v48
	s_add_i32 s30, s22, -8
	v_lshl_add_u64 v[34:35], v[34:35], 1, s[26:27]
	s_lshl_b64 s[18:19], s[28:29], 4
	v_lshlrev_b64 v[38:39], 1, v[0:1]
	s_mov_b32 s23, 0
	s_branch .LBB229_32
.LBB229_31:                             ;   in Loop: Header=BB229_32 Depth=1
	s_or_b64 exec, exec, s[2:3]
	ds_read2_b64 v[8:11], v49 offset1:8
	ds_read2_b64 v[4:7], v49 offset0:16 offset1:24
	ds_read2_b64 v[0:3], v49 offset0:32 offset1:40
	ds_read2_b64 v[124:127], v46 offset1:32
	ds_read2_b64 v[12:15], v49 offset0:48 offset1:56
	ds_read2_b64 v[24:27], v46 offset0:64 offset1:96
	;; [unrolled: 1-line block ×4, first 2 shown]
	s_waitcnt lgkmcnt(0)
	v_pk_add_f16 v40, v8, v124
	v_pk_max_f16 v41, v112, v112
	v_pk_max_f16 v111, v111, v111
	v_pk_min_f16 v40, v41, v40
	v_pk_add_f16 v41, v10, v124
	v_pk_max_f16 v110, v110, v110
	v_pk_min_f16 v41, v111, v41
	v_pk_add_f16 v111, v4, v124
	;; [unrolled: 3-line block ×22, first 2 shown]
	v_pk_add_f16 v24, v14, v24
	v_pk_max_f16 v87, v87, v87
	v_pk_min_f16 v24, v88, v24
	v_pk_add_f16 v88, v8, v26
	v_pk_max_f16 v86, v86, v86
	v_pk_min_f16 v87, v87, v88
	v_pk_add_f16 v88, v10, v26
	v_pk_max_f16 v85, v85, v85
	v_pk_min_f16 v86, v86, v88
	v_pk_add_f16 v88, v4, v26
	v_pk_max_f16 v84, v84, v84
	v_pk_min_f16 v85, v85, v88
	v_pk_add_f16 v88, v6, v26
	v_pk_max_f16 v83, v83, v83
	v_pk_min_f16 v84, v84, v88
	v_pk_add_f16 v88, v0, v26
	v_pk_max_f16 v82, v82, v82
	v_pk_min_f16 v83, v83, v88
	v_pk_add_f16 v88, v2, v26
	v_pk_max_f16 v80, v80, v80
	v_pk_min_f16 v82, v82, v88
	v_pk_add_f16 v88, v12, v26
	v_pk_add_f16 v26, v14, v26
	v_pk_max_f16 v79, v79, v79
	v_pk_min_f16 v26, v80, v26
	v_pk_add_f16 v80, v8, v20
	v_pk_max_f16 v78, v78, v78
	v_pk_min_f16 v79, v79, v80
	v_pk_add_f16 v80, v10, v20
	v_pk_max_f16 v77, v77, v77
	v_pk_min_f16 v78, v78, v80
	v_pk_add_f16 v80, v4, v20
	v_pk_max_f16 v76, v76, v76
	v_pk_min_f16 v77, v77, v80
	v_pk_add_f16 v80, v6, v20
	v_pk_max_f16 v75, v75, v75
	v_pk_min_f16 v76, v76, v80
	v_pk_add_f16 v80, v0, v20
	v_pk_max_f16 v74, v74, v74
	v_pk_min_f16 v75, v75, v80
	v_pk_add_f16 v80, v2, v20
	v_pk_max_f16 v72, v72, v72
	v_pk_min_f16 v74, v74, v80
	v_pk_add_f16 v80, v12, v20
	;; [unrolled: 22-line block ×3, first 2 shown]
	v_pk_add_f16 v22, v14, v22
	v_pk_max_f16 v63, v63, v63
	v_pk_min_f16 v22, v64, v22
	v_pk_add_f16 v64, v8, v16
	v_pk_max_f16 v62, v62, v62
	v_pk_min_f16 v63, v63, v64
	;; [unrolled: 3-line block ×6, first 2 shown]
	v_pk_add_f16 v64, v2, v16
	v_pk_add_f16 v8, v8, v18
	v_pk_min_f16 v58, v58, v64
	v_pk_add_f16 v64, v12, v16
	v_pk_add_f16 v16, v14, v16
	;; [unrolled: 1-line block ×9, first 2 shown]
	v_pk_max_f16 v18, v28, v28
	v_pk_max_f16 v89, v89, v89
	v_pk_min_f16 v14, v18, v14
	v_pk_add_f16 v18, v9, v125
	v_pk_min_f16 v89, v89, v111
	v_pk_min_f16 v116, v40, v18
	v_pk_add_f16 v18, v11, v125
	v_pk_max_f16 v81, v81, v81
	v_pk_min_f16 v115, v41, v18
	v_pk_add_f16 v18, v5, v125
	v_pk_min_f16 v81, v81, v88
	v_pk_min_f16 v114, v110, v18
	v_pk_add_f16 v18, v7, v125
	;; [unrolled: 6-line block ×4, first 2 shown]
	v_pk_max_f16 v57, v57, v57
	v_pk_min_f16 v109, v105, v18
	v_pk_add_f16 v18, v9, v127
	v_pk_max_f16 v31, v31, v31
	v_pk_min_f16 v108, v104, v18
	v_pk_add_f16 v18, v11, v127
	v_pk_min_f16 v57, v57, v64
	v_pk_min_f16 v107, v103, v18
	v_pk_add_f16 v18, v5, v127
	v_pk_max_f16 v54, v54, v54
	v_pk_min_f16 v106, v102, v18
	v_pk_add_f16 v18, v7, v127
	v_pk_min_f16 v0, v31, v0
	v_pk_min_f16 v105, v101, v18
	v_pk_add_f16 v18, v1, v127
	v_pk_max_f16 v30, v30, v30
	v_pk_min_f16 v104, v100, v18
	v_pk_add_f16 v18, v3, v127
	v_pk_max_f16 v55, v55, v55
	v_pk_min_f16 v103, v99, v18
	v_pk_add_f16 v18, v13, v127
	v_pk_min_f16 v10, v54, v10
	v_pk_min_f16 v102, v97, v18
	v_pk_add_f16 v18, v15, v127
	v_pk_max_f16 v53, v53, v53
	v_pk_min_f16 v101, v96, v18
	v_pk_add_f16 v18, v9, v25
	v_pk_min_f16 v2, v30, v2
	v_pk_min_f16 v100, v95, v18
	v_pk_add_f16 v18, v11, v25
	v_pk_max_f16 v29, v29, v29
	v_pk_min_f16 v99, v94, v18
	v_pk_add_f16 v18, v5, v25
	v_pk_max_f16 v56, v56, v56
	v_pk_min_f16 v97, v93, v18
	v_pk_add_f16 v18, v7, v25
	v_pk_min_f16 v8, v55, v8
	v_pk_min_f16 v96, v92, v18
	v_pk_add_f16 v18, v1, v25
	v_pk_min_f16 v4, v53, v4
	v_pk_min_f16 v95, v91, v18
	v_pk_add_f16 v18, v3, v25
	v_pk_max_f16 v52, v52, v52
	v_pk_min_f16 v94, v90, v18
	v_pk_add_f16 v18, v13, v25
	v_pk_min_f16 v12, v29, v12
	v_pk_min_f16 v93, v89, v18
	v_pk_add_f16 v18, v15, v25
	v_pk_min_f16 v16, v56, v16
	;; [unrolled: 3-line block ×3, first 2 shown]
	v_pk_min_f16 v91, v87, v18
	v_pk_add_f16 v18, v11, v27
	s_add_i32 s23, s23, 8
	v_pk_min_f16 v90, v86, v18
	v_pk_add_f16 v18, v5, v27
	v_lshl_add_u64 v[32:33], v[32:33], 0, 16
	v_pk_min_f16 v89, v85, v18
	v_pk_add_f16 v18, v7, v27
	s_cmp_ge_i32 s23, s30
	v_pk_min_f16 v88, v84, v18
	v_pk_add_f16 v18, v1, v27
	v_lshl_add_u64 v[34:35], v[34:35], 0, s[18:19]
	v_pk_min_f16 v87, v83, v18
	v_pk_add_f16 v18, v3, v27
	s_waitcnt vmcnt(0)
	ds_write_b16 v51, v119
	ds_write_b16 v98, v121
	ds_write_b16 v98, v120 offset:512
	ds_write_b16 v98, v123 offset:1024
	;; [unrolled: 1-line block ×3, first 2 shown]
	v_pk_min_f16 v86, v82, v18
	v_pk_add_f16 v18, v13, v27
	s_waitcnt lgkmcnt(0)
	v_pk_min_f16 v85, v81, v18
	v_pk_add_f16 v18, v15, v27
	s_barrier
	v_pk_min_f16 v84, v26, v18
	v_pk_add_f16 v18, v9, v21
	s_nop 0
	v_pk_min_f16 v83, v79, v18
	v_pk_add_f16 v18, v11, v21
	s_nop 0
	;; [unrolled: 3-line block ×16, first 2 shown]
	v_pk_min_f16 v68, v22, v18
	v_pk_add_f16 v18, v9, v17
	v_pk_add_f16 v9, v9, v19
	v_pk_min_f16 v67, v63, v18
	v_pk_add_f16 v18, v11, v17
	s_nop 0
	v_pk_min_f16 v66, v62, v18
	v_pk_add_f16 v18, v5, v17
	v_pk_add_f16 v5, v5, v19
	v_pk_min_f16 v65, v61, v18
	v_pk_add_f16 v18, v7, v17
	v_pk_min_f16 v56, v4, v5
	v_pk_min_f16 v64, v60, v18
	v_pk_add_f16 v18, v1, v17
	v_pk_add_f16 v1, v1, v19
	v_pk_min_f16 v63, v59, v18
	v_pk_min_f16 v54, v0, v1
	v_pk_add_f16 v0, v3, v19
	v_pk_add_f16 v18, v3, v17
	v_pk_min_f16 v53, v2, v0
	v_pk_add_f16 v0, v13, v19
	v_pk_min_f16 v62, v58, v18
	v_pk_add_f16 v18, v13, v17
	v_pk_add_f16 v17, v15, v17
	v_pk_min_f16 v58, v8, v9
	v_pk_add_f16 v8, v11, v19
	;; [unrolled: 3-line block ×3, first 2 shown]
	v_pk_min_f16 v60, v57, v18
	v_pk_min_f16 v59, v16, v17
	v_pk_min_f16 v57, v10, v8
	v_pk_min_f16 v55, v6, v4
	v_pk_min_f16 v61, v14, v0
	s_cbranch_scc1 .LBB229_52
.LBB229_32:                             ; =>This Inner Loop Header: Depth=1
	v_add_u32_e32 v40, s23, v44
	v_add_u32_e32 v0, 8, v40
	v_cmp_gt_i32_e64 s[2:3], s22, v0
	s_and_b64 s[8:9], s[2:3], s[16:17]
	v_mov_b32_e32 v120, 0x7c00
	v_mov_b32_e32 v121, 0x7c00
	s_and_saveexec_b64 s[2:3], s[8:9]
	s_cbranch_execz .LBB229_34
; %bb.33:                               ;   in Loop: Header=BB229_32 Depth=1
	flat_load_ushort v121, v[32:33]
.LBB229_34:                             ;   in Loop: Header=BB229_32 Depth=1
	s_or_b64 exec, exec, s[2:3]
	v_add_u32_e32 v41, s23, v47
	v_add_u32_e32 v0, 8, v41
	v_cmp_le_i32_e64 s[8:9], s22, v0
	s_or_b64 s[2:3], vcc, s[8:9]
	s_xor_b64 s[26:27], s[2:3], -1
	v_lshl_add_u64 v[0:1], v[34:35], 0, v[36:37]
	s_and_saveexec_b64 s[2:3], s[26:27]
	s_cbranch_execz .LBB229_36
; %bb.35:                               ;   in Loop: Header=BB229_32 Depth=1
	flat_load_ushort v120, v[0:1]
.LBB229_36:                             ;   in Loop: Header=BB229_32 Depth=1
	s_or_b64 exec, exec, s[2:3]
	s_or_b64 s[2:3], s[10:11], s[8:9]
	s_xor_b64 s[26:27], s[2:3], -1
	v_mov_b32_e32 v122, 0x7c00
	v_mov_b32_e32 v123, 0x7c00
	s_and_saveexec_b64 s[2:3], s[26:27]
	s_cbranch_execz .LBB229_38
; %bb.37:                               ;   in Loop: Header=BB229_32 Depth=1
	flat_load_ushort v123, v[0:1] offset:128
.LBB229_38:                             ;   in Loop: Header=BB229_32 Depth=1
	s_or_b64 exec, exec, s[2:3]
	s_or_b64 s[2:3], s[4:5], s[8:9]
	s_xor_b64 s[26:27], s[2:3], -1
	s_and_saveexec_b64 s[2:3], s[26:27]
	s_cbranch_execz .LBB229_40
; %bb.39:                               ;   in Loop: Header=BB229_32 Depth=1
	flat_load_ushort v122, v[0:1] offset:256
.LBB229_40:                             ;   in Loop: Header=BB229_32 Depth=1
	s_or_b64 exec, exec, s[2:3]
	s_or_b64 s[2:3], s[6:7], s[8:9]
	s_xor_b64 s[8:9], s[2:3], -1
	v_mov_b32_e32 v119, 0x7c00
	v_mov_b32_e32 v124, 0x7c00
	s_and_saveexec_b64 s[2:3], s[8:9]
	s_cbranch_execz .LBB229_42
; %bb.41:                               ;   in Loop: Header=BB229_32 Depth=1
	flat_load_ushort v124, v[0:1] offset:384
.LBB229_42:                             ;   in Loop: Header=BB229_32 Depth=1
	s_or_b64 exec, exec, s[2:3]
	ds_read2_b64 v[12:15], v117 offset1:8
	ds_read2_b64 v[8:11], v117 offset0:16 offset1:24
	ds_read2_b64 v[4:7], v117 offset0:32 offset1:40
	;; [unrolled: 1-line block ×3, first 2 shown]
	ds_read2_b64 v[28:31], v118 offset1:32
	ds_read2_b64 v[24:27], v118 offset0:64 offset1:96
	ds_read2_b64 v[20:23], v118 offset0:128 offset1:160
	ds_read2_b64 v[16:19], v118 offset0:192 offset1:224
	v_add_u32_e32 v40, 12, v40
	v_cmp_gt_i32_e64 s[2:3], s22, v40
	s_and_b64 s[2:3], s[2:3], s[16:17]
	s_waitcnt vmcnt(0) lgkmcnt(0)
	ds_write_b16 v50, v121
	ds_write_b16 v48, v120
	ds_write_b16 v48, v123 offset:512
	ds_write_b16 v48, v122 offset:1024
	;; [unrolled: 1-line block ×3, first 2 shown]
	s_waitcnt lgkmcnt(0)
	s_barrier
	s_and_saveexec_b64 s[8:9], s[2:3]
	s_xor_b64 s[2:3], exec, s[8:9]
	s_cbranch_execz .LBB229_44
; %bb.43:                               ;   in Loop: Header=BB229_32 Depth=1
	flat_load_ushort v119, v[32:33] offset:8
.LBB229_44:                             ;   in Loop: Header=BB229_32 Depth=1
	s_or_b64 exec, exec, s[2:3]
	v_add_u32_e32 v40, 12, v41
	v_cmp_le_i32_e64 s[8:9], s22, v40
	s_or_b64 s[2:3], vcc, s[8:9]
	s_xor_b64 s[26:27], s[2:3], -1
	v_mov_b32_e32 v120, 0x7c00
	v_lshl_add_u64 v[40:41], v[34:35], 0, v[38:39]
	v_mov_b32_e32 v121, 0x7c00
	s_and_saveexec_b64 s[2:3], s[26:27]
	s_cbranch_execz .LBB229_46
; %bb.45:                               ;   in Loop: Header=BB229_32 Depth=1
	flat_load_ushort v121, v[40:41]
.LBB229_46:                             ;   in Loop: Header=BB229_32 Depth=1
	s_or_b64 exec, exec, s[2:3]
	s_or_b64 s[2:3], s[10:11], s[8:9]
	s_xor_b64 s[26:27], s[2:3], -1
	s_and_saveexec_b64 s[2:3], s[26:27]
	s_cbranch_execz .LBB229_48
; %bb.47:                               ;   in Loop: Header=BB229_32 Depth=1
	flat_load_ushort v120, v[40:41] offset:128
.LBB229_48:                             ;   in Loop: Header=BB229_32 Depth=1
	s_or_b64 exec, exec, s[2:3]
	s_or_b64 s[2:3], s[4:5], s[8:9]
	s_xor_b64 s[26:27], s[2:3], -1
	v_mov_b32_e32 v122, 0x7c00
	v_mov_b32_e32 v123, 0x7c00
	s_and_saveexec_b64 s[2:3], s[26:27]
	s_cbranch_execz .LBB229_50
; %bb.49:                               ;   in Loop: Header=BB229_32 Depth=1
	flat_load_ushort v123, v[40:41] offset:256
.LBB229_50:                             ;   in Loop: Header=BB229_32 Depth=1
	s_or_b64 exec, exec, s[2:3]
	v_pk_add_f16 v124, v12, v28
	v_pk_max_f16 v116, v116, v116
	v_pk_max_f16 v115, v115, v115
	v_pk_min_f16 v116, v116, v124
	v_pk_add_f16 v124, v14, v28
	v_pk_max_f16 v114, v114, v114
	v_pk_min_f16 v115, v115, v124
	v_pk_add_f16 v124, v8, v28
	v_pk_max_f16 v113, v113, v113
	v_pk_min_f16 v114, v114, v124
	v_pk_add_f16 v124, v10, v28
	v_pk_max_f16 v112, v112, v112
	v_pk_min_f16 v113, v113, v124
	v_pk_add_f16 v124, v4, v28
	v_pk_max_f16 v111, v111, v111
	v_pk_min_f16 v124, v112, v124
	v_pk_add_f16 v112, v6, v28
	v_pk_max_f16 v109, v109, v109
	v_pk_min_f16 v125, v111, v112
	v_pk_add_f16 v111, v0, v28
	v_pk_add_f16 v28, v2, v28
	v_pk_max_f16 v108, v108, v108
	v_pk_min_f16 v28, v109, v28
	v_pk_add_f16 v109, v12, v30
	v_pk_max_f16 v107, v107, v107
	v_pk_min_f16 v127, v108, v109
	v_pk_add_f16 v108, v14, v30
	v_pk_max_f16 v106, v106, v106
	v_pk_min_f16 v128, v107, v108
	v_pk_add_f16 v107, v8, v30
	v_pk_max_f16 v105, v105, v105
	v_pk_min_f16 v129, v106, v107
	v_pk_add_f16 v106, v10, v30
	v_pk_max_f16 v104, v104, v104
	v_pk_min_f16 v130, v105, v106
	v_pk_add_f16 v105, v4, v30
	v_pk_max_f16 v103, v103, v103
	v_pk_min_f16 v131, v104, v105
	v_pk_add_f16 v104, v6, v30
	v_pk_max_f16 v101, v101, v101
	v_pk_min_f16 v132, v103, v104
	v_pk_add_f16 v103, v0, v30
	v_pk_add_f16 v30, v2, v30
	v_pk_max_f16 v100, v100, v100
	v_pk_min_f16 v30, v101, v30
	v_pk_add_f16 v101, v12, v24
	;; [unrolled: 22-line block ×6, first 2 shown]
	v_pk_max_f16 v66, v66, v66
	v_pk_min_f16 v162, v67, v68
	v_pk_add_f16 v67, v14, v16
	v_pk_max_f16 v65, v65, v65
	v_pk_min_f16 v163, v66, v67
	v_pk_add_f16 v66, v8, v16
	;; [unrolled: 3-line block ×5, first 2 shown]
	v_pk_add_f16 v12, v12, v18
	v_pk_min_f16 v167, v62, v63
	v_pk_add_f16 v62, v0, v16
	v_pk_add_f16 v16, v2, v16
	v_pk_add_f16 v14, v14, v18
	v_pk_add_f16 v8, v8, v18
	v_pk_add_f16 v10, v10, v18
	v_pk_add_f16 v4, v4, v18
	v_pk_add_f16 v6, v6, v18
	v_pk_add_f16 v0, v0, v18
	v_pk_add_f16 v2, v2, v18
	v_pk_max_f16 v18, v61, v61
	v_pk_max_f16 v110, v110, v110
	v_pk_min_f16 v2, v18, v2
	v_pk_add_f16 v18, v13, v29
	v_pk_min_f16 v126, v110, v111
	v_pk_min_f16 v112, v116, v18
	v_pk_add_f16 v18, v15, v29
	v_pk_max_f16 v102, v102, v102
	v_pk_min_f16 v111, v115, v18
	v_pk_add_f16 v18, v9, v29
	v_pk_min_f16 v133, v102, v103
	v_pk_min_f16 v110, v114, v18
	v_pk_add_f16 v18, v11, v29
	;; [unrolled: 6-line block ×8, first 2 shown]
	v_pk_max_f16 v58, v58, v58
	v_pk_min_f16 v96, v30, v18
	v_pk_add_f16 v18, v13, v25
	v_pk_max_f16 v56, v56, v56
	v_pk_min_f16 v95, v134, v18
	v_pk_add_f16 v18, v15, v25
	;; [unrolled: 3-line block ×4, first 2 shown]
	v_pk_min_f16 v12, v58, v12
	v_pk_min_f16 v92, v137, v18
	v_pk_add_f16 v18, v5, v25
	v_pk_max_f16 v57, v57, v57
	v_pk_min_f16 v91, v138, v18
	v_pk_add_f16 v18, v7, v25
	v_pk_min_f16 v8, v56, v8
	v_pk_min_f16 v90, v139, v18
	v_pk_add_f16 v18, v1, v25
	v_pk_max_f16 v55, v55, v55
	v_pk_min_f16 v89, v140, v18
	v_pk_add_f16 v18, v3, v25
	;; [unrolled: 6-line block ×3, first 2 shown]
	v_pk_min_f16 v0, v52, v0
	v_pk_min_f16 v86, v142, v18
	v_pk_add_f16 v18, v9, v27
	v_pk_min_f16 v14, v57, v14
	v_pk_min_f16 v85, v143, v18
	v_pk_add_f16 v18, v11, v27
	;; [unrolled: 3-line block ×4, first 2 shown]
	s_or_b64 s[2:3], s[6:7], s[8:9]
	v_pk_min_f16 v82, v146, v18
	v_pk_add_f16 v18, v1, v27
	s_xor_b64 s[8:9], s[2:3], -1
	v_pk_min_f16 v81, v147, v18
	v_pk_add_f16 v18, v3, v27
	s_nop 0
	v_pk_min_f16 v80, v26, v18
	v_pk_add_f16 v18, v13, v21
	s_nop 0
	;; [unrolled: 3-line block ×17, first 2 shown]
	v_pk_min_f16 v64, v22, v18
	v_pk_add_f16 v18, v13, v17
	v_pk_add_f16 v13, v13, v19
	v_pk_min_f16 v63, v162, v18
	v_pk_add_f16 v18, v15, v17
	v_pk_min_f16 v55, v12, v13
	v_pk_min_f16 v62, v163, v18
	v_pk_add_f16 v18, v9, v17
	v_pk_add_f16 v9, v9, v19
	v_pk_min_f16 v61, v164, v18
	v_pk_add_f16 v18, v11, v17
	v_pk_add_f16 v12, v15, v19
	;; [unrolled: 3-line block ×3, first 2 shown]
	v_pk_min_f16 v59, v166, v18
	v_pk_add_f16 v18, v7, v17
	v_pk_min_f16 v53, v8, v9
	v_pk_min_f16 v58, v167, v18
	v_pk_add_f16 v18, v1, v17
	v_pk_add_f16 v1, v1, v19
	;; [unrolled: 1-line block ×4, first 2 shown]
	v_pk_min_f16 v31, v4, v5
	v_pk_add_f16 v4, v7, v19
	v_pk_min_f16 v29, v0, v1
	v_pk_add_f16 v0, v3, v19
	v_pk_min_f16 v57, v168, v18
	v_pk_min_f16 v56, v16, v17
	;; [unrolled: 1-line block ×6, first 2 shown]
	s_and_saveexec_b64 s[2:3], s[8:9]
	s_cbranch_execz .LBB229_31
; %bb.51:                               ;   in Loop: Header=BB229_32 Depth=1
	flat_load_ushort v122, v[40:41] offset:384
	s_branch .LBB229_31
.LBB229_52:
	s_load_dwordx2 s[2:3], s[0:1], 0x70
	s_load_dword s29, s[0:1], 0x50
	s_load_dword s28, s[0:1], 0x68
	v_add_u32_e32 v0, 0x1000, v45
	v_add_u32_e32 v4, 0x800, v46
	ds_read2_b64 v[16:19], v0 offset0:64 offset1:72
	ds_read2_b64 v[12:15], v0 offset0:80 offset1:88
	;; [unrolled: 1-line block ×4, first 2 shown]
	ds_read2_b64 v[28:31], v4 offset1:32
	ds_read2_b64 v[24:27], v4 offset0:64 offset1:96
	ds_read2_b64 v[20:23], v4 offset0:128 offset1:160
	;; [unrolled: 1-line block ×3, first 2 shown]
	s_waitcnt lgkmcnt(0)
	s_lshl_b64 s[0:1], s[2:3], 1
	s_add_u32 s22, s14, s0
	v_add_u32_e32 v98, s35, v43
	s_addc_u32 s23, s15, s1
	v_mad_i64_i32 v[34:35], s[0:1], v98, s29, 0
	v_add_u32_e32 v32, s34, v42
	v_lshl_add_u64 v[50:51], v[34:35], 1, s[24:25]
	v_mad_i64_i32 v[34:35], s[0:1], v98, s28, 0
	v_cmp_gt_i32_e64 s[2:3], s20, v32
	v_cmp_gt_i32_e64 s[18:19], s21, v98
	v_lshl_add_u64 v[48:49], v[34:35], 1, s[22:23]
	v_cndmask_b32_e64 v34, 0, 1, s[12:13]
	v_ashrrev_i32_e32 v33, 31, v32
	s_and_b64 s[4:5], s[2:3], s[18:19]
	v_cmp_ne_u32_e64 s[0:1], 1, v34
	s_and_saveexec_b64 s[6:7], s[4:5]
	s_xor_b64 s[4:5], exec, s[6:7]
	s_cbranch_execz .LBB229_57
; %bb.53:
	s_and_b64 vcc, exec, s[0:1]
	s_cbranch_vccnz .LBB229_55
; %bb.54:
	v_lshl_add_u64 v[34:35], v[32:33], 1, v[50:51]
	flat_load_ushort v34, v[34:35]
	s_waitcnt vmcnt(0) lgkmcnt(0)
	v_mul_f16_e32 v34, s33, v34
	s_branch .LBB229_56
.LBB229_55:
	v_mov_b32_e32 v34, 0
.LBB229_56:
	v_pk_add_f16 v35, v16, v28
	v_pk_max_f16 v36, v116, v116
	s_nop 0
	v_pk_min_f16 v35, v36, v35
	v_pk_add_f16 v36, v17, v29
	s_nop 0
	v_pk_min_f16 v35, v35, v36
	s_nop 0
	v_lshrrev_b32_e32 v36, 16, v35
	v_min3_f16 v36, v34, v35, v36
	v_lshl_add_u64 v[34:35], v[32:33], 1, v[48:49]
	global_store_short v[34:35], v36, off
.LBB229_57:
	s_or_b64 exec, exec, s[4:5]
	v_add_u32_e32 v34, 8, v32
	v_cmp_gt_i32_e64 s[4:5], s20, v34
	v_ashrrev_i32_e32 v35, 31, v34
	s_and_b64 s[8:9], s[4:5], s[18:19]
	s_and_saveexec_b64 s[6:7], s[8:9]
	s_cbranch_execz .LBB229_62
; %bb.58:
	s_and_b64 vcc, exec, s[0:1]
	s_cbranch_vccnz .LBB229_60
; %bb.59:
	v_lshl_add_u64 v[36:37], v[34:35], 1, v[50:51]
	flat_load_ushort v36, v[36:37]
	s_waitcnt vmcnt(0) lgkmcnt(0)
	v_mul_f16_e32 v36, s33, v36
	s_branch .LBB229_61
.LBB229_60:
	v_mov_b32_e32 v36, 0
.LBB229_61:
	v_pk_add_f16 v37, v18, v28
	v_pk_max_f16 v38, v115, v115
	s_nop 0
	v_pk_min_f16 v37, v38, v37
	v_pk_add_f16 v38, v19, v29
	s_nop 0
	v_pk_min_f16 v37, v37, v38
	s_nop 0
	v_lshrrev_b32_e32 v38, 16, v37
	v_min3_f16 v38, v36, v37, v38
	v_lshl_add_u64 v[36:37], v[34:35], 1, v[48:49]
	global_store_short v[36:37], v38, off
.LBB229_62:
	s_or_b64 exec, exec, s[6:7]
	v_add_u32_e32 v36, 16, v32
	v_cmp_gt_i32_e64 s[6:7], s20, v36
	v_ashrrev_i32_e32 v37, 31, v36
	s_and_b64 s[10:11], s[6:7], s[18:19]
	s_and_saveexec_b64 s[8:9], s[10:11]
	;; [unrolled: 32-line block ×7, first 2 shown]
	s_cbranch_execz .LBB229_92
; %bb.88:
	s_and_b64 vcc, exec, s[0:1]
	s_cbranch_vccnz .LBB229_90
; %bb.89:
	v_lshl_add_u64 v[50:51], v[46:47], 1, v[50:51]
	flat_load_ushort v50, v[50:51]
	s_waitcnt vmcnt(0) lgkmcnt(0)
	v_mul_f16_e32 v50, s33, v50
	s_branch .LBB229_91
.LBB229_90:
	v_mov_b32_e32 v50, 0
.LBB229_91:
	v_pk_add_f16 v28, v2, v28
	v_pk_max_f16 v51, v109, v109
	v_pk_add_f16 v29, v3, v29
	v_pk_min_f16 v28, v51, v28
	s_nop 0
	v_pk_min_f16 v28, v28, v29
	s_nop 0
	v_lshrrev_b32_e32 v29, 16, v28
	v_min3_f16 v50, v50, v28, v29
	v_lshl_add_u64 v[28:29], v[46:47], 1, v[48:49]
	global_store_short v[28:29], v50, off
.LBB229_92:
	s_or_b64 exec, exec, s[18:19]
	v_add_u32_e32 v50, 32, v98
	v_mad_i64_i32 v[28:29], s[26:27], v50, s29, 0
	v_cmp_gt_i32_e64 s[18:19], s21, v50
	v_lshl_add_u64 v[48:49], v[28:29], 1, s[24:25]
	v_mad_i64_i32 v[28:29], s[26:27], v50, s28, 0
	v_lshl_add_u64 v[28:29], v[28:29], 1, s[22:23]
	s_and_b64 s[30:31], s[2:3], s[18:19]
	s_and_saveexec_b64 s[26:27], s[30:31]
	s_cbranch_execnz .LBB229_100
; %bb.93:
	s_or_b64 exec, exec, s[26:27]
	s_and_b64 s[30:31], s[4:5], s[18:19]
	s_and_saveexec_b64 s[26:27], s[30:31]
	s_cbranch_execnz .LBB229_104
.LBB229_94:
	s_or_b64 exec, exec, s[26:27]
	s_and_b64 s[30:31], s[6:7], s[18:19]
	s_and_saveexec_b64 s[26:27], s[30:31]
	s_cbranch_execnz .LBB229_108
.LBB229_95:
	s_or_b64 exec, exec, s[26:27]
	s_and_b64 s[30:31], s[8:9], s[18:19]
	s_and_saveexec_b64 s[26:27], s[30:31]
	s_cbranch_execnz .LBB229_112
.LBB229_96:
	s_or_b64 exec, exec, s[26:27]
	s_and_b64 s[30:31], s[10:11], s[18:19]
	s_and_saveexec_b64 s[26:27], s[30:31]
	s_cbranch_execnz .LBB229_116
.LBB229_97:
	s_or_b64 exec, exec, s[26:27]
	s_and_b64 s[30:31], s[12:13], s[18:19]
	s_and_saveexec_b64 s[26:27], s[30:31]
	s_cbranch_execnz .LBB229_120
.LBB229_98:
	s_or_b64 exec, exec, s[26:27]
	s_and_b64 s[30:31], s[14:15], s[18:19]
	s_and_saveexec_b64 s[26:27], s[30:31]
	s_cbranch_execnz .LBB229_124
.LBB229_99:
	s_or_b64 exec, exec, s[26:27]
	s_and_b64 s[26:27], s[16:17], s[18:19]
	s_and_saveexec_b64 s[18:19], s[26:27]
	s_cbranch_execnz .LBB229_128
	s_branch .LBB229_132
.LBB229_100:
	s_and_b64 vcc, exec, s[0:1]
	s_cbranch_vccnz .LBB229_102
; %bb.101:
	v_lshl_add_u64 v[50:51], v[32:33], 1, v[48:49]
	flat_load_ushort v50, v[50:51]
	s_waitcnt vmcnt(0) lgkmcnt(0)
	v_mul_f16_e32 v50, s33, v50
	s_branch .LBB229_103
.LBB229_102:
	v_mov_b32_e32 v50, 0
.LBB229_103:
	v_pk_add_f16 v51, v16, v30
	v_pk_max_f16 v108, v108, v108
	s_nop 0
	v_pk_min_f16 v51, v108, v51
	v_pk_add_f16 v108, v17, v31
	s_nop 0
	v_pk_min_f16 v51, v51, v108
	s_nop 0
	v_lshrrev_b32_e32 v108, 16, v51
	v_min3_f16 v108, v50, v51, v108
	v_lshl_add_u64 v[50:51], v[32:33], 1, v[28:29]
	global_store_short v[50:51], v108, off
	s_or_b64 exec, exec, s[26:27]
	s_and_b64 s[30:31], s[4:5], s[18:19]
	s_and_saveexec_b64 s[26:27], s[30:31]
	s_cbranch_execz .LBB229_94
.LBB229_104:
	s_and_b64 vcc, exec, s[0:1]
	s_cbranch_vccnz .LBB229_106
; %bb.105:
	v_lshl_add_u64 v[50:51], v[34:35], 1, v[48:49]
	flat_load_ushort v50, v[50:51]
	s_waitcnt vmcnt(0) lgkmcnt(0)
	v_mul_f16_e32 v50, s33, v50
	s_branch .LBB229_107
.LBB229_106:
	v_mov_b32_e32 v50, 0
.LBB229_107:
	v_pk_add_f16 v51, v18, v30
	v_pk_max_f16 v107, v107, v107
	s_nop 0
	v_pk_min_f16 v51, v107, v51
	v_pk_add_f16 v107, v19, v31
	s_nop 0
	v_pk_min_f16 v51, v51, v107
	s_nop 0
	v_lshrrev_b32_e32 v107, 16, v51
	v_min3_f16 v107, v50, v51, v107
	v_lshl_add_u64 v[50:51], v[34:35], 1, v[28:29]
	global_store_short v[50:51], v107, off
	s_or_b64 exec, exec, s[26:27]
	s_and_b64 s[30:31], s[6:7], s[18:19]
	s_and_saveexec_b64 s[26:27], s[30:31]
	s_cbranch_execz .LBB229_95
.LBB229_108:
	s_and_b64 vcc, exec, s[0:1]
	s_cbranch_vccnz .LBB229_110
; %bb.109:
	v_lshl_add_u64 v[50:51], v[36:37], 1, v[48:49]
	flat_load_ushort v50, v[50:51]
	s_waitcnt vmcnt(0) lgkmcnt(0)
	v_mul_f16_e32 v50, s33, v50
	s_branch .LBB229_111
.LBB229_110:
	v_mov_b32_e32 v50, 0
.LBB229_111:
	v_pk_add_f16 v51, v12, v30
	v_pk_max_f16 v106, v106, v106
	s_nop 0
	v_pk_min_f16 v51, v106, v51
	v_pk_add_f16 v106, v13, v31
	s_nop 0
	v_pk_min_f16 v51, v51, v106
	s_nop 0
	v_lshrrev_b32_e32 v106, 16, v51
	v_min3_f16 v106, v50, v51, v106
	v_lshl_add_u64 v[50:51], v[36:37], 1, v[28:29]
	global_store_short v[50:51], v106, off
	s_or_b64 exec, exec, s[26:27]
	s_and_b64 s[30:31], s[8:9], s[18:19]
	s_and_saveexec_b64 s[26:27], s[30:31]
	s_cbranch_execz .LBB229_96
.LBB229_112:
	s_and_b64 vcc, exec, s[0:1]
	s_cbranch_vccnz .LBB229_114
; %bb.113:
	v_lshl_add_u64 v[50:51], v[38:39], 1, v[48:49]
	flat_load_ushort v50, v[50:51]
	s_waitcnt vmcnt(0) lgkmcnt(0)
	v_mul_f16_e32 v50, s33, v50
	s_branch .LBB229_115
.LBB229_114:
	v_mov_b32_e32 v50, 0
.LBB229_115:
	v_pk_add_f16 v51, v14, v30
	v_pk_max_f16 v105, v105, v105
	s_nop 0
	v_pk_min_f16 v51, v105, v51
	v_pk_add_f16 v105, v15, v31
	s_nop 0
	v_pk_min_f16 v51, v51, v105
	s_nop 0
	v_lshrrev_b32_e32 v105, 16, v51
	v_min3_f16 v105, v50, v51, v105
	v_lshl_add_u64 v[50:51], v[38:39], 1, v[28:29]
	global_store_short v[50:51], v105, off
	s_or_b64 exec, exec, s[26:27]
	s_and_b64 s[30:31], s[10:11], s[18:19]
	s_and_saveexec_b64 s[26:27], s[30:31]
	s_cbranch_execz .LBB229_97
.LBB229_116:
	s_and_b64 vcc, exec, s[0:1]
	s_cbranch_vccnz .LBB229_118
; %bb.117:
	v_lshl_add_u64 v[50:51], v[40:41], 1, v[48:49]
	flat_load_ushort v50, v[50:51]
	s_waitcnt vmcnt(0) lgkmcnt(0)
	v_mul_f16_e32 v50, s33, v50
	s_branch .LBB229_119
.LBB229_118:
	v_mov_b32_e32 v50, 0
.LBB229_119:
	v_pk_add_f16 v51, v8, v30
	v_pk_max_f16 v104, v104, v104
	s_nop 0
	v_pk_min_f16 v51, v104, v51
	v_pk_add_f16 v104, v9, v31
	s_nop 0
	v_pk_min_f16 v51, v51, v104
	s_nop 0
	v_lshrrev_b32_e32 v104, 16, v51
	v_min3_f16 v104, v50, v51, v104
	v_lshl_add_u64 v[50:51], v[40:41], 1, v[28:29]
	global_store_short v[50:51], v104, off
	s_or_b64 exec, exec, s[26:27]
	s_and_b64 s[30:31], s[12:13], s[18:19]
	s_and_saveexec_b64 s[26:27], s[30:31]
	s_cbranch_execz .LBB229_98
.LBB229_120:
	s_and_b64 vcc, exec, s[0:1]
	s_cbranch_vccnz .LBB229_122
; %bb.121:
	v_lshl_add_u64 v[50:51], v[42:43], 1, v[48:49]
	flat_load_ushort v50, v[50:51]
	s_waitcnt vmcnt(0) lgkmcnt(0)
	v_mul_f16_e32 v50, s33, v50
	s_branch .LBB229_123
.LBB229_122:
	v_mov_b32_e32 v50, 0
.LBB229_123:
	v_pk_add_f16 v51, v10, v30
	v_pk_max_f16 v103, v103, v103
	s_nop 0
	v_pk_min_f16 v51, v103, v51
	v_pk_add_f16 v103, v11, v31
	s_nop 0
	v_pk_min_f16 v51, v51, v103
	s_nop 0
	v_lshrrev_b32_e32 v103, 16, v51
	v_min3_f16 v103, v50, v51, v103
	v_lshl_add_u64 v[50:51], v[42:43], 1, v[28:29]
	global_store_short v[50:51], v103, off
	s_or_b64 exec, exec, s[26:27]
	s_and_b64 s[30:31], s[14:15], s[18:19]
	s_and_saveexec_b64 s[26:27], s[30:31]
	s_cbranch_execz .LBB229_99
.LBB229_124:
	s_and_b64 vcc, exec, s[0:1]
	s_cbranch_vccnz .LBB229_126
; %bb.125:
	v_lshl_add_u64 v[50:51], v[44:45], 1, v[48:49]
	flat_load_ushort v50, v[50:51]
	s_waitcnt vmcnt(0) lgkmcnt(0)
	v_mul_f16_e32 v50, s33, v50
	s_branch .LBB229_127
.LBB229_126:
	v_mov_b32_e32 v50, 0
.LBB229_127:
	v_pk_add_f16 v51, v0, v30
	v_pk_max_f16 v102, v102, v102
	s_nop 0
	v_pk_min_f16 v51, v102, v51
	v_pk_add_f16 v102, v1, v31
	s_nop 0
	v_pk_min_f16 v51, v51, v102
	s_nop 0
	v_lshrrev_b32_e32 v102, 16, v51
	v_min3_f16 v102, v50, v51, v102
	v_lshl_add_u64 v[50:51], v[44:45], 1, v[28:29]
	global_store_short v[50:51], v102, off
	s_or_b64 exec, exec, s[26:27]
	s_and_b64 s[26:27], s[16:17], s[18:19]
	s_and_saveexec_b64 s[18:19], s[26:27]
	s_cbranch_execz .LBB229_132
.LBB229_128:
	s_and_b64 vcc, exec, s[0:1]
	s_cbranch_vccnz .LBB229_130
; %bb.129:
	v_lshl_add_u64 v[48:49], v[46:47], 1, v[48:49]
	flat_load_ushort v48, v[48:49]
	s_waitcnt vmcnt(0) lgkmcnt(0)
	v_mul_f16_e32 v48, s33, v48
	s_branch .LBB229_131
.LBB229_130:
	v_mov_b32_e32 v48, 0
.LBB229_131:
	v_pk_add_f16 v30, v2, v30
	v_pk_max_f16 v49, v101, v101
	v_pk_add_f16 v31, v3, v31
	v_pk_min_f16 v30, v49, v30
	v_lshl_add_u64 v[28:29], v[46:47], 1, v[28:29]
	v_pk_min_f16 v30, v30, v31
	s_nop 0
	v_lshrrev_b32_e32 v31, 16, v30
	v_min3_f16 v30, v48, v30, v31
	global_store_short v[28:29], v30, off
.LBB229_132:
	s_or_b64 exec, exec, s[18:19]
	v_add_u32_e32 v48, 64, v98
	v_mad_i64_i32 v[28:29], s[26:27], v48, s29, 0
	v_cmp_gt_i32_e64 s[18:19], s21, v48
	v_lshl_add_u64 v[30:31], v[28:29], 1, s[24:25]
	v_mad_i64_i32 v[28:29], s[26:27], v48, s28, 0
	v_lshl_add_u64 v[28:29], v[28:29], 1, s[22:23]
	s_and_b64 s[30:31], s[2:3], s[18:19]
	s_and_saveexec_b64 s[26:27], s[30:31]
	s_cbranch_execnz .LBB229_140
; %bb.133:
	s_or_b64 exec, exec, s[26:27]
	s_and_b64 s[30:31], s[4:5], s[18:19]
	s_and_saveexec_b64 s[26:27], s[30:31]
	s_cbranch_execnz .LBB229_144
.LBB229_134:
	s_or_b64 exec, exec, s[26:27]
	s_and_b64 s[30:31], s[6:7], s[18:19]
	s_and_saveexec_b64 s[26:27], s[30:31]
	s_cbranch_execnz .LBB229_148
.LBB229_135:
	s_or_b64 exec, exec, s[26:27]
	s_and_b64 s[30:31], s[8:9], s[18:19]
	s_and_saveexec_b64 s[26:27], s[30:31]
	s_cbranch_execnz .LBB229_152
.LBB229_136:
	s_or_b64 exec, exec, s[26:27]
	s_and_b64 s[30:31], s[10:11], s[18:19]
	s_and_saveexec_b64 s[26:27], s[30:31]
	s_cbranch_execnz .LBB229_156
.LBB229_137:
	s_or_b64 exec, exec, s[26:27]
	s_and_b64 s[30:31], s[12:13], s[18:19]
	s_and_saveexec_b64 s[26:27], s[30:31]
	s_cbranch_execnz .LBB229_160
.LBB229_138:
	s_or_b64 exec, exec, s[26:27]
	s_and_b64 s[30:31], s[14:15], s[18:19]
	s_and_saveexec_b64 s[26:27], s[30:31]
	s_cbranch_execnz .LBB229_164
.LBB229_139:
	s_or_b64 exec, exec, s[26:27]
	s_and_b64 s[26:27], s[16:17], s[18:19]
	s_and_saveexec_b64 s[18:19], s[26:27]
	s_cbranch_execnz .LBB229_168
	s_branch .LBB229_172
.LBB229_140:
	s_and_b64 vcc, exec, s[0:1]
	s_cbranch_vccnz .LBB229_142
; %bb.141:
	v_lshl_add_u64 v[48:49], v[32:33], 1, v[30:31]
	flat_load_ushort v48, v[48:49]
	s_waitcnt vmcnt(0) lgkmcnt(0)
	v_mul_f16_e32 v48, s33, v48
	s_branch .LBB229_143
.LBB229_142:
	v_mov_b32_e32 v48, 0
.LBB229_143:
	v_pk_add_f16 v49, v16, v24
	v_pk_max_f16 v50, v100, v100
	s_nop 0
	v_pk_min_f16 v49, v50, v49
	v_pk_add_f16 v50, v17, v25
	s_nop 0
	v_pk_min_f16 v49, v49, v50
	s_nop 0
	v_lshrrev_b32_e32 v50, 16, v49
	v_min3_f16 v50, v48, v49, v50
	v_lshl_add_u64 v[48:49], v[32:33], 1, v[28:29]
	global_store_short v[48:49], v50, off
	s_or_b64 exec, exec, s[26:27]
	s_and_b64 s[30:31], s[4:5], s[18:19]
	s_and_saveexec_b64 s[26:27], s[30:31]
	s_cbranch_execz .LBB229_134
.LBB229_144:
	s_and_b64 vcc, exec, s[0:1]
	s_cbranch_vccnz .LBB229_146
; %bb.145:
	v_lshl_add_u64 v[48:49], v[34:35], 1, v[30:31]
	flat_load_ushort v48, v[48:49]
	s_waitcnt vmcnt(0) lgkmcnt(0)
	v_mul_f16_e32 v48, s33, v48
	s_branch .LBB229_147
.LBB229_146:
	v_mov_b32_e32 v48, 0
.LBB229_147:
	v_pk_add_f16 v49, v18, v24
	v_pk_max_f16 v50, v99, v99
	s_nop 0
	v_pk_min_f16 v49, v50, v49
	v_pk_add_f16 v50, v19, v25
	s_nop 0
	v_pk_min_f16 v49, v49, v50
	s_nop 0
	v_lshrrev_b32_e32 v50, 16, v49
	v_min3_f16 v50, v48, v49, v50
	v_lshl_add_u64 v[48:49], v[34:35], 1, v[28:29]
	global_store_short v[48:49], v50, off
	s_or_b64 exec, exec, s[26:27]
	s_and_b64 s[30:31], s[6:7], s[18:19]
	s_and_saveexec_b64 s[26:27], s[30:31]
	s_cbranch_execz .LBB229_135
.LBB229_148:
	s_and_b64 vcc, exec, s[0:1]
	s_cbranch_vccnz .LBB229_150
; %bb.149:
	v_lshl_add_u64 v[48:49], v[36:37], 1, v[30:31]
	flat_load_ushort v48, v[48:49]
	s_waitcnt vmcnt(0) lgkmcnt(0)
	v_mul_f16_e32 v48, s33, v48
	s_branch .LBB229_151
.LBB229_150:
	v_mov_b32_e32 v48, 0
.LBB229_151:
	v_pk_add_f16 v49, v12, v24
	v_pk_max_f16 v50, v97, v97
	s_nop 0
	v_pk_min_f16 v49, v50, v49
	v_pk_add_f16 v50, v13, v25
	s_nop 0
	v_pk_min_f16 v49, v49, v50
	s_nop 0
	v_lshrrev_b32_e32 v50, 16, v49
	v_min3_f16 v50, v48, v49, v50
	v_lshl_add_u64 v[48:49], v[36:37], 1, v[28:29]
	global_store_short v[48:49], v50, off
	s_or_b64 exec, exec, s[26:27]
	s_and_b64 s[30:31], s[8:9], s[18:19]
	s_and_saveexec_b64 s[26:27], s[30:31]
	s_cbranch_execz .LBB229_136
.LBB229_152:
	s_and_b64 vcc, exec, s[0:1]
	s_cbranch_vccnz .LBB229_154
; %bb.153:
	v_lshl_add_u64 v[48:49], v[38:39], 1, v[30:31]
	flat_load_ushort v48, v[48:49]
	s_waitcnt vmcnt(0) lgkmcnt(0)
	v_mul_f16_e32 v48, s33, v48
	s_branch .LBB229_155
.LBB229_154:
	v_mov_b32_e32 v48, 0
.LBB229_155:
	v_pk_add_f16 v49, v14, v24
	v_pk_max_f16 v50, v96, v96
	s_nop 0
	v_pk_min_f16 v49, v50, v49
	v_pk_add_f16 v50, v15, v25
	s_nop 0
	v_pk_min_f16 v49, v49, v50
	s_nop 0
	v_lshrrev_b32_e32 v50, 16, v49
	v_min3_f16 v50, v48, v49, v50
	v_lshl_add_u64 v[48:49], v[38:39], 1, v[28:29]
	global_store_short v[48:49], v50, off
	s_or_b64 exec, exec, s[26:27]
	s_and_b64 s[30:31], s[10:11], s[18:19]
	s_and_saveexec_b64 s[26:27], s[30:31]
	s_cbranch_execz .LBB229_137
.LBB229_156:
	s_and_b64 vcc, exec, s[0:1]
	s_cbranch_vccnz .LBB229_158
; %bb.157:
	v_lshl_add_u64 v[48:49], v[40:41], 1, v[30:31]
	flat_load_ushort v48, v[48:49]
	s_waitcnt vmcnt(0) lgkmcnt(0)
	v_mul_f16_e32 v48, s33, v48
	s_branch .LBB229_159
.LBB229_158:
	v_mov_b32_e32 v48, 0
.LBB229_159:
	v_pk_add_f16 v49, v8, v24
	v_pk_max_f16 v50, v95, v95
	s_nop 0
	v_pk_min_f16 v49, v50, v49
	v_pk_add_f16 v50, v9, v25
	s_nop 0
	v_pk_min_f16 v49, v49, v50
	s_nop 0
	v_lshrrev_b32_e32 v50, 16, v49
	v_min3_f16 v50, v48, v49, v50
	v_lshl_add_u64 v[48:49], v[40:41], 1, v[28:29]
	global_store_short v[48:49], v50, off
	s_or_b64 exec, exec, s[26:27]
	s_and_b64 s[30:31], s[12:13], s[18:19]
	s_and_saveexec_b64 s[26:27], s[30:31]
	s_cbranch_execz .LBB229_138
.LBB229_160:
	s_and_b64 vcc, exec, s[0:1]
	s_cbranch_vccnz .LBB229_162
; %bb.161:
	v_lshl_add_u64 v[48:49], v[42:43], 1, v[30:31]
	flat_load_ushort v48, v[48:49]
	s_waitcnt vmcnt(0) lgkmcnt(0)
	v_mul_f16_e32 v48, s33, v48
	s_branch .LBB229_163
.LBB229_162:
	v_mov_b32_e32 v48, 0
.LBB229_163:
	v_pk_add_f16 v49, v10, v24
	v_pk_max_f16 v50, v94, v94
	s_nop 0
	v_pk_min_f16 v49, v50, v49
	v_pk_add_f16 v50, v11, v25
	s_nop 0
	v_pk_min_f16 v49, v49, v50
	s_nop 0
	v_lshrrev_b32_e32 v50, 16, v49
	v_min3_f16 v50, v48, v49, v50
	v_lshl_add_u64 v[48:49], v[42:43], 1, v[28:29]
	global_store_short v[48:49], v50, off
	s_or_b64 exec, exec, s[26:27]
	s_and_b64 s[30:31], s[14:15], s[18:19]
	s_and_saveexec_b64 s[26:27], s[30:31]
	s_cbranch_execz .LBB229_139
.LBB229_164:
	s_and_b64 vcc, exec, s[0:1]
	s_cbranch_vccnz .LBB229_166
; %bb.165:
	v_lshl_add_u64 v[48:49], v[44:45], 1, v[30:31]
	flat_load_ushort v48, v[48:49]
	s_waitcnt vmcnt(0) lgkmcnt(0)
	v_mul_f16_e32 v48, s33, v48
	s_branch .LBB229_167
.LBB229_166:
	v_mov_b32_e32 v48, 0
.LBB229_167:
	v_pk_add_f16 v49, v0, v24
	v_pk_max_f16 v50, v93, v93
	s_nop 0
	v_pk_min_f16 v49, v50, v49
	v_pk_add_f16 v50, v1, v25
	s_nop 0
	v_pk_min_f16 v49, v49, v50
	s_nop 0
	v_lshrrev_b32_e32 v50, 16, v49
	v_min3_f16 v50, v48, v49, v50
	v_lshl_add_u64 v[48:49], v[44:45], 1, v[28:29]
	global_store_short v[48:49], v50, off
	s_or_b64 exec, exec, s[26:27]
	s_and_b64 s[26:27], s[16:17], s[18:19]
	s_and_saveexec_b64 s[18:19], s[26:27]
	s_cbranch_execz .LBB229_172
.LBB229_168:
	s_and_b64 vcc, exec, s[0:1]
	s_cbranch_vccnz .LBB229_170
; %bb.169:
	v_lshl_add_u64 v[30:31], v[46:47], 1, v[30:31]
	flat_load_ushort v30, v[30:31]
	s_waitcnt vmcnt(0) lgkmcnt(0)
	v_mul_f16_e32 v30, s33, v30
	s_branch .LBB229_171
.LBB229_170:
	v_mov_b32_e32 v30, 0
.LBB229_171:
	v_pk_add_f16 v24, v2, v24
	v_pk_max_f16 v31, v92, v92
	v_pk_add_f16 v25, v3, v25
	v_pk_min_f16 v24, v31, v24
	s_nop 0
	v_pk_min_f16 v24, v24, v25
	s_nop 0
	v_lshrrev_b32_e32 v25, 16, v24
	v_min3_f16 v30, v30, v24, v25
	v_lshl_add_u64 v[24:25], v[46:47], 1, v[28:29]
	global_store_short v[24:25], v30, off
.LBB229_172:
	s_or_b64 exec, exec, s[18:19]
	v_add_u32_e32 v30, 0x60, v98
	v_mad_i64_i32 v[24:25], s[26:27], v30, s29, 0
	v_cmp_gt_i32_e64 s[18:19], s21, v30
	v_lshl_add_u64 v[28:29], v[24:25], 1, s[24:25]
	v_mad_i64_i32 v[24:25], s[26:27], v30, s28, 0
	v_lshl_add_u64 v[24:25], v[24:25], 1, s[22:23]
	s_and_b64 s[30:31], s[2:3], s[18:19]
	s_and_saveexec_b64 s[26:27], s[30:31]
	s_cbranch_execnz .LBB229_180
; %bb.173:
	s_or_b64 exec, exec, s[26:27]
	s_and_b64 s[30:31], s[4:5], s[18:19]
	s_and_saveexec_b64 s[26:27], s[30:31]
	s_cbranch_execnz .LBB229_184
.LBB229_174:
	s_or_b64 exec, exec, s[26:27]
	s_and_b64 s[30:31], s[6:7], s[18:19]
	s_and_saveexec_b64 s[26:27], s[30:31]
	s_cbranch_execnz .LBB229_188
.LBB229_175:
	s_or_b64 exec, exec, s[26:27]
	s_and_b64 s[30:31], s[8:9], s[18:19]
	s_and_saveexec_b64 s[26:27], s[30:31]
	s_cbranch_execnz .LBB229_192
.LBB229_176:
	s_or_b64 exec, exec, s[26:27]
	s_and_b64 s[30:31], s[10:11], s[18:19]
	s_and_saveexec_b64 s[26:27], s[30:31]
	s_cbranch_execnz .LBB229_196
.LBB229_177:
	s_or_b64 exec, exec, s[26:27]
	s_and_b64 s[30:31], s[12:13], s[18:19]
	s_and_saveexec_b64 s[26:27], s[30:31]
	s_cbranch_execnz .LBB229_200
.LBB229_178:
	s_or_b64 exec, exec, s[26:27]
	s_and_b64 s[30:31], s[14:15], s[18:19]
	s_and_saveexec_b64 s[26:27], s[30:31]
	s_cbranch_execnz .LBB229_204
.LBB229_179:
	s_or_b64 exec, exec, s[26:27]
	s_and_b64 s[26:27], s[16:17], s[18:19]
	s_and_saveexec_b64 s[18:19], s[26:27]
	s_cbranch_execnz .LBB229_208
	s_branch .LBB229_212
.LBB229_180:
	s_and_b64 vcc, exec, s[0:1]
	s_cbranch_vccnz .LBB229_182
; %bb.181:
	v_lshl_add_u64 v[30:31], v[32:33], 1, v[28:29]
	flat_load_ushort v30, v[30:31]
	s_waitcnt vmcnt(0) lgkmcnt(0)
	v_mul_f16_e32 v30, s33, v30
	s_branch .LBB229_183
.LBB229_182:
	v_mov_b32_e32 v30, 0
.LBB229_183:
	v_pk_add_f16 v31, v16, v26
	v_pk_max_f16 v48, v91, v91
	s_nop 0
	v_pk_min_f16 v31, v48, v31
	v_pk_add_f16 v48, v17, v27
	s_nop 0
	v_pk_min_f16 v31, v31, v48
	s_nop 0
	v_lshrrev_b32_e32 v48, 16, v31
	v_min3_f16 v48, v30, v31, v48
	v_lshl_add_u64 v[30:31], v[32:33], 1, v[24:25]
	global_store_short v[30:31], v48, off
	s_or_b64 exec, exec, s[26:27]
	s_and_b64 s[30:31], s[4:5], s[18:19]
	s_and_saveexec_b64 s[26:27], s[30:31]
	s_cbranch_execz .LBB229_174
.LBB229_184:
	s_and_b64 vcc, exec, s[0:1]
	s_cbranch_vccnz .LBB229_186
; %bb.185:
	v_lshl_add_u64 v[30:31], v[34:35], 1, v[28:29]
	flat_load_ushort v30, v[30:31]
	s_waitcnt vmcnt(0) lgkmcnt(0)
	v_mul_f16_e32 v30, s33, v30
	s_branch .LBB229_187
.LBB229_186:
	v_mov_b32_e32 v30, 0
.LBB229_187:
	v_pk_add_f16 v31, v18, v26
	v_pk_max_f16 v48, v90, v90
	s_nop 0
	v_pk_min_f16 v31, v48, v31
	v_pk_add_f16 v48, v19, v27
	s_nop 0
	v_pk_min_f16 v31, v31, v48
	s_nop 0
	v_lshrrev_b32_e32 v48, 16, v31
	v_min3_f16 v48, v30, v31, v48
	v_lshl_add_u64 v[30:31], v[34:35], 1, v[24:25]
	global_store_short v[30:31], v48, off
	s_or_b64 exec, exec, s[26:27]
	s_and_b64 s[30:31], s[6:7], s[18:19]
	s_and_saveexec_b64 s[26:27], s[30:31]
	s_cbranch_execz .LBB229_175
.LBB229_188:
	s_and_b64 vcc, exec, s[0:1]
	s_cbranch_vccnz .LBB229_190
; %bb.189:
	v_lshl_add_u64 v[30:31], v[36:37], 1, v[28:29]
	flat_load_ushort v30, v[30:31]
	s_waitcnt vmcnt(0) lgkmcnt(0)
	v_mul_f16_e32 v30, s33, v30
	s_branch .LBB229_191
.LBB229_190:
	v_mov_b32_e32 v30, 0
.LBB229_191:
	v_pk_add_f16 v31, v12, v26
	v_pk_max_f16 v48, v89, v89
	s_nop 0
	v_pk_min_f16 v31, v48, v31
	v_pk_add_f16 v48, v13, v27
	s_nop 0
	v_pk_min_f16 v31, v31, v48
	s_nop 0
	v_lshrrev_b32_e32 v48, 16, v31
	v_min3_f16 v48, v30, v31, v48
	v_lshl_add_u64 v[30:31], v[36:37], 1, v[24:25]
	global_store_short v[30:31], v48, off
	s_or_b64 exec, exec, s[26:27]
	s_and_b64 s[30:31], s[8:9], s[18:19]
	s_and_saveexec_b64 s[26:27], s[30:31]
	s_cbranch_execz .LBB229_176
.LBB229_192:
	s_and_b64 vcc, exec, s[0:1]
	s_cbranch_vccnz .LBB229_194
; %bb.193:
	v_lshl_add_u64 v[30:31], v[38:39], 1, v[28:29]
	flat_load_ushort v30, v[30:31]
	s_waitcnt vmcnt(0) lgkmcnt(0)
	v_mul_f16_e32 v30, s33, v30
	s_branch .LBB229_195
.LBB229_194:
	v_mov_b32_e32 v30, 0
.LBB229_195:
	v_pk_add_f16 v31, v14, v26
	v_pk_max_f16 v48, v88, v88
	s_nop 0
	v_pk_min_f16 v31, v48, v31
	v_pk_add_f16 v48, v15, v27
	s_nop 0
	v_pk_min_f16 v31, v31, v48
	s_nop 0
	v_lshrrev_b32_e32 v48, 16, v31
	v_min3_f16 v48, v30, v31, v48
	v_lshl_add_u64 v[30:31], v[38:39], 1, v[24:25]
	global_store_short v[30:31], v48, off
	s_or_b64 exec, exec, s[26:27]
	s_and_b64 s[30:31], s[10:11], s[18:19]
	s_and_saveexec_b64 s[26:27], s[30:31]
	s_cbranch_execz .LBB229_177
.LBB229_196:
	s_and_b64 vcc, exec, s[0:1]
	s_cbranch_vccnz .LBB229_198
; %bb.197:
	v_lshl_add_u64 v[30:31], v[40:41], 1, v[28:29]
	flat_load_ushort v30, v[30:31]
	s_waitcnt vmcnt(0) lgkmcnt(0)
	v_mul_f16_e32 v30, s33, v30
	s_branch .LBB229_199
.LBB229_198:
	v_mov_b32_e32 v30, 0
.LBB229_199:
	v_pk_add_f16 v31, v8, v26
	v_pk_max_f16 v48, v87, v87
	s_nop 0
	v_pk_min_f16 v31, v48, v31
	v_pk_add_f16 v48, v9, v27
	s_nop 0
	v_pk_min_f16 v31, v31, v48
	s_nop 0
	v_lshrrev_b32_e32 v48, 16, v31
	v_min3_f16 v48, v30, v31, v48
	v_lshl_add_u64 v[30:31], v[40:41], 1, v[24:25]
	global_store_short v[30:31], v48, off
	s_or_b64 exec, exec, s[26:27]
	s_and_b64 s[30:31], s[12:13], s[18:19]
	s_and_saveexec_b64 s[26:27], s[30:31]
	s_cbranch_execz .LBB229_178
.LBB229_200:
	s_and_b64 vcc, exec, s[0:1]
	s_cbranch_vccnz .LBB229_202
; %bb.201:
	v_lshl_add_u64 v[30:31], v[42:43], 1, v[28:29]
	flat_load_ushort v30, v[30:31]
	s_waitcnt vmcnt(0) lgkmcnt(0)
	v_mul_f16_e32 v30, s33, v30
	s_branch .LBB229_203
.LBB229_202:
	v_mov_b32_e32 v30, 0
.LBB229_203:
	v_pk_add_f16 v31, v10, v26
	v_pk_max_f16 v48, v86, v86
	s_nop 0
	v_pk_min_f16 v31, v48, v31
	v_pk_add_f16 v48, v11, v27
	s_nop 0
	v_pk_min_f16 v31, v31, v48
	s_nop 0
	v_lshrrev_b32_e32 v48, 16, v31
	v_min3_f16 v48, v30, v31, v48
	v_lshl_add_u64 v[30:31], v[42:43], 1, v[24:25]
	global_store_short v[30:31], v48, off
	s_or_b64 exec, exec, s[26:27]
	s_and_b64 s[30:31], s[14:15], s[18:19]
	s_and_saveexec_b64 s[26:27], s[30:31]
	s_cbranch_execz .LBB229_179
.LBB229_204:
	s_and_b64 vcc, exec, s[0:1]
	s_cbranch_vccnz .LBB229_206
; %bb.205:
	v_lshl_add_u64 v[30:31], v[44:45], 1, v[28:29]
	flat_load_ushort v30, v[30:31]
	s_waitcnt vmcnt(0) lgkmcnt(0)
	v_mul_f16_e32 v30, s33, v30
	s_branch .LBB229_207
.LBB229_206:
	v_mov_b32_e32 v30, 0
.LBB229_207:
	v_pk_add_f16 v31, v0, v26
	v_pk_max_f16 v48, v85, v85
	s_nop 0
	v_pk_min_f16 v31, v48, v31
	v_pk_add_f16 v48, v1, v27
	s_nop 0
	v_pk_min_f16 v31, v31, v48
	s_nop 0
	v_lshrrev_b32_e32 v48, 16, v31
	v_min3_f16 v48, v30, v31, v48
	v_lshl_add_u64 v[30:31], v[44:45], 1, v[24:25]
	global_store_short v[30:31], v48, off
	s_or_b64 exec, exec, s[26:27]
	s_and_b64 s[26:27], s[16:17], s[18:19]
	s_and_saveexec_b64 s[18:19], s[26:27]
	s_cbranch_execz .LBB229_212
.LBB229_208:
	s_and_b64 vcc, exec, s[0:1]
	s_cbranch_vccnz .LBB229_210
; %bb.209:
	v_lshl_add_u64 v[28:29], v[46:47], 1, v[28:29]
	flat_load_ushort v28, v[28:29]
	s_waitcnt vmcnt(0) lgkmcnt(0)
	v_mul_f16_e32 v28, s33, v28
	s_branch .LBB229_211
.LBB229_210:
	v_mov_b32_e32 v28, 0
.LBB229_211:
	v_pk_add_f16 v26, v2, v26
	v_pk_max_f16 v29, v84, v84
	v_pk_add_f16 v27, v3, v27
	v_pk_min_f16 v26, v29, v26
	v_lshl_add_u64 v[24:25], v[46:47], 1, v[24:25]
	v_pk_min_f16 v26, v26, v27
	s_nop 0
	v_lshrrev_b32_e32 v27, 16, v26
	v_min3_f16 v26, v28, v26, v27
	global_store_short v[24:25], v26, off
.LBB229_212:
	s_or_b64 exec, exec, s[18:19]
	v_add_u32_e32 v28, 0x80, v98
	v_mad_i64_i32 v[24:25], s[26:27], v28, s29, 0
	v_cmp_gt_i32_e64 s[18:19], s21, v28
	v_lshl_add_u64 v[26:27], v[24:25], 1, s[24:25]
	v_mad_i64_i32 v[24:25], s[26:27], v28, s28, 0
	v_lshl_add_u64 v[24:25], v[24:25], 1, s[22:23]
	s_and_b64 s[30:31], s[2:3], s[18:19]
	s_and_saveexec_b64 s[26:27], s[30:31]
	s_cbranch_execnz .LBB229_220
; %bb.213:
	s_or_b64 exec, exec, s[26:27]
	s_and_b64 s[30:31], s[4:5], s[18:19]
	s_and_saveexec_b64 s[26:27], s[30:31]
	s_cbranch_execnz .LBB229_224
.LBB229_214:
	s_or_b64 exec, exec, s[26:27]
	s_and_b64 s[30:31], s[6:7], s[18:19]
	s_and_saveexec_b64 s[26:27], s[30:31]
	s_cbranch_execnz .LBB229_228
.LBB229_215:
	s_or_b64 exec, exec, s[26:27]
	s_and_b64 s[30:31], s[8:9], s[18:19]
	s_and_saveexec_b64 s[26:27], s[30:31]
	s_cbranch_execnz .LBB229_232
.LBB229_216:
	s_or_b64 exec, exec, s[26:27]
	s_and_b64 s[30:31], s[10:11], s[18:19]
	s_and_saveexec_b64 s[26:27], s[30:31]
	s_cbranch_execnz .LBB229_236
.LBB229_217:
	s_or_b64 exec, exec, s[26:27]
	s_and_b64 s[30:31], s[12:13], s[18:19]
	s_and_saveexec_b64 s[26:27], s[30:31]
	s_cbranch_execnz .LBB229_240
.LBB229_218:
	s_or_b64 exec, exec, s[26:27]
	s_and_b64 s[30:31], s[14:15], s[18:19]
	s_and_saveexec_b64 s[26:27], s[30:31]
	s_cbranch_execnz .LBB229_244
.LBB229_219:
	s_or_b64 exec, exec, s[26:27]
	s_and_b64 s[26:27], s[16:17], s[18:19]
	s_and_saveexec_b64 s[18:19], s[26:27]
	s_cbranch_execnz .LBB229_248
	s_branch .LBB229_252
.LBB229_220:
	s_and_b64 vcc, exec, s[0:1]
	s_cbranch_vccnz .LBB229_222
; %bb.221:
	v_lshl_add_u64 v[28:29], v[32:33], 1, v[26:27]
	flat_load_ushort v28, v[28:29]
	s_waitcnt vmcnt(0) lgkmcnt(0)
	v_mul_f16_e32 v28, s33, v28
	s_branch .LBB229_223
.LBB229_222:
	v_mov_b32_e32 v28, 0
.LBB229_223:
	v_pk_add_f16 v29, v16, v20
	v_pk_max_f16 v30, v83, v83
	s_nop 0
	v_pk_min_f16 v29, v30, v29
	v_pk_add_f16 v30, v17, v21
	s_nop 0
	v_pk_min_f16 v29, v29, v30
	s_nop 0
	v_lshrrev_b32_e32 v30, 16, v29
	v_min3_f16 v30, v28, v29, v30
	v_lshl_add_u64 v[28:29], v[32:33], 1, v[24:25]
	global_store_short v[28:29], v30, off
	s_or_b64 exec, exec, s[26:27]
	s_and_b64 s[30:31], s[4:5], s[18:19]
	s_and_saveexec_b64 s[26:27], s[30:31]
	s_cbranch_execz .LBB229_214
.LBB229_224:
	s_and_b64 vcc, exec, s[0:1]
	s_cbranch_vccnz .LBB229_226
; %bb.225:
	v_lshl_add_u64 v[28:29], v[34:35], 1, v[26:27]
	flat_load_ushort v28, v[28:29]
	s_waitcnt vmcnt(0) lgkmcnt(0)
	v_mul_f16_e32 v28, s33, v28
	s_branch .LBB229_227
.LBB229_226:
	v_mov_b32_e32 v28, 0
.LBB229_227:
	v_pk_add_f16 v29, v18, v20
	v_pk_max_f16 v30, v82, v82
	s_nop 0
	v_pk_min_f16 v29, v30, v29
	v_pk_add_f16 v30, v19, v21
	s_nop 0
	v_pk_min_f16 v29, v29, v30
	s_nop 0
	v_lshrrev_b32_e32 v30, 16, v29
	v_min3_f16 v30, v28, v29, v30
	v_lshl_add_u64 v[28:29], v[34:35], 1, v[24:25]
	global_store_short v[28:29], v30, off
	s_or_b64 exec, exec, s[26:27]
	s_and_b64 s[30:31], s[6:7], s[18:19]
	s_and_saveexec_b64 s[26:27], s[30:31]
	s_cbranch_execz .LBB229_215
.LBB229_228:
	s_and_b64 vcc, exec, s[0:1]
	s_cbranch_vccnz .LBB229_230
; %bb.229:
	v_lshl_add_u64 v[28:29], v[36:37], 1, v[26:27]
	flat_load_ushort v28, v[28:29]
	s_waitcnt vmcnt(0) lgkmcnt(0)
	v_mul_f16_e32 v28, s33, v28
	s_branch .LBB229_231
.LBB229_230:
	v_mov_b32_e32 v28, 0
.LBB229_231:
	v_pk_add_f16 v29, v12, v20
	v_pk_max_f16 v30, v81, v81
	s_nop 0
	v_pk_min_f16 v29, v30, v29
	v_pk_add_f16 v30, v13, v21
	s_nop 0
	v_pk_min_f16 v29, v29, v30
	s_nop 0
	v_lshrrev_b32_e32 v30, 16, v29
	v_min3_f16 v30, v28, v29, v30
	v_lshl_add_u64 v[28:29], v[36:37], 1, v[24:25]
	global_store_short v[28:29], v30, off
	s_or_b64 exec, exec, s[26:27]
	s_and_b64 s[30:31], s[8:9], s[18:19]
	s_and_saveexec_b64 s[26:27], s[30:31]
	s_cbranch_execz .LBB229_216
.LBB229_232:
	s_and_b64 vcc, exec, s[0:1]
	s_cbranch_vccnz .LBB229_234
; %bb.233:
	v_lshl_add_u64 v[28:29], v[38:39], 1, v[26:27]
	flat_load_ushort v28, v[28:29]
	s_waitcnt vmcnt(0) lgkmcnt(0)
	v_mul_f16_e32 v28, s33, v28
	s_branch .LBB229_235
.LBB229_234:
	v_mov_b32_e32 v28, 0
.LBB229_235:
	v_pk_add_f16 v29, v14, v20
	v_pk_max_f16 v30, v80, v80
	s_nop 0
	v_pk_min_f16 v29, v30, v29
	v_pk_add_f16 v30, v15, v21
	s_nop 0
	v_pk_min_f16 v29, v29, v30
	s_nop 0
	v_lshrrev_b32_e32 v30, 16, v29
	v_min3_f16 v30, v28, v29, v30
	v_lshl_add_u64 v[28:29], v[38:39], 1, v[24:25]
	global_store_short v[28:29], v30, off
	s_or_b64 exec, exec, s[26:27]
	s_and_b64 s[30:31], s[10:11], s[18:19]
	s_and_saveexec_b64 s[26:27], s[30:31]
	s_cbranch_execz .LBB229_217
.LBB229_236:
	s_and_b64 vcc, exec, s[0:1]
	s_cbranch_vccnz .LBB229_238
; %bb.237:
	v_lshl_add_u64 v[28:29], v[40:41], 1, v[26:27]
	flat_load_ushort v28, v[28:29]
	s_waitcnt vmcnt(0) lgkmcnt(0)
	v_mul_f16_e32 v28, s33, v28
	s_branch .LBB229_239
.LBB229_238:
	v_mov_b32_e32 v28, 0
.LBB229_239:
	v_pk_add_f16 v29, v8, v20
	v_pk_max_f16 v30, v79, v79
	s_nop 0
	v_pk_min_f16 v29, v30, v29
	v_pk_add_f16 v30, v9, v21
	s_nop 0
	v_pk_min_f16 v29, v29, v30
	s_nop 0
	v_lshrrev_b32_e32 v30, 16, v29
	v_min3_f16 v30, v28, v29, v30
	v_lshl_add_u64 v[28:29], v[40:41], 1, v[24:25]
	global_store_short v[28:29], v30, off
	s_or_b64 exec, exec, s[26:27]
	s_and_b64 s[30:31], s[12:13], s[18:19]
	s_and_saveexec_b64 s[26:27], s[30:31]
	s_cbranch_execz .LBB229_218
.LBB229_240:
	s_and_b64 vcc, exec, s[0:1]
	s_cbranch_vccnz .LBB229_242
; %bb.241:
	v_lshl_add_u64 v[28:29], v[42:43], 1, v[26:27]
	flat_load_ushort v28, v[28:29]
	s_waitcnt vmcnt(0) lgkmcnt(0)
	v_mul_f16_e32 v28, s33, v28
	s_branch .LBB229_243
.LBB229_242:
	v_mov_b32_e32 v28, 0
.LBB229_243:
	v_pk_add_f16 v29, v10, v20
	v_pk_max_f16 v30, v78, v78
	s_nop 0
	v_pk_min_f16 v29, v30, v29
	v_pk_add_f16 v30, v11, v21
	s_nop 0
	v_pk_min_f16 v29, v29, v30
	s_nop 0
	v_lshrrev_b32_e32 v30, 16, v29
	v_min3_f16 v30, v28, v29, v30
	v_lshl_add_u64 v[28:29], v[42:43], 1, v[24:25]
	global_store_short v[28:29], v30, off
	s_or_b64 exec, exec, s[26:27]
	s_and_b64 s[30:31], s[14:15], s[18:19]
	s_and_saveexec_b64 s[26:27], s[30:31]
	s_cbranch_execz .LBB229_219
.LBB229_244:
	s_and_b64 vcc, exec, s[0:1]
	s_cbranch_vccnz .LBB229_246
; %bb.245:
	v_lshl_add_u64 v[28:29], v[44:45], 1, v[26:27]
	flat_load_ushort v28, v[28:29]
	s_waitcnt vmcnt(0) lgkmcnt(0)
	v_mul_f16_e32 v28, s33, v28
	s_branch .LBB229_247
.LBB229_246:
	v_mov_b32_e32 v28, 0
.LBB229_247:
	v_pk_add_f16 v29, v0, v20
	v_pk_max_f16 v30, v77, v77
	s_nop 0
	v_pk_min_f16 v29, v30, v29
	v_pk_add_f16 v30, v1, v21
	s_nop 0
	v_pk_min_f16 v29, v29, v30
	s_nop 0
	v_lshrrev_b32_e32 v30, 16, v29
	v_min3_f16 v30, v28, v29, v30
	v_lshl_add_u64 v[28:29], v[44:45], 1, v[24:25]
	global_store_short v[28:29], v30, off
	s_or_b64 exec, exec, s[26:27]
	s_and_b64 s[26:27], s[16:17], s[18:19]
	s_and_saveexec_b64 s[18:19], s[26:27]
	s_cbranch_execz .LBB229_252
.LBB229_248:
	s_and_b64 vcc, exec, s[0:1]
	s_cbranch_vccnz .LBB229_250
; %bb.249:
	v_lshl_add_u64 v[26:27], v[46:47], 1, v[26:27]
	flat_load_ushort v26, v[26:27]
	s_waitcnt vmcnt(0) lgkmcnt(0)
	v_mul_f16_e32 v26, s33, v26
	s_branch .LBB229_251
.LBB229_250:
	v_mov_b32_e32 v26, 0
.LBB229_251:
	v_pk_add_f16 v20, v2, v20
	v_pk_max_f16 v27, v76, v76
	v_pk_add_f16 v21, v3, v21
	v_pk_min_f16 v20, v27, v20
	s_nop 0
	v_pk_min_f16 v20, v20, v21
	s_nop 0
	v_lshrrev_b32_e32 v21, 16, v20
	v_min3_f16 v26, v26, v20, v21
	v_lshl_add_u64 v[20:21], v[46:47], 1, v[24:25]
	global_store_short v[20:21], v26, off
.LBB229_252:
	s_or_b64 exec, exec, s[18:19]
	v_add_u32_e32 v26, 0xa0, v98
	v_mad_i64_i32 v[20:21], s[26:27], v26, s29, 0
	v_cmp_gt_i32_e64 s[18:19], s21, v26
	v_lshl_add_u64 v[24:25], v[20:21], 1, s[24:25]
	v_mad_i64_i32 v[20:21], s[26:27], v26, s28, 0
	v_lshl_add_u64 v[20:21], v[20:21], 1, s[22:23]
	s_and_b64 s[30:31], s[2:3], s[18:19]
	s_and_saveexec_b64 s[26:27], s[30:31]
	s_cbranch_execnz .LBB229_260
; %bb.253:
	s_or_b64 exec, exec, s[26:27]
	s_and_b64 s[30:31], s[4:5], s[18:19]
	s_and_saveexec_b64 s[26:27], s[30:31]
	s_cbranch_execnz .LBB229_264
.LBB229_254:
	s_or_b64 exec, exec, s[26:27]
	s_and_b64 s[30:31], s[6:7], s[18:19]
	s_and_saveexec_b64 s[26:27], s[30:31]
	s_cbranch_execnz .LBB229_268
.LBB229_255:
	s_or_b64 exec, exec, s[26:27]
	s_and_b64 s[30:31], s[8:9], s[18:19]
	s_and_saveexec_b64 s[26:27], s[30:31]
	s_cbranch_execnz .LBB229_272
.LBB229_256:
	s_or_b64 exec, exec, s[26:27]
	s_and_b64 s[30:31], s[10:11], s[18:19]
	s_and_saveexec_b64 s[26:27], s[30:31]
	s_cbranch_execnz .LBB229_276
.LBB229_257:
	s_or_b64 exec, exec, s[26:27]
	s_and_b64 s[30:31], s[12:13], s[18:19]
	s_and_saveexec_b64 s[26:27], s[30:31]
	s_cbranch_execnz .LBB229_280
.LBB229_258:
	s_or_b64 exec, exec, s[26:27]
	s_and_b64 s[30:31], s[14:15], s[18:19]
	s_and_saveexec_b64 s[26:27], s[30:31]
	s_cbranch_execnz .LBB229_284
.LBB229_259:
	s_or_b64 exec, exec, s[26:27]
	s_and_b64 s[26:27], s[16:17], s[18:19]
	s_and_saveexec_b64 s[18:19], s[26:27]
	s_cbranch_execnz .LBB229_288
	s_branch .LBB229_292
.LBB229_260:
	s_and_b64 vcc, exec, s[0:1]
	s_cbranch_vccnz .LBB229_262
; %bb.261:
	v_lshl_add_u64 v[26:27], v[32:33], 1, v[24:25]
	flat_load_ushort v26, v[26:27]
	s_waitcnt vmcnt(0) lgkmcnt(0)
	v_mul_f16_e32 v26, s33, v26
	s_branch .LBB229_263
.LBB229_262:
	v_mov_b32_e32 v26, 0
.LBB229_263:
	v_pk_add_f16 v27, v16, v22
	v_pk_max_f16 v28, v75, v75
	s_nop 0
	v_pk_min_f16 v27, v28, v27
	v_pk_add_f16 v28, v17, v23
	s_nop 0
	v_pk_min_f16 v27, v27, v28
	s_nop 0
	v_lshrrev_b32_e32 v28, 16, v27
	v_min3_f16 v28, v26, v27, v28
	v_lshl_add_u64 v[26:27], v[32:33], 1, v[20:21]
	global_store_short v[26:27], v28, off
	s_or_b64 exec, exec, s[26:27]
	s_and_b64 s[30:31], s[4:5], s[18:19]
	s_and_saveexec_b64 s[26:27], s[30:31]
	s_cbranch_execz .LBB229_254
.LBB229_264:
	s_and_b64 vcc, exec, s[0:1]
	s_cbranch_vccnz .LBB229_266
; %bb.265:
	v_lshl_add_u64 v[26:27], v[34:35], 1, v[24:25]
	flat_load_ushort v26, v[26:27]
	s_waitcnt vmcnt(0) lgkmcnt(0)
	v_mul_f16_e32 v26, s33, v26
	s_branch .LBB229_267
.LBB229_266:
	v_mov_b32_e32 v26, 0
.LBB229_267:
	v_pk_add_f16 v27, v18, v22
	v_pk_max_f16 v28, v74, v74
	s_nop 0
	v_pk_min_f16 v27, v28, v27
	v_pk_add_f16 v28, v19, v23
	s_nop 0
	v_pk_min_f16 v27, v27, v28
	s_nop 0
	v_lshrrev_b32_e32 v28, 16, v27
	v_min3_f16 v28, v26, v27, v28
	v_lshl_add_u64 v[26:27], v[34:35], 1, v[20:21]
	global_store_short v[26:27], v28, off
	s_or_b64 exec, exec, s[26:27]
	s_and_b64 s[30:31], s[6:7], s[18:19]
	s_and_saveexec_b64 s[26:27], s[30:31]
	s_cbranch_execz .LBB229_255
.LBB229_268:
	s_and_b64 vcc, exec, s[0:1]
	s_cbranch_vccnz .LBB229_270
; %bb.269:
	v_lshl_add_u64 v[26:27], v[36:37], 1, v[24:25]
	flat_load_ushort v26, v[26:27]
	s_waitcnt vmcnt(0) lgkmcnt(0)
	v_mul_f16_e32 v26, s33, v26
	s_branch .LBB229_271
.LBB229_270:
	v_mov_b32_e32 v26, 0
.LBB229_271:
	v_pk_add_f16 v27, v12, v22
	v_pk_max_f16 v28, v73, v73
	s_nop 0
	v_pk_min_f16 v27, v28, v27
	v_pk_add_f16 v28, v13, v23
	s_nop 0
	v_pk_min_f16 v27, v27, v28
	s_nop 0
	v_lshrrev_b32_e32 v28, 16, v27
	v_min3_f16 v28, v26, v27, v28
	v_lshl_add_u64 v[26:27], v[36:37], 1, v[20:21]
	global_store_short v[26:27], v28, off
	s_or_b64 exec, exec, s[26:27]
	s_and_b64 s[30:31], s[8:9], s[18:19]
	s_and_saveexec_b64 s[26:27], s[30:31]
	s_cbranch_execz .LBB229_256
.LBB229_272:
	s_and_b64 vcc, exec, s[0:1]
	s_cbranch_vccnz .LBB229_274
; %bb.273:
	v_lshl_add_u64 v[26:27], v[38:39], 1, v[24:25]
	flat_load_ushort v26, v[26:27]
	s_waitcnt vmcnt(0) lgkmcnt(0)
	v_mul_f16_e32 v26, s33, v26
	s_branch .LBB229_275
.LBB229_274:
	v_mov_b32_e32 v26, 0
.LBB229_275:
	v_pk_add_f16 v27, v14, v22
	v_pk_max_f16 v28, v72, v72
	s_nop 0
	v_pk_min_f16 v27, v28, v27
	v_pk_add_f16 v28, v15, v23
	s_nop 0
	v_pk_min_f16 v27, v27, v28
	s_nop 0
	v_lshrrev_b32_e32 v28, 16, v27
	v_min3_f16 v28, v26, v27, v28
	v_lshl_add_u64 v[26:27], v[38:39], 1, v[20:21]
	global_store_short v[26:27], v28, off
	s_or_b64 exec, exec, s[26:27]
	s_and_b64 s[30:31], s[10:11], s[18:19]
	s_and_saveexec_b64 s[26:27], s[30:31]
	s_cbranch_execz .LBB229_257
.LBB229_276:
	s_and_b64 vcc, exec, s[0:1]
	s_cbranch_vccnz .LBB229_278
; %bb.277:
	v_lshl_add_u64 v[26:27], v[40:41], 1, v[24:25]
	flat_load_ushort v26, v[26:27]
	s_waitcnt vmcnt(0) lgkmcnt(0)
	v_mul_f16_e32 v26, s33, v26
	s_branch .LBB229_279
.LBB229_278:
	v_mov_b32_e32 v26, 0
.LBB229_279:
	v_pk_add_f16 v27, v8, v22
	v_pk_max_f16 v28, v71, v71
	s_nop 0
	v_pk_min_f16 v27, v28, v27
	v_pk_add_f16 v28, v9, v23
	s_nop 0
	v_pk_min_f16 v27, v27, v28
	s_nop 0
	v_lshrrev_b32_e32 v28, 16, v27
	v_min3_f16 v28, v26, v27, v28
	v_lshl_add_u64 v[26:27], v[40:41], 1, v[20:21]
	global_store_short v[26:27], v28, off
	s_or_b64 exec, exec, s[26:27]
	s_and_b64 s[30:31], s[12:13], s[18:19]
	s_and_saveexec_b64 s[26:27], s[30:31]
	s_cbranch_execz .LBB229_258
.LBB229_280:
	s_and_b64 vcc, exec, s[0:1]
	s_cbranch_vccnz .LBB229_282
; %bb.281:
	v_lshl_add_u64 v[26:27], v[42:43], 1, v[24:25]
	flat_load_ushort v26, v[26:27]
	s_waitcnt vmcnt(0) lgkmcnt(0)
	v_mul_f16_e32 v26, s33, v26
	s_branch .LBB229_283
.LBB229_282:
	v_mov_b32_e32 v26, 0
.LBB229_283:
	v_pk_add_f16 v27, v10, v22
	v_pk_max_f16 v28, v70, v70
	s_nop 0
	v_pk_min_f16 v27, v28, v27
	v_pk_add_f16 v28, v11, v23
	s_nop 0
	v_pk_min_f16 v27, v27, v28
	s_nop 0
	v_lshrrev_b32_e32 v28, 16, v27
	v_min3_f16 v28, v26, v27, v28
	v_lshl_add_u64 v[26:27], v[42:43], 1, v[20:21]
	global_store_short v[26:27], v28, off
	s_or_b64 exec, exec, s[26:27]
	s_and_b64 s[30:31], s[14:15], s[18:19]
	s_and_saveexec_b64 s[26:27], s[30:31]
	s_cbranch_execz .LBB229_259
.LBB229_284:
	s_and_b64 vcc, exec, s[0:1]
	s_cbranch_vccnz .LBB229_286
; %bb.285:
	v_lshl_add_u64 v[26:27], v[44:45], 1, v[24:25]
	flat_load_ushort v26, v[26:27]
	s_waitcnt vmcnt(0) lgkmcnt(0)
	v_mul_f16_e32 v26, s33, v26
	s_branch .LBB229_287
.LBB229_286:
	v_mov_b32_e32 v26, 0
.LBB229_287:
	v_pk_add_f16 v27, v0, v22
	v_pk_max_f16 v28, v69, v69
	s_nop 0
	v_pk_min_f16 v27, v28, v27
	v_pk_add_f16 v28, v1, v23
	s_nop 0
	v_pk_min_f16 v27, v27, v28
	s_nop 0
	v_lshrrev_b32_e32 v28, 16, v27
	v_min3_f16 v28, v26, v27, v28
	v_lshl_add_u64 v[26:27], v[44:45], 1, v[20:21]
	global_store_short v[26:27], v28, off
	s_or_b64 exec, exec, s[26:27]
	s_and_b64 s[26:27], s[16:17], s[18:19]
	s_and_saveexec_b64 s[18:19], s[26:27]
	s_cbranch_execz .LBB229_292
.LBB229_288:
	s_and_b64 vcc, exec, s[0:1]
	s_cbranch_vccnz .LBB229_290
; %bb.289:
	v_lshl_add_u64 v[24:25], v[46:47], 1, v[24:25]
	flat_load_ushort v24, v[24:25]
	s_waitcnt vmcnt(0) lgkmcnt(0)
	v_mul_f16_e32 v24, s33, v24
	s_branch .LBB229_291
.LBB229_290:
	v_mov_b32_e32 v24, 0
.LBB229_291:
	v_pk_add_f16 v22, v2, v22
	v_pk_max_f16 v25, v68, v68
	v_pk_add_f16 v23, v3, v23
	v_pk_min_f16 v22, v25, v22
	v_lshl_add_u64 v[20:21], v[46:47], 1, v[20:21]
	v_pk_min_f16 v22, v22, v23
	s_nop 0
	v_lshrrev_b32_e32 v23, 16, v22
	v_min3_f16 v22, v24, v22, v23
	global_store_short v[20:21], v22, off
.LBB229_292:
	s_or_b64 exec, exec, s[18:19]
	v_add_u32_e32 v24, 0xc0, v98
	v_mad_i64_i32 v[20:21], s[26:27], v24, s29, 0
	v_cmp_gt_i32_e64 s[18:19], s21, v24
	v_lshl_add_u64 v[22:23], v[20:21], 1, s[24:25]
	v_mad_i64_i32 v[20:21], s[26:27], v24, s28, 0
	v_lshl_add_u64 v[20:21], v[20:21], 1, s[22:23]
	s_and_b64 s[30:31], s[2:3], s[18:19]
	s_and_saveexec_b64 s[26:27], s[30:31]
	s_cbranch_execnz .LBB229_300
; %bb.293:
	s_or_b64 exec, exec, s[26:27]
	s_and_b64 s[30:31], s[4:5], s[18:19]
	s_and_saveexec_b64 s[26:27], s[30:31]
	s_cbranch_execnz .LBB229_304
.LBB229_294:
	s_or_b64 exec, exec, s[26:27]
	s_and_b64 s[30:31], s[6:7], s[18:19]
	s_and_saveexec_b64 s[26:27], s[30:31]
	s_cbranch_execnz .LBB229_308
.LBB229_295:
	s_or_b64 exec, exec, s[26:27]
	s_and_b64 s[30:31], s[8:9], s[18:19]
	s_and_saveexec_b64 s[26:27], s[30:31]
	s_cbranch_execnz .LBB229_312
.LBB229_296:
	s_or_b64 exec, exec, s[26:27]
	s_and_b64 s[30:31], s[10:11], s[18:19]
	s_and_saveexec_b64 s[26:27], s[30:31]
	s_cbranch_execnz .LBB229_316
.LBB229_297:
	s_or_b64 exec, exec, s[26:27]
	s_and_b64 s[30:31], s[12:13], s[18:19]
	s_and_saveexec_b64 s[26:27], s[30:31]
	s_cbranch_execnz .LBB229_320
.LBB229_298:
	s_or_b64 exec, exec, s[26:27]
	s_and_b64 s[30:31], s[14:15], s[18:19]
	s_and_saveexec_b64 s[26:27], s[30:31]
	s_cbranch_execnz .LBB229_324
.LBB229_299:
	s_or_b64 exec, exec, s[26:27]
	s_and_b64 s[26:27], s[16:17], s[18:19]
	s_and_saveexec_b64 s[18:19], s[26:27]
	s_cbranch_execnz .LBB229_328
	s_branch .LBB229_332
.LBB229_300:
	s_and_b64 vcc, exec, s[0:1]
	s_cbranch_vccnz .LBB229_302
; %bb.301:
	v_lshl_add_u64 v[24:25], v[32:33], 1, v[22:23]
	flat_load_ushort v24, v[24:25]
	s_waitcnt vmcnt(0) lgkmcnt(0)
	v_mul_f16_e32 v24, s33, v24
	s_branch .LBB229_303
.LBB229_302:
	v_mov_b32_e32 v24, 0
.LBB229_303:
	v_pk_add_f16 v25, v16, v4
	v_pk_max_f16 v26, v67, v67
	s_nop 0
	v_pk_min_f16 v25, v26, v25
	v_pk_add_f16 v26, v17, v5
	s_nop 0
	v_pk_min_f16 v25, v25, v26
	s_nop 0
	v_lshrrev_b32_e32 v26, 16, v25
	v_min3_f16 v26, v24, v25, v26
	v_lshl_add_u64 v[24:25], v[32:33], 1, v[20:21]
	global_store_short v[24:25], v26, off
	s_or_b64 exec, exec, s[26:27]
	s_and_b64 s[30:31], s[4:5], s[18:19]
	s_and_saveexec_b64 s[26:27], s[30:31]
	s_cbranch_execz .LBB229_294
.LBB229_304:
	s_and_b64 vcc, exec, s[0:1]
	s_cbranch_vccnz .LBB229_306
; %bb.305:
	v_lshl_add_u64 v[24:25], v[34:35], 1, v[22:23]
	flat_load_ushort v24, v[24:25]
	s_waitcnt vmcnt(0) lgkmcnt(0)
	v_mul_f16_e32 v24, s33, v24
	s_branch .LBB229_307
.LBB229_306:
	v_mov_b32_e32 v24, 0
.LBB229_307:
	v_pk_add_f16 v25, v18, v4
	v_pk_max_f16 v26, v66, v66
	s_nop 0
	v_pk_min_f16 v25, v26, v25
	v_pk_add_f16 v26, v19, v5
	s_nop 0
	v_pk_min_f16 v25, v25, v26
	s_nop 0
	v_lshrrev_b32_e32 v26, 16, v25
	v_min3_f16 v26, v24, v25, v26
	v_lshl_add_u64 v[24:25], v[34:35], 1, v[20:21]
	global_store_short v[24:25], v26, off
	s_or_b64 exec, exec, s[26:27]
	s_and_b64 s[30:31], s[6:7], s[18:19]
	s_and_saveexec_b64 s[26:27], s[30:31]
	s_cbranch_execz .LBB229_295
.LBB229_308:
	s_and_b64 vcc, exec, s[0:1]
	s_cbranch_vccnz .LBB229_310
; %bb.309:
	v_lshl_add_u64 v[24:25], v[36:37], 1, v[22:23]
	flat_load_ushort v24, v[24:25]
	s_waitcnt vmcnt(0) lgkmcnt(0)
	v_mul_f16_e32 v24, s33, v24
	s_branch .LBB229_311
.LBB229_310:
	v_mov_b32_e32 v24, 0
.LBB229_311:
	v_pk_add_f16 v25, v12, v4
	v_pk_max_f16 v26, v65, v65
	s_nop 0
	v_pk_min_f16 v25, v26, v25
	v_pk_add_f16 v26, v13, v5
	s_nop 0
	v_pk_min_f16 v25, v25, v26
	s_nop 0
	v_lshrrev_b32_e32 v26, 16, v25
	v_min3_f16 v26, v24, v25, v26
	v_lshl_add_u64 v[24:25], v[36:37], 1, v[20:21]
	global_store_short v[24:25], v26, off
	s_or_b64 exec, exec, s[26:27]
	s_and_b64 s[30:31], s[8:9], s[18:19]
	s_and_saveexec_b64 s[26:27], s[30:31]
	s_cbranch_execz .LBB229_296
.LBB229_312:
	s_and_b64 vcc, exec, s[0:1]
	s_cbranch_vccnz .LBB229_314
; %bb.313:
	v_lshl_add_u64 v[24:25], v[38:39], 1, v[22:23]
	flat_load_ushort v24, v[24:25]
	s_waitcnt vmcnt(0) lgkmcnt(0)
	v_mul_f16_e32 v24, s33, v24
	s_branch .LBB229_315
.LBB229_314:
	v_mov_b32_e32 v24, 0
.LBB229_315:
	v_pk_add_f16 v25, v14, v4
	v_pk_max_f16 v26, v64, v64
	s_nop 0
	v_pk_min_f16 v25, v26, v25
	v_pk_add_f16 v26, v15, v5
	s_nop 0
	v_pk_min_f16 v25, v25, v26
	s_nop 0
	v_lshrrev_b32_e32 v26, 16, v25
	v_min3_f16 v26, v24, v25, v26
	v_lshl_add_u64 v[24:25], v[38:39], 1, v[20:21]
	global_store_short v[24:25], v26, off
	s_or_b64 exec, exec, s[26:27]
	s_and_b64 s[30:31], s[10:11], s[18:19]
	s_and_saveexec_b64 s[26:27], s[30:31]
	s_cbranch_execz .LBB229_297
.LBB229_316:
	s_and_b64 vcc, exec, s[0:1]
	s_cbranch_vccnz .LBB229_318
; %bb.317:
	v_lshl_add_u64 v[24:25], v[40:41], 1, v[22:23]
	flat_load_ushort v24, v[24:25]
	s_waitcnt vmcnt(0) lgkmcnt(0)
	v_mul_f16_e32 v24, s33, v24
	s_branch .LBB229_319
.LBB229_318:
	v_mov_b32_e32 v24, 0
.LBB229_319:
	v_pk_add_f16 v25, v8, v4
	v_pk_max_f16 v26, v63, v63
	s_nop 0
	v_pk_min_f16 v25, v26, v25
	v_pk_add_f16 v26, v9, v5
	s_nop 0
	v_pk_min_f16 v25, v25, v26
	s_nop 0
	v_lshrrev_b32_e32 v26, 16, v25
	v_min3_f16 v26, v24, v25, v26
	v_lshl_add_u64 v[24:25], v[40:41], 1, v[20:21]
	global_store_short v[24:25], v26, off
	s_or_b64 exec, exec, s[26:27]
	s_and_b64 s[30:31], s[12:13], s[18:19]
	s_and_saveexec_b64 s[26:27], s[30:31]
	s_cbranch_execz .LBB229_298
.LBB229_320:
	s_and_b64 vcc, exec, s[0:1]
	s_cbranch_vccnz .LBB229_322
; %bb.321:
	v_lshl_add_u64 v[24:25], v[42:43], 1, v[22:23]
	flat_load_ushort v24, v[24:25]
	s_waitcnt vmcnt(0) lgkmcnt(0)
	v_mul_f16_e32 v24, s33, v24
	s_branch .LBB229_323
.LBB229_322:
	v_mov_b32_e32 v24, 0
.LBB229_323:
	v_pk_add_f16 v25, v10, v4
	v_pk_max_f16 v26, v62, v62
	s_nop 0
	v_pk_min_f16 v25, v26, v25
	v_pk_add_f16 v26, v11, v5
	s_nop 0
	v_pk_min_f16 v25, v25, v26
	s_nop 0
	v_lshrrev_b32_e32 v26, 16, v25
	v_min3_f16 v26, v24, v25, v26
	v_lshl_add_u64 v[24:25], v[42:43], 1, v[20:21]
	global_store_short v[24:25], v26, off
	s_or_b64 exec, exec, s[26:27]
	s_and_b64 s[30:31], s[14:15], s[18:19]
	s_and_saveexec_b64 s[26:27], s[30:31]
	s_cbranch_execz .LBB229_299
.LBB229_324:
	s_and_b64 vcc, exec, s[0:1]
	s_cbranch_vccnz .LBB229_326
; %bb.325:
	v_lshl_add_u64 v[24:25], v[44:45], 1, v[22:23]
	flat_load_ushort v24, v[24:25]
	s_waitcnt vmcnt(0) lgkmcnt(0)
	v_mul_f16_e32 v24, s33, v24
	s_branch .LBB229_327
.LBB229_326:
	v_mov_b32_e32 v24, 0
.LBB229_327:
	v_pk_add_f16 v25, v0, v4
	v_pk_max_f16 v26, v60, v60
	s_nop 0
	v_pk_min_f16 v25, v26, v25
	v_pk_add_f16 v26, v1, v5
	s_nop 0
	v_pk_min_f16 v25, v25, v26
	s_nop 0
	v_lshrrev_b32_e32 v26, 16, v25
	v_min3_f16 v26, v24, v25, v26
	v_lshl_add_u64 v[24:25], v[44:45], 1, v[20:21]
	global_store_short v[24:25], v26, off
	s_or_b64 exec, exec, s[26:27]
	s_and_b64 s[26:27], s[16:17], s[18:19]
	s_and_saveexec_b64 s[18:19], s[26:27]
	s_cbranch_execz .LBB229_332
.LBB229_328:
	s_and_b64 vcc, exec, s[0:1]
	s_cbranch_vccnz .LBB229_330
; %bb.329:
	v_lshl_add_u64 v[22:23], v[46:47], 1, v[22:23]
	flat_load_ushort v22, v[22:23]
	s_waitcnt vmcnt(0) lgkmcnt(0)
	v_mul_f16_e32 v22, s33, v22
	s_branch .LBB229_331
.LBB229_330:
	v_mov_b32_e32 v22, 0
.LBB229_331:
	v_pk_add_f16 v4, v2, v4
	v_pk_max_f16 v23, v59, v59
	v_pk_add_f16 v5, v3, v5
	v_pk_min_f16 v4, v23, v4
	s_nop 0
	v_pk_min_f16 v4, v4, v5
	s_nop 0
	v_lshrrev_b32_e32 v5, 16, v4
	v_min3_f16 v22, v22, v4, v5
	v_lshl_add_u64 v[4:5], v[46:47], 1, v[20:21]
	global_store_short v[4:5], v22, off
.LBB229_332:
	s_or_b64 exec, exec, s[18:19]
	v_add_u32_e32 v22, 0xe0, v98
	v_cmp_gt_i32_e64 s[18:19], s21, v22
	v_mad_i64_i32 v[4:5], s[20:21], v22, s29, 0
	v_lshl_add_u64 v[20:21], v[4:5], 1, s[24:25]
	v_mad_i64_i32 v[4:5], s[20:21], v22, s28, 0
	v_lshl_add_u64 v[4:5], v[4:5], 1, s[22:23]
	s_and_b64 s[20:21], s[2:3], s[18:19]
	s_and_saveexec_b64 s[2:3], s[20:21]
	s_cbranch_execnz .LBB229_341
; %bb.333:
	s_or_b64 exec, exec, s[2:3]
	s_and_b64 s[4:5], s[4:5], s[18:19]
	s_and_saveexec_b64 s[2:3], s[4:5]
	s_cbranch_execnz .LBB229_345
.LBB229_334:
	s_or_b64 exec, exec, s[2:3]
	s_and_b64 s[4:5], s[6:7], s[18:19]
	s_and_saveexec_b64 s[2:3], s[4:5]
	s_cbranch_execnz .LBB229_349
.LBB229_335:
	s_or_b64 exec, exec, s[2:3]
	s_and_b64 s[4:5], s[8:9], s[18:19]
	s_and_saveexec_b64 s[2:3], s[4:5]
	s_cbranch_execnz .LBB229_353
.LBB229_336:
	s_or_b64 exec, exec, s[2:3]
	s_and_b64 s[4:5], s[10:11], s[18:19]
	s_and_saveexec_b64 s[2:3], s[4:5]
	s_cbranch_execnz .LBB229_357
.LBB229_337:
	s_or_b64 exec, exec, s[2:3]
	s_and_b64 s[4:5], s[12:13], s[18:19]
	s_and_saveexec_b64 s[2:3], s[4:5]
	s_cbranch_execnz .LBB229_361
.LBB229_338:
	s_or_b64 exec, exec, s[2:3]
	s_and_b64 s[4:5], s[14:15], s[18:19]
	s_and_saveexec_b64 s[2:3], s[4:5]
	s_cbranch_execnz .LBB229_365
.LBB229_339:
	s_or_b64 exec, exec, s[2:3]
	s_and_b64 s[2:3], s[16:17], s[18:19]
	s_and_saveexec_b64 s[4:5], s[2:3]
	s_cbranch_execnz .LBB229_369
.LBB229_340:
	s_endpgm
.LBB229_341:
	s_and_b64 vcc, exec, s[0:1]
	s_cbranch_vccnz .LBB229_343
; %bb.342:
	v_lshl_add_u64 v[22:23], v[32:33], 1, v[20:21]
	flat_load_ushort v22, v[22:23]
	s_waitcnt vmcnt(0) lgkmcnt(0)
	v_mul_f16_e32 v22, s33, v22
	s_branch .LBB229_344
.LBB229_343:
	v_mov_b32_e32 v22, 0
.LBB229_344:
	v_pk_add_f16 v16, v16, v6
	v_pk_max_f16 v23, v58, v58
	v_pk_add_f16 v17, v17, v7
	v_pk_min_f16 v16, v23, v16
	s_nop 0
	v_pk_min_f16 v16, v16, v17
	s_nop 0
	v_lshrrev_b32_e32 v17, 16, v16
	v_min3_f16 v22, v22, v16, v17
	v_lshl_add_u64 v[16:17], v[32:33], 1, v[4:5]
	global_store_short v[16:17], v22, off
	s_or_b64 exec, exec, s[2:3]
	s_and_b64 s[4:5], s[4:5], s[18:19]
	s_and_saveexec_b64 s[2:3], s[4:5]
	s_cbranch_execz .LBB229_334
.LBB229_345:
	s_and_b64 vcc, exec, s[0:1]
	s_cbranch_vccnz .LBB229_347
; %bb.346:
	v_lshl_add_u64 v[16:17], v[34:35], 1, v[20:21]
	flat_load_ushort v16, v[16:17]
	s_waitcnt vmcnt(0) lgkmcnt(0)
	v_mul_f16_e32 v16, s33, v16
	s_branch .LBB229_348
.LBB229_347:
	v_mov_b32_e32 v16, 0
.LBB229_348:
	v_pk_add_f16 v17, v18, v6
	v_pk_max_f16 v18, v57, v57
	s_nop 0
	v_pk_min_f16 v17, v18, v17
	v_pk_add_f16 v18, v19, v7
	s_nop 0
	v_pk_min_f16 v17, v17, v18
	s_nop 0
	v_lshrrev_b32_e32 v18, 16, v17
	v_min3_f16 v18, v16, v17, v18
	v_lshl_add_u64 v[16:17], v[34:35], 1, v[4:5]
	global_store_short v[16:17], v18, off
	s_or_b64 exec, exec, s[2:3]
	s_and_b64 s[4:5], s[6:7], s[18:19]
	s_and_saveexec_b64 s[2:3], s[4:5]
	s_cbranch_execz .LBB229_335
.LBB229_349:
	s_and_b64 vcc, exec, s[0:1]
	s_cbranch_vccnz .LBB229_351
; %bb.350:
	v_lshl_add_u64 v[16:17], v[36:37], 1, v[20:21]
	flat_load_ushort v16, v[16:17]
	s_waitcnt vmcnt(0) lgkmcnt(0)
	v_mul_f16_e32 v16, s33, v16
	s_branch .LBB229_352
.LBB229_351:
	v_mov_b32_e32 v16, 0
.LBB229_352:
	v_pk_add_f16 v12, v12, v6
	v_pk_max_f16 v17, v56, v56
	v_pk_add_f16 v13, v13, v7
	v_pk_min_f16 v12, v17, v12
	s_nop 0
	v_pk_min_f16 v12, v12, v13
	s_nop 0
	v_lshrrev_b32_e32 v13, 16, v12
	v_min3_f16 v16, v16, v12, v13
	v_lshl_add_u64 v[12:13], v[36:37], 1, v[4:5]
	global_store_short v[12:13], v16, off
	s_or_b64 exec, exec, s[2:3]
	s_and_b64 s[4:5], s[8:9], s[18:19]
	s_and_saveexec_b64 s[2:3], s[4:5]
	s_cbranch_execz .LBB229_336
.LBB229_353:
	s_and_b64 vcc, exec, s[0:1]
	s_cbranch_vccnz .LBB229_355
; %bb.354:
	v_lshl_add_u64 v[12:13], v[38:39], 1, v[20:21]
	flat_load_ushort v12, v[12:13]
	s_waitcnt vmcnt(0) lgkmcnt(0)
	v_mul_f16_e32 v12, s33, v12
	s_branch .LBB229_356
.LBB229_355:
	v_mov_b32_e32 v12, 0
.LBB229_356:
	v_pk_add_f16 v13, v14, v6
	v_pk_max_f16 v14, v55, v55
	s_nop 0
	v_pk_min_f16 v13, v14, v13
	v_pk_add_f16 v14, v15, v7
	s_nop 0
	v_pk_min_f16 v13, v13, v14
	s_nop 0
	v_lshrrev_b32_e32 v14, 16, v13
	v_min3_f16 v14, v12, v13, v14
	v_lshl_add_u64 v[12:13], v[38:39], 1, v[4:5]
	global_store_short v[12:13], v14, off
	s_or_b64 exec, exec, s[2:3]
	s_and_b64 s[4:5], s[10:11], s[18:19]
	s_and_saveexec_b64 s[2:3], s[4:5]
	s_cbranch_execz .LBB229_337
.LBB229_357:
	s_and_b64 vcc, exec, s[0:1]
	s_cbranch_vccnz .LBB229_359
; %bb.358:
	v_lshl_add_u64 v[12:13], v[40:41], 1, v[20:21]
	flat_load_ushort v12, v[12:13]
	s_waitcnt vmcnt(0) lgkmcnt(0)
	v_mul_f16_e32 v12, s33, v12
	s_branch .LBB229_360
.LBB229_359:
	v_mov_b32_e32 v12, 0
.LBB229_360:
	v_pk_add_f16 v8, v8, v6
	v_pk_max_f16 v13, v54, v54
	v_pk_add_f16 v9, v9, v7
	v_pk_min_f16 v8, v13, v8
	s_nop 0
	v_pk_min_f16 v8, v8, v9
	s_nop 0
	v_lshrrev_b32_e32 v9, 16, v8
	v_min3_f16 v12, v12, v8, v9
	v_lshl_add_u64 v[8:9], v[40:41], 1, v[4:5]
	global_store_short v[8:9], v12, off
	s_or_b64 exec, exec, s[2:3]
	s_and_b64 s[4:5], s[12:13], s[18:19]
	s_and_saveexec_b64 s[2:3], s[4:5]
	s_cbranch_execz .LBB229_338
.LBB229_361:
	s_and_b64 vcc, exec, s[0:1]
	s_cbranch_vccnz .LBB229_363
; %bb.362:
	v_lshl_add_u64 v[8:9], v[42:43], 1, v[20:21]
	flat_load_ushort v8, v[8:9]
	s_waitcnt vmcnt(0) lgkmcnt(0)
	v_mul_f16_e32 v8, s33, v8
	s_branch .LBB229_364
.LBB229_363:
	v_mov_b32_e32 v8, 0
.LBB229_364:
	v_pk_add_f16 v9, v10, v6
	v_pk_max_f16 v10, v53, v53
	s_nop 0
	v_pk_min_f16 v9, v10, v9
	v_pk_add_f16 v10, v11, v7
	s_nop 0
	v_pk_min_f16 v9, v9, v10
	s_nop 0
	v_lshrrev_b32_e32 v10, 16, v9
	v_min3_f16 v10, v8, v9, v10
	v_lshl_add_u64 v[8:9], v[42:43], 1, v[4:5]
	global_store_short v[8:9], v10, off
	s_or_b64 exec, exec, s[2:3]
	s_and_b64 s[4:5], s[14:15], s[18:19]
	s_and_saveexec_b64 s[2:3], s[4:5]
	s_cbranch_execz .LBB229_339
.LBB229_365:
	s_and_b64 vcc, exec, s[0:1]
	s_cbranch_vccnz .LBB229_367
; %bb.366:
	v_lshl_add_u64 v[8:9], v[44:45], 1, v[20:21]
	flat_load_ushort v8, v[8:9]
	s_waitcnt vmcnt(0) lgkmcnt(0)
	v_mul_f16_e32 v8, s33, v8
	s_branch .LBB229_368
.LBB229_367:
	v_mov_b32_e32 v8, 0
.LBB229_368:
	v_pk_add_f16 v0, v0, v6
	v_pk_max_f16 v9, v52, v52
	v_pk_add_f16 v1, v1, v7
	v_pk_min_f16 v0, v9, v0
	s_nop 0
	v_pk_min_f16 v0, v0, v1
	s_nop 0
	v_lshrrev_b32_e32 v1, 16, v0
	v_min3_f16 v8, v8, v0, v1
	v_lshl_add_u64 v[0:1], v[44:45], 1, v[4:5]
	global_store_short v[0:1], v8, off
	s_or_b64 exec, exec, s[2:3]
	s_and_b64 s[2:3], s[16:17], s[18:19]
	s_and_saveexec_b64 s[4:5], s[2:3]
	s_cbranch_execz .LBB229_340
.LBB229_369:
	s_and_b64 vcc, exec, s[0:1]
	s_cbranch_vccnz .LBB229_371
; %bb.370:
	v_lshl_add_u64 v[0:1], v[46:47], 1, v[20:21]
	flat_load_ushort v0, v[0:1]
	s_waitcnt vmcnt(0) lgkmcnt(0)
	v_mul_f16_e32 v0, s33, v0
	s_branch .LBB229_372
.LBB229_371:
	v_mov_b32_e32 v0, 0
.LBB229_372:
	v_pk_add_f16 v1, v2, v6
	v_pk_max_f16 v2, v61, v61
	s_nop 0
	v_pk_min_f16 v1, v2, v1
	v_pk_add_f16 v2, v3, v7
	s_nop 0
	v_pk_min_f16 v1, v1, v2
	s_nop 0
	v_lshrrev_b32_e32 v2, 16, v1
	v_min3_f16 v2, v0, v1, v2
	v_lshl_add_u64 v[0:1], v[46:47], 1, v[4:5]
	global_store_short v[0:1], v2, off
	s_endpgm
	.section	.rodata,"a",@progbits
	.p2align	6, 0x0
	.amdhsa_kernel _ZN12_GLOBAL__N_120geam_min_plus_kernelIDF16_Dv2_DF16_S1_Li8ELi32ELi64ELi256ELi4ELi4ELi64ELi64ELi4ELc84ELc84ELb1ELb1ELb1EDF16_KPKDF16_KPDF16_EEviiiT16_PT17_ilS9_ilS7_S9_ilPT18_ili26rocblas_geam_ex_operation_
		.amdhsa_group_segment_fixed_size 5120
		.amdhsa_private_segment_fixed_size 0
		.amdhsa_kernarg_size 128
		.amdhsa_user_sgpr_count 2
		.amdhsa_user_sgpr_dispatch_ptr 0
		.amdhsa_user_sgpr_queue_ptr 0
		.amdhsa_user_sgpr_kernarg_segment_ptr 1
		.amdhsa_user_sgpr_dispatch_id 0
		.amdhsa_user_sgpr_kernarg_preload_length 0
		.amdhsa_user_sgpr_kernarg_preload_offset 0
		.amdhsa_user_sgpr_private_segment_size 0
		.amdhsa_uses_dynamic_stack 0
		.amdhsa_enable_private_segment 0
		.amdhsa_system_sgpr_workgroup_id_x 1
		.amdhsa_system_sgpr_workgroup_id_y 0
		.amdhsa_system_sgpr_workgroup_id_z 1
		.amdhsa_system_sgpr_workgroup_info 0
		.amdhsa_system_vgpr_workitem_id 1
		.amdhsa_next_free_vgpr 169
		.amdhsa_next_free_sgpr 38
		.amdhsa_accum_offset 172
		.amdhsa_reserve_vcc 1
		.amdhsa_float_round_mode_32 0
		.amdhsa_float_round_mode_16_64 0
		.amdhsa_float_denorm_mode_32 3
		.amdhsa_float_denorm_mode_16_64 3
		.amdhsa_dx10_clamp 1
		.amdhsa_ieee_mode 1
		.amdhsa_fp16_overflow 0
		.amdhsa_tg_split 0
		.amdhsa_exception_fp_ieee_invalid_op 0
		.amdhsa_exception_fp_denorm_src 0
		.amdhsa_exception_fp_ieee_div_zero 0
		.amdhsa_exception_fp_ieee_overflow 0
		.amdhsa_exception_fp_ieee_underflow 0
		.amdhsa_exception_fp_ieee_inexact 0
		.amdhsa_exception_int_div_zero 0
	.end_amdhsa_kernel
	.section	.text._ZN12_GLOBAL__N_120geam_min_plus_kernelIDF16_Dv2_DF16_S1_Li8ELi32ELi64ELi256ELi4ELi4ELi64ELi64ELi4ELc84ELc84ELb1ELb1ELb1EDF16_KPKDF16_KPDF16_EEviiiT16_PT17_ilS9_ilS7_S9_ilPT18_ili26rocblas_geam_ex_operation_,"axG",@progbits,_ZN12_GLOBAL__N_120geam_min_plus_kernelIDF16_Dv2_DF16_S1_Li8ELi32ELi64ELi256ELi4ELi4ELi64ELi64ELi4ELc84ELc84ELb1ELb1ELb1EDF16_KPKDF16_KPDF16_EEviiiT16_PT17_ilS9_ilS7_S9_ilPT18_ili26rocblas_geam_ex_operation_,comdat
.Lfunc_end229:
	.size	_ZN12_GLOBAL__N_120geam_min_plus_kernelIDF16_Dv2_DF16_S1_Li8ELi32ELi64ELi256ELi4ELi4ELi64ELi64ELi4ELc84ELc84ELb1ELb1ELb1EDF16_KPKDF16_KPDF16_EEviiiT16_PT17_ilS9_ilS7_S9_ilPT18_ili26rocblas_geam_ex_operation_, .Lfunc_end229-_ZN12_GLOBAL__N_120geam_min_plus_kernelIDF16_Dv2_DF16_S1_Li8ELi32ELi64ELi256ELi4ELi4ELi64ELi64ELi4ELc84ELc84ELb1ELb1ELb1EDF16_KPKDF16_KPDF16_EEviiiT16_PT17_ilS9_ilS7_S9_ilPT18_ili26rocblas_geam_ex_operation_
                                        ; -- End function
	.section	.AMDGPU.csdata,"",@progbits
; Kernel info:
; codeLenInByte = 19660
; NumSgprs: 44
; NumVgprs: 169
; NumAgprs: 0
; TotalNumVgprs: 169
; ScratchSize: 0
; MemoryBound: 0
; FloatMode: 240
; IeeeMode: 1
; LDSByteSize: 5120 bytes/workgroup (compile time only)
; SGPRBlocks: 5
; VGPRBlocks: 21
; NumSGPRsForWavesPerEU: 44
; NumVGPRsForWavesPerEU: 169
; AccumOffset: 172
; Occupancy: 2
; WaveLimiterHint : 1
; COMPUTE_PGM_RSRC2:SCRATCH_EN: 0
; COMPUTE_PGM_RSRC2:USER_SGPR: 2
; COMPUTE_PGM_RSRC2:TRAP_HANDLER: 0
; COMPUTE_PGM_RSRC2:TGID_X_EN: 1
; COMPUTE_PGM_RSRC2:TGID_Y_EN: 0
; COMPUTE_PGM_RSRC2:TGID_Z_EN: 1
; COMPUTE_PGM_RSRC2:TIDIG_COMP_CNT: 1
; COMPUTE_PGM_RSRC3_GFX90A:ACCUM_OFFSET: 42
; COMPUTE_PGM_RSRC3_GFX90A:TG_SPLIT: 0
	.section	.text._ZN12_GLOBAL__N_120geam_min_plus_kernelIDF16_Dv2_DF16_S1_Li8ELi32ELi64ELi256ELi4ELi4ELi64ELi64ELi4ELc84ELc84ELb0ELb1ELb1EDF16_KPKDF16_KPDF16_EEviiiT16_PT17_ilS9_ilS7_S9_ilPT18_ili26rocblas_geam_ex_operation_,"axG",@progbits,_ZN12_GLOBAL__N_120geam_min_plus_kernelIDF16_Dv2_DF16_S1_Li8ELi32ELi64ELi256ELi4ELi4ELi64ELi64ELi4ELc84ELc84ELb0ELb1ELb1EDF16_KPKDF16_KPDF16_EEviiiT16_PT17_ilS9_ilS7_S9_ilPT18_ili26rocblas_geam_ex_operation_,comdat
	.globl	_ZN12_GLOBAL__N_120geam_min_plus_kernelIDF16_Dv2_DF16_S1_Li8ELi32ELi64ELi256ELi4ELi4ELi64ELi64ELi4ELc84ELc84ELb0ELb1ELb1EDF16_KPKDF16_KPDF16_EEviiiT16_PT17_ilS9_ilS7_S9_ilPT18_ili26rocblas_geam_ex_operation_ ; -- Begin function _ZN12_GLOBAL__N_120geam_min_plus_kernelIDF16_Dv2_DF16_S1_Li8ELi32ELi64ELi256ELi4ELi4ELi64ELi64ELi4ELc84ELc84ELb0ELb1ELb1EDF16_KPKDF16_KPDF16_EEviiiT16_PT17_ilS9_ilS7_S9_ilPT18_ili26rocblas_geam_ex_operation_
	.p2align	8
	.type	_ZN12_GLOBAL__N_120geam_min_plus_kernelIDF16_Dv2_DF16_S1_Li8ELi32ELi64ELi256ELi4ELi4ELi64ELi64ELi4ELc84ELc84ELb0ELb1ELb1EDF16_KPKDF16_KPDF16_EEviiiT16_PT17_ilS9_ilS7_S9_ilPT18_ili26rocblas_geam_ex_operation_,@function
_ZN12_GLOBAL__N_120geam_min_plus_kernelIDF16_Dv2_DF16_S1_Li8ELi32ELi64ELi256ELi4ELi4ELi64ELi64ELi4ELc84ELc84ELb0ELb1ELb1EDF16_KPKDF16_KPDF16_EEviiiT16_PT17_ilS9_ilS7_S9_ilPT18_ili26rocblas_geam_ex_operation_: ; @_ZN12_GLOBAL__N_120geam_min_plus_kernelIDF16_Dv2_DF16_S1_Li8ELi32ELi64ELi256ELi4ELi4ELi64ELi64ELi4ELc84ELc84ELb0ELb1ELb1EDF16_KPKDF16_KPDF16_EEviiiT16_PT17_ilS9_ilS7_S9_ilPT18_ili26rocblas_geam_ex_operation_
; %bb.0:
	s_load_dwordx4 s[20:23], s[0:1], 0x0
	s_load_dwordx4 s[4:7], s[0:1], 0x20
	s_mov_b32 s8, s3
	s_mov_b32 s9, 0
	s_mov_b64 s[28:29], 0
	s_waitcnt lgkmcnt(0)
	v_cmp_eq_f16_e64 s[18:19], s23, 0
	v_cmp_neq_f16_e64 s[10:11], s23, 0
	s_and_b64 vcc, exec, s[18:19]
	s_cbranch_vccnz .LBB230_2
; %bb.1:
	s_load_dwordx2 s[12:13], s[0:1], 0x10
	s_lshl_b64 s[14:15], s[8:9], 3
	s_waitcnt lgkmcnt(0)
	s_add_u32 s12, s12, s14
	s_addc_u32 s13, s13, s15
	s_load_dwordx2 s[12:13], s[12:13], 0x0
	s_lshl_b64 s[4:5], s[4:5], 1
	s_waitcnt lgkmcnt(0)
	s_add_u32 s28, s12, s4
	s_addc_u32 s29, s13, s5
.LBB230_2:
	s_and_b64 vcc, exec, s[10:11]
	s_cbranch_vccz .LBB230_4
; %bb.3:
	s_lshl_b64 s[10:11], s[8:9], 3
	s_add_u32 s6, s6, s10
	s_load_dwordx2 s[4:5], s[0:1], 0x38
	s_addc_u32 s7, s7, s11
	s_load_dwordx2 s[6:7], s[6:7], 0x0
	s_waitcnt lgkmcnt(0)
	s_lshl_b64 s[4:5], s[4:5], 1
	s_add_u32 s26, s6, s4
	s_addc_u32 s27, s7, s5
	s_cbranch_execz .LBB230_5
	s_branch .LBB230_6
.LBB230_4:
                                        ; implicit-def: $sgpr26_sgpr27
.LBB230_5:
	s_mov_b64 s[26:27], 0
.LBB230_6:
	s_load_dword s30, s[0:1], 0x40
	s_load_dwordx4 s[4:7], s[0:1], 0x58
	s_waitcnt lgkmcnt(0)
	v_cmp_eq_f16_e64 s[10:11], s30, 0
	v_cmp_neq_f16_e64 s[14:15], s30, 0
	s_and_b64 vcc, exec, s[10:11]
	s_cbranch_vccnz .LBB230_8
; %bb.7:
	s_load_dwordx2 s[10:11], s[0:1], 0x48
	s_lshl_b64 s[12:13], s[8:9], 3
	s_waitcnt lgkmcnt(0)
	s_add_u32 s10, s10, s12
	s_addc_u32 s11, s11, s13
	s_load_dwordx2 s[10:11], s[10:11], 0x0
	s_lshl_b64 s[4:5], s[4:5], 1
	s_waitcnt lgkmcnt(0)
	s_add_u32 s24, s10, s4
	s_addc_u32 s25, s11, s5
	s_branch .LBB230_9
.LBB230_8:
	s_mov_b64 s[24:25], 0
.LBB230_9:
	s_lshl_b64 s[4:5], s[8:9], 3
	s_add_u32 s4, s6, s4
	s_addc_u32 s5, s7, s5
	s_add_i32 s6, s20, -1
	s_ashr_i32 s3, s6, 31
	s_lshr_b32 s3, s3, 26
	s_add_i32 s3, s6, s3
	s_ashr_i32 s3, s3, 6
	s_add_i32 s7, s3, 1
	v_cvt_f32_u32_e32 v1, s7
	v_and_b32_e32 v44, 0x3ff, v0
	v_bfe_u32 v45, v0, 10, 10
	s_load_dwordx2 s[16:17], s[4:5], 0x0
	v_rcp_iflag_f32_e32 v1, v1
	s_not_b32 s3, s3
	s_load_dword s36, s[0:1], 0x18
	v_and_b32_e32 v46, 3, v44
	v_mul_f32_e32 v0, 0x4f7ffffe, v1
	v_cvt_u32_f32_e32 v1, v0
	v_lshl_add_u32 v0, v45, 3, v44
	v_lshrrev_b32_e32 v2, 2, v0
	v_mov_b32_e32 v5, 0x7c00
	v_readfirstlane_b32 s4, v1
	s_mul_i32 s3, s3, s4
	s_mul_hi_u32 s3, s4, s3
	s_add_i32 s4, s4, s3
	s_mul_hi_u32 s3, s2, s4
	s_mul_i32 s4, s3, s7
	s_sub_i32 s4, s2, s4
	s_add_i32 s5, s3, 1
	s_sub_i32 s8, s4, s7
	s_cmp_ge_u32 s4, s7
	s_cselect_b32 s3, s5, s3
	s_cselect_b32 s4, s8, s4
	s_add_i32 s5, s3, 1
	s_cmp_ge_u32 s4, s7
	s_cselect_b32 s4, s5, s3
	s_mul_i32 s3, s4, s7
	s_sub_i32 s2, s2, s3
	s_lshl_b32 s31, s2, 6
	v_add_u32_e32 v1, s31, v2
	v_cmp_le_i32_e64 s[2:3], s22, v46
	v_cmp_le_i32_e32 vcc, s20, v1
	s_or_b64 s[2:3], s[2:3], vcc
	v_cndmask_b32_e64 v3, 0, v5, s[2:3]
	s_or_b64 s[2:3], s[18:19], s[2:3]
	v_min_i32_e32 v42, s6, v1
	s_xor_b64 s[6:7], s[2:3], -1
	v_lshlrev_b32_e32 v40, 1, v46
	s_and_saveexec_b64 s[2:3], s[6:7]
	s_cbranch_execz .LBB230_11
; %bb.10:
	s_waitcnt lgkmcnt(0)
	v_mad_i64_i32 v[6:7], s[6:7], v42, s36, 0
	v_lshl_add_u64 v[6:7], v[6:7], 1, s[28:29]
	v_mov_b32_e32 v41, 0
	v_lshl_add_u64 v[6:7], v[6:7], 0, v[40:41]
	flat_load_ushort v1, v[6:7]
	s_waitcnt vmcnt(0) lgkmcnt(0)
	v_mul_f16_e32 v3, s23, v1
.LBB230_11:
	s_or_b64 exec, exec, s[2:3]
	s_load_dword s34, s[0:1], 0x30
	v_lshrrev_b32_e32 v47, 6, v0
	s_add_i32 s35, s22, -1
	v_and_b32_e32 v4, 63, v0
	s_lshl_b32 s33, s4, 8
	v_min_i32_e32 v0, s35, v47
	v_or_b32_e32 v32, s33, v4
	s_waitcnt lgkmcnt(0)
	v_mad_i64_i32 v[0:1], s[2:3], s34, v0, 0
	v_cmp_le_i32_e64 s[10:11], s22, v47
	v_cmp_le_i32_e64 s[2:3], s21, v32
	s_or_b64 s[4:5], s[2:3], s[10:11]
	v_cndmask_b32_e64 v5, 0, v5, s[4:5]
	s_or_b64 s[4:5], s[18:19], s[4:5]
	v_lshl_add_u64 v[0:1], v[0:1], 1, s[26:27]
	s_xor_b64 s[6:7], s[4:5], -1
	v_ashrrev_i32_e32 v33, 31, v32
	s_and_saveexec_b64 s[4:5], s[6:7]
	s_cbranch_execz .LBB230_13
; %bb.12:
	v_lshl_add_u64 v[6:7], v[32:33], 1, v[0:1]
	flat_load_ushort v5, v[6:7]
	s_waitcnt vmcnt(0) lgkmcnt(0)
	v_mul_f16_e32 v5, s23, v5
.LBB230_13:
	s_or_b64 exec, exec, s[4:5]
	v_or_b32_e32 v6, 64, v32
	v_cmp_le_i32_e64 s[4:5], s21, v6
	s_add_i32 s12, s21, -1
	v_mov_b32_e32 v7, 0x7c00
	s_or_b64 s[6:7], s[4:5], s[10:11]
	v_min_i32_e32 v34, s12, v6
	v_cndmask_b32_e64 v6, 0, v7, s[6:7]
	s_or_b64 s[6:7], s[18:19], s[6:7]
	s_xor_b64 s[8:9], s[6:7], -1
	v_ashrrev_i32_e32 v35, 31, v34
	s_and_saveexec_b64 s[6:7], s[8:9]
	s_cbranch_execz .LBB230_15
; %bb.14:
	v_lshl_add_u64 v[8:9], v[34:35], 1, v[0:1]
	flat_load_ushort v6, v[8:9]
	s_waitcnt vmcnt(0) lgkmcnt(0)
	v_mul_f16_e32 v6, s23, v6
.LBB230_15:
	s_or_b64 exec, exec, s[6:7]
	v_or_b32_e32 v8, 0x80, v32
	v_cmp_le_i32_e64 s[6:7], s21, v8
	s_or_b64 s[8:9], s[6:7], s[10:11]
	v_min_i32_e32 v36, s12, v8
	v_cndmask_b32_e64 v7, 0, v7, s[8:9]
	s_or_b64 s[8:9], s[18:19], s[8:9]
	s_xor_b64 s[38:39], s[8:9], -1
	v_ashrrev_i32_e32 v37, 31, v36
	s_and_saveexec_b64 s[8:9], s[38:39]
	s_cbranch_execz .LBB230_17
; %bb.16:
	v_lshl_add_u64 v[8:9], v[36:37], 1, v[0:1]
	flat_load_ushort v7, v[8:9]
	s_waitcnt vmcnt(0) lgkmcnt(0)
	v_mul_f16_e32 v7, s23, v7
.LBB230_17:
	s_or_b64 exec, exec, s[8:9]
	v_or_b32_e32 v8, 0xc0, v32
	v_cmp_le_i32_e64 s[8:9], s21, v8
	v_mov_b32_e32 v9, 0x7c00
	s_or_b64 s[10:11], s[8:9], s[10:11]
	v_min_i32_e32 v38, s12, v8
	v_cndmask_b32_e64 v8, 0, v9, s[10:11]
	s_or_b64 s[10:11], s[18:19], s[10:11]
	s_xor_b64 s[12:13], s[10:11], -1
	v_ashrrev_i32_e32 v39, 31, v38
	s_and_saveexec_b64 s[10:11], s[12:13]
	s_cbranch_execz .LBB230_19
; %bb.18:
	v_lshl_add_u64 v[0:1], v[38:39], 1, v[0:1]
	flat_load_ushort v0, v[0:1]
	s_waitcnt vmcnt(0) lgkmcnt(0)
	v_mul_f16_e32 v8, s23, v0
.LBB230_19:
	s_or_b64 exec, exec, s[10:11]
	v_or_b32_e32 v0, 4, v46
	v_cmp_le_i32_e64 s[10:11], s22, v0
	s_or_b64 s[10:11], s[10:11], vcc
	s_nop 0
	v_cndmask_b32_e64 v41, 0, v9, s[10:11]
	s_or_b64 s[10:11], s[18:19], s[10:11]
	s_xor_b64 s[12:13], s[10:11], -1
	s_and_saveexec_b64 s[10:11], s[12:13]
	s_cbranch_execz .LBB230_21
; %bb.20:
	v_mad_i64_i32 v[0:1], s[12:13], v42, s36, 0
	v_lshl_add_u64 v[0:1], v[0:1], 1, s[28:29]
	v_mov_b32_e32 v41, 0
	v_lshl_add_u64 v[0:1], v[0:1], 0, v[40:41]
	flat_load_ushort v0, v[0:1] offset:8
	s_waitcnt vmcnt(0) lgkmcnt(0)
	v_mul_f16_e32 v41, s23, v0
.LBB230_21:
	s_or_b64 exec, exec, s[10:11]
	v_add_u32_e32 v0, 4, v47
	v_cmp_le_i32_e64 s[10:11], s22, v0
	v_min_i32_e32 v0, s35, v0
	v_mad_i64_i32 v[0:1], s[12:13], s34, v0, 0
	v_mov_b32_e32 v9, 0x7c00
	s_or_b64 s[12:13], s[2:3], s[10:11]
	v_cndmask_b32_e64 v43, 0, v9, s[12:13]
	s_or_b64 s[12:13], s[18:19], s[12:13]
	v_lshl_add_u64 v[0:1], v[0:1], 1, s[26:27]
	s_xor_b64 s[38:39], s[12:13], -1
	s_and_saveexec_b64 s[12:13], s[38:39]
	s_cbranch_execz .LBB230_23
; %bb.22:
	v_lshl_add_u64 v[10:11], v[32:33], 1, v[0:1]
	flat_load_ushort v10, v[10:11]
	s_waitcnt vmcnt(0) lgkmcnt(0)
	v_mul_f16_e32 v43, s23, v10
.LBB230_23:
	s_or_b64 exec, exec, s[12:13]
	s_or_b64 s[12:13], s[4:5], s[10:11]
	v_cndmask_b32_e64 v99, 0, v9, s[12:13]
	s_or_b64 s[12:13], s[18:19], s[12:13]
	s_xor_b64 s[38:39], s[12:13], -1
	s_and_saveexec_b64 s[12:13], s[38:39]
	s_cbranch_execz .LBB230_25
; %bb.24:
	v_lshl_add_u64 v[10:11], v[34:35], 1, v[0:1]
	flat_load_ushort v9, v[10:11]
	s_waitcnt vmcnt(0) lgkmcnt(0)
	v_mul_f16_e32 v99, s23, v9
.LBB230_25:
	s_or_b64 exec, exec, s[12:13]
	v_mov_b32_e32 v9, 0x7c00
	s_or_b64 s[12:13], s[6:7], s[10:11]
	v_cndmask_b32_e64 v117, 0, v9, s[12:13]
	s_or_b64 s[12:13], s[18:19], s[12:13]
	s_xor_b64 s[38:39], s[12:13], -1
	s_and_saveexec_b64 s[12:13], s[38:39]
	s_cbranch_execz .LBB230_27
; %bb.26:
	v_lshl_add_u64 v[10:11], v[36:37], 1, v[0:1]
	flat_load_ushort v10, v[10:11]
	s_waitcnt vmcnt(0) lgkmcnt(0)
	v_mul_f16_e32 v117, s23, v10
.LBB230_27:
	s_or_b64 exec, exec, s[12:13]
	s_or_b64 s[10:11], s[8:9], s[10:11]
	v_cndmask_b32_e64 v118, 0, v9, s[10:11]
	s_or_b64 s[10:11], s[18:19], s[10:11]
	s_xor_b64 s[38:39], s[10:11], -1
	s_movk_i32 s12, 0x7c00
	s_and_saveexec_b64 s[10:11], s[38:39]
	s_cbranch_execz .LBB230_29
; %bb.28:
	v_lshl_add_u64 v[0:1], v[38:39], 1, v[0:1]
	flat_load_ushort v0, v[0:1]
	s_waitcnt vmcnt(0) lgkmcnt(0)
	v_mul_f16_e32 v118, s23, v0
.LBB230_29:
	s_or_b64 exec, exec, s[10:11]
	v_lshlrev_b32_e32 v0, 1, v47
	v_lshlrev_b32_e32 v48, 3, v44
	v_lshl_or_b32 v119, v2, 3, v40
	v_lshl_add_u32 v50, v4, 3, v0
	v_add_u32_e32 v51, 0x1000, v48
	v_lshlrev_b32_e32 v49, 3, v45
	ds_write_b16 v119, v3 offset:4096
	ds_write_b16 v50, v5
	ds_write_b16 v50, v6 offset:512
	ds_write_b16 v50, v7 offset:1024
	;; [unrolled: 1-line block ×3, first 2 shown]
	s_waitcnt lgkmcnt(0)
	s_barrier
	ds_read2_b64 v[16:19], v51 offset1:8
	ds_read2_b64 v[12:15], v51 offset0:16 offset1:24
	ds_read2_b64 v[4:7], v51 offset0:32 offset1:40
	ds_read2_b64 v[28:31], v49 offset1:32
	ds_read2_b64 v[0:3], v51 offset0:48 offset1:56
	ds_read2_b64 v[24:27], v49 offset0:64 offset1:96
	;; [unrolled: 1-line block ×4, first 2 shown]
	s_cmp_lt_i32 s22, 9
	s_waitcnt lgkmcnt(4)
	v_pk_add_f16 v52, v16, v28
	s_waitcnt lgkmcnt(3)
	v_pk_add_f16 v58, v0, v28
	;; [unrolled: 2-line block ×3, first 2 shown]
	v_pk_add_f16 v56, v4, v28
	v_pk_min_f16 v120, v82, s12 op_sel_hi:[1,0]
	v_pk_add_f16 v82, v14, v20
	v_pk_add_f16 v63, v4, v30
	v_pk_min_f16 v121, v82, s12 op_sel_hi:[1,0]
	v_pk_add_f16 v82, v4, v20
	;; [unrolled: 3-line block ×7, first 2 shown]
	v_pk_min_f16 v52, v52, s12 op_sel_hi:[1,0]
	v_pk_min_f16 v127, v82, s12 op_sel_hi:[1,0]
	v_pk_add_f16 v82, v14, v22
	v_pk_add_f16 v53, v18, v28
	v_pk_min_f16 v128, v82, s12 op_sel_hi:[1,0]
	v_pk_add_f16 v82, v4, v22
	v_pk_add_f16 v54, v12, v28
	;; [unrolled: 3-line block ×4, first 2 shown]
	v_pk_min_f16 v131, v82, s12 op_sel_hi:[1,0]
	s_waitcnt lgkmcnt(0)
	v_pk_add_f16 v82, v16, v8
	v_pk_add_f16 v28, v2, v28
	v_pk_min_f16 v132, v82, s12 op_sel_hi:[1,0]
	v_pk_add_f16 v82, v18, v8
	v_pk_add_f16 v59, v16, v30
	v_pk_min_f16 v133, v82, s12 op_sel_hi:[1,0]
	;; [unrolled: 3-line block ×5, first 2 shown]
	v_pk_add_f16 v82, v6, v8
	v_pk_min_f16 v139, v4, s12 op_sel_hi:[1,0]
	v_pk_min_f16 v137, v82, s12 op_sel_hi:[1,0]
	v_pk_add_f16 v82, v0, v8
	v_pk_add_f16 v4, v6, v10
	;; [unrolled: 1-line block ×23, first 2 shown]
	v_pk_min_f16 v6, v4, s12 op_sel_hi:[1,0]
	v_pk_min_f16 v4, v0, s12 op_sel_hi:[1,0]
	v_pk_add_f16 v0, v2, v10
	v_pk_add_f16 v2, v17, v29
	v_pk_min_f16 v53, v53, s12 op_sel_hi:[1,0]
	v_pk_min_f16 v116, v52, v2
	v_pk_add_f16 v2, v19, v29
	v_pk_min_f16 v54, v54, s12 op_sel_hi:[1,0]
	v_pk_min_f16 v115, v53, v2
	;; [unrolled: 3-line block ×37, first 2 shown]
	v_pk_add_f16 v2, v7, v21
	v_pk_add_f16 v16, v16, v10
	v_pk_min_f16 v78, v123, v2
	v_pk_add_f16 v2, v1, v21
	v_pk_min_f16 v16, v16, s12 op_sel_hi:[1,0]
	v_pk_min_f16 v77, v124, v2
	v_pk_add_f16 v2, v3, v21
	v_pk_add_f16 v18, v18, v10
	v_pk_min_f16 v76, v20, v2
	v_pk_add_f16 v2, v17, v23
	v_pk_min_f16 v18, v18, s12 op_sel_hi:[1,0]
	v_pk_min_f16 v75, v125, v2
	;; [unrolled: 6-line block ×4, first 2 shown]
	v_pk_add_f16 v2, v7, v23
	v_pk_min_f16 v0, v0, s12 op_sel_hi:[1,0]
	v_pk_min_f16 v70, v130, v2
	v_pk_add_f16 v2, v1, v23
	ds_write_b16 v119, v41 offset:4608
	ds_write_b16 v50, v43 offset:2048
	;; [unrolled: 1-line block ×5, first 2 shown]
	v_pk_min_f16 v69, v131, v2
	v_pk_add_f16 v2, v3, v23
	s_waitcnt lgkmcnt(0)
	v_pk_min_f16 v68, v22, v2
	v_pk_add_f16 v2, v17, v9
	s_barrier
	v_pk_min_f16 v67, v132, v2
	v_pk_add_f16 v2, v19, v9
	s_nop 0
	v_pk_min_f16 v66, v133, v2
	v_pk_add_f16 v2, v13, v9
	s_nop 0
	;; [unrolled: 3-line block ×5, first 2 shown]
	v_pk_min_f16 v62, v137, v2
	v_pk_add_f16 v2, v1, v9
	v_pk_add_f16 v1, v1, v11
	v_pk_min_f16 v60, v138, v2
	v_pk_add_f16 v2, v3, v9
	v_pk_min_f16 v52, v4, v1
	v_pk_min_f16 v59, v8, v2
	v_pk_add_f16 v2, v17, v11
	v_pk_add_f16 v1, v3, v11
	v_pk_min_f16 v58, v16, v2
	v_pk_add_f16 v2, v19, v11
	v_pk_min_f16 v61, v0, v1
	v_pk_min_f16 v57, v18, v2
	v_pk_add_f16 v2, v13, v11
	s_nop 0
	v_pk_min_f16 v56, v12, v2
	v_pk_add_f16 v2, v15, v11
	s_nop 0
	;; [unrolled: 3-line block ×4, first 2 shown]
	v_pk_min_f16 v53, v6, v2
	s_cbranch_scc1 .LBB230_52
; %bb.30:
	v_mov_b32_e32 v0, 0x1200
	v_add_u32_e32 v99, 0x1000, v119
	v_add_u32_e32 v117, 0x1200, v119
	v_lshl_add_u32 v119, v44, 3, v0
	v_mov_b32_e32 v0, 0x800
	v_lshl_add_u32 v120, v45, 3, v0
	v_mad_i64_i32 v[0:1], s[10:11], v42, s36, 0
	v_mov_b32_e32 v41, 0
	v_lshl_add_u64 v[0:1], v[0:1], 1, v[40:41]
	v_lshl_add_u64 v[0:1], v[0:1], 0, s[28:29]
	v_or_b32_e32 v118, 0x800, v50
	s_add_i32 s37, s22, -8
	v_lshl_add_u64 v[40:41], v[0:1], 0, 24
	s_mov_b32 s28, 0
	v_mov_b32_e32 v121, 0x7c00
	s_branch .LBB230_32
.LBB230_31:                             ;   in Loop: Header=BB230_32 Depth=1
	s_or_b64 exec, exec, s[10:11]
	ds_read2_b64 v[8:11], v51 offset1:8
	ds_read2_b64 v[4:7], v51 offset0:16 offset1:24
	ds_read2_b64 v[0:3], v51 offset0:32 offset1:40
	ds_read2_b64 v[126:129], v49 offset1:32
	ds_read2_b64 v[12:15], v51 offset0:48 offset1:56
	ds_read2_b64 v[24:27], v49 offset0:64 offset1:96
	;; [unrolled: 1-line block ×4, first 2 shown]
	s_waitcnt lgkmcnt(4)
	v_pk_add_f16 v42, v8, v126
	v_pk_max_f16 v43, v113, v113
	v_pk_max_f16 v112, v112, v112
	v_pk_min_f16 v42, v43, v42
	v_pk_add_f16 v43, v10, v126
	v_pk_max_f16 v111, v111, v111
	v_pk_min_f16 v43, v112, v43
	v_pk_add_f16 v112, v4, v126
	;; [unrolled: 3-line block ×5, first 2 shown]
	v_pk_max_f16 v107, v107, v107
	v_pk_min_f16 v108, v108, v112
	s_waitcnt lgkmcnt(3)
	v_pk_add_f16 v112, v12, v126
	v_pk_max_f16 v106, v106, v106
	v_pk_min_f16 v107, v107, v112
	v_pk_add_f16 v112, v14, v126
	v_pk_max_f16 v105, v105, v105
	v_pk_min_f16 v106, v106, v112
	;; [unrolled: 3-line block ×10, first 2 shown]
	s_waitcnt lgkmcnt(2)
	v_pk_add_f16 v112, v8, v24
	v_pk_max_f16 v95, v95, v95
	v_pk_min_f16 v96, v96, v112
	v_pk_add_f16 v112, v10, v24
	v_pk_max_f16 v94, v94, v94
	v_pk_min_f16 v95, v95, v112
	;; [unrolled: 3-line block ×6, first 2 shown]
	v_pk_add_f16 v112, v12, v24
	v_pk_add_f16 v24, v14, v24
	v_pk_max_f16 v88, v88, v88
	v_pk_min_f16 v24, v89, v24
	v_pk_add_f16 v89, v8, v26
	v_pk_max_f16 v87, v87, v87
	v_pk_min_f16 v88, v88, v89
	;; [unrolled: 3-line block ×7, first 2 shown]
	v_pk_add_f16 v89, v12, v26
	v_pk_add_f16 v26, v14, v26
	v_pk_max_f16 v80, v80, v80
	v_pk_min_f16 v26, v81, v26
	s_waitcnt lgkmcnt(1)
	v_pk_add_f16 v81, v8, v20
	v_pk_max_f16 v79, v79, v79
	v_pk_min_f16 v80, v80, v81
	v_pk_add_f16 v81, v10, v20
	v_pk_max_f16 v78, v78, v78
	v_pk_min_f16 v79, v79, v81
	;; [unrolled: 3-line block ×6, first 2 shown]
	v_pk_add_f16 v81, v12, v20
	v_pk_add_f16 v20, v14, v20
	v_pk_max_f16 v72, v72, v72
	v_pk_min_f16 v20, v73, v20
	v_pk_add_f16 v73, v8, v22
	v_pk_max_f16 v71, v71, v71
	v_pk_min_f16 v72, v72, v73
	;; [unrolled: 3-line block ×7, first 2 shown]
	v_pk_add_f16 v73, v12, v22
	v_pk_add_f16 v22, v14, v22
	v_pk_max_f16 v64, v64, v64
	v_pk_min_f16 v22, v65, v22
	s_waitcnt lgkmcnt(0)
	v_pk_add_f16 v65, v8, v16
	v_pk_max_f16 v63, v63, v63
	v_pk_min_f16 v64, v64, v65
	v_pk_add_f16 v65, v10, v16
	v_pk_max_f16 v62, v62, v62
	v_pk_min_f16 v63, v63, v65
	;; [unrolled: 3-line block ×5, first 2 shown]
	v_pk_add_f16 v65, v2, v16
	v_pk_add_f16 v8, v8, v18
	v_pk_min_f16 v59, v59, v65
	v_pk_add_f16 v65, v12, v16
	v_pk_add_f16 v16, v14, v16
	;; [unrolled: 1-line block ×9, first 2 shown]
	v_pk_max_f16 v18, v29, v29
	v_pk_max_f16 v90, v90, v90
	v_pk_min_f16 v14, v18, v14
	v_pk_add_f16 v18, v9, v127
	v_pk_min_f16 v90, v90, v112
	v_pk_min_f16 v116, v42, v18
	v_pk_add_f16 v18, v11, v127
	v_pk_max_f16 v82, v82, v82
	v_pk_min_f16 v115, v43, v18
	v_pk_add_f16 v18, v5, v127
	v_pk_min_f16 v82, v82, v89
	v_pk_min_f16 v114, v111, v18
	v_pk_add_f16 v18, v7, v127
	;; [unrolled: 6-line block ×5, first 2 shown]
	v_pk_max_f16 v52, v52, v52
	v_pk_min_f16 v107, v104, v18
	v_pk_add_f16 v18, v5, v129
	v_pk_max_f16 v54, v54, v54
	v_pk_min_f16 v106, v103, v18
	v_pk_add_f16 v18, v7, v129
	v_pk_min_f16 v0, v52, v0
	v_pk_min_f16 v105, v102, v18
	v_pk_add_f16 v18, v1, v129
	v_pk_max_f16 v31, v31, v31
	v_pk_min_f16 v104, v101, v18
	v_pk_add_f16 v18, v3, v129
	v_pk_max_f16 v56, v56, v56
	v_pk_min_f16 v103, v100, v18
	v_pk_add_f16 v18, v13, v129
	v_pk_min_f16 v4, v54, v4
	v_pk_min_f16 v102, v98, v18
	v_pk_add_f16 v18, v15, v129
	v_pk_max_f16 v53, v53, v53
	v_pk_min_f16 v101, v97, v18
	v_pk_add_f16 v18, v9, v25
	v_pk_min_f16 v2, v31, v2
	v_pk_min_f16 v100, v96, v18
	v_pk_add_f16 v18, v11, v25
	v_pk_max_f16 v30, v30, v30
	v_pk_min_f16 v98, v95, v18
	v_pk_add_f16 v18, v5, v25
	v_pk_max_f16 v57, v57, v57
	v_pk_min_f16 v97, v94, v18
	v_pk_add_f16 v18, v7, v25
	v_pk_min_f16 v8, v56, v8
	v_pk_min_f16 v96, v93, v18
	v_pk_add_f16 v18, v1, v25
	v_pk_max_f16 v55, v55, v55
	v_pk_min_f16 v95, v92, v18
	v_pk_add_f16 v18, v3, v25
	v_pk_min_f16 v6, v53, v6
	v_pk_min_f16 v94, v91, v18
	v_pk_add_f16 v18, v13, v25
	v_pk_min_f16 v12, v30, v12
	;; [unrolled: 3-line block ×4, first 2 shown]
	v_pk_min_f16 v91, v88, v18
	v_pk_add_f16 v18, v11, v27
	s_add_i32 s28, s28, 8
	v_pk_min_f16 v90, v87, v18
	v_pk_add_f16 v18, v5, v27
	s_cmp_ge_i32 s28, s37
	v_pk_min_f16 v89, v86, v18
	v_pk_add_f16 v18, v7, v27
	v_lshl_add_u64 v[40:41], v[40:41], 0, 16
	v_pk_min_f16 v88, v85, v18
	v_pk_add_f16 v18, v1, v27
	ds_write_b16 v117, v122
	ds_write_b16 v118, v123
	ds_write_b16 v118, v124 offset:512
	ds_write_b16 v118, v125 offset:1024
	;; [unrolled: 1-line block ×3, first 2 shown]
	v_pk_min_f16 v87, v84, v18
	v_pk_add_f16 v18, v3, v27
	s_waitcnt lgkmcnt(0)
	v_pk_min_f16 v86, v83, v18
	v_pk_add_f16 v18, v13, v27
	s_barrier
	v_pk_min_f16 v85, v82, v18
	v_pk_add_f16 v18, v15, v27
	s_nop 0
	v_pk_min_f16 v84, v26, v18
	v_pk_add_f16 v18, v9, v21
	s_nop 0
	;; [unrolled: 3-line block ×17, first 2 shown]
	v_pk_min_f16 v68, v22, v18
	v_pk_add_f16 v18, v9, v17
	v_pk_add_f16 v9, v9, v19
	v_pk_min_f16 v67, v64, v18
	v_pk_add_f16 v18, v11, v17
	s_nop 0
	v_pk_min_f16 v66, v63, v18
	v_pk_add_f16 v18, v5, v17
	v_pk_add_f16 v5, v5, v19
	v_pk_min_f16 v65, v62, v18
	v_pk_add_f16 v18, v7, v17
	v_pk_min_f16 v56, v4, v5
	v_pk_min_f16 v64, v61, v18
	v_pk_add_f16 v18, v1, v17
	v_pk_add_f16 v1, v1, v19
	v_pk_min_f16 v63, v60, v18
	v_pk_add_f16 v18, v3, v17
	v_pk_min_f16 v54, v0, v1
	;; [unrolled: 2-line block ×6, first 2 shown]
	v_pk_add_f16 v8, v11, v19
	v_pk_add_f16 v4, v7, v19
	v_pk_min_f16 v52, v12, v0
	v_pk_add_f16 v0, v15, v19
	v_pk_min_f16 v59, v16, v17
	v_pk_min_f16 v57, v10, v8
	;; [unrolled: 1-line block ×4, first 2 shown]
	s_cbranch_scc1 .LBB230_52
.LBB230_32:                             ; =>This Inner Loop Header: Depth=1
	v_add_u32_e32 v42, s28, v46
	v_add_u32_e32 v0, 8, v42
	v_cmp_le_i32_e64 s[10:11], s22, v0
	s_or_b64 s[10:11], s[10:11], vcc
	s_nop 0
	v_cndmask_b32_e64 v122, 0, v121, s[10:11]
	s_or_b64 s[10:11], s[18:19], s[10:11]
	s_xor_b64 s[10:11], s[10:11], -1
	s_and_saveexec_b64 s[12:13], s[10:11]
	s_cbranch_execz .LBB230_34
; %bb.33:                               ;   in Loop: Header=BB230_32 Depth=1
	v_add_co_u32_e64 v0, s[10:11], -8, v40
	s_nop 1
	v_addc_co_u32_e64 v1, s[10:11], -1, v41, s[10:11]
	flat_load_ushort v0, v[0:1]
	s_waitcnt vmcnt(0) lgkmcnt(0)
	v_mul_f16_e32 v122, s23, v0
.LBB230_34:                             ;   in Loop: Header=BB230_32 Depth=1
	s_or_b64 exec, exec, s[12:13]
	v_add_u32_e32 v43, s28, v47
	v_add_u32_e32 v0, 8, v43
	v_cmp_le_i32_e64 s[10:11], s22, v0
	v_min_i32_e32 v0, s35, v0
	v_mad_i64_i32 v[0:1], s[12:13], v0, s34, 0
	s_or_b64 s[12:13], s[2:3], s[10:11]
	s_nop 0
	v_cndmask_b32_e64 v123, 0, v121, s[12:13]
	s_or_b64 s[12:13], s[18:19], s[12:13]
	v_lshl_add_u64 v[0:1], v[0:1], 1, s[26:27]
	s_xor_b64 s[38:39], s[12:13], -1
	s_and_saveexec_b64 s[12:13], s[38:39]
	s_cbranch_execz .LBB230_36
; %bb.35:                               ;   in Loop: Header=BB230_32 Depth=1
	v_lshl_add_u64 v[2:3], v[32:33], 1, v[0:1]
	flat_load_ushort v2, v[2:3]
	s_waitcnt vmcnt(0) lgkmcnt(0)
	v_mul_f16_e32 v123, s23, v2
.LBB230_36:                             ;   in Loop: Header=BB230_32 Depth=1
	s_or_b64 exec, exec, s[12:13]
	s_or_b64 s[12:13], s[4:5], s[10:11]
	v_cndmask_b32_e64 v124, 0, v121, s[12:13]
	s_or_b64 s[12:13], s[18:19], s[12:13]
	s_xor_b64 s[38:39], s[12:13], -1
	s_and_saveexec_b64 s[12:13], s[38:39]
	s_cbranch_execz .LBB230_38
; %bb.37:                               ;   in Loop: Header=BB230_32 Depth=1
	v_lshl_add_u64 v[2:3], v[34:35], 1, v[0:1]
	flat_load_ushort v2, v[2:3]
	s_waitcnt vmcnt(0) lgkmcnt(0)
	v_mul_f16_e32 v124, s23, v2
.LBB230_38:                             ;   in Loop: Header=BB230_32 Depth=1
	s_or_b64 exec, exec, s[12:13]
	s_or_b64 s[12:13], s[6:7], s[10:11]
	v_cndmask_b32_e64 v125, 0, v121, s[12:13]
	s_or_b64 s[12:13], s[18:19], s[12:13]
	;; [unrolled: 13-line block ×3, first 2 shown]
	s_xor_b64 s[12:13], s[10:11], -1
	s_and_saveexec_b64 s[10:11], s[12:13]
	s_cbranch_execz .LBB230_42
; %bb.41:                               ;   in Loop: Header=BB230_32 Depth=1
	v_lshl_add_u64 v[0:1], v[38:39], 1, v[0:1]
	flat_load_ushort v0, v[0:1]
	s_waitcnt vmcnt(0) lgkmcnt(0)
	v_mul_f16_e32 v126, s23, v0
.LBB230_42:                             ;   in Loop: Header=BB230_32 Depth=1
	s_or_b64 exec, exec, s[10:11]
	ds_read2_b64 v[12:15], v119 offset1:8
	ds_read2_b64 v[8:11], v119 offset0:16 offset1:24
	ds_read2_b64 v[4:7], v119 offset0:32 offset1:40
	;; [unrolled: 1-line block ×3, first 2 shown]
	ds_read2_b64 v[28:31], v120 offset1:32
	ds_read2_b64 v[24:27], v120 offset0:64 offset1:96
	ds_read2_b64 v[20:23], v120 offset0:128 offset1:160
	;; [unrolled: 1-line block ×3, first 2 shown]
	v_add_u32_e32 v42, 12, v42
	v_cmp_le_i32_e64 s[10:11], s22, v42
	s_or_b64 s[10:11], s[10:11], vcc
	ds_write_b16 v99, v122
	ds_write_b16 v50, v123
	ds_write_b16 v50, v124 offset:512
	ds_write_b16 v50, v125 offset:1024
	;; [unrolled: 1-line block ×3, first 2 shown]
	v_cndmask_b32_e64 v122, 0, v121, s[10:11]
	s_or_b64 s[10:11], s[18:19], s[10:11]
	s_xor_b64 s[10:11], s[10:11], -1
	s_waitcnt lgkmcnt(0)
	s_barrier
	s_and_saveexec_b64 s[12:13], s[10:11]
	s_xor_b64 s[10:11], exec, s[12:13]
	s_cbranch_execz .LBB230_44
; %bb.43:                               ;   in Loop: Header=BB230_32 Depth=1
	flat_load_ushort v42, v[40:41]
	s_waitcnt vmcnt(0) lgkmcnt(0)
	v_mul_f16_e32 v122, s23, v42
.LBB230_44:                             ;   in Loop: Header=BB230_32 Depth=1
	s_or_b64 exec, exec, s[10:11]
	v_add_u32_e32 v42, 12, v43
	v_cmp_le_i32_e64 s[10:11], s22, v42
	v_min_i32_e32 v42, s35, v42
	v_mad_i64_i32 v[42:43], s[12:13], v42, s34, 0
	s_or_b64 s[12:13], s[2:3], s[10:11]
	s_nop 0
	v_cndmask_b32_e64 v123, 0, v121, s[12:13]
	s_or_b64 s[12:13], s[18:19], s[12:13]
	v_lshl_add_u64 v[42:43], v[42:43], 1, s[26:27]
	s_xor_b64 s[38:39], s[12:13], -1
	s_and_saveexec_b64 s[12:13], s[38:39]
	s_cbranch_execz .LBB230_46
; %bb.45:                               ;   in Loop: Header=BB230_32 Depth=1
	v_lshl_add_u64 v[124:125], v[32:33], 1, v[42:43]
	flat_load_ushort v123, v[124:125]
	s_waitcnt vmcnt(0) lgkmcnt(0)
	v_mul_f16_e32 v123, s23, v123
.LBB230_46:                             ;   in Loop: Header=BB230_32 Depth=1
	s_or_b64 exec, exec, s[12:13]
	s_or_b64 s[12:13], s[4:5], s[10:11]
	v_cndmask_b32_e64 v124, 0, v121, s[12:13]
	s_or_b64 s[12:13], s[18:19], s[12:13]
	s_xor_b64 s[38:39], s[12:13], -1
	s_and_saveexec_b64 s[12:13], s[38:39]
	s_cbranch_execz .LBB230_48
; %bb.47:                               ;   in Loop: Header=BB230_32 Depth=1
	v_lshl_add_u64 v[124:125], v[34:35], 1, v[42:43]
	flat_load_ushort v124, v[124:125]
	s_waitcnt vmcnt(0) lgkmcnt(0)
	v_mul_f16_e32 v124, s23, v124
.LBB230_48:                             ;   in Loop: Header=BB230_32 Depth=1
	s_or_b64 exec, exec, s[12:13]
	s_or_b64 s[12:13], s[6:7], s[10:11]
	v_cndmask_b32_e64 v125, 0, v121, s[12:13]
	s_or_b64 s[12:13], s[18:19], s[12:13]
	s_xor_b64 s[38:39], s[12:13], -1
	s_and_saveexec_b64 s[12:13], s[38:39]
	s_cbranch_execz .LBB230_50
; %bb.49:                               ;   in Loop: Header=BB230_32 Depth=1
	v_lshl_add_u64 v[126:127], v[36:37], 1, v[42:43]
	flat_load_ushort v125, v[126:127]
	s_waitcnt vmcnt(0) lgkmcnt(0)
	v_mul_f16_e32 v125, s23, v125
.LBB230_50:                             ;   in Loop: Header=BB230_32 Depth=1
	s_or_b64 exec, exec, s[12:13]
	v_pk_add_f16 v126, v12, v28
	v_pk_max_f16 v116, v116, v116
	v_pk_max_f16 v115, v115, v115
	v_pk_min_f16 v116, v116, v126
	v_pk_add_f16 v126, v14, v28
	v_pk_max_f16 v114, v114, v114
	v_pk_min_f16 v115, v115, v126
	v_pk_add_f16 v126, v8, v28
	v_pk_max_f16 v113, v113, v113
	v_pk_min_f16 v114, v114, v126
	v_pk_add_f16 v126, v10, v28
	v_pk_max_f16 v112, v112, v112
	v_pk_min_f16 v126, v113, v126
	v_pk_add_f16 v113, v4, v28
	v_pk_max_f16 v111, v111, v111
	v_pk_min_f16 v127, v112, v113
	v_pk_add_f16 v112, v6, v28
	v_pk_max_f16 v109, v109, v109
	v_pk_min_f16 v128, v111, v112
	v_pk_add_f16 v111, v0, v28
	v_pk_add_f16 v28, v2, v28
	v_pk_max_f16 v108, v108, v108
	v_pk_min_f16 v28, v109, v28
	v_pk_add_f16 v109, v12, v30
	v_pk_max_f16 v107, v107, v107
	v_pk_min_f16 v130, v108, v109
	v_pk_add_f16 v108, v14, v30
	v_pk_max_f16 v106, v106, v106
	v_pk_min_f16 v131, v107, v108
	v_pk_add_f16 v107, v8, v30
	v_pk_max_f16 v105, v105, v105
	v_pk_min_f16 v132, v106, v107
	v_pk_add_f16 v106, v10, v30
	v_pk_max_f16 v104, v104, v104
	v_pk_min_f16 v133, v105, v106
	v_pk_add_f16 v105, v4, v30
	v_pk_max_f16 v103, v103, v103
	v_pk_min_f16 v134, v104, v105
	v_pk_add_f16 v104, v6, v30
	v_pk_max_f16 v101, v101, v101
	v_pk_min_f16 v135, v103, v104
	v_pk_add_f16 v103, v0, v30
	v_pk_add_f16 v30, v2, v30
	v_pk_max_f16 v100, v100, v100
	v_pk_min_f16 v30, v101, v30
	v_pk_add_f16 v101, v12, v24
	;; [unrolled: 22-line block ×6, first 2 shown]
	v_pk_max_f16 v66, v66, v66
	v_pk_min_f16 v165, v67, v68
	v_pk_add_f16 v67, v14, v16
	v_pk_max_f16 v65, v65, v65
	v_pk_min_f16 v166, v66, v67
	v_pk_add_f16 v66, v8, v16
	;; [unrolled: 3-line block ×5, first 2 shown]
	v_pk_add_f16 v12, v12, v18
	v_pk_min_f16 v170, v62, v63
	v_pk_add_f16 v62, v0, v16
	v_pk_add_f16 v16, v2, v16
	v_pk_add_f16 v14, v14, v18
	v_pk_add_f16 v8, v8, v18
	v_pk_add_f16 v10, v10, v18
	v_pk_add_f16 v4, v4, v18
	v_pk_add_f16 v6, v6, v18
	v_pk_add_f16 v0, v0, v18
	v_pk_add_f16 v2, v2, v18
	v_pk_max_f16 v18, v61, v61
	v_pk_max_f16 v110, v110, v110
	v_pk_min_f16 v2, v18, v2
	v_pk_add_f16 v18, v13, v29
	v_pk_min_f16 v129, v110, v111
	v_pk_min_f16 v113, v116, v18
	v_pk_add_f16 v18, v15, v29
	v_pk_max_f16 v102, v102, v102
	v_pk_min_f16 v112, v115, v18
	v_pk_add_f16 v18, v9, v29
	v_pk_min_f16 v136, v102, v103
	v_pk_min_f16 v111, v114, v18
	v_pk_add_f16 v18, v11, v29
	;; [unrolled: 6-line block ×7, first 2 shown]
	v_pk_max_f16 v59, v59, v59
	v_pk_min_f16 v100, v135, v18
	v_pk_add_f16 v18, v1, v31
	v_pk_max_f16 v58, v58, v58
	v_pk_min_f16 v98, v136, v18
	v_pk_add_f16 v18, v3, v31
	v_pk_max_f16 v56, v56, v56
	v_pk_min_f16 v97, v30, v18
	v_pk_add_f16 v18, v13, v25
	v_pk_max_f16 v54, v54, v54
	v_pk_min_f16 v96, v137, v18
	v_pk_add_f16 v18, v15, v25
	v_pk_max_f16 v52, v52, v52
	v_pk_min_f16 v95, v138, v18
	v_pk_add_f16 v18, v9, v25
	v_pk_min_f16 v16, v59, v16
	v_pk_min_f16 v94, v139, v18
	v_pk_add_f16 v18, v11, v25
	v_pk_min_f16 v12, v58, v12
	v_pk_min_f16 v93, v140, v18
	v_pk_add_f16 v18, v5, v25
	v_pk_max_f16 v57, v57, v57
	v_pk_min_f16 v92, v141, v18
	v_pk_add_f16 v18, v7, v25
	v_pk_min_f16 v8, v56, v8
	v_pk_min_f16 v91, v142, v18
	v_pk_add_f16 v18, v1, v25
	v_pk_max_f16 v55, v55, v55
	;; [unrolled: 6-line block ×3, first 2 shown]
	v_pk_min_f16 v88, v144, v18
	v_pk_add_f16 v18, v15, v27
	v_pk_min_f16 v0, v52, v0
	v_pk_min_f16 v87, v145, v18
	v_pk_add_f16 v18, v9, v27
	s_or_b64 s[10:11], s[8:9], s[10:11]
	v_pk_min_f16 v86, v146, v18
	v_pk_add_f16 v18, v11, v27
	v_pk_min_f16 v14, v57, v14
	v_pk_min_f16 v85, v147, v18
	v_pk_add_f16 v18, v5, v27
	v_pk_min_f16 v10, v55, v10
	;; [unrolled: 3-line block ×3, first 2 shown]
	v_pk_min_f16 v83, v149, v18
	v_pk_add_f16 v18, v1, v27
	v_cndmask_b32_e64 v28, 0, v121, s[10:11]
	v_pk_min_f16 v82, v150, v18
	v_pk_add_f16 v18, v3, v27
	s_or_b64 s[10:11], s[18:19], s[10:11]
	v_pk_min_f16 v81, v26, v18
	v_pk_add_f16 v18, v13, v21
	s_xor_b64 s[12:13], s[10:11], -1
	v_pk_min_f16 v80, v151, v18
	v_pk_add_f16 v18, v15, v21
	s_nop 0
	v_pk_min_f16 v79, v152, v18
	v_pk_add_f16 v18, v9, v21
	s_nop 0
	;; [unrolled: 3-line block ×15, first 2 shown]
	v_pk_min_f16 v65, v22, v18
	v_pk_add_f16 v18, v13, v17
	v_pk_add_f16 v13, v13, v19
	v_pk_min_f16 v64, v165, v18
	v_pk_add_f16 v18, v15, v17
	v_pk_min_f16 v56, v12, v13
	v_pk_min_f16 v63, v166, v18
	v_pk_add_f16 v18, v9, v17
	v_pk_add_f16 v9, v9, v19
	v_pk_min_f16 v62, v167, v18
	v_pk_add_f16 v18, v11, v17
	v_pk_add_f16 v12, v15, v19
	;; [unrolled: 3-line block ×3, first 2 shown]
	v_pk_min_f16 v60, v169, v18
	v_pk_add_f16 v18, v7, v17
	v_pk_min_f16 v54, v8, v9
	v_pk_min_f16 v59, v170, v18
	v_pk_add_f16 v18, v1, v17
	v_pk_add_f16 v1, v1, v19
	v_pk_add_f16 v17, v3, v17
	v_pk_add_f16 v8, v11, v19
	v_pk_min_f16 v52, v4, v5
	v_pk_add_f16 v4, v7, v19
	v_pk_min_f16 v30, v0, v1
	v_pk_add_f16 v0, v3, v19
	v_pk_min_f16 v58, v171, v18
	v_pk_min_f16 v57, v16, v17
	;; [unrolled: 1-line block ×6, first 2 shown]
	s_and_saveexec_b64 s[10:11], s[12:13]
	s_cbranch_execz .LBB230_31
; %bb.51:                               ;   in Loop: Header=BB230_32 Depth=1
	v_lshl_add_u64 v[0:1], v[38:39], 1, v[42:43]
	flat_load_ushort v0, v[0:1]
	s_waitcnt vmcnt(0) lgkmcnt(0)
	v_mul_f16_e32 v28, s23, v0
	s_branch .LBB230_31
.LBB230_52:
	s_load_dwordx2 s[2:3], s[0:1], 0x70
	s_load_dword s29, s[0:1], 0x50
	s_load_dword s28, s[0:1], 0x68
	v_add_u32_e32 v0, 0x1000, v48
	v_add_u32_e32 v4, 0x800, v49
	ds_read2_b64 v[16:19], v0 offset0:64 offset1:72
	ds_read2_b64 v[12:15], v0 offset0:80 offset1:88
	;; [unrolled: 1-line block ×4, first 2 shown]
	ds_read2_b64 v[28:31], v4 offset1:32
	ds_read2_b64 v[24:27], v4 offset0:64 offset1:96
	ds_read2_b64 v[20:23], v4 offset0:128 offset1:160
	;; [unrolled: 1-line block ×3, first 2 shown]
	s_waitcnt lgkmcnt(0)
	s_lshl_b64 s[0:1], s[2:3], 1
	s_add_u32 s22, s16, s0
	v_add_u32_e32 v99, s33, v45
	s_addc_u32 s23, s17, s1
	v_mad_i64_i32 v[34:35], s[0:1], v99, s29, 0
	v_add_u32_e32 v32, s31, v44
	v_lshl_add_u64 v[50:51], v[34:35], 1, s[24:25]
	v_mad_i64_i32 v[34:35], s[0:1], v99, s28, 0
	v_cmp_gt_i32_e64 s[2:3], s20, v32
	v_cmp_gt_i32_e64 s[18:19], s21, v99
	v_lshl_add_u64 v[48:49], v[34:35], 1, s[22:23]
	v_cndmask_b32_e64 v34, 0, 1, s[14:15]
	v_ashrrev_i32_e32 v33, 31, v32
	s_and_b64 s[4:5], s[2:3], s[18:19]
	v_cmp_ne_u32_e64 s[0:1], 1, v34
	s_and_saveexec_b64 s[6:7], s[4:5]
	s_xor_b64 s[4:5], exec, s[6:7]
	s_cbranch_execz .LBB230_57
; %bb.53:
	s_and_b64 vcc, exec, s[0:1]
	s_cbranch_vccnz .LBB230_55
; %bb.54:
	v_lshl_add_u64 v[34:35], v[32:33], 1, v[50:51]
	flat_load_ushort v34, v[34:35]
	s_waitcnt vmcnt(0) lgkmcnt(0)
	v_mul_f16_e32 v34, s30, v34
	s_branch .LBB230_56
.LBB230_55:
	v_mov_b32_e32 v34, 0
.LBB230_56:
	v_pk_add_f16 v35, v16, v28
	v_pk_max_f16 v36, v116, v116
	s_nop 0
	v_pk_min_f16 v35, v36, v35
	v_pk_add_f16 v36, v17, v29
	s_nop 0
	v_pk_min_f16 v35, v35, v36
	s_nop 0
	v_lshrrev_b32_e32 v36, 16, v35
	v_min3_f16 v36, v34, v35, v36
	v_lshl_add_u64 v[34:35], v[32:33], 1, v[48:49]
	global_store_short v[34:35], v36, off
.LBB230_57:
	s_or_b64 exec, exec, s[4:5]
	v_add_u32_e32 v34, 8, v32
	v_cmp_gt_i32_e64 s[4:5], s20, v34
	v_ashrrev_i32_e32 v35, 31, v34
	s_and_b64 s[8:9], s[4:5], s[18:19]
	s_and_saveexec_b64 s[6:7], s[8:9]
	s_cbranch_execz .LBB230_62
; %bb.58:
	s_and_b64 vcc, exec, s[0:1]
	s_cbranch_vccnz .LBB230_60
; %bb.59:
	v_lshl_add_u64 v[36:37], v[34:35], 1, v[50:51]
	flat_load_ushort v36, v[36:37]
	s_waitcnt vmcnt(0) lgkmcnt(0)
	v_mul_f16_e32 v36, s30, v36
	s_branch .LBB230_61
.LBB230_60:
	v_mov_b32_e32 v36, 0
.LBB230_61:
	v_pk_add_f16 v37, v18, v28
	v_pk_max_f16 v38, v115, v115
	s_nop 0
	v_pk_min_f16 v37, v38, v37
	v_pk_add_f16 v38, v19, v29
	s_nop 0
	v_pk_min_f16 v37, v37, v38
	s_nop 0
	v_lshrrev_b32_e32 v38, 16, v37
	v_min3_f16 v38, v36, v37, v38
	v_lshl_add_u64 v[36:37], v[34:35], 1, v[48:49]
	global_store_short v[36:37], v38, off
.LBB230_62:
	s_or_b64 exec, exec, s[6:7]
	v_add_u32_e32 v36, 16, v32
	v_cmp_gt_i32_e64 s[6:7], s20, v36
	v_ashrrev_i32_e32 v37, 31, v36
	s_and_b64 s[10:11], s[6:7], s[18:19]
	s_and_saveexec_b64 s[8:9], s[10:11]
	;; [unrolled: 32-line block ×7, first 2 shown]
	s_cbranch_execz .LBB230_92
; %bb.88:
	s_and_b64 vcc, exec, s[0:1]
	s_cbranch_vccnz .LBB230_90
; %bb.89:
	v_lshl_add_u64 v[50:51], v[46:47], 1, v[50:51]
	flat_load_ushort v50, v[50:51]
	s_waitcnt vmcnt(0) lgkmcnt(0)
	v_mul_f16_e32 v50, s30, v50
	s_branch .LBB230_91
.LBB230_90:
	v_mov_b32_e32 v50, 0
.LBB230_91:
	v_pk_add_f16 v28, v2, v28
	v_pk_max_f16 v51, v109, v109
	v_pk_add_f16 v29, v3, v29
	v_pk_min_f16 v28, v51, v28
	s_nop 0
	v_pk_min_f16 v28, v28, v29
	s_nop 0
	v_lshrrev_b32_e32 v29, 16, v28
	v_min3_f16 v50, v50, v28, v29
	v_lshl_add_u64 v[28:29], v[46:47], 1, v[48:49]
	global_store_short v[28:29], v50, off
.LBB230_92:
	s_or_b64 exec, exec, s[18:19]
	v_add_u32_e32 v50, 32, v99
	v_mad_i64_i32 v[28:29], s[26:27], v50, s29, 0
	v_cmp_gt_i32_e64 s[18:19], s21, v50
	v_lshl_add_u64 v[48:49], v[28:29], 1, s[24:25]
	v_mad_i64_i32 v[28:29], s[26:27], v50, s28, 0
	v_lshl_add_u64 v[28:29], v[28:29], 1, s[22:23]
	s_and_b64 s[34:35], s[2:3], s[18:19]
	s_and_saveexec_b64 s[26:27], s[34:35]
	s_cbranch_execnz .LBB230_100
; %bb.93:
	s_or_b64 exec, exec, s[26:27]
	s_and_b64 s[34:35], s[4:5], s[18:19]
	s_and_saveexec_b64 s[26:27], s[34:35]
	s_cbranch_execnz .LBB230_104
.LBB230_94:
	s_or_b64 exec, exec, s[26:27]
	s_and_b64 s[34:35], s[6:7], s[18:19]
	s_and_saveexec_b64 s[26:27], s[34:35]
	s_cbranch_execnz .LBB230_108
.LBB230_95:
	s_or_b64 exec, exec, s[26:27]
	s_and_b64 s[34:35], s[8:9], s[18:19]
	s_and_saveexec_b64 s[26:27], s[34:35]
	s_cbranch_execnz .LBB230_112
.LBB230_96:
	s_or_b64 exec, exec, s[26:27]
	s_and_b64 s[34:35], s[10:11], s[18:19]
	s_and_saveexec_b64 s[26:27], s[34:35]
	s_cbranch_execnz .LBB230_116
.LBB230_97:
	s_or_b64 exec, exec, s[26:27]
	s_and_b64 s[34:35], s[12:13], s[18:19]
	s_and_saveexec_b64 s[26:27], s[34:35]
	s_cbranch_execnz .LBB230_120
.LBB230_98:
	s_or_b64 exec, exec, s[26:27]
	s_and_b64 s[34:35], s[14:15], s[18:19]
	s_and_saveexec_b64 s[26:27], s[34:35]
	s_cbranch_execnz .LBB230_124
.LBB230_99:
	s_or_b64 exec, exec, s[26:27]
	s_and_b64 s[26:27], s[16:17], s[18:19]
	s_and_saveexec_b64 s[18:19], s[26:27]
	s_cbranch_execnz .LBB230_128
	s_branch .LBB230_132
.LBB230_100:
	s_and_b64 vcc, exec, s[0:1]
	s_cbranch_vccnz .LBB230_102
; %bb.101:
	v_lshl_add_u64 v[50:51], v[32:33], 1, v[48:49]
	flat_load_ushort v50, v[50:51]
	s_waitcnt vmcnt(0) lgkmcnt(0)
	v_mul_f16_e32 v50, s30, v50
	s_branch .LBB230_103
.LBB230_102:
	v_mov_b32_e32 v50, 0
.LBB230_103:
	v_pk_add_f16 v51, v16, v30
	v_pk_max_f16 v108, v108, v108
	s_nop 0
	v_pk_min_f16 v51, v108, v51
	v_pk_add_f16 v108, v17, v31
	s_nop 0
	v_pk_min_f16 v51, v51, v108
	s_nop 0
	v_lshrrev_b32_e32 v108, 16, v51
	v_min3_f16 v108, v50, v51, v108
	v_lshl_add_u64 v[50:51], v[32:33], 1, v[28:29]
	global_store_short v[50:51], v108, off
	s_or_b64 exec, exec, s[26:27]
	s_and_b64 s[34:35], s[4:5], s[18:19]
	s_and_saveexec_b64 s[26:27], s[34:35]
	s_cbranch_execz .LBB230_94
.LBB230_104:
	s_and_b64 vcc, exec, s[0:1]
	s_cbranch_vccnz .LBB230_106
; %bb.105:
	v_lshl_add_u64 v[50:51], v[34:35], 1, v[48:49]
	flat_load_ushort v50, v[50:51]
	s_waitcnt vmcnt(0) lgkmcnt(0)
	v_mul_f16_e32 v50, s30, v50
	s_branch .LBB230_107
.LBB230_106:
	v_mov_b32_e32 v50, 0
.LBB230_107:
	v_pk_add_f16 v51, v18, v30
	v_pk_max_f16 v107, v107, v107
	s_nop 0
	v_pk_min_f16 v51, v107, v51
	v_pk_add_f16 v107, v19, v31
	s_nop 0
	v_pk_min_f16 v51, v51, v107
	s_nop 0
	v_lshrrev_b32_e32 v107, 16, v51
	v_min3_f16 v107, v50, v51, v107
	v_lshl_add_u64 v[50:51], v[34:35], 1, v[28:29]
	global_store_short v[50:51], v107, off
	s_or_b64 exec, exec, s[26:27]
	s_and_b64 s[34:35], s[6:7], s[18:19]
	s_and_saveexec_b64 s[26:27], s[34:35]
	s_cbranch_execz .LBB230_95
.LBB230_108:
	s_and_b64 vcc, exec, s[0:1]
	s_cbranch_vccnz .LBB230_110
; %bb.109:
	v_lshl_add_u64 v[50:51], v[36:37], 1, v[48:49]
	flat_load_ushort v50, v[50:51]
	s_waitcnt vmcnt(0) lgkmcnt(0)
	v_mul_f16_e32 v50, s30, v50
	s_branch .LBB230_111
.LBB230_110:
	v_mov_b32_e32 v50, 0
.LBB230_111:
	v_pk_add_f16 v51, v12, v30
	v_pk_max_f16 v106, v106, v106
	s_nop 0
	v_pk_min_f16 v51, v106, v51
	v_pk_add_f16 v106, v13, v31
	s_nop 0
	v_pk_min_f16 v51, v51, v106
	s_nop 0
	v_lshrrev_b32_e32 v106, 16, v51
	v_min3_f16 v106, v50, v51, v106
	v_lshl_add_u64 v[50:51], v[36:37], 1, v[28:29]
	global_store_short v[50:51], v106, off
	s_or_b64 exec, exec, s[26:27]
	s_and_b64 s[34:35], s[8:9], s[18:19]
	s_and_saveexec_b64 s[26:27], s[34:35]
	s_cbranch_execz .LBB230_96
.LBB230_112:
	s_and_b64 vcc, exec, s[0:1]
	s_cbranch_vccnz .LBB230_114
; %bb.113:
	v_lshl_add_u64 v[50:51], v[38:39], 1, v[48:49]
	flat_load_ushort v50, v[50:51]
	s_waitcnt vmcnt(0) lgkmcnt(0)
	v_mul_f16_e32 v50, s30, v50
	s_branch .LBB230_115
.LBB230_114:
	v_mov_b32_e32 v50, 0
.LBB230_115:
	v_pk_add_f16 v51, v14, v30
	v_pk_max_f16 v105, v105, v105
	s_nop 0
	v_pk_min_f16 v51, v105, v51
	v_pk_add_f16 v105, v15, v31
	s_nop 0
	v_pk_min_f16 v51, v51, v105
	s_nop 0
	v_lshrrev_b32_e32 v105, 16, v51
	v_min3_f16 v105, v50, v51, v105
	v_lshl_add_u64 v[50:51], v[38:39], 1, v[28:29]
	global_store_short v[50:51], v105, off
	s_or_b64 exec, exec, s[26:27]
	s_and_b64 s[34:35], s[10:11], s[18:19]
	s_and_saveexec_b64 s[26:27], s[34:35]
	s_cbranch_execz .LBB230_97
.LBB230_116:
	s_and_b64 vcc, exec, s[0:1]
	s_cbranch_vccnz .LBB230_118
; %bb.117:
	v_lshl_add_u64 v[50:51], v[40:41], 1, v[48:49]
	flat_load_ushort v50, v[50:51]
	s_waitcnt vmcnt(0) lgkmcnt(0)
	v_mul_f16_e32 v50, s30, v50
	s_branch .LBB230_119
.LBB230_118:
	v_mov_b32_e32 v50, 0
.LBB230_119:
	v_pk_add_f16 v51, v8, v30
	v_pk_max_f16 v104, v104, v104
	s_nop 0
	v_pk_min_f16 v51, v104, v51
	v_pk_add_f16 v104, v9, v31
	s_nop 0
	v_pk_min_f16 v51, v51, v104
	s_nop 0
	v_lshrrev_b32_e32 v104, 16, v51
	v_min3_f16 v104, v50, v51, v104
	v_lshl_add_u64 v[50:51], v[40:41], 1, v[28:29]
	global_store_short v[50:51], v104, off
	s_or_b64 exec, exec, s[26:27]
	s_and_b64 s[34:35], s[12:13], s[18:19]
	s_and_saveexec_b64 s[26:27], s[34:35]
	s_cbranch_execz .LBB230_98
.LBB230_120:
	s_and_b64 vcc, exec, s[0:1]
	s_cbranch_vccnz .LBB230_122
; %bb.121:
	v_lshl_add_u64 v[50:51], v[42:43], 1, v[48:49]
	flat_load_ushort v50, v[50:51]
	s_waitcnt vmcnt(0) lgkmcnt(0)
	v_mul_f16_e32 v50, s30, v50
	s_branch .LBB230_123
.LBB230_122:
	v_mov_b32_e32 v50, 0
.LBB230_123:
	v_pk_add_f16 v51, v10, v30
	v_pk_max_f16 v103, v103, v103
	s_nop 0
	v_pk_min_f16 v51, v103, v51
	v_pk_add_f16 v103, v11, v31
	s_nop 0
	v_pk_min_f16 v51, v51, v103
	s_nop 0
	v_lshrrev_b32_e32 v103, 16, v51
	v_min3_f16 v103, v50, v51, v103
	v_lshl_add_u64 v[50:51], v[42:43], 1, v[28:29]
	global_store_short v[50:51], v103, off
	s_or_b64 exec, exec, s[26:27]
	s_and_b64 s[34:35], s[14:15], s[18:19]
	s_and_saveexec_b64 s[26:27], s[34:35]
	s_cbranch_execz .LBB230_99
.LBB230_124:
	s_and_b64 vcc, exec, s[0:1]
	s_cbranch_vccnz .LBB230_126
; %bb.125:
	v_lshl_add_u64 v[50:51], v[44:45], 1, v[48:49]
	flat_load_ushort v50, v[50:51]
	s_waitcnt vmcnt(0) lgkmcnt(0)
	v_mul_f16_e32 v50, s30, v50
	s_branch .LBB230_127
.LBB230_126:
	v_mov_b32_e32 v50, 0
.LBB230_127:
	v_pk_add_f16 v51, v0, v30
	v_pk_max_f16 v102, v102, v102
	s_nop 0
	v_pk_min_f16 v51, v102, v51
	v_pk_add_f16 v102, v1, v31
	s_nop 0
	v_pk_min_f16 v51, v51, v102
	s_nop 0
	v_lshrrev_b32_e32 v102, 16, v51
	v_min3_f16 v102, v50, v51, v102
	v_lshl_add_u64 v[50:51], v[44:45], 1, v[28:29]
	global_store_short v[50:51], v102, off
	s_or_b64 exec, exec, s[26:27]
	s_and_b64 s[26:27], s[16:17], s[18:19]
	s_and_saveexec_b64 s[18:19], s[26:27]
	s_cbranch_execz .LBB230_132
.LBB230_128:
	s_and_b64 vcc, exec, s[0:1]
	s_cbranch_vccnz .LBB230_130
; %bb.129:
	v_lshl_add_u64 v[48:49], v[46:47], 1, v[48:49]
	flat_load_ushort v48, v[48:49]
	s_waitcnt vmcnt(0) lgkmcnt(0)
	v_mul_f16_e32 v48, s30, v48
	s_branch .LBB230_131
.LBB230_130:
	v_mov_b32_e32 v48, 0
.LBB230_131:
	v_pk_add_f16 v30, v2, v30
	v_pk_max_f16 v49, v101, v101
	v_pk_add_f16 v31, v3, v31
	v_pk_min_f16 v30, v49, v30
	v_lshl_add_u64 v[28:29], v[46:47], 1, v[28:29]
	v_pk_min_f16 v30, v30, v31
	s_nop 0
	v_lshrrev_b32_e32 v31, 16, v30
	v_min3_f16 v30, v48, v30, v31
	global_store_short v[28:29], v30, off
.LBB230_132:
	s_or_b64 exec, exec, s[18:19]
	v_add_u32_e32 v48, 64, v99
	v_mad_i64_i32 v[28:29], s[26:27], v48, s29, 0
	v_cmp_gt_i32_e64 s[18:19], s21, v48
	v_lshl_add_u64 v[30:31], v[28:29], 1, s[24:25]
	v_mad_i64_i32 v[28:29], s[26:27], v48, s28, 0
	v_lshl_add_u64 v[28:29], v[28:29], 1, s[22:23]
	s_and_b64 s[34:35], s[2:3], s[18:19]
	s_and_saveexec_b64 s[26:27], s[34:35]
	s_cbranch_execnz .LBB230_140
; %bb.133:
	s_or_b64 exec, exec, s[26:27]
	s_and_b64 s[34:35], s[4:5], s[18:19]
	s_and_saveexec_b64 s[26:27], s[34:35]
	s_cbranch_execnz .LBB230_144
.LBB230_134:
	s_or_b64 exec, exec, s[26:27]
	s_and_b64 s[34:35], s[6:7], s[18:19]
	s_and_saveexec_b64 s[26:27], s[34:35]
	s_cbranch_execnz .LBB230_148
.LBB230_135:
	s_or_b64 exec, exec, s[26:27]
	s_and_b64 s[34:35], s[8:9], s[18:19]
	s_and_saveexec_b64 s[26:27], s[34:35]
	s_cbranch_execnz .LBB230_152
.LBB230_136:
	s_or_b64 exec, exec, s[26:27]
	s_and_b64 s[34:35], s[10:11], s[18:19]
	s_and_saveexec_b64 s[26:27], s[34:35]
	s_cbranch_execnz .LBB230_156
.LBB230_137:
	s_or_b64 exec, exec, s[26:27]
	s_and_b64 s[34:35], s[12:13], s[18:19]
	s_and_saveexec_b64 s[26:27], s[34:35]
	s_cbranch_execnz .LBB230_160
.LBB230_138:
	s_or_b64 exec, exec, s[26:27]
	s_and_b64 s[34:35], s[14:15], s[18:19]
	s_and_saveexec_b64 s[26:27], s[34:35]
	s_cbranch_execnz .LBB230_164
.LBB230_139:
	s_or_b64 exec, exec, s[26:27]
	s_and_b64 s[26:27], s[16:17], s[18:19]
	s_and_saveexec_b64 s[18:19], s[26:27]
	s_cbranch_execnz .LBB230_168
	s_branch .LBB230_172
.LBB230_140:
	s_and_b64 vcc, exec, s[0:1]
	s_cbranch_vccnz .LBB230_142
; %bb.141:
	v_lshl_add_u64 v[48:49], v[32:33], 1, v[30:31]
	flat_load_ushort v48, v[48:49]
	s_waitcnt vmcnt(0) lgkmcnt(0)
	v_mul_f16_e32 v48, s30, v48
	s_branch .LBB230_143
.LBB230_142:
	v_mov_b32_e32 v48, 0
.LBB230_143:
	v_pk_add_f16 v49, v16, v24
	v_pk_max_f16 v50, v100, v100
	s_nop 0
	v_pk_min_f16 v49, v50, v49
	v_pk_add_f16 v50, v17, v25
	s_nop 0
	v_pk_min_f16 v49, v49, v50
	s_nop 0
	v_lshrrev_b32_e32 v50, 16, v49
	v_min3_f16 v50, v48, v49, v50
	v_lshl_add_u64 v[48:49], v[32:33], 1, v[28:29]
	global_store_short v[48:49], v50, off
	s_or_b64 exec, exec, s[26:27]
	s_and_b64 s[34:35], s[4:5], s[18:19]
	s_and_saveexec_b64 s[26:27], s[34:35]
	s_cbranch_execz .LBB230_134
.LBB230_144:
	s_and_b64 vcc, exec, s[0:1]
	s_cbranch_vccnz .LBB230_146
; %bb.145:
	v_lshl_add_u64 v[48:49], v[34:35], 1, v[30:31]
	flat_load_ushort v48, v[48:49]
	s_waitcnt vmcnt(0) lgkmcnt(0)
	v_mul_f16_e32 v48, s30, v48
	s_branch .LBB230_147
.LBB230_146:
	v_mov_b32_e32 v48, 0
.LBB230_147:
	v_pk_add_f16 v49, v18, v24
	v_pk_max_f16 v50, v98, v98
	s_nop 0
	v_pk_min_f16 v49, v50, v49
	v_pk_add_f16 v50, v19, v25
	s_nop 0
	v_pk_min_f16 v49, v49, v50
	s_nop 0
	v_lshrrev_b32_e32 v50, 16, v49
	v_min3_f16 v50, v48, v49, v50
	v_lshl_add_u64 v[48:49], v[34:35], 1, v[28:29]
	global_store_short v[48:49], v50, off
	s_or_b64 exec, exec, s[26:27]
	s_and_b64 s[34:35], s[6:7], s[18:19]
	s_and_saveexec_b64 s[26:27], s[34:35]
	s_cbranch_execz .LBB230_135
.LBB230_148:
	s_and_b64 vcc, exec, s[0:1]
	s_cbranch_vccnz .LBB230_150
; %bb.149:
	v_lshl_add_u64 v[48:49], v[36:37], 1, v[30:31]
	flat_load_ushort v48, v[48:49]
	s_waitcnt vmcnt(0) lgkmcnt(0)
	v_mul_f16_e32 v48, s30, v48
	s_branch .LBB230_151
.LBB230_150:
	v_mov_b32_e32 v48, 0
.LBB230_151:
	v_pk_add_f16 v49, v12, v24
	v_pk_max_f16 v50, v97, v97
	s_nop 0
	v_pk_min_f16 v49, v50, v49
	v_pk_add_f16 v50, v13, v25
	s_nop 0
	v_pk_min_f16 v49, v49, v50
	s_nop 0
	v_lshrrev_b32_e32 v50, 16, v49
	v_min3_f16 v50, v48, v49, v50
	v_lshl_add_u64 v[48:49], v[36:37], 1, v[28:29]
	global_store_short v[48:49], v50, off
	s_or_b64 exec, exec, s[26:27]
	s_and_b64 s[34:35], s[8:9], s[18:19]
	s_and_saveexec_b64 s[26:27], s[34:35]
	s_cbranch_execz .LBB230_136
.LBB230_152:
	s_and_b64 vcc, exec, s[0:1]
	s_cbranch_vccnz .LBB230_154
; %bb.153:
	v_lshl_add_u64 v[48:49], v[38:39], 1, v[30:31]
	flat_load_ushort v48, v[48:49]
	s_waitcnt vmcnt(0) lgkmcnt(0)
	v_mul_f16_e32 v48, s30, v48
	s_branch .LBB230_155
.LBB230_154:
	v_mov_b32_e32 v48, 0
.LBB230_155:
	v_pk_add_f16 v49, v14, v24
	v_pk_max_f16 v50, v96, v96
	s_nop 0
	v_pk_min_f16 v49, v50, v49
	v_pk_add_f16 v50, v15, v25
	s_nop 0
	v_pk_min_f16 v49, v49, v50
	s_nop 0
	v_lshrrev_b32_e32 v50, 16, v49
	v_min3_f16 v50, v48, v49, v50
	v_lshl_add_u64 v[48:49], v[38:39], 1, v[28:29]
	global_store_short v[48:49], v50, off
	s_or_b64 exec, exec, s[26:27]
	s_and_b64 s[34:35], s[10:11], s[18:19]
	s_and_saveexec_b64 s[26:27], s[34:35]
	s_cbranch_execz .LBB230_137
.LBB230_156:
	s_and_b64 vcc, exec, s[0:1]
	s_cbranch_vccnz .LBB230_158
; %bb.157:
	v_lshl_add_u64 v[48:49], v[40:41], 1, v[30:31]
	flat_load_ushort v48, v[48:49]
	s_waitcnt vmcnt(0) lgkmcnt(0)
	v_mul_f16_e32 v48, s30, v48
	s_branch .LBB230_159
.LBB230_158:
	v_mov_b32_e32 v48, 0
.LBB230_159:
	v_pk_add_f16 v49, v8, v24
	v_pk_max_f16 v50, v95, v95
	s_nop 0
	v_pk_min_f16 v49, v50, v49
	v_pk_add_f16 v50, v9, v25
	s_nop 0
	v_pk_min_f16 v49, v49, v50
	s_nop 0
	v_lshrrev_b32_e32 v50, 16, v49
	v_min3_f16 v50, v48, v49, v50
	v_lshl_add_u64 v[48:49], v[40:41], 1, v[28:29]
	global_store_short v[48:49], v50, off
	s_or_b64 exec, exec, s[26:27]
	s_and_b64 s[34:35], s[12:13], s[18:19]
	s_and_saveexec_b64 s[26:27], s[34:35]
	s_cbranch_execz .LBB230_138
.LBB230_160:
	s_and_b64 vcc, exec, s[0:1]
	s_cbranch_vccnz .LBB230_162
; %bb.161:
	v_lshl_add_u64 v[48:49], v[42:43], 1, v[30:31]
	flat_load_ushort v48, v[48:49]
	s_waitcnt vmcnt(0) lgkmcnt(0)
	v_mul_f16_e32 v48, s30, v48
	s_branch .LBB230_163
.LBB230_162:
	v_mov_b32_e32 v48, 0
.LBB230_163:
	v_pk_add_f16 v49, v10, v24
	v_pk_max_f16 v50, v94, v94
	s_nop 0
	v_pk_min_f16 v49, v50, v49
	v_pk_add_f16 v50, v11, v25
	s_nop 0
	v_pk_min_f16 v49, v49, v50
	s_nop 0
	v_lshrrev_b32_e32 v50, 16, v49
	v_min3_f16 v50, v48, v49, v50
	v_lshl_add_u64 v[48:49], v[42:43], 1, v[28:29]
	global_store_short v[48:49], v50, off
	s_or_b64 exec, exec, s[26:27]
	s_and_b64 s[34:35], s[14:15], s[18:19]
	s_and_saveexec_b64 s[26:27], s[34:35]
	s_cbranch_execz .LBB230_139
.LBB230_164:
	s_and_b64 vcc, exec, s[0:1]
	s_cbranch_vccnz .LBB230_166
; %bb.165:
	v_lshl_add_u64 v[48:49], v[44:45], 1, v[30:31]
	flat_load_ushort v48, v[48:49]
	s_waitcnt vmcnt(0) lgkmcnt(0)
	v_mul_f16_e32 v48, s30, v48
	s_branch .LBB230_167
.LBB230_166:
	v_mov_b32_e32 v48, 0
.LBB230_167:
	v_pk_add_f16 v49, v0, v24
	v_pk_max_f16 v50, v93, v93
	s_nop 0
	v_pk_min_f16 v49, v50, v49
	v_pk_add_f16 v50, v1, v25
	s_nop 0
	v_pk_min_f16 v49, v49, v50
	s_nop 0
	v_lshrrev_b32_e32 v50, 16, v49
	v_min3_f16 v50, v48, v49, v50
	v_lshl_add_u64 v[48:49], v[44:45], 1, v[28:29]
	global_store_short v[48:49], v50, off
	s_or_b64 exec, exec, s[26:27]
	s_and_b64 s[26:27], s[16:17], s[18:19]
	s_and_saveexec_b64 s[18:19], s[26:27]
	s_cbranch_execz .LBB230_172
.LBB230_168:
	s_and_b64 vcc, exec, s[0:1]
	s_cbranch_vccnz .LBB230_170
; %bb.169:
	v_lshl_add_u64 v[30:31], v[46:47], 1, v[30:31]
	flat_load_ushort v30, v[30:31]
	s_waitcnt vmcnt(0) lgkmcnt(0)
	v_mul_f16_e32 v30, s30, v30
	s_branch .LBB230_171
.LBB230_170:
	v_mov_b32_e32 v30, 0
.LBB230_171:
	v_pk_add_f16 v24, v2, v24
	v_pk_max_f16 v31, v92, v92
	v_pk_add_f16 v25, v3, v25
	v_pk_min_f16 v24, v31, v24
	s_nop 0
	v_pk_min_f16 v24, v24, v25
	s_nop 0
	v_lshrrev_b32_e32 v25, 16, v24
	v_min3_f16 v30, v30, v24, v25
	v_lshl_add_u64 v[24:25], v[46:47], 1, v[28:29]
	global_store_short v[24:25], v30, off
.LBB230_172:
	s_or_b64 exec, exec, s[18:19]
	v_add_u32_e32 v30, 0x60, v99
	v_mad_i64_i32 v[24:25], s[26:27], v30, s29, 0
	v_cmp_gt_i32_e64 s[18:19], s21, v30
	v_lshl_add_u64 v[28:29], v[24:25], 1, s[24:25]
	v_mad_i64_i32 v[24:25], s[26:27], v30, s28, 0
	v_lshl_add_u64 v[24:25], v[24:25], 1, s[22:23]
	s_and_b64 s[34:35], s[2:3], s[18:19]
	s_and_saveexec_b64 s[26:27], s[34:35]
	s_cbranch_execnz .LBB230_180
; %bb.173:
	s_or_b64 exec, exec, s[26:27]
	s_and_b64 s[34:35], s[4:5], s[18:19]
	s_and_saveexec_b64 s[26:27], s[34:35]
	s_cbranch_execnz .LBB230_184
.LBB230_174:
	s_or_b64 exec, exec, s[26:27]
	s_and_b64 s[34:35], s[6:7], s[18:19]
	s_and_saveexec_b64 s[26:27], s[34:35]
	s_cbranch_execnz .LBB230_188
.LBB230_175:
	s_or_b64 exec, exec, s[26:27]
	s_and_b64 s[34:35], s[8:9], s[18:19]
	s_and_saveexec_b64 s[26:27], s[34:35]
	s_cbranch_execnz .LBB230_192
.LBB230_176:
	s_or_b64 exec, exec, s[26:27]
	s_and_b64 s[34:35], s[10:11], s[18:19]
	s_and_saveexec_b64 s[26:27], s[34:35]
	s_cbranch_execnz .LBB230_196
.LBB230_177:
	s_or_b64 exec, exec, s[26:27]
	s_and_b64 s[34:35], s[12:13], s[18:19]
	s_and_saveexec_b64 s[26:27], s[34:35]
	s_cbranch_execnz .LBB230_200
.LBB230_178:
	s_or_b64 exec, exec, s[26:27]
	s_and_b64 s[34:35], s[14:15], s[18:19]
	s_and_saveexec_b64 s[26:27], s[34:35]
	s_cbranch_execnz .LBB230_204
.LBB230_179:
	s_or_b64 exec, exec, s[26:27]
	s_and_b64 s[26:27], s[16:17], s[18:19]
	s_and_saveexec_b64 s[18:19], s[26:27]
	s_cbranch_execnz .LBB230_208
	s_branch .LBB230_212
.LBB230_180:
	s_and_b64 vcc, exec, s[0:1]
	s_cbranch_vccnz .LBB230_182
; %bb.181:
	v_lshl_add_u64 v[30:31], v[32:33], 1, v[28:29]
	flat_load_ushort v30, v[30:31]
	s_waitcnt vmcnt(0) lgkmcnt(0)
	v_mul_f16_e32 v30, s30, v30
	s_branch .LBB230_183
.LBB230_182:
	v_mov_b32_e32 v30, 0
.LBB230_183:
	v_pk_add_f16 v31, v16, v26
	v_pk_max_f16 v48, v91, v91
	s_nop 0
	v_pk_min_f16 v31, v48, v31
	v_pk_add_f16 v48, v17, v27
	s_nop 0
	v_pk_min_f16 v31, v31, v48
	s_nop 0
	v_lshrrev_b32_e32 v48, 16, v31
	v_min3_f16 v48, v30, v31, v48
	v_lshl_add_u64 v[30:31], v[32:33], 1, v[24:25]
	global_store_short v[30:31], v48, off
	s_or_b64 exec, exec, s[26:27]
	s_and_b64 s[34:35], s[4:5], s[18:19]
	s_and_saveexec_b64 s[26:27], s[34:35]
	s_cbranch_execz .LBB230_174
.LBB230_184:
	s_and_b64 vcc, exec, s[0:1]
	s_cbranch_vccnz .LBB230_186
; %bb.185:
	v_lshl_add_u64 v[30:31], v[34:35], 1, v[28:29]
	flat_load_ushort v30, v[30:31]
	s_waitcnt vmcnt(0) lgkmcnt(0)
	v_mul_f16_e32 v30, s30, v30
	s_branch .LBB230_187
.LBB230_186:
	v_mov_b32_e32 v30, 0
.LBB230_187:
	v_pk_add_f16 v31, v18, v26
	v_pk_max_f16 v48, v90, v90
	s_nop 0
	v_pk_min_f16 v31, v48, v31
	v_pk_add_f16 v48, v19, v27
	s_nop 0
	v_pk_min_f16 v31, v31, v48
	s_nop 0
	v_lshrrev_b32_e32 v48, 16, v31
	v_min3_f16 v48, v30, v31, v48
	v_lshl_add_u64 v[30:31], v[34:35], 1, v[24:25]
	global_store_short v[30:31], v48, off
	s_or_b64 exec, exec, s[26:27]
	s_and_b64 s[34:35], s[6:7], s[18:19]
	s_and_saveexec_b64 s[26:27], s[34:35]
	s_cbranch_execz .LBB230_175
.LBB230_188:
	s_and_b64 vcc, exec, s[0:1]
	s_cbranch_vccnz .LBB230_190
; %bb.189:
	v_lshl_add_u64 v[30:31], v[36:37], 1, v[28:29]
	flat_load_ushort v30, v[30:31]
	s_waitcnt vmcnt(0) lgkmcnt(0)
	v_mul_f16_e32 v30, s30, v30
	s_branch .LBB230_191
.LBB230_190:
	v_mov_b32_e32 v30, 0
.LBB230_191:
	v_pk_add_f16 v31, v12, v26
	v_pk_max_f16 v48, v89, v89
	s_nop 0
	v_pk_min_f16 v31, v48, v31
	v_pk_add_f16 v48, v13, v27
	s_nop 0
	v_pk_min_f16 v31, v31, v48
	s_nop 0
	v_lshrrev_b32_e32 v48, 16, v31
	v_min3_f16 v48, v30, v31, v48
	v_lshl_add_u64 v[30:31], v[36:37], 1, v[24:25]
	global_store_short v[30:31], v48, off
	s_or_b64 exec, exec, s[26:27]
	s_and_b64 s[34:35], s[8:9], s[18:19]
	s_and_saveexec_b64 s[26:27], s[34:35]
	s_cbranch_execz .LBB230_176
.LBB230_192:
	s_and_b64 vcc, exec, s[0:1]
	s_cbranch_vccnz .LBB230_194
; %bb.193:
	v_lshl_add_u64 v[30:31], v[38:39], 1, v[28:29]
	flat_load_ushort v30, v[30:31]
	s_waitcnt vmcnt(0) lgkmcnt(0)
	v_mul_f16_e32 v30, s30, v30
	s_branch .LBB230_195
.LBB230_194:
	v_mov_b32_e32 v30, 0
.LBB230_195:
	v_pk_add_f16 v31, v14, v26
	v_pk_max_f16 v48, v88, v88
	s_nop 0
	v_pk_min_f16 v31, v48, v31
	v_pk_add_f16 v48, v15, v27
	s_nop 0
	v_pk_min_f16 v31, v31, v48
	s_nop 0
	v_lshrrev_b32_e32 v48, 16, v31
	v_min3_f16 v48, v30, v31, v48
	v_lshl_add_u64 v[30:31], v[38:39], 1, v[24:25]
	global_store_short v[30:31], v48, off
	s_or_b64 exec, exec, s[26:27]
	s_and_b64 s[34:35], s[10:11], s[18:19]
	s_and_saveexec_b64 s[26:27], s[34:35]
	s_cbranch_execz .LBB230_177
.LBB230_196:
	s_and_b64 vcc, exec, s[0:1]
	s_cbranch_vccnz .LBB230_198
; %bb.197:
	v_lshl_add_u64 v[30:31], v[40:41], 1, v[28:29]
	flat_load_ushort v30, v[30:31]
	s_waitcnt vmcnt(0) lgkmcnt(0)
	v_mul_f16_e32 v30, s30, v30
	s_branch .LBB230_199
.LBB230_198:
	v_mov_b32_e32 v30, 0
.LBB230_199:
	v_pk_add_f16 v31, v8, v26
	v_pk_max_f16 v48, v87, v87
	s_nop 0
	v_pk_min_f16 v31, v48, v31
	v_pk_add_f16 v48, v9, v27
	s_nop 0
	v_pk_min_f16 v31, v31, v48
	s_nop 0
	v_lshrrev_b32_e32 v48, 16, v31
	v_min3_f16 v48, v30, v31, v48
	v_lshl_add_u64 v[30:31], v[40:41], 1, v[24:25]
	global_store_short v[30:31], v48, off
	s_or_b64 exec, exec, s[26:27]
	s_and_b64 s[34:35], s[12:13], s[18:19]
	s_and_saveexec_b64 s[26:27], s[34:35]
	s_cbranch_execz .LBB230_178
.LBB230_200:
	s_and_b64 vcc, exec, s[0:1]
	s_cbranch_vccnz .LBB230_202
; %bb.201:
	v_lshl_add_u64 v[30:31], v[42:43], 1, v[28:29]
	flat_load_ushort v30, v[30:31]
	s_waitcnt vmcnt(0) lgkmcnt(0)
	v_mul_f16_e32 v30, s30, v30
	s_branch .LBB230_203
.LBB230_202:
	v_mov_b32_e32 v30, 0
.LBB230_203:
	v_pk_add_f16 v31, v10, v26
	v_pk_max_f16 v48, v86, v86
	s_nop 0
	v_pk_min_f16 v31, v48, v31
	v_pk_add_f16 v48, v11, v27
	s_nop 0
	v_pk_min_f16 v31, v31, v48
	s_nop 0
	v_lshrrev_b32_e32 v48, 16, v31
	v_min3_f16 v48, v30, v31, v48
	v_lshl_add_u64 v[30:31], v[42:43], 1, v[24:25]
	global_store_short v[30:31], v48, off
	s_or_b64 exec, exec, s[26:27]
	s_and_b64 s[34:35], s[14:15], s[18:19]
	s_and_saveexec_b64 s[26:27], s[34:35]
	s_cbranch_execz .LBB230_179
.LBB230_204:
	s_and_b64 vcc, exec, s[0:1]
	s_cbranch_vccnz .LBB230_206
; %bb.205:
	v_lshl_add_u64 v[30:31], v[44:45], 1, v[28:29]
	flat_load_ushort v30, v[30:31]
	s_waitcnt vmcnt(0) lgkmcnt(0)
	v_mul_f16_e32 v30, s30, v30
	s_branch .LBB230_207
.LBB230_206:
	v_mov_b32_e32 v30, 0
.LBB230_207:
	v_pk_add_f16 v31, v0, v26
	v_pk_max_f16 v48, v85, v85
	s_nop 0
	v_pk_min_f16 v31, v48, v31
	v_pk_add_f16 v48, v1, v27
	s_nop 0
	v_pk_min_f16 v31, v31, v48
	s_nop 0
	v_lshrrev_b32_e32 v48, 16, v31
	v_min3_f16 v48, v30, v31, v48
	v_lshl_add_u64 v[30:31], v[44:45], 1, v[24:25]
	global_store_short v[30:31], v48, off
	s_or_b64 exec, exec, s[26:27]
	s_and_b64 s[26:27], s[16:17], s[18:19]
	s_and_saveexec_b64 s[18:19], s[26:27]
	s_cbranch_execz .LBB230_212
.LBB230_208:
	s_and_b64 vcc, exec, s[0:1]
	s_cbranch_vccnz .LBB230_210
; %bb.209:
	v_lshl_add_u64 v[28:29], v[46:47], 1, v[28:29]
	flat_load_ushort v28, v[28:29]
	s_waitcnt vmcnt(0) lgkmcnt(0)
	v_mul_f16_e32 v28, s30, v28
	s_branch .LBB230_211
.LBB230_210:
	v_mov_b32_e32 v28, 0
.LBB230_211:
	v_pk_add_f16 v26, v2, v26
	v_pk_max_f16 v29, v84, v84
	v_pk_add_f16 v27, v3, v27
	v_pk_min_f16 v26, v29, v26
	v_lshl_add_u64 v[24:25], v[46:47], 1, v[24:25]
	v_pk_min_f16 v26, v26, v27
	s_nop 0
	v_lshrrev_b32_e32 v27, 16, v26
	v_min3_f16 v26, v28, v26, v27
	global_store_short v[24:25], v26, off
.LBB230_212:
	s_or_b64 exec, exec, s[18:19]
	v_add_u32_e32 v28, 0x80, v99
	v_mad_i64_i32 v[24:25], s[26:27], v28, s29, 0
	v_cmp_gt_i32_e64 s[18:19], s21, v28
	v_lshl_add_u64 v[26:27], v[24:25], 1, s[24:25]
	v_mad_i64_i32 v[24:25], s[26:27], v28, s28, 0
	v_lshl_add_u64 v[24:25], v[24:25], 1, s[22:23]
	s_and_b64 s[34:35], s[2:3], s[18:19]
	s_and_saveexec_b64 s[26:27], s[34:35]
	s_cbranch_execnz .LBB230_220
; %bb.213:
	s_or_b64 exec, exec, s[26:27]
	s_and_b64 s[34:35], s[4:5], s[18:19]
	s_and_saveexec_b64 s[26:27], s[34:35]
	s_cbranch_execnz .LBB230_224
.LBB230_214:
	s_or_b64 exec, exec, s[26:27]
	s_and_b64 s[34:35], s[6:7], s[18:19]
	s_and_saveexec_b64 s[26:27], s[34:35]
	s_cbranch_execnz .LBB230_228
.LBB230_215:
	s_or_b64 exec, exec, s[26:27]
	s_and_b64 s[34:35], s[8:9], s[18:19]
	s_and_saveexec_b64 s[26:27], s[34:35]
	s_cbranch_execnz .LBB230_232
.LBB230_216:
	s_or_b64 exec, exec, s[26:27]
	s_and_b64 s[34:35], s[10:11], s[18:19]
	s_and_saveexec_b64 s[26:27], s[34:35]
	s_cbranch_execnz .LBB230_236
.LBB230_217:
	s_or_b64 exec, exec, s[26:27]
	s_and_b64 s[34:35], s[12:13], s[18:19]
	s_and_saveexec_b64 s[26:27], s[34:35]
	s_cbranch_execnz .LBB230_240
.LBB230_218:
	s_or_b64 exec, exec, s[26:27]
	s_and_b64 s[34:35], s[14:15], s[18:19]
	s_and_saveexec_b64 s[26:27], s[34:35]
	s_cbranch_execnz .LBB230_244
.LBB230_219:
	s_or_b64 exec, exec, s[26:27]
	s_and_b64 s[26:27], s[16:17], s[18:19]
	s_and_saveexec_b64 s[18:19], s[26:27]
	s_cbranch_execnz .LBB230_248
	s_branch .LBB230_252
.LBB230_220:
	s_and_b64 vcc, exec, s[0:1]
	s_cbranch_vccnz .LBB230_222
; %bb.221:
	v_lshl_add_u64 v[28:29], v[32:33], 1, v[26:27]
	flat_load_ushort v28, v[28:29]
	s_waitcnt vmcnt(0) lgkmcnt(0)
	v_mul_f16_e32 v28, s30, v28
	s_branch .LBB230_223
.LBB230_222:
	v_mov_b32_e32 v28, 0
.LBB230_223:
	v_pk_add_f16 v29, v16, v20
	v_pk_max_f16 v30, v83, v83
	s_nop 0
	v_pk_min_f16 v29, v30, v29
	v_pk_add_f16 v30, v17, v21
	s_nop 0
	v_pk_min_f16 v29, v29, v30
	s_nop 0
	v_lshrrev_b32_e32 v30, 16, v29
	v_min3_f16 v30, v28, v29, v30
	v_lshl_add_u64 v[28:29], v[32:33], 1, v[24:25]
	global_store_short v[28:29], v30, off
	s_or_b64 exec, exec, s[26:27]
	s_and_b64 s[34:35], s[4:5], s[18:19]
	s_and_saveexec_b64 s[26:27], s[34:35]
	s_cbranch_execz .LBB230_214
.LBB230_224:
	s_and_b64 vcc, exec, s[0:1]
	s_cbranch_vccnz .LBB230_226
; %bb.225:
	v_lshl_add_u64 v[28:29], v[34:35], 1, v[26:27]
	flat_load_ushort v28, v[28:29]
	s_waitcnt vmcnt(0) lgkmcnt(0)
	v_mul_f16_e32 v28, s30, v28
	s_branch .LBB230_227
.LBB230_226:
	v_mov_b32_e32 v28, 0
.LBB230_227:
	v_pk_add_f16 v29, v18, v20
	v_pk_max_f16 v30, v82, v82
	s_nop 0
	v_pk_min_f16 v29, v30, v29
	v_pk_add_f16 v30, v19, v21
	s_nop 0
	v_pk_min_f16 v29, v29, v30
	s_nop 0
	v_lshrrev_b32_e32 v30, 16, v29
	v_min3_f16 v30, v28, v29, v30
	v_lshl_add_u64 v[28:29], v[34:35], 1, v[24:25]
	global_store_short v[28:29], v30, off
	s_or_b64 exec, exec, s[26:27]
	s_and_b64 s[34:35], s[6:7], s[18:19]
	s_and_saveexec_b64 s[26:27], s[34:35]
	s_cbranch_execz .LBB230_215
.LBB230_228:
	s_and_b64 vcc, exec, s[0:1]
	s_cbranch_vccnz .LBB230_230
; %bb.229:
	v_lshl_add_u64 v[28:29], v[36:37], 1, v[26:27]
	flat_load_ushort v28, v[28:29]
	s_waitcnt vmcnt(0) lgkmcnt(0)
	v_mul_f16_e32 v28, s30, v28
	s_branch .LBB230_231
.LBB230_230:
	v_mov_b32_e32 v28, 0
.LBB230_231:
	v_pk_add_f16 v29, v12, v20
	v_pk_max_f16 v30, v81, v81
	s_nop 0
	v_pk_min_f16 v29, v30, v29
	v_pk_add_f16 v30, v13, v21
	s_nop 0
	v_pk_min_f16 v29, v29, v30
	s_nop 0
	v_lshrrev_b32_e32 v30, 16, v29
	v_min3_f16 v30, v28, v29, v30
	v_lshl_add_u64 v[28:29], v[36:37], 1, v[24:25]
	global_store_short v[28:29], v30, off
	s_or_b64 exec, exec, s[26:27]
	s_and_b64 s[34:35], s[8:9], s[18:19]
	s_and_saveexec_b64 s[26:27], s[34:35]
	s_cbranch_execz .LBB230_216
.LBB230_232:
	s_and_b64 vcc, exec, s[0:1]
	s_cbranch_vccnz .LBB230_234
; %bb.233:
	v_lshl_add_u64 v[28:29], v[38:39], 1, v[26:27]
	flat_load_ushort v28, v[28:29]
	s_waitcnt vmcnt(0) lgkmcnt(0)
	v_mul_f16_e32 v28, s30, v28
	s_branch .LBB230_235
.LBB230_234:
	v_mov_b32_e32 v28, 0
.LBB230_235:
	v_pk_add_f16 v29, v14, v20
	v_pk_max_f16 v30, v80, v80
	s_nop 0
	v_pk_min_f16 v29, v30, v29
	v_pk_add_f16 v30, v15, v21
	s_nop 0
	v_pk_min_f16 v29, v29, v30
	s_nop 0
	v_lshrrev_b32_e32 v30, 16, v29
	v_min3_f16 v30, v28, v29, v30
	v_lshl_add_u64 v[28:29], v[38:39], 1, v[24:25]
	global_store_short v[28:29], v30, off
	s_or_b64 exec, exec, s[26:27]
	s_and_b64 s[34:35], s[10:11], s[18:19]
	s_and_saveexec_b64 s[26:27], s[34:35]
	s_cbranch_execz .LBB230_217
.LBB230_236:
	s_and_b64 vcc, exec, s[0:1]
	s_cbranch_vccnz .LBB230_238
; %bb.237:
	v_lshl_add_u64 v[28:29], v[40:41], 1, v[26:27]
	flat_load_ushort v28, v[28:29]
	s_waitcnt vmcnt(0) lgkmcnt(0)
	v_mul_f16_e32 v28, s30, v28
	s_branch .LBB230_239
.LBB230_238:
	v_mov_b32_e32 v28, 0
.LBB230_239:
	v_pk_add_f16 v29, v8, v20
	v_pk_max_f16 v30, v79, v79
	s_nop 0
	v_pk_min_f16 v29, v30, v29
	v_pk_add_f16 v30, v9, v21
	s_nop 0
	v_pk_min_f16 v29, v29, v30
	s_nop 0
	v_lshrrev_b32_e32 v30, 16, v29
	v_min3_f16 v30, v28, v29, v30
	v_lshl_add_u64 v[28:29], v[40:41], 1, v[24:25]
	global_store_short v[28:29], v30, off
	s_or_b64 exec, exec, s[26:27]
	s_and_b64 s[34:35], s[12:13], s[18:19]
	s_and_saveexec_b64 s[26:27], s[34:35]
	s_cbranch_execz .LBB230_218
.LBB230_240:
	s_and_b64 vcc, exec, s[0:1]
	s_cbranch_vccnz .LBB230_242
; %bb.241:
	v_lshl_add_u64 v[28:29], v[42:43], 1, v[26:27]
	flat_load_ushort v28, v[28:29]
	s_waitcnt vmcnt(0) lgkmcnt(0)
	v_mul_f16_e32 v28, s30, v28
	s_branch .LBB230_243
.LBB230_242:
	v_mov_b32_e32 v28, 0
.LBB230_243:
	v_pk_add_f16 v29, v10, v20
	v_pk_max_f16 v30, v78, v78
	s_nop 0
	v_pk_min_f16 v29, v30, v29
	v_pk_add_f16 v30, v11, v21
	s_nop 0
	v_pk_min_f16 v29, v29, v30
	s_nop 0
	v_lshrrev_b32_e32 v30, 16, v29
	v_min3_f16 v30, v28, v29, v30
	v_lshl_add_u64 v[28:29], v[42:43], 1, v[24:25]
	global_store_short v[28:29], v30, off
	s_or_b64 exec, exec, s[26:27]
	s_and_b64 s[34:35], s[14:15], s[18:19]
	s_and_saveexec_b64 s[26:27], s[34:35]
	s_cbranch_execz .LBB230_219
.LBB230_244:
	s_and_b64 vcc, exec, s[0:1]
	s_cbranch_vccnz .LBB230_246
; %bb.245:
	v_lshl_add_u64 v[28:29], v[44:45], 1, v[26:27]
	flat_load_ushort v28, v[28:29]
	s_waitcnt vmcnt(0) lgkmcnt(0)
	v_mul_f16_e32 v28, s30, v28
	s_branch .LBB230_247
.LBB230_246:
	v_mov_b32_e32 v28, 0
.LBB230_247:
	v_pk_add_f16 v29, v0, v20
	v_pk_max_f16 v30, v77, v77
	s_nop 0
	v_pk_min_f16 v29, v30, v29
	v_pk_add_f16 v30, v1, v21
	s_nop 0
	v_pk_min_f16 v29, v29, v30
	s_nop 0
	v_lshrrev_b32_e32 v30, 16, v29
	v_min3_f16 v30, v28, v29, v30
	v_lshl_add_u64 v[28:29], v[44:45], 1, v[24:25]
	global_store_short v[28:29], v30, off
	s_or_b64 exec, exec, s[26:27]
	s_and_b64 s[26:27], s[16:17], s[18:19]
	s_and_saveexec_b64 s[18:19], s[26:27]
	s_cbranch_execz .LBB230_252
.LBB230_248:
	s_and_b64 vcc, exec, s[0:1]
	s_cbranch_vccnz .LBB230_250
; %bb.249:
	v_lshl_add_u64 v[26:27], v[46:47], 1, v[26:27]
	flat_load_ushort v26, v[26:27]
	s_waitcnt vmcnt(0) lgkmcnt(0)
	v_mul_f16_e32 v26, s30, v26
	s_branch .LBB230_251
.LBB230_250:
	v_mov_b32_e32 v26, 0
.LBB230_251:
	v_pk_add_f16 v20, v2, v20
	v_pk_max_f16 v27, v76, v76
	v_pk_add_f16 v21, v3, v21
	v_pk_min_f16 v20, v27, v20
	s_nop 0
	v_pk_min_f16 v20, v20, v21
	s_nop 0
	v_lshrrev_b32_e32 v21, 16, v20
	v_min3_f16 v26, v26, v20, v21
	v_lshl_add_u64 v[20:21], v[46:47], 1, v[24:25]
	global_store_short v[20:21], v26, off
.LBB230_252:
	s_or_b64 exec, exec, s[18:19]
	v_add_u32_e32 v26, 0xa0, v99
	v_mad_i64_i32 v[20:21], s[26:27], v26, s29, 0
	v_cmp_gt_i32_e64 s[18:19], s21, v26
	v_lshl_add_u64 v[24:25], v[20:21], 1, s[24:25]
	v_mad_i64_i32 v[20:21], s[26:27], v26, s28, 0
	v_lshl_add_u64 v[20:21], v[20:21], 1, s[22:23]
	s_and_b64 s[34:35], s[2:3], s[18:19]
	s_and_saveexec_b64 s[26:27], s[34:35]
	s_cbranch_execnz .LBB230_260
; %bb.253:
	s_or_b64 exec, exec, s[26:27]
	s_and_b64 s[34:35], s[4:5], s[18:19]
	s_and_saveexec_b64 s[26:27], s[34:35]
	s_cbranch_execnz .LBB230_264
.LBB230_254:
	s_or_b64 exec, exec, s[26:27]
	s_and_b64 s[34:35], s[6:7], s[18:19]
	s_and_saveexec_b64 s[26:27], s[34:35]
	s_cbranch_execnz .LBB230_268
.LBB230_255:
	s_or_b64 exec, exec, s[26:27]
	s_and_b64 s[34:35], s[8:9], s[18:19]
	s_and_saveexec_b64 s[26:27], s[34:35]
	s_cbranch_execnz .LBB230_272
.LBB230_256:
	s_or_b64 exec, exec, s[26:27]
	s_and_b64 s[34:35], s[10:11], s[18:19]
	s_and_saveexec_b64 s[26:27], s[34:35]
	s_cbranch_execnz .LBB230_276
.LBB230_257:
	s_or_b64 exec, exec, s[26:27]
	s_and_b64 s[34:35], s[12:13], s[18:19]
	s_and_saveexec_b64 s[26:27], s[34:35]
	s_cbranch_execnz .LBB230_280
.LBB230_258:
	s_or_b64 exec, exec, s[26:27]
	s_and_b64 s[34:35], s[14:15], s[18:19]
	s_and_saveexec_b64 s[26:27], s[34:35]
	s_cbranch_execnz .LBB230_284
.LBB230_259:
	s_or_b64 exec, exec, s[26:27]
	s_and_b64 s[26:27], s[16:17], s[18:19]
	s_and_saveexec_b64 s[18:19], s[26:27]
	s_cbranch_execnz .LBB230_288
	s_branch .LBB230_292
.LBB230_260:
	s_and_b64 vcc, exec, s[0:1]
	s_cbranch_vccnz .LBB230_262
; %bb.261:
	v_lshl_add_u64 v[26:27], v[32:33], 1, v[24:25]
	flat_load_ushort v26, v[26:27]
	s_waitcnt vmcnt(0) lgkmcnt(0)
	v_mul_f16_e32 v26, s30, v26
	s_branch .LBB230_263
.LBB230_262:
	v_mov_b32_e32 v26, 0
.LBB230_263:
	v_pk_add_f16 v27, v16, v22
	v_pk_max_f16 v28, v75, v75
	s_nop 0
	v_pk_min_f16 v27, v28, v27
	v_pk_add_f16 v28, v17, v23
	s_nop 0
	v_pk_min_f16 v27, v27, v28
	s_nop 0
	v_lshrrev_b32_e32 v28, 16, v27
	v_min3_f16 v28, v26, v27, v28
	v_lshl_add_u64 v[26:27], v[32:33], 1, v[20:21]
	global_store_short v[26:27], v28, off
	s_or_b64 exec, exec, s[26:27]
	s_and_b64 s[34:35], s[4:5], s[18:19]
	s_and_saveexec_b64 s[26:27], s[34:35]
	s_cbranch_execz .LBB230_254
.LBB230_264:
	s_and_b64 vcc, exec, s[0:1]
	s_cbranch_vccnz .LBB230_266
; %bb.265:
	v_lshl_add_u64 v[26:27], v[34:35], 1, v[24:25]
	flat_load_ushort v26, v[26:27]
	s_waitcnt vmcnt(0) lgkmcnt(0)
	v_mul_f16_e32 v26, s30, v26
	s_branch .LBB230_267
.LBB230_266:
	v_mov_b32_e32 v26, 0
.LBB230_267:
	v_pk_add_f16 v27, v18, v22
	v_pk_max_f16 v28, v74, v74
	s_nop 0
	v_pk_min_f16 v27, v28, v27
	v_pk_add_f16 v28, v19, v23
	s_nop 0
	v_pk_min_f16 v27, v27, v28
	s_nop 0
	v_lshrrev_b32_e32 v28, 16, v27
	v_min3_f16 v28, v26, v27, v28
	v_lshl_add_u64 v[26:27], v[34:35], 1, v[20:21]
	global_store_short v[26:27], v28, off
	s_or_b64 exec, exec, s[26:27]
	s_and_b64 s[34:35], s[6:7], s[18:19]
	s_and_saveexec_b64 s[26:27], s[34:35]
	s_cbranch_execz .LBB230_255
.LBB230_268:
	s_and_b64 vcc, exec, s[0:1]
	s_cbranch_vccnz .LBB230_270
; %bb.269:
	v_lshl_add_u64 v[26:27], v[36:37], 1, v[24:25]
	flat_load_ushort v26, v[26:27]
	s_waitcnt vmcnt(0) lgkmcnt(0)
	v_mul_f16_e32 v26, s30, v26
	s_branch .LBB230_271
.LBB230_270:
	v_mov_b32_e32 v26, 0
.LBB230_271:
	v_pk_add_f16 v27, v12, v22
	v_pk_max_f16 v28, v73, v73
	s_nop 0
	v_pk_min_f16 v27, v28, v27
	v_pk_add_f16 v28, v13, v23
	s_nop 0
	v_pk_min_f16 v27, v27, v28
	s_nop 0
	v_lshrrev_b32_e32 v28, 16, v27
	v_min3_f16 v28, v26, v27, v28
	v_lshl_add_u64 v[26:27], v[36:37], 1, v[20:21]
	global_store_short v[26:27], v28, off
	s_or_b64 exec, exec, s[26:27]
	s_and_b64 s[34:35], s[8:9], s[18:19]
	s_and_saveexec_b64 s[26:27], s[34:35]
	s_cbranch_execz .LBB230_256
.LBB230_272:
	s_and_b64 vcc, exec, s[0:1]
	s_cbranch_vccnz .LBB230_274
; %bb.273:
	v_lshl_add_u64 v[26:27], v[38:39], 1, v[24:25]
	flat_load_ushort v26, v[26:27]
	s_waitcnt vmcnt(0) lgkmcnt(0)
	v_mul_f16_e32 v26, s30, v26
	s_branch .LBB230_275
.LBB230_274:
	v_mov_b32_e32 v26, 0
.LBB230_275:
	v_pk_add_f16 v27, v14, v22
	v_pk_max_f16 v28, v72, v72
	s_nop 0
	v_pk_min_f16 v27, v28, v27
	v_pk_add_f16 v28, v15, v23
	s_nop 0
	v_pk_min_f16 v27, v27, v28
	s_nop 0
	v_lshrrev_b32_e32 v28, 16, v27
	v_min3_f16 v28, v26, v27, v28
	v_lshl_add_u64 v[26:27], v[38:39], 1, v[20:21]
	global_store_short v[26:27], v28, off
	s_or_b64 exec, exec, s[26:27]
	s_and_b64 s[34:35], s[10:11], s[18:19]
	s_and_saveexec_b64 s[26:27], s[34:35]
	s_cbranch_execz .LBB230_257
.LBB230_276:
	s_and_b64 vcc, exec, s[0:1]
	s_cbranch_vccnz .LBB230_278
; %bb.277:
	v_lshl_add_u64 v[26:27], v[40:41], 1, v[24:25]
	flat_load_ushort v26, v[26:27]
	s_waitcnt vmcnt(0) lgkmcnt(0)
	v_mul_f16_e32 v26, s30, v26
	s_branch .LBB230_279
.LBB230_278:
	v_mov_b32_e32 v26, 0
.LBB230_279:
	v_pk_add_f16 v27, v8, v22
	v_pk_max_f16 v28, v71, v71
	s_nop 0
	v_pk_min_f16 v27, v28, v27
	v_pk_add_f16 v28, v9, v23
	s_nop 0
	v_pk_min_f16 v27, v27, v28
	s_nop 0
	v_lshrrev_b32_e32 v28, 16, v27
	v_min3_f16 v28, v26, v27, v28
	v_lshl_add_u64 v[26:27], v[40:41], 1, v[20:21]
	global_store_short v[26:27], v28, off
	s_or_b64 exec, exec, s[26:27]
	s_and_b64 s[34:35], s[12:13], s[18:19]
	s_and_saveexec_b64 s[26:27], s[34:35]
	s_cbranch_execz .LBB230_258
.LBB230_280:
	s_and_b64 vcc, exec, s[0:1]
	s_cbranch_vccnz .LBB230_282
; %bb.281:
	v_lshl_add_u64 v[26:27], v[42:43], 1, v[24:25]
	flat_load_ushort v26, v[26:27]
	s_waitcnt vmcnt(0) lgkmcnt(0)
	v_mul_f16_e32 v26, s30, v26
	s_branch .LBB230_283
.LBB230_282:
	v_mov_b32_e32 v26, 0
.LBB230_283:
	v_pk_add_f16 v27, v10, v22
	v_pk_max_f16 v28, v70, v70
	s_nop 0
	v_pk_min_f16 v27, v28, v27
	v_pk_add_f16 v28, v11, v23
	s_nop 0
	v_pk_min_f16 v27, v27, v28
	s_nop 0
	v_lshrrev_b32_e32 v28, 16, v27
	v_min3_f16 v28, v26, v27, v28
	v_lshl_add_u64 v[26:27], v[42:43], 1, v[20:21]
	global_store_short v[26:27], v28, off
	s_or_b64 exec, exec, s[26:27]
	s_and_b64 s[34:35], s[14:15], s[18:19]
	s_and_saveexec_b64 s[26:27], s[34:35]
	s_cbranch_execz .LBB230_259
.LBB230_284:
	s_and_b64 vcc, exec, s[0:1]
	s_cbranch_vccnz .LBB230_286
; %bb.285:
	v_lshl_add_u64 v[26:27], v[44:45], 1, v[24:25]
	flat_load_ushort v26, v[26:27]
	s_waitcnt vmcnt(0) lgkmcnt(0)
	v_mul_f16_e32 v26, s30, v26
	s_branch .LBB230_287
.LBB230_286:
	v_mov_b32_e32 v26, 0
.LBB230_287:
	v_pk_add_f16 v27, v0, v22
	v_pk_max_f16 v28, v69, v69
	s_nop 0
	v_pk_min_f16 v27, v28, v27
	v_pk_add_f16 v28, v1, v23
	s_nop 0
	v_pk_min_f16 v27, v27, v28
	s_nop 0
	v_lshrrev_b32_e32 v28, 16, v27
	v_min3_f16 v28, v26, v27, v28
	v_lshl_add_u64 v[26:27], v[44:45], 1, v[20:21]
	global_store_short v[26:27], v28, off
	s_or_b64 exec, exec, s[26:27]
	s_and_b64 s[26:27], s[16:17], s[18:19]
	s_and_saveexec_b64 s[18:19], s[26:27]
	s_cbranch_execz .LBB230_292
.LBB230_288:
	s_and_b64 vcc, exec, s[0:1]
	s_cbranch_vccnz .LBB230_290
; %bb.289:
	v_lshl_add_u64 v[24:25], v[46:47], 1, v[24:25]
	flat_load_ushort v24, v[24:25]
	s_waitcnt vmcnt(0) lgkmcnt(0)
	v_mul_f16_e32 v24, s30, v24
	s_branch .LBB230_291
.LBB230_290:
	v_mov_b32_e32 v24, 0
.LBB230_291:
	v_pk_add_f16 v22, v2, v22
	v_pk_max_f16 v25, v68, v68
	v_pk_add_f16 v23, v3, v23
	v_pk_min_f16 v22, v25, v22
	v_lshl_add_u64 v[20:21], v[46:47], 1, v[20:21]
	v_pk_min_f16 v22, v22, v23
	s_nop 0
	v_lshrrev_b32_e32 v23, 16, v22
	v_min3_f16 v22, v24, v22, v23
	global_store_short v[20:21], v22, off
.LBB230_292:
	s_or_b64 exec, exec, s[18:19]
	v_add_u32_e32 v24, 0xc0, v99
	v_mad_i64_i32 v[20:21], s[26:27], v24, s29, 0
	v_cmp_gt_i32_e64 s[18:19], s21, v24
	v_lshl_add_u64 v[22:23], v[20:21], 1, s[24:25]
	v_mad_i64_i32 v[20:21], s[26:27], v24, s28, 0
	v_lshl_add_u64 v[20:21], v[20:21], 1, s[22:23]
	s_and_b64 s[34:35], s[2:3], s[18:19]
	s_and_saveexec_b64 s[26:27], s[34:35]
	s_cbranch_execnz .LBB230_300
; %bb.293:
	s_or_b64 exec, exec, s[26:27]
	s_and_b64 s[34:35], s[4:5], s[18:19]
	s_and_saveexec_b64 s[26:27], s[34:35]
	s_cbranch_execnz .LBB230_304
.LBB230_294:
	s_or_b64 exec, exec, s[26:27]
	s_and_b64 s[34:35], s[6:7], s[18:19]
	s_and_saveexec_b64 s[26:27], s[34:35]
	s_cbranch_execnz .LBB230_308
.LBB230_295:
	s_or_b64 exec, exec, s[26:27]
	s_and_b64 s[34:35], s[8:9], s[18:19]
	s_and_saveexec_b64 s[26:27], s[34:35]
	s_cbranch_execnz .LBB230_312
.LBB230_296:
	s_or_b64 exec, exec, s[26:27]
	s_and_b64 s[34:35], s[10:11], s[18:19]
	s_and_saveexec_b64 s[26:27], s[34:35]
	s_cbranch_execnz .LBB230_316
.LBB230_297:
	s_or_b64 exec, exec, s[26:27]
	s_and_b64 s[34:35], s[12:13], s[18:19]
	s_and_saveexec_b64 s[26:27], s[34:35]
	s_cbranch_execnz .LBB230_320
.LBB230_298:
	s_or_b64 exec, exec, s[26:27]
	s_and_b64 s[34:35], s[14:15], s[18:19]
	s_and_saveexec_b64 s[26:27], s[34:35]
	s_cbranch_execnz .LBB230_324
.LBB230_299:
	s_or_b64 exec, exec, s[26:27]
	s_and_b64 s[26:27], s[16:17], s[18:19]
	s_and_saveexec_b64 s[18:19], s[26:27]
	s_cbranch_execnz .LBB230_328
	s_branch .LBB230_332
.LBB230_300:
	s_and_b64 vcc, exec, s[0:1]
	s_cbranch_vccnz .LBB230_302
; %bb.301:
	v_lshl_add_u64 v[24:25], v[32:33], 1, v[22:23]
	flat_load_ushort v24, v[24:25]
	s_waitcnt vmcnt(0) lgkmcnt(0)
	v_mul_f16_e32 v24, s30, v24
	s_branch .LBB230_303
.LBB230_302:
	v_mov_b32_e32 v24, 0
.LBB230_303:
	v_pk_add_f16 v25, v16, v4
	v_pk_max_f16 v26, v67, v67
	s_nop 0
	v_pk_min_f16 v25, v26, v25
	v_pk_add_f16 v26, v17, v5
	s_nop 0
	v_pk_min_f16 v25, v25, v26
	s_nop 0
	v_lshrrev_b32_e32 v26, 16, v25
	v_min3_f16 v26, v24, v25, v26
	v_lshl_add_u64 v[24:25], v[32:33], 1, v[20:21]
	global_store_short v[24:25], v26, off
	s_or_b64 exec, exec, s[26:27]
	s_and_b64 s[34:35], s[4:5], s[18:19]
	s_and_saveexec_b64 s[26:27], s[34:35]
	s_cbranch_execz .LBB230_294
.LBB230_304:
	s_and_b64 vcc, exec, s[0:1]
	s_cbranch_vccnz .LBB230_306
; %bb.305:
	v_lshl_add_u64 v[24:25], v[34:35], 1, v[22:23]
	flat_load_ushort v24, v[24:25]
	s_waitcnt vmcnt(0) lgkmcnt(0)
	v_mul_f16_e32 v24, s30, v24
	s_branch .LBB230_307
.LBB230_306:
	v_mov_b32_e32 v24, 0
.LBB230_307:
	v_pk_add_f16 v25, v18, v4
	v_pk_max_f16 v26, v66, v66
	s_nop 0
	v_pk_min_f16 v25, v26, v25
	v_pk_add_f16 v26, v19, v5
	s_nop 0
	v_pk_min_f16 v25, v25, v26
	s_nop 0
	v_lshrrev_b32_e32 v26, 16, v25
	v_min3_f16 v26, v24, v25, v26
	v_lshl_add_u64 v[24:25], v[34:35], 1, v[20:21]
	global_store_short v[24:25], v26, off
	s_or_b64 exec, exec, s[26:27]
	s_and_b64 s[34:35], s[6:7], s[18:19]
	s_and_saveexec_b64 s[26:27], s[34:35]
	s_cbranch_execz .LBB230_295
.LBB230_308:
	s_and_b64 vcc, exec, s[0:1]
	s_cbranch_vccnz .LBB230_310
; %bb.309:
	v_lshl_add_u64 v[24:25], v[36:37], 1, v[22:23]
	flat_load_ushort v24, v[24:25]
	s_waitcnt vmcnt(0) lgkmcnt(0)
	v_mul_f16_e32 v24, s30, v24
	s_branch .LBB230_311
.LBB230_310:
	v_mov_b32_e32 v24, 0
.LBB230_311:
	v_pk_add_f16 v25, v12, v4
	v_pk_max_f16 v26, v65, v65
	s_nop 0
	v_pk_min_f16 v25, v26, v25
	v_pk_add_f16 v26, v13, v5
	s_nop 0
	v_pk_min_f16 v25, v25, v26
	s_nop 0
	v_lshrrev_b32_e32 v26, 16, v25
	v_min3_f16 v26, v24, v25, v26
	v_lshl_add_u64 v[24:25], v[36:37], 1, v[20:21]
	global_store_short v[24:25], v26, off
	s_or_b64 exec, exec, s[26:27]
	s_and_b64 s[34:35], s[8:9], s[18:19]
	s_and_saveexec_b64 s[26:27], s[34:35]
	s_cbranch_execz .LBB230_296
.LBB230_312:
	s_and_b64 vcc, exec, s[0:1]
	s_cbranch_vccnz .LBB230_314
; %bb.313:
	v_lshl_add_u64 v[24:25], v[38:39], 1, v[22:23]
	flat_load_ushort v24, v[24:25]
	s_waitcnt vmcnt(0) lgkmcnt(0)
	v_mul_f16_e32 v24, s30, v24
	s_branch .LBB230_315
.LBB230_314:
	v_mov_b32_e32 v24, 0
.LBB230_315:
	v_pk_add_f16 v25, v14, v4
	v_pk_max_f16 v26, v64, v64
	s_nop 0
	v_pk_min_f16 v25, v26, v25
	v_pk_add_f16 v26, v15, v5
	s_nop 0
	v_pk_min_f16 v25, v25, v26
	s_nop 0
	v_lshrrev_b32_e32 v26, 16, v25
	v_min3_f16 v26, v24, v25, v26
	v_lshl_add_u64 v[24:25], v[38:39], 1, v[20:21]
	global_store_short v[24:25], v26, off
	s_or_b64 exec, exec, s[26:27]
	s_and_b64 s[34:35], s[10:11], s[18:19]
	s_and_saveexec_b64 s[26:27], s[34:35]
	s_cbranch_execz .LBB230_297
.LBB230_316:
	s_and_b64 vcc, exec, s[0:1]
	s_cbranch_vccnz .LBB230_318
; %bb.317:
	v_lshl_add_u64 v[24:25], v[40:41], 1, v[22:23]
	flat_load_ushort v24, v[24:25]
	s_waitcnt vmcnt(0) lgkmcnt(0)
	v_mul_f16_e32 v24, s30, v24
	s_branch .LBB230_319
.LBB230_318:
	v_mov_b32_e32 v24, 0
.LBB230_319:
	v_pk_add_f16 v25, v8, v4
	v_pk_max_f16 v26, v63, v63
	s_nop 0
	v_pk_min_f16 v25, v26, v25
	v_pk_add_f16 v26, v9, v5
	s_nop 0
	v_pk_min_f16 v25, v25, v26
	s_nop 0
	v_lshrrev_b32_e32 v26, 16, v25
	v_min3_f16 v26, v24, v25, v26
	v_lshl_add_u64 v[24:25], v[40:41], 1, v[20:21]
	global_store_short v[24:25], v26, off
	s_or_b64 exec, exec, s[26:27]
	s_and_b64 s[34:35], s[12:13], s[18:19]
	s_and_saveexec_b64 s[26:27], s[34:35]
	s_cbranch_execz .LBB230_298
.LBB230_320:
	s_and_b64 vcc, exec, s[0:1]
	s_cbranch_vccnz .LBB230_322
; %bb.321:
	v_lshl_add_u64 v[24:25], v[42:43], 1, v[22:23]
	flat_load_ushort v24, v[24:25]
	s_waitcnt vmcnt(0) lgkmcnt(0)
	v_mul_f16_e32 v24, s30, v24
	s_branch .LBB230_323
.LBB230_322:
	v_mov_b32_e32 v24, 0
.LBB230_323:
	v_pk_add_f16 v25, v10, v4
	v_pk_max_f16 v26, v62, v62
	s_nop 0
	v_pk_min_f16 v25, v26, v25
	v_pk_add_f16 v26, v11, v5
	s_nop 0
	v_pk_min_f16 v25, v25, v26
	s_nop 0
	v_lshrrev_b32_e32 v26, 16, v25
	v_min3_f16 v26, v24, v25, v26
	v_lshl_add_u64 v[24:25], v[42:43], 1, v[20:21]
	global_store_short v[24:25], v26, off
	s_or_b64 exec, exec, s[26:27]
	s_and_b64 s[34:35], s[14:15], s[18:19]
	s_and_saveexec_b64 s[26:27], s[34:35]
	s_cbranch_execz .LBB230_299
.LBB230_324:
	s_and_b64 vcc, exec, s[0:1]
	s_cbranch_vccnz .LBB230_326
; %bb.325:
	v_lshl_add_u64 v[24:25], v[44:45], 1, v[22:23]
	flat_load_ushort v24, v[24:25]
	s_waitcnt vmcnt(0) lgkmcnt(0)
	v_mul_f16_e32 v24, s30, v24
	s_branch .LBB230_327
.LBB230_326:
	v_mov_b32_e32 v24, 0
.LBB230_327:
	v_pk_add_f16 v25, v0, v4
	v_pk_max_f16 v26, v60, v60
	s_nop 0
	v_pk_min_f16 v25, v26, v25
	v_pk_add_f16 v26, v1, v5
	s_nop 0
	v_pk_min_f16 v25, v25, v26
	s_nop 0
	v_lshrrev_b32_e32 v26, 16, v25
	v_min3_f16 v26, v24, v25, v26
	v_lshl_add_u64 v[24:25], v[44:45], 1, v[20:21]
	global_store_short v[24:25], v26, off
	s_or_b64 exec, exec, s[26:27]
	s_and_b64 s[26:27], s[16:17], s[18:19]
	s_and_saveexec_b64 s[18:19], s[26:27]
	s_cbranch_execz .LBB230_332
.LBB230_328:
	s_and_b64 vcc, exec, s[0:1]
	s_cbranch_vccnz .LBB230_330
; %bb.329:
	v_lshl_add_u64 v[22:23], v[46:47], 1, v[22:23]
	flat_load_ushort v22, v[22:23]
	s_waitcnt vmcnt(0) lgkmcnt(0)
	v_mul_f16_e32 v22, s30, v22
	s_branch .LBB230_331
.LBB230_330:
	v_mov_b32_e32 v22, 0
.LBB230_331:
	v_pk_add_f16 v4, v2, v4
	v_pk_max_f16 v23, v59, v59
	v_pk_add_f16 v5, v3, v5
	v_pk_min_f16 v4, v23, v4
	s_nop 0
	v_pk_min_f16 v4, v4, v5
	s_nop 0
	v_lshrrev_b32_e32 v5, 16, v4
	v_min3_f16 v22, v22, v4, v5
	v_lshl_add_u64 v[4:5], v[46:47], 1, v[20:21]
	global_store_short v[4:5], v22, off
.LBB230_332:
	s_or_b64 exec, exec, s[18:19]
	v_add_u32_e32 v22, 0xe0, v99
	v_cmp_gt_i32_e64 s[18:19], s21, v22
	v_mad_i64_i32 v[4:5], s[20:21], v22, s29, 0
	v_lshl_add_u64 v[20:21], v[4:5], 1, s[24:25]
	v_mad_i64_i32 v[4:5], s[20:21], v22, s28, 0
	v_lshl_add_u64 v[4:5], v[4:5], 1, s[22:23]
	s_and_b64 s[20:21], s[2:3], s[18:19]
	s_and_saveexec_b64 s[2:3], s[20:21]
	s_cbranch_execnz .LBB230_341
; %bb.333:
	s_or_b64 exec, exec, s[2:3]
	s_and_b64 s[4:5], s[4:5], s[18:19]
	s_and_saveexec_b64 s[2:3], s[4:5]
	s_cbranch_execnz .LBB230_345
.LBB230_334:
	s_or_b64 exec, exec, s[2:3]
	s_and_b64 s[4:5], s[6:7], s[18:19]
	s_and_saveexec_b64 s[2:3], s[4:5]
	s_cbranch_execnz .LBB230_349
.LBB230_335:
	s_or_b64 exec, exec, s[2:3]
	s_and_b64 s[4:5], s[8:9], s[18:19]
	s_and_saveexec_b64 s[2:3], s[4:5]
	s_cbranch_execnz .LBB230_353
.LBB230_336:
	s_or_b64 exec, exec, s[2:3]
	s_and_b64 s[4:5], s[10:11], s[18:19]
	s_and_saveexec_b64 s[2:3], s[4:5]
	s_cbranch_execnz .LBB230_357
.LBB230_337:
	s_or_b64 exec, exec, s[2:3]
	s_and_b64 s[4:5], s[12:13], s[18:19]
	s_and_saveexec_b64 s[2:3], s[4:5]
	s_cbranch_execnz .LBB230_361
.LBB230_338:
	s_or_b64 exec, exec, s[2:3]
	s_and_b64 s[4:5], s[14:15], s[18:19]
	s_and_saveexec_b64 s[2:3], s[4:5]
	s_cbranch_execnz .LBB230_365
.LBB230_339:
	s_or_b64 exec, exec, s[2:3]
	s_and_b64 s[2:3], s[16:17], s[18:19]
	s_and_saveexec_b64 s[4:5], s[2:3]
	s_cbranch_execnz .LBB230_369
.LBB230_340:
	s_endpgm
.LBB230_341:
	s_and_b64 vcc, exec, s[0:1]
	s_cbranch_vccnz .LBB230_343
; %bb.342:
	v_lshl_add_u64 v[22:23], v[32:33], 1, v[20:21]
	flat_load_ushort v22, v[22:23]
	s_waitcnt vmcnt(0) lgkmcnt(0)
	v_mul_f16_e32 v22, s30, v22
	s_branch .LBB230_344
.LBB230_343:
	v_mov_b32_e32 v22, 0
.LBB230_344:
	v_pk_add_f16 v16, v16, v6
	v_pk_max_f16 v23, v58, v58
	v_pk_add_f16 v17, v17, v7
	v_pk_min_f16 v16, v23, v16
	s_nop 0
	v_pk_min_f16 v16, v16, v17
	s_nop 0
	v_lshrrev_b32_e32 v17, 16, v16
	v_min3_f16 v22, v22, v16, v17
	v_lshl_add_u64 v[16:17], v[32:33], 1, v[4:5]
	global_store_short v[16:17], v22, off
	s_or_b64 exec, exec, s[2:3]
	s_and_b64 s[4:5], s[4:5], s[18:19]
	s_and_saveexec_b64 s[2:3], s[4:5]
	s_cbranch_execz .LBB230_334
.LBB230_345:
	s_and_b64 vcc, exec, s[0:1]
	s_cbranch_vccnz .LBB230_347
; %bb.346:
	v_lshl_add_u64 v[16:17], v[34:35], 1, v[20:21]
	flat_load_ushort v16, v[16:17]
	s_waitcnt vmcnt(0) lgkmcnt(0)
	v_mul_f16_e32 v16, s30, v16
	s_branch .LBB230_348
.LBB230_347:
	v_mov_b32_e32 v16, 0
.LBB230_348:
	v_pk_add_f16 v17, v18, v6
	v_pk_max_f16 v18, v57, v57
	s_nop 0
	v_pk_min_f16 v17, v18, v17
	v_pk_add_f16 v18, v19, v7
	s_nop 0
	v_pk_min_f16 v17, v17, v18
	s_nop 0
	v_lshrrev_b32_e32 v18, 16, v17
	v_min3_f16 v18, v16, v17, v18
	v_lshl_add_u64 v[16:17], v[34:35], 1, v[4:5]
	global_store_short v[16:17], v18, off
	s_or_b64 exec, exec, s[2:3]
	s_and_b64 s[4:5], s[6:7], s[18:19]
	s_and_saveexec_b64 s[2:3], s[4:5]
	s_cbranch_execz .LBB230_335
.LBB230_349:
	s_and_b64 vcc, exec, s[0:1]
	s_cbranch_vccnz .LBB230_351
; %bb.350:
	v_lshl_add_u64 v[16:17], v[36:37], 1, v[20:21]
	flat_load_ushort v16, v[16:17]
	s_waitcnt vmcnt(0) lgkmcnt(0)
	v_mul_f16_e32 v16, s30, v16
	s_branch .LBB230_352
.LBB230_351:
	v_mov_b32_e32 v16, 0
.LBB230_352:
	v_pk_add_f16 v12, v12, v6
	v_pk_max_f16 v17, v56, v56
	v_pk_add_f16 v13, v13, v7
	v_pk_min_f16 v12, v17, v12
	s_nop 0
	v_pk_min_f16 v12, v12, v13
	s_nop 0
	v_lshrrev_b32_e32 v13, 16, v12
	v_min3_f16 v16, v16, v12, v13
	v_lshl_add_u64 v[12:13], v[36:37], 1, v[4:5]
	global_store_short v[12:13], v16, off
	s_or_b64 exec, exec, s[2:3]
	s_and_b64 s[4:5], s[8:9], s[18:19]
	s_and_saveexec_b64 s[2:3], s[4:5]
	s_cbranch_execz .LBB230_336
.LBB230_353:
	s_and_b64 vcc, exec, s[0:1]
	s_cbranch_vccnz .LBB230_355
; %bb.354:
	v_lshl_add_u64 v[12:13], v[38:39], 1, v[20:21]
	flat_load_ushort v12, v[12:13]
	s_waitcnt vmcnt(0) lgkmcnt(0)
	v_mul_f16_e32 v12, s30, v12
	s_branch .LBB230_356
.LBB230_355:
	v_mov_b32_e32 v12, 0
.LBB230_356:
	v_pk_add_f16 v13, v14, v6
	v_pk_max_f16 v14, v55, v55
	s_nop 0
	v_pk_min_f16 v13, v14, v13
	v_pk_add_f16 v14, v15, v7
	s_nop 0
	v_pk_min_f16 v13, v13, v14
	s_nop 0
	v_lshrrev_b32_e32 v14, 16, v13
	v_min3_f16 v14, v12, v13, v14
	v_lshl_add_u64 v[12:13], v[38:39], 1, v[4:5]
	global_store_short v[12:13], v14, off
	s_or_b64 exec, exec, s[2:3]
	s_and_b64 s[4:5], s[10:11], s[18:19]
	s_and_saveexec_b64 s[2:3], s[4:5]
	s_cbranch_execz .LBB230_337
.LBB230_357:
	s_and_b64 vcc, exec, s[0:1]
	s_cbranch_vccnz .LBB230_359
; %bb.358:
	v_lshl_add_u64 v[12:13], v[40:41], 1, v[20:21]
	flat_load_ushort v12, v[12:13]
	s_waitcnt vmcnt(0) lgkmcnt(0)
	v_mul_f16_e32 v12, s30, v12
	s_branch .LBB230_360
.LBB230_359:
	v_mov_b32_e32 v12, 0
.LBB230_360:
	v_pk_add_f16 v8, v8, v6
	v_pk_max_f16 v13, v54, v54
	v_pk_add_f16 v9, v9, v7
	v_pk_min_f16 v8, v13, v8
	s_nop 0
	v_pk_min_f16 v8, v8, v9
	s_nop 0
	v_lshrrev_b32_e32 v9, 16, v8
	v_min3_f16 v12, v12, v8, v9
	v_lshl_add_u64 v[8:9], v[40:41], 1, v[4:5]
	global_store_short v[8:9], v12, off
	s_or_b64 exec, exec, s[2:3]
	s_and_b64 s[4:5], s[12:13], s[18:19]
	s_and_saveexec_b64 s[2:3], s[4:5]
	s_cbranch_execz .LBB230_338
.LBB230_361:
	s_and_b64 vcc, exec, s[0:1]
	s_cbranch_vccnz .LBB230_363
; %bb.362:
	v_lshl_add_u64 v[8:9], v[42:43], 1, v[20:21]
	flat_load_ushort v8, v[8:9]
	s_waitcnt vmcnt(0) lgkmcnt(0)
	v_mul_f16_e32 v8, s30, v8
	s_branch .LBB230_364
.LBB230_363:
	v_mov_b32_e32 v8, 0
.LBB230_364:
	v_pk_add_f16 v9, v10, v6
	v_pk_max_f16 v10, v53, v53
	s_nop 0
	v_pk_min_f16 v9, v10, v9
	v_pk_add_f16 v10, v11, v7
	s_nop 0
	v_pk_min_f16 v9, v9, v10
	s_nop 0
	v_lshrrev_b32_e32 v10, 16, v9
	v_min3_f16 v10, v8, v9, v10
	v_lshl_add_u64 v[8:9], v[42:43], 1, v[4:5]
	global_store_short v[8:9], v10, off
	s_or_b64 exec, exec, s[2:3]
	s_and_b64 s[4:5], s[14:15], s[18:19]
	s_and_saveexec_b64 s[2:3], s[4:5]
	s_cbranch_execz .LBB230_339
.LBB230_365:
	s_and_b64 vcc, exec, s[0:1]
	s_cbranch_vccnz .LBB230_367
; %bb.366:
	v_lshl_add_u64 v[8:9], v[44:45], 1, v[20:21]
	flat_load_ushort v8, v[8:9]
	s_waitcnt vmcnt(0) lgkmcnt(0)
	v_mul_f16_e32 v8, s30, v8
	s_branch .LBB230_368
.LBB230_367:
	v_mov_b32_e32 v8, 0
.LBB230_368:
	v_pk_add_f16 v0, v0, v6
	v_pk_max_f16 v9, v52, v52
	v_pk_add_f16 v1, v1, v7
	v_pk_min_f16 v0, v9, v0
	s_nop 0
	v_pk_min_f16 v0, v0, v1
	s_nop 0
	v_lshrrev_b32_e32 v1, 16, v0
	v_min3_f16 v8, v8, v0, v1
	v_lshl_add_u64 v[0:1], v[44:45], 1, v[4:5]
	global_store_short v[0:1], v8, off
	s_or_b64 exec, exec, s[2:3]
	s_and_b64 s[2:3], s[16:17], s[18:19]
	s_and_saveexec_b64 s[4:5], s[2:3]
	s_cbranch_execz .LBB230_340
.LBB230_369:
	s_and_b64 vcc, exec, s[0:1]
	s_cbranch_vccnz .LBB230_371
; %bb.370:
	v_lshl_add_u64 v[0:1], v[46:47], 1, v[20:21]
	flat_load_ushort v0, v[0:1]
	s_waitcnt vmcnt(0) lgkmcnt(0)
	v_mul_f16_e32 v0, s30, v0
	s_branch .LBB230_372
.LBB230_371:
	v_mov_b32_e32 v0, 0
.LBB230_372:
	v_pk_add_f16 v1, v2, v6
	v_pk_max_f16 v2, v61, v61
	s_nop 0
	v_pk_min_f16 v1, v2, v1
	v_pk_add_f16 v2, v3, v7
	s_nop 0
	v_pk_min_f16 v1, v1, v2
	s_nop 0
	v_lshrrev_b32_e32 v2, 16, v1
	v_min3_f16 v2, v0, v1, v2
	v_lshl_add_u64 v[0:1], v[46:47], 1, v[4:5]
	global_store_short v[0:1], v2, off
	s_endpgm
	.section	.rodata,"a",@progbits
	.p2align	6, 0x0
	.amdhsa_kernel _ZN12_GLOBAL__N_120geam_min_plus_kernelIDF16_Dv2_DF16_S1_Li8ELi32ELi64ELi256ELi4ELi4ELi64ELi64ELi4ELc84ELc84ELb0ELb1ELb1EDF16_KPKDF16_KPDF16_EEviiiT16_PT17_ilS9_ilS7_S9_ilPT18_ili26rocblas_geam_ex_operation_
		.amdhsa_group_segment_fixed_size 5120
		.amdhsa_private_segment_fixed_size 0
		.amdhsa_kernarg_size 128
		.amdhsa_user_sgpr_count 2
		.amdhsa_user_sgpr_dispatch_ptr 0
		.amdhsa_user_sgpr_queue_ptr 0
		.amdhsa_user_sgpr_kernarg_segment_ptr 1
		.amdhsa_user_sgpr_dispatch_id 0
		.amdhsa_user_sgpr_kernarg_preload_length 0
		.amdhsa_user_sgpr_kernarg_preload_offset 0
		.amdhsa_user_sgpr_private_segment_size 0
		.amdhsa_uses_dynamic_stack 0
		.amdhsa_enable_private_segment 0
		.amdhsa_system_sgpr_workgroup_id_x 1
		.amdhsa_system_sgpr_workgroup_id_y 0
		.amdhsa_system_sgpr_workgroup_id_z 1
		.amdhsa_system_sgpr_workgroup_info 0
		.amdhsa_system_vgpr_workitem_id 1
		.amdhsa_next_free_vgpr 172
		.amdhsa_next_free_sgpr 40
		.amdhsa_accum_offset 172
		.amdhsa_reserve_vcc 1
		.amdhsa_float_round_mode_32 0
		.amdhsa_float_round_mode_16_64 0
		.amdhsa_float_denorm_mode_32 3
		.amdhsa_float_denorm_mode_16_64 3
		.amdhsa_dx10_clamp 1
		.amdhsa_ieee_mode 1
		.amdhsa_fp16_overflow 0
		.amdhsa_tg_split 0
		.amdhsa_exception_fp_ieee_invalid_op 0
		.amdhsa_exception_fp_denorm_src 0
		.amdhsa_exception_fp_ieee_div_zero 0
		.amdhsa_exception_fp_ieee_overflow 0
		.amdhsa_exception_fp_ieee_underflow 0
		.amdhsa_exception_fp_ieee_inexact 0
		.amdhsa_exception_int_div_zero 0
	.end_amdhsa_kernel
	.section	.text._ZN12_GLOBAL__N_120geam_min_plus_kernelIDF16_Dv2_DF16_S1_Li8ELi32ELi64ELi256ELi4ELi4ELi64ELi64ELi4ELc84ELc84ELb0ELb1ELb1EDF16_KPKDF16_KPDF16_EEviiiT16_PT17_ilS9_ilS7_S9_ilPT18_ili26rocblas_geam_ex_operation_,"axG",@progbits,_ZN12_GLOBAL__N_120geam_min_plus_kernelIDF16_Dv2_DF16_S1_Li8ELi32ELi64ELi256ELi4ELi4ELi64ELi64ELi4ELc84ELc84ELb0ELb1ELb1EDF16_KPKDF16_KPDF16_EEviiiT16_PT17_ilS9_ilS7_S9_ilPT18_ili26rocblas_geam_ex_operation_,comdat
.Lfunc_end230:
	.size	_ZN12_GLOBAL__N_120geam_min_plus_kernelIDF16_Dv2_DF16_S1_Li8ELi32ELi64ELi256ELi4ELi4ELi64ELi64ELi4ELc84ELc84ELb0ELb1ELb1EDF16_KPKDF16_KPDF16_EEviiiT16_PT17_ilS9_ilS7_S9_ilPT18_ili26rocblas_geam_ex_operation_, .Lfunc_end230-_ZN12_GLOBAL__N_120geam_min_plus_kernelIDF16_Dv2_DF16_S1_Li8ELi32ELi64ELi256ELi4ELi4ELi64ELi64ELi4ELc84ELc84ELb0ELb1ELb1EDF16_KPKDF16_KPDF16_EEviiiT16_PT17_ilS9_ilS7_S9_ilPT18_ili26rocblas_geam_ex_operation_
                                        ; -- End function
	.section	.AMDGPU.csdata,"",@progbits
; Kernel info:
; codeLenInByte = 20024
; NumSgprs: 46
; NumVgprs: 172
; NumAgprs: 0
; TotalNumVgprs: 172
; ScratchSize: 0
; MemoryBound: 0
; FloatMode: 240
; IeeeMode: 1
; LDSByteSize: 5120 bytes/workgroup (compile time only)
; SGPRBlocks: 5
; VGPRBlocks: 21
; NumSGPRsForWavesPerEU: 46
; NumVGPRsForWavesPerEU: 172
; AccumOffset: 172
; Occupancy: 2
; WaveLimiterHint : 1
; COMPUTE_PGM_RSRC2:SCRATCH_EN: 0
; COMPUTE_PGM_RSRC2:USER_SGPR: 2
; COMPUTE_PGM_RSRC2:TRAP_HANDLER: 0
; COMPUTE_PGM_RSRC2:TGID_X_EN: 1
; COMPUTE_PGM_RSRC2:TGID_Y_EN: 0
; COMPUTE_PGM_RSRC2:TGID_Z_EN: 1
; COMPUTE_PGM_RSRC2:TIDIG_COMP_CNT: 1
; COMPUTE_PGM_RSRC3_GFX90A:ACCUM_OFFSET: 42
; COMPUTE_PGM_RSRC3_GFX90A:TG_SPLIT: 0
	.section	.text._ZN12_GLOBAL__N_120geam_min_plus_kernelIDF16_Dv2_DF16_S1_Li8ELi32ELi64ELi128ELi4ELi64ELi4ELi4ELi64ELc78ELc78ELb0ELb0ELb0EPKDF16_KS3_KPDF16_EEviiiT16_PT17_ilS9_ilS7_S9_ilPT18_ili26rocblas_geam_ex_operation_,"axG",@progbits,_ZN12_GLOBAL__N_120geam_min_plus_kernelIDF16_Dv2_DF16_S1_Li8ELi32ELi64ELi128ELi4ELi64ELi4ELi4ELi64ELc78ELc78ELb0ELb0ELb0EPKDF16_KS3_KPDF16_EEviiiT16_PT17_ilS9_ilS7_S9_ilPT18_ili26rocblas_geam_ex_operation_,comdat
	.globl	_ZN12_GLOBAL__N_120geam_min_plus_kernelIDF16_Dv2_DF16_S1_Li8ELi32ELi64ELi128ELi4ELi64ELi4ELi4ELi64ELc78ELc78ELb0ELb0ELb0EPKDF16_KS3_KPDF16_EEviiiT16_PT17_ilS9_ilS7_S9_ilPT18_ili26rocblas_geam_ex_operation_ ; -- Begin function _ZN12_GLOBAL__N_120geam_min_plus_kernelIDF16_Dv2_DF16_S1_Li8ELi32ELi64ELi128ELi4ELi64ELi4ELi4ELi64ELc78ELc78ELb0ELb0ELb0EPKDF16_KS3_KPDF16_EEviiiT16_PT17_ilS9_ilS7_S9_ilPT18_ili26rocblas_geam_ex_operation_
	.p2align	8
	.type	_ZN12_GLOBAL__N_120geam_min_plus_kernelIDF16_Dv2_DF16_S1_Li8ELi32ELi64ELi128ELi4ELi64ELi4ELi4ELi64ELc78ELc78ELb0ELb0ELb0EPKDF16_KS3_KPDF16_EEviiiT16_PT17_ilS9_ilS7_S9_ilPT18_ili26rocblas_geam_ex_operation_,@function
_ZN12_GLOBAL__N_120geam_min_plus_kernelIDF16_Dv2_DF16_S1_Li8ELi32ELi64ELi128ELi4ELi64ELi4ELi4ELi64ELc78ELc78ELb0ELb0ELb0EPKDF16_KS3_KPDF16_EEviiiT16_PT17_ilS9_ilS7_S9_ilPT18_ili26rocblas_geam_ex_operation_: ; @_ZN12_GLOBAL__N_120geam_min_plus_kernelIDF16_Dv2_DF16_S1_Li8ELi32ELi64ELi128ELi4ELi64ELi4ELi4ELi64ELc78ELc78ELb0ELb0ELb0EPKDF16_KS3_KPDF16_EEviiiT16_PT17_ilS9_ilS7_S9_ilPT18_ili26rocblas_geam_ex_operation_
; %bb.0:
	s_load_dwordx4 s[16:19], s[0:1], 0x10
	s_load_dwordx4 s[8:11], s[0:1], 0x28
	s_mov_b32 s20, s3
	s_mov_b32 s21, 0
	s_lshl_b64 s[4:5], s[20:21], 1
	s_waitcnt lgkmcnt(0)
	s_add_u32 s6, s16, s4
	s_addc_u32 s7, s17, s5
	v_mov_b32_e32 v1, 0
	global_load_ushort v50, v1, s[6:7]
	s_load_dwordx4 s[12:15], s[0:1], 0x40
	s_load_dwordx2 s[22:23], s[0:1], 0x50
	s_mov_b64 s[16:17], 0
	s_waitcnt lgkmcnt(0)
	s_add_u32 s4, s14, s4
	s_addc_u32 s5, s15, s5
	s_mov_b64 s[14:15], 0
	s_waitcnt vmcnt(0)
	v_cmp_eq_f16_e32 vcc, 0, v50
	v_cmp_neq_f16_e64 s[6:7], 0, v50
	s_cbranch_vccnz .LBB231_2
; %bb.1:
	s_lshl_b64 s[14:15], s[20:21], 3
	s_add_u32 s14, s18, s14
	s_addc_u32 s15, s19, s15
	s_load_dwordx2 s[14:15], s[14:15], 0x0
	s_lshl_b64 s[8:9], s[8:9], 1
	s_waitcnt lgkmcnt(0)
	s_add_u32 s14, s14, s8
	s_addc_u32 s15, s15, s9
.LBB231_2:
	global_load_ushort v40, v1, s[4:5]
	v_cndmask_b32_e64 v1, 0, 1, s[6:7]
	v_cmp_ne_u32_e64 s[4:5], 1, v1
	s_andn2_b64 vcc, exec, s[6:7]
	s_cbranch_vccnz .LBB231_4
; %bb.3:
	s_lshl_b64 s[6:7], s[20:21], 3
	s_add_u32 s6, s10, s6
	s_addc_u32 s7, s11, s7
	s_load_dwordx2 s[6:7], s[6:7], 0x0
	s_lshl_b64 s[8:9], s[12:13], 1
	s_waitcnt lgkmcnt(0)
	s_add_u32 s16, s6, s8
	s_addc_u32 s17, s7, s9
.LBB231_4:
	s_load_dwordx4 s[8:11], s[0:1], 0x60
	s_waitcnt vmcnt(0)
	v_cmp_eq_f16_e32 vcc, 0, v40
	s_and_b64 s[6:7], exec, vcc
	s_mov_b64 vcc, s[6:7]
	s_cbranch_vccnz .LBB231_6
; %bb.5:
	s_lshl_b64 s[12:13], s[20:21], 3
	s_add_u32 s12, s22, s12
	s_addc_u32 s13, s23, s13
	s_load_dwordx2 s[12:13], s[12:13], 0x0
	s_waitcnt lgkmcnt(0)
	s_lshl_b64 s[8:9], s[8:9], 1
	s_add_u32 s8, s12, s8
	s_addc_u32 s9, s13, s9
	s_branch .LBB231_7
.LBB231_6:
	s_waitcnt lgkmcnt(0)
	s_mov_b64 s[8:9], 0
.LBB231_7:
	s_load_dword s12, s[0:1], 0x20
	s_load_dword s3, s[0:1], 0x0
	s_lshl_b64 s[18:19], s[20:21], 3
	v_and_b32_e32 v51, 0x3ff, v0
	v_bfe_u32 v52, v0, 10, 10
	s_waitcnt lgkmcnt(0)
	s_ashr_i32 s13, s12, 31
	s_add_u32 s10, s10, s18
	s_addc_u32 s11, s11, s19
	s_add_i32 s3, s3, -1
	s_ashr_i32 s18, s3, 31
	s_lshr_b32 s18, s18, 26
	s_add_i32 s3, s3, s18
	s_ashr_i32 s3, s3, 6
	s_add_i32 s18, s3, 1
	v_cvt_f32_u32_e32 v1, s18
	s_not_b32 s3, s3
	v_lshl_add_u32 v4, v52, 3, v51
	v_and_b32_e32 v3, 63, v4
	v_rcp_iflag_f32_e32 v1, v1
	v_lshrrev_b32_e32 v2, 6, v4
	v_mul_f32_e32 v0, 0x4f7ffffe, v1
	v_cvt_u32_f32_e32 v0, v0
	s_nop 0
	v_readfirstlane_b32 s19, v0
	s_mul_i32 s3, s3, s19
	s_mul_hi_u32 s3, s19, s3
	s_add_i32 s19, s19, s3
	s_mul_hi_u32 s3, s2, s19
	s_mul_i32 s19, s3, s18
	s_sub_i32 s19, s2, s19
	s_add_i32 s20, s3, 1
	s_sub_i32 s21, s19, s18
	s_cmp_ge_u32 s19, s18
	s_cselect_b32 s3, s20, s3
	s_cselect_b32 s19, s21, s19
	s_add_i32 s20, s3, 1
	s_cmp_ge_u32 s19, s18
	s_cselect_b32 s19, s20, s3
	s_mul_i32 s3, s19, s18
	s_sub_i32 s18, s2, s3
	s_lshl_b32 s18, s18, 6
	v_or_b32_e32 v0, s18, v3
	s_and_b64 vcc, exec, s[4:5]
	v_ashrrev_i32_e32 v1, 31, v0
	s_cbranch_vccnz .LBB231_9
; %bb.8:
	v_mad_i64_i32 v[6:7], s[20:21], s12, v2, 0
	v_lshl_add_u64 v[6:7], v[6:7], 1, s[14:15]
	v_lshl_add_u64 v[6:7], v[0:1], 1, v[6:7]
	flat_load_ushort v5, v[6:7]
	s_waitcnt vmcnt(0) lgkmcnt(0)
	v_mul_f16_e32 v8, v50, v5
	s_branch .LBB231_10
.LBB231_9:
	v_mov_b32_e32 v8, 0
.LBB231_10:
	s_load_dword s21, s[0:1], 0x38
	v_lshrrev_b32_e32 v9, 2, v4
	s_lshl_b32 s19, s19, 7
	v_and_b32_e32 v5, 3, v51
	v_add_u32_e32 v4, s19, v9
	s_and_b64 vcc, exec, s[4:5]
	v_lshlrev_b32_e32 v24, 1, v5
	v_add_u32_e32 v5, 64, v4
	s_cbranch_vccnz .LBB231_14
; %bb.11:
	v_mov_b32_e32 v25, 0
	v_lshl_add_u64 v[6:7], s[16:17], 0, v[24:25]
	s_waitcnt lgkmcnt(0)
	v_mad_i64_i32 v[10:11], s[22:23], v4, s21, 0
	v_lshl_add_u64 v[10:11], v[10:11], 1, v[6:7]
	v_mad_i64_i32 v[12:13], s[22:23], v5, s21, 0
	v_lshl_add_u64 v[6:7], v[12:13], 1, v[6:7]
	flat_load_ushort v12, v[10:11]
	flat_load_ushort v13, v[6:7]
	s_waitcnt vmcnt(0) lgkmcnt(0)
	v_mul_f16_e32 v10, v50, v12
	v_mul_f16_e32 v11, v50, v13
	s_and_b64 vcc, exec, s[4:5]
	s_cbranch_vccnz .LBB231_15
.LBB231_12:
	v_add_u32_e32 v6, 4, v2
	v_mad_i64_i32 v[6:7], s[22:23], s12, v6, 0
	v_lshl_add_u64 v[6:7], v[6:7], 1, s[14:15]
	v_lshl_add_u64 v[0:1], v[0:1], 1, v[6:7]
	flat_load_ushort v0, v[0:1]
	s_waitcnt vmcnt(0) lgkmcnt(0)
	v_mul_f16_e32 v0, v50, v0
	s_and_b64 vcc, exec, s[4:5]
	s_cbranch_vccnz .LBB231_16
.LBB231_13:
	v_mov_b32_e32 v25, 0
	v_lshl_add_u64 v[6:7], s[16:17], 0, v[24:25]
	s_waitcnt lgkmcnt(0)
	v_mad_i64_i32 v[12:13], s[22:23], v4, s21, 0
	v_lshl_add_u64 v[12:13], v[12:13], 1, v[6:7]
	v_mad_i64_i32 v[14:15], s[22:23], v5, s21, 0
	v_lshl_add_u64 v[6:7], v[14:15], 1, v[6:7]
	flat_load_ushort v1, v[12:13] offset:8
	flat_load_ushort v14, v[6:7] offset:8
	s_waitcnt vmcnt(0) lgkmcnt(0)
	v_mul_f16_e32 v1, v50, v1
	v_mul_f16_e32 v6, v50, v14
	s_branch .LBB231_17
.LBB231_14:
	v_mov_b32_e32 v10, 0
	v_mov_b32_e32 v11, 0
	s_and_b64 vcc, exec, s[4:5]
	s_cbranch_vccz .LBB231_12
.LBB231_15:
	v_mov_b32_e32 v0, 0
	s_and_b64 vcc, exec, s[4:5]
	s_cbranch_vccz .LBB231_13
.LBB231_16:
	v_mov_b32_e32 v1, 0
	v_mov_b32_e32 v6, 0
.LBB231_17:
	v_lshlrev_b32_e32 v7, 3, v3
	v_lshl_add_u32 v7, v2, 1, v7
	v_lshl_or_b32 v70, v9, 3, v24
	v_lshlrev_b32_e32 v61, 3, v51
	v_lshlrev_b32_e32 v62, 3, v52
	s_load_dwordx2 s[10:11], s[10:11], 0x0
	ds_write_b16 v7, v8 offset:2048
	ds_write_b16 v70, v10
	ds_write_b16 v70, v11 offset:512
	s_waitcnt lgkmcnt(0)
	s_barrier
	ds_read2_b64 v[8:11], v62 offset1:32
	v_add_u32_e32 v72, 0x800, v61
	ds_read2_b64 v[12:15], v72 offset0:48 offset1:56
	ds_read2_b64 v[16:19], v62 offset0:64 offset1:96
	ds_read2_b64 v[20:23], v72 offset1:8
	ds_read2_b64 v[26:29], v72 offset0:16 offset1:24
	ds_read2_b64 v[30:33], v72 offset0:32 offset1:40
	s_waitcnt lgkmcnt(5)
	v_pk_max_f16 v8, v8, v8
	s_waitcnt lgkmcnt(4)
	v_pk_max_f16 v14, v14, v14
	v_pk_max_f16 v10, v10, v10
	v_pk_min_f16 v25, v14, v8
	s_waitcnt lgkmcnt(3)
	v_pk_max_f16 v16, v16, v16
	s_waitcnt lgkmcnt(2)
	v_pk_max_f16 v20, v20, v20
	v_pk_max_f16 v18, v18, v18
	v_pk_max_f16 v22, v22, v22
	s_waitcnt lgkmcnt(1)
	v_pk_max_f16 v26, v26, v26
	v_pk_max_f16 v28, v28, v28
	;; [unrolled: 4-line block ×3, first 2 shown]
	v_pk_max_f16 v12, v12, v12
	v_pk_max_f16 v15, v15, v15
	v_pk_min_f16 v34, v20, v8
	v_pk_min_f16 v35, v20, v10
	;; [unrolled: 1-line block ×14, first 2 shown]
	v_pk_max_f16 v11, v11, v11
	v_pk_min_f16 v53, v28, v16
	v_pk_min_f16 v28, v28, v18
	;; [unrolled: 1-line block ×17, first 2 shown]
	v_pk_add_f16 v18, v25, 0
	v_pk_min_f16 v25, v15, v9
	v_pk_max_f16 v17, v17, v17
	v_pk_add_f16 v71, v25, v18
	v_pk_add_f16 v18, v44, 0
	v_pk_min_f16 v25, v15, v11
	v_pk_max_f16 v21, v21, v21
	v_pk_add_f16 v60, v25, v18
	;; [unrolled: 4-line block ×6, first 2 shown]
	v_pk_add_f16 v18, v20, 0
	v_pk_min_f16 v20, v21, v19
	v_pk_min_f16 v21, v29, v19
	v_pk_add_f16 v48, v20, v18
	v_pk_add_f16 v18, v37, 0
	v_pk_min_f16 v20, v23, v9
	v_pk_max_f16 v13, v13, v13
	v_pk_add_f16 v78, v20, v18
	v_pk_add_f16 v18, v38, 0
	v_pk_min_f16 v20, v23, v11
	s_load_dword s20, s[0:1], 0x8
	v_pk_add_f16 v68, v20, v18
	v_pk_add_f16 v18, v39, 0
	v_pk_min_f16 v20, v23, v17
	v_pk_add_f16 v8, v8, 0
	v_pk_add_f16 v58, v20, v18
	v_pk_add_f16 v18, v22, 0
	v_pk_min_f16 v20, v23, v19
	v_pk_add_f16 v22, v73, 0
	;; [unrolled: 4-line block ×8, first 2 shown]
	v_pk_add_f16 v65, v20, v18
	v_pk_add_f16 v18, v53, 0
	v_pk_min_f16 v20, v29, v17
	s_waitcnt lgkmcnt(0)
	s_cmp_lt_i32 s20, 9
	v_pk_add_f16 v55, v20, v18
	v_pk_add_f16 v18, v28, 0
	;; [unrolled: 1-line block ×4, first 2 shown]
	v_pk_max_f16 v18, v31, v31
	ds_write_b16 v7, v0 offset:2560
	ds_write_b16 v70, v1 offset:1024
	;; [unrolled: 1-line block ×3, first 2 shown]
	v_pk_min_f16 v21, v18, v9
	s_waitcnt lgkmcnt(0)
	v_pk_add_f16 v75, v21, v20
	v_pk_add_f16 v20, v56, 0
	v_pk_min_f16 v21, v18, v11
	s_barrier
	v_pk_add_f16 v64, v21, v20
	v_pk_add_f16 v20, v63, 0
	v_pk_min_f16 v21, v18, v17
	v_pk_min_f16 v18, v18, v19
	v_pk_add_f16 v54, v21, v20
	v_pk_add_f16 v20, v30, 0
	;; [unrolled: 1-line block ×4, first 2 shown]
	v_pk_max_f16 v18, v33, v33
	s_nop 0
	v_pk_min_f16 v20, v18, v9
	v_pk_min_f16 v9, v13, v9
	v_pk_add_f16 v74, v20, v21
	v_pk_add_f16 v73, v9, v8
	v_pk_min_f16 v8, v13, v11
	v_pk_min_f16 v20, v18, v11
	v_pk_add_f16 v63, v8, v10
	v_pk_min_f16 v8, v13, v17
	v_pk_add_f16 v67, v20, v22
	v_pk_add_f16 v53, v8, v16
	v_pk_min_f16 v8, v13, v19
	v_pk_min_f16 v20, v18, v17
	;; [unrolled: 1-line block ×3, first 2 shown]
	v_pk_add_f16 v47, v8, v12
	v_pk_min_f16 v8, v15, v19
	v_pk_add_f16 v56, v20, v23
	v_pk_add_f16 v43, v18, v25
	;; [unrolled: 1-line block ×3, first 2 shown]
	s_cbranch_scc1 .LBB231_31
; %bb.18:
	v_mov_b32_e32 v0, 0xa00
	v_lshl_add_u32 v83, v51, 3, v0
	v_mov_b32_e32 v0, 0x400
	v_lshl_add_u32 v84, v52, 3, v0
	v_mad_i64_i32 v[0:1], s[22:23], s21, v5, 0
	v_lshl_add_u64 v[26:27], v[0:1], 1, s[16:17]
	v_mad_i64_i32 v[0:1], s[22:23], s21, v4, 0
	v_lshl_add_u64 v[28:29], v[0:1], 1, s[16:17]
	v_add_u32_e32 v0, 8, v2
	v_mad_i64_i32 v[0:1], s[16:17], v0, s12, 0
	v_lshlrev_b64 v[30:31], 1, v[0:1]
	v_lshl_or_b32 v0, s2, 6, v3
	s_lshl_b32 s2, s3, 6
	v_subrev_u32_e32 v0, s2, v0
	v_ashrrev_i32_e32 v1, 31, v0
	v_lshl_add_u64 v[32:33], v[0:1], 1, s[14:15]
	v_add_u32_e32 v0, 12, v2
	s_lshl_b64 s[2:3], s[12:13], 4
	v_mad_i64_i32 v[0:1], s[12:13], v0, s12, 0
	v_or_b32_e32 v80, 0x800, v7
	v_add_u32_e32 v81, 0xa00, v7
	v_add_u32_e32 v82, 0x400, v70
	s_add_i32 s20, s20, -8
	v_mov_b32_e32 v25, 0
	v_lshlrev_b64 v[34:35], 1, v[0:1]
	s_mov_b32 s12, 0
	s_branch .LBB231_21
.LBB231_19:                             ;   in Loop: Header=BB231_21 Depth=1
	flat_load_ushort v0, v[36:37] offset:24
	flat_load_ushort v1, v[38:39] offset:24
	s_waitcnt vmcnt(0) lgkmcnt(0)
	v_mul_f16_e32 v0, v50, v0
	v_mul_f16_e32 v1, v50, v1
.LBB231_20:                             ;   in Loop: Header=BB231_21 Depth=1
	v_pk_add_f16 v20, v20, v60
	v_pk_add_f16 v12, v12, v49
	;; [unrolled: 1-line block ×18, first 2 shown]
	ds_read2_b64 v[8:11], v72 offset0:48 offset1:56
	ds_read2_b64 v[12:15], v62 offset1:32
	v_pk_add_f16 v2, v2, v71
	v_pk_add_f16 v16, v16, v79
	;; [unrolled: 1-line block ×4, first 2 shown]
	s_waitcnt lgkmcnt(1)
	v_pk_max_f16 v10, v10, v10
	s_waitcnt lgkmcnt(0)
	v_pk_max_f16 v12, v12, v12
	v_pk_add_f16 v18, v18, v78
	v_pk_add_f16 v37, v87, v68
	;; [unrolled: 1-line block ×10, first 2 shown]
	ds_read2_b64 v[2:5], v62 offset0:64 offset1:96
	v_pk_min_f16 v16, v10, v12
	v_pk_add_f16 v49, v93, v65
	v_pk_add_f16 v65, v19, v18
	;; [unrolled: 1-line block ×4, first 2 shown]
	ds_read2_b64 v[16:19], v72 offset1:8
	v_pk_max_f16 v14, v14, v14
	s_waitcnt lgkmcnt(1)
	v_pk_max_f16 v2, v2, v2
	v_pk_min_f16 v63, v10, v14
	v_pk_add_f16 v59, v102, v73
	v_pk_add_f16 v63, v63, v20
	v_pk_min_f16 v20, v10, v2
	s_waitcnt lgkmcnt(0)
	v_pk_max_f16 v16, v16, v16
	v_pk_add_f16 v69, v20, v21
	v_pk_min_f16 v20, v16, v12
	v_pk_max_f16 v18, v18, v18
	v_pk_add_f16 v64, v20, v64
	v_pk_min_f16 v20, v16, v14
	v_pk_add_f16 v6, v6, v74
	v_pk_add_f16 v73, v20, v22
	v_pk_min_f16 v20, v16, v2
	v_pk_add_f16 v37, v108, v37
	v_pk_add_f16 v74, v20, v23
	v_pk_min_f16 v20, v18, v12
	v_pk_max_f16 v4, v4, v4
	v_pk_add_f16 v65, v20, v65
	v_pk_min_f16 v20, v18, v14
	v_pk_min_f16 v16, v16, v4
	v_pk_add_f16 v75, v20, v37
	ds_read2_b64 v[20:23], v72 offset0:16 offset1:24
	v_pk_add_f16 v38, v109, v38
	v_pk_add_f16 v16, v16, v36
	v_pk_min_f16 v36, v18, v2
	v_pk_add_f16 v45, v111, v45
	s_waitcnt lgkmcnt(0)
	v_pk_max_f16 v20, v20, v20
	v_pk_add_f16 v76, v36, v38
	v_pk_min_f16 v36, v20, v12
	v_pk_add_f16 v48, v112, v48
	v_pk_add_f16 v66, v36, v66
	v_pk_min_f16 v36, v20, v14
	v_pk_max_f16 v22, v22, v22
	v_pk_add_f16 v86, v36, v45
	v_pk_min_f16 v36, v20, v2
	v_pk_add_f16 v39, v110, v39
	v_pk_add_f16 v87, v36, v48
	v_pk_min_f16 v36, v22, v12
	v_pk_add_f16 v49, v114, v49
	v_pk_min_f16 v18, v18, v4
	;; [unrolled: 2-line block ×3, first 2 shown]
	v_pk_add_f16 v18, v18, v39
	v_pk_add_f16 v88, v36, v49
	ds_read2_b64 v[36:39], v72 offset0:32 offset1:40
	v_pk_add_f16 v44, v92, v44
	v_pk_add_f16 v42, v95, v42
	;; [unrolled: 1-line block ×3, first 2 shown]
	v_pk_min_f16 v20, v20, v4
	v_pk_add_f16 v42, v116, v42
	v_pk_add_f16 v20, v20, v44
	v_pk_min_f16 v44, v22, v2
	v_pk_min_f16 v22, v22, v4
	s_waitcnt lgkmcnt(0)
	v_pk_max_f16 v36, v36, v36
	v_pk_add_f16 v22, v22, v42
	v_pk_min_f16 v42, v36, v12
	v_pk_add_f16 v54, v97, v54
	v_pk_add_f16 v57, v118, v57
	;; [unrolled: 1-line block ×3, first 2 shown]
	v_pk_min_f16 v42, v36, v14
	v_pk_add_f16 v54, v119, v54
	v_pk_add_f16 v90, v42, v57
	v_pk_min_f16 v42, v36, v2
	v_pk_max_f16 v38, v38, v38
	v_pk_add_f16 v6, v121, v6
	v_pk_add_f16 v54, v42, v54
	v_pk_min_f16 v42, v38, v12
	v_pk_add_f16 v58, v122, v58
	v_pk_add_f16 v6, v42, v6
	v_pk_min_f16 v42, v38, v14
	v_pk_max_f16 v8, v8, v8
	v_pk_min_f16 v36, v36, v4
	v_pk_add_f16 v91, v42, v58
	v_pk_min_f16 v42, v38, v2
	v_pk_min_f16 v38, v38, v4
	;; [unrolled: 1-line block ×7, first 2 shown]
	v_pk_max_f16 v10, v13, v13
	v_pk_add_f16 v4, v4, v7
	v_pk_max_f16 v7, v11, v11
	v_pk_add_f16 v60, v126, v60
	v_pk_min_f16 v11, v7, v10
	v_pk_max_f16 v3, v3, v3
	v_pk_add_f16 v71, v11, v41
	v_pk_max_f16 v11, v15, v15
	v_pk_add_f16 v14, v14, v60
	v_pk_min_f16 v13, v7, v11
	v_pk_max_f16 v5, v5, v5
	v_pk_add_f16 v60, v13, v63
	v_pk_min_f16 v13, v7, v3
	v_pk_add_f16 v59, v125, v59
	v_pk_add_f16 v49, v13, v69
	v_pk_max_f16 v13, v17, v17
	v_pk_add_f16 v12, v12, v59
	v_pk_min_f16 v15, v13, v10
	v_pk_add_f16 v55, v94, v55
	v_pk_add_f16 v79, v15, v64
	v_pk_min_f16 v15, v13, v11
	v_pk_add_f16 v55, v115, v55
	v_pk_add_f16 v69, v15, v73
	v_pk_min_f16 v15, v13, v3
	v_pk_min_f16 v13, v13, v5
	v_pk_add_f16 v59, v15, v74
	v_pk_add_f16 v48, v13, v16
	v_pk_max_f16 v13, v19, v19
	v_pk_add_f16 v55, v44, v55
	v_pk_min_f16 v15, v13, v10
	v_pk_add_f16 v56, v100, v56
	v_pk_add_f16 v78, v15, v65
	v_pk_min_f16 v15, v13, v11
	v_pk_add_f16 v56, v123, v56
	v_pk_add_f16 v68, v15, v75
	v_pk_min_f16 v15, v13, v3
	v_pk_min_f16 v13, v13, v5
	v_pk_add_f16 v58, v15, v76
	v_pk_add_f16 v45, v13, v18
	v_pk_max_f16 v13, v21, v21
	v_pk_add_f16 v56, v42, v56
	v_pk_min_f16 v15, v13, v10
	v_pk_add_f16 v46, v98, v46
	v_pk_add_f16 v77, v15, v66
	v_pk_min_f16 v15, v13, v11
	v_pk_add_f16 v46, v120, v46
	v_pk_add_f16 v66, v15, v86
	v_pk_min_f16 v15, v13, v3
	v_pk_min_f16 v13, v13, v5
	v_pk_add_f16 v57, v15, v87
	v_pk_add_f16 v44, v13, v20
	v_pk_max_f16 v13, v23, v23
	v_pk_add_f16 v36, v36, v46
	v_pk_min_f16 v15, v13, v10
	v_pk_add_f16 v43, v101, v43
	v_pk_add_f16 v76, v15, v67
	v_pk_min_f16 v15, v13, v11
	v_pk_add_f16 v43, v124, v43
	v_pk_add_f16 v65, v15, v88
	v_pk_min_f16 v15, v13, v3
	v_pk_min_f16 v13, v13, v5
	v_pk_add_f16 v55, v15, v55
	v_pk_add_f16 v42, v13, v22
	v_pk_max_f16 v13, v37, v37
	v_pk_add_f16 v53, v104, v53
	v_pk_min_f16 v15, v13, v10
	v_pk_add_f16 v38, v38, v43
	v_pk_add_f16 v75, v15, v89
	v_pk_min_f16 v15, v13, v11
	v_pk_add_f16 v53, v127, v53
	v_pk_add_f16 v64, v15, v90
	v_pk_min_f16 v15, v13, v3
	v_pk_min_f16 v13, v13, v5
	v_pk_add_f16 v54, v15, v54
	v_pk_add_f16 v46, v13, v36
	v_pk_max_f16 v13, v39, v39
	v_pk_add_f16 v2, v2, v53
	v_pk_min_f16 v15, v13, v10
	v_pk_add_f16 v8, v8, v47
	v_pk_add_f16 v74, v15, v6
	v_pk_min_f16 v6, v13, v11
	s_add_i32 s12, s12, 8
	v_pk_add_f16 v67, v6, v91
	v_pk_min_f16 v6, v13, v3
	v_lshl_add_u64 v[26:27], v[26:27], 0, 16
	v_pk_add_f16 v56, v6, v56
	v_pk_min_f16 v6, v13, v5
	v_lshl_add_u64 v[28:29], v[28:29], 0, 16
	v_pk_add_f16 v43, v6, v38
	v_pk_max_f16 v6, v9, v9
	s_cmp_ge_i32 s12, s20
	v_pk_min_f16 v3, v6, v3
	v_pk_min_f16 v9, v6, v10
	v_pk_add_f16 v53, v3, v2
	v_pk_min_f16 v2, v6, v5
	v_pk_add_f16 v73, v9, v12
	;; [unrolled: 2-line block ×4, first 2 shown]
	v_pk_add_f16 v41, v2, v4
	v_lshl_add_u64 v[32:33], v[32:33], 0, s[2:3]
	ds_write_b16 v81, v85
	ds_write_b16 v82, v0
	ds_write_b16 v82, v1 offset:512
	s_waitcnt lgkmcnt(0)
	s_barrier
	s_cbranch_scc1 .LBB231_31
.LBB231_21:                             ; =>This Inner Loop Header: Depth=1
	s_and_b64 vcc, exec, s[4:5]
	v_mov_b32_e32 v85, 0
	s_cbranch_vccnz .LBB231_23
; %bb.22:                               ;   in Loop: Header=BB231_21 Depth=1
	v_lshl_add_u64 v[0:1], v[32:33], 0, v[30:31]
	flat_load_ushort v0, v[0:1]
	s_waitcnt vmcnt(0) lgkmcnt(0)
	v_mul_f16_e32 v85, v50, v0
.LBB231_23:                             ;   in Loop: Header=BB231_21 Depth=1
	s_and_b64 vcc, exec, s[4:5]
	v_lshl_add_u64 v[36:37], v[28:29], 0, v[24:25]
	v_lshl_add_u64 v[38:39], v[26:27], 0, v[24:25]
	s_cbranch_vccnz .LBB231_25
; %bb.24:                               ;   in Loop: Header=BB231_21 Depth=1
	flat_load_ushort v0, v[36:37] offset:16
	flat_load_ushort v1, v[38:39] offset:16
	s_waitcnt vmcnt(0) lgkmcnt(0)
	v_mul_f16_e32 v86, v50, v0
	v_mul_f16_e32 v87, v50, v1
	s_branch .LBB231_26
.LBB231_25:                             ;   in Loop: Header=BB231_21 Depth=1
	v_mov_b32_e32 v86, 0
	v_mov_b32_e32 v87, 0
.LBB231_26:                             ;   in Loop: Header=BB231_21 Depth=1
	ds_read2_b64 v[0:3], v83 offset0:48 offset1:56
	ds_read2_b64 v[12:15], v84 offset0:64 offset1:96
	ds_read2_b64 v[20:23], v84 offset1:32
	ds_read2_b64 v[16:19], v83 offset1:8
	ds_read2_b64 v[8:11], v83 offset0:16 offset1:24
	ds_read2_b64 v[4:7], v83 offset0:32 offset1:40
	s_and_b64 vcc, exec, s[4:5]
	ds_write_b16 v80, v85
	ds_write_b16 v70, v86
	ds_write_b16 v70, v87 offset:512
	s_waitcnt lgkmcnt(0)
	s_barrier
	s_cbranch_vccnz .LBB231_28
; %bb.27:                               ;   in Loop: Header=BB231_21 Depth=1
	v_lshl_add_u64 v[86:87], v[32:33], 0, v[34:35]
	flat_load_ushort v85, v[86:87]
	s_waitcnt vmcnt(0) lgkmcnt(0)
	v_mul_f16_e32 v85, v50, v85
	s_branch .LBB231_29
.LBB231_28:                             ;   in Loop: Header=BB231_21 Depth=1
	v_mov_b32_e32 v85, 0
.LBB231_29:                             ;   in Loop: Header=BB231_21 Depth=1
	v_pk_max_f16 v106, v2, v2
	v_pk_max_f16 v102, v20, v20
	;; [unrolled: 1-line block ×17, first 2 shown]
	v_pk_min_f16 v2, v106, v102
	v_pk_min_f16 v20, v106, v103
	;; [unrolled: 1-line block ×26, first 2 shown]
	v_pk_max_f16 v0, v3, v3
	v_pk_max_f16 v108, v17, v17
	;; [unrolled: 1-line block ×5, first 2 shown]
	v_pk_min_f16 v117, v5, v125
	v_pk_min_f16 v118, v5, v126
	;; [unrolled: 1-line block ×4, first 2 shown]
	v_pk_max_f16 v5, v7, v7
	v_pk_max_f16 v1, v1, v1
	v_pk_min_f16 v89, v89, v107
	v_pk_min_f16 v92, v92, v107
	;; [unrolled: 1-line block ×33, first 2 shown]
	s_and_b64 vcc, exec, s[4:5]
	v_pk_min_f16 v7, v0, v128
	s_cbranch_vccz .LBB231_19
; %bb.30:                               ;   in Loop: Header=BB231_21 Depth=1
	v_mov_b32_e32 v0, 0
	v_mov_b32_e32 v1, 0
	s_branch .LBB231_20
.LBB231_31:
	s_load_dword s12, s[0:1], 0x58
	ds_read_b64 v[20:21], v62 offset:1024
	ds_read_b64 v[26:27], v61 offset:2560
	v_add_u32_e32 v28, s19, v52
	v_cmp_neq_f16_e64 s[4:5], 0, v40
	v_add_u32_e32 v16, s18, v51
	s_waitcnt lgkmcnt(0)
	v_mad_i64_i32 v[0:1], s[2:3], v28, s12, 0
	v_ashrrev_i32_e32 v17, 31, v16
	v_lshl_add_u64 v[22:23], v[0:1], 1, s[8:9]
	s_and_b64 vcc, exec, s[4:5]
	v_mov_b32_e32 v33, 0
	v_mov_b32_e32 v31, 0
	s_cbranch_vccz .LBB231_33
; %bb.32:
	v_lshl_add_u64 v[0:1], v[16:17], 1, v[22:23]
	flat_load_ushort v0, v[0:1]
	s_waitcnt vmcnt(0) lgkmcnt(0)
	v_mul_f16_e32 v31, v40, v0
.LBB231_33:
	ds_read_b64 v[24:25], v61 offset:3008
	ds_read_b64 v[18:19], v62 offset:1792
	ds_read2_b64 v[0:3], v62 offset0:160 offset1:192
	s_load_dword s13, s[0:1], 0x70
	s_load_dwordx2 s[2:3], s[0:1], 0x78
	v_add_u32_e32 v4, 0x800, v61
	v_pk_max_f16 v61, v20, v20
	v_pk_max_f16 v29, v26, v26
	ds_read2_b64 v[12:15], v4 offset0:72 offset1:80
	ds_read2_b64 v[8:11], v4 offset0:88 offset1:96
	ds_read2_b64 v[4:7], v4 offset0:104 offset1:112
	v_pk_min_f16 v20, v29, v61
	v_pk_max_f16 v62, v21, v21
	v_pk_max_f16 v30, v27, v27
	s_waitcnt lgkmcnt(0)
	s_lshl_b64 s[0:1], s[2:3], 1
	v_pk_add_f16 v20, v20, v79
	v_pk_min_f16 v21, v30, v62
	s_add_u32 s2, s10, s0
	v_pk_add_f16 v32, v21, v20
	s_addc_u32 s3, s11, s1
	v_mad_i64_i32 v[26:27], s[0:1], v28, s13, 0
	v_add_f16_sdwa v32, v32, v32 dst_sel:DWORD dst_unused:UNUSED_PAD src0_sel:DWORD src1_sel:WORD_1
	v_add_u32_e32 v20, 8, v16
	v_lshl_add_u64 v[26:27], v[26:27], 1, s[2:3]
	v_add_f16_e32 v31, v32, v31
	v_cndmask_b32_e64 v32, 0, 1, s[4:5]
	v_ashrrev_i32_e32 v21, 31, v20
	v_lshl_add_u64 v[34:35], v[16:17], 1, v[26:27]
	v_cmp_ne_u32_e64 s[0:1], 1, v32
	s_andn2_b64 vcc, exec, s[4:5]
	global_store_short v[34:35], v31, off
	s_cbranch_vccnz .LBB231_35
; %bb.34:
	v_lshl_add_u64 v[32:33], v[20:21], 1, v[22:23]
	flat_load_ushort v31, v[32:33]
	s_waitcnt vmcnt(0) lgkmcnt(0)
	v_mul_f16_e32 v33, v40, v31
.LBB231_35:
	v_pk_max_f16 v31, v12, v12
	v_pk_max_f16 v32, v13, v13
	v_pk_min_f16 v12, v31, v61
	v_pk_min_f16 v13, v32, v62
	v_pk_add_f16 v12, v12, v78
	s_and_b64 vcc, exec, s[0:1]
	v_pk_add_f16 v12, v13, v12
	v_mov_b32_e32 v37, 0
	v_add_f16_sdwa v34, v12, v12 dst_sel:DWORD dst_unused:UNUSED_PAD src0_sel:DWORD src1_sel:WORD_1
	v_add_u32_e32 v12, 16, v16
	v_add_f16_e32 v33, v34, v33
	v_lshl_add_u64 v[34:35], v[20:21], 1, v[26:27]
	v_ashrrev_i32_e32 v13, 31, v12
	global_store_short v[34:35], v33, off
	v_mov_b32_e32 v35, 0
	s_cbranch_vccnz .LBB231_37
; %bb.36:
	v_lshl_add_u64 v[34:35], v[12:13], 1, v[22:23]
	flat_load_ushort v33, v[34:35]
	s_waitcnt vmcnt(0) lgkmcnt(0)
	v_mul_f16_e32 v35, v40, v33
.LBB231_37:
	v_pk_max_f16 v33, v14, v14
	v_pk_max_f16 v34, v15, v15
	v_pk_min_f16 v14, v33, v61
	v_pk_min_f16 v15, v34, v62
	v_pk_add_f16 v14, v14, v77
	v_lshl_add_u64 v[38:39], v[12:13], 1, v[26:27]
	v_pk_add_f16 v14, v15, v14
	s_and_b64 vcc, exec, s[0:1]
	v_add_f16_sdwa v36, v14, v14 dst_sel:DWORD dst_unused:UNUSED_PAD src0_sel:DWORD src1_sel:WORD_1
	v_add_u32_e32 v14, 24, v16
	v_ashrrev_i32_e32 v15, 31, v14
	v_add_f16_e32 v35, v36, v35
	global_store_short v[38:39], v35, off
	s_cbranch_vccnz .LBB231_39
; %bb.38:
	v_lshl_add_u64 v[36:37], v[14:15], 1, v[22:23]
	flat_load_ushort v35, v[36:37]
	s_waitcnt vmcnt(0) lgkmcnt(0)
	v_mul_f16_e32 v37, v40, v35
.LBB231_39:
	v_pk_max_f16 v35, v8, v8
	v_pk_max_f16 v36, v9, v9
	v_pk_min_f16 v8, v35, v61
	v_pk_min_f16 v9, v36, v62
	v_pk_add_f16 v8, v8, v76
	s_and_b64 vcc, exec, s[0:1]
	v_pk_add_f16 v8, v9, v8
	v_mov_b32_e32 v51, 0
	v_add_f16_sdwa v38, v8, v8 dst_sel:DWORD dst_unused:UNUSED_PAD src0_sel:DWORD src1_sel:WORD_1
	v_add_u32_e32 v8, 32, v16
	v_add_f16_e32 v37, v38, v37
	v_lshl_add_u64 v[38:39], v[14:15], 1, v[26:27]
	v_ashrrev_i32_e32 v9, 31, v8
	global_store_short v[38:39], v37, off
	v_mov_b32_e32 v39, 0
	s_cbranch_vccnz .LBB231_41
; %bb.40:
	v_lshl_add_u64 v[38:39], v[8:9], 1, v[22:23]
	flat_load_ushort v37, v[38:39]
	s_waitcnt vmcnt(0) lgkmcnt(0)
	v_mul_f16_e32 v39, v40, v37
.LBB231_41:
	v_pk_max_f16 v37, v10, v10
	v_pk_max_f16 v38, v11, v11
	v_pk_min_f16 v10, v37, v61
	v_pk_min_f16 v11, v38, v62
	v_pk_add_f16 v10, v10, v75
	v_lshl_add_u64 v[76:77], v[8:9], 1, v[26:27]
	v_pk_add_f16 v10, v11, v10
	s_and_b64 vcc, exec, s[0:1]
	v_add_f16_sdwa v50, v10, v10 dst_sel:DWORD dst_unused:UNUSED_PAD src0_sel:DWORD src1_sel:WORD_1
	v_add_u32_e32 v10, 40, v16
	v_ashrrev_i32_e32 v11, 31, v10
	v_add_f16_e32 v39, v50, v39
	global_store_short v[76:77], v39, off
	s_cbranch_vccnz .LBB231_43
; %bb.42:
	v_lshl_add_u64 v[50:51], v[10:11], 1, v[22:23]
	flat_load_ushort v39, v[50:51]
	s_waitcnt vmcnt(0) lgkmcnt(0)
	v_mul_f16_e32 v51, v40, v39
.LBB231_43:
	v_pk_max_f16 v39, v4, v4
	v_pk_max_f16 v50, v5, v5
	v_pk_min_f16 v4, v39, v61
	v_pk_min_f16 v5, v50, v62
	v_pk_add_f16 v4, v4, v74
	v_lshl_add_u64 v[74:75], v[10:11], 1, v[26:27]
	v_pk_add_f16 v4, v5, v4
	s_and_b64 vcc, exec, s[0:1]
	v_add_f16_sdwa v52, v4, v4 dst_sel:DWORD dst_unused:UNUSED_PAD src0_sel:DWORD src1_sel:WORD_1
	v_add_u32_e32 v4, 48, v16
	v_ashrrev_i32_e32 v5, 31, v4
	v_add_f16_e32 v51, v52, v51
	v_mov_b32_e32 v70, 0
	v_mov_b32_e32 v72, 0
	global_store_short v[74:75], v51, off
	s_cbranch_vccnz .LBB231_45
; %bb.44:
	v_lshl_add_u64 v[74:75], v[4:5], 1, v[22:23]
	flat_load_ushort v51, v[74:75]
	s_waitcnt vmcnt(0) lgkmcnt(0)
	v_mul_f16_e32 v72, v40, v51
.LBB231_45:
	v_pk_max_f16 v51, v6, v6
	v_pk_max_f16 v52, v7, v7
	v_pk_min_f16 v6, v51, v61
	v_pk_min_f16 v7, v52, v62
	v_pk_add_f16 v6, v6, v73
	s_and_b64 vcc, exec, s[0:1]
	v_pk_add_f16 v6, v7, v6
	s_nop 0
	v_add_f16_sdwa v73, v6, v6 dst_sel:DWORD dst_unused:UNUSED_PAD src0_sel:DWORD src1_sel:WORD_1
	v_add_u32_e32 v6, 56, v16
	v_ashrrev_i32_e32 v7, 31, v6
	v_add_f16_e32 v74, v73, v72
	v_lshl_add_u64 v[72:73], v[4:5], 1, v[26:27]
	global_store_short v[72:73], v74, off
	s_cbranch_vccnz .LBB231_47
; %bb.46:
	v_lshl_add_u64 v[22:23], v[6:7], 1, v[22:23]
	flat_load_ushort v22, v[22:23]
	s_waitcnt vmcnt(0) lgkmcnt(0)
	v_mul_f16_e32 v70, v40, v22
.LBB231_47:
	v_pk_max_f16 v24, v24, v24
	v_pk_max_f16 v25, v25, v25
	v_pk_min_f16 v22, v24, v61
	v_pk_min_f16 v23, v25, v62
	v_pk_add_f16 v22, v22, v71
	v_add_u32_e32 v62, 32, v28
	v_pk_add_f16 v22, v23, v22
	s_and_b64 vcc, exec, s[0:1]
	v_add_f16_sdwa v22, v22, v22 dst_sel:DWORD dst_unused:UNUSED_PAD src0_sel:DWORD src1_sel:WORD_1
	v_add_f16_e32 v61, v22, v70
	v_lshl_add_u64 v[22:23], v[6:7], 1, v[26:27]
	global_store_short v[22:23], v61, off
	v_mad_i64_i32 v[22:23], s[4:5], v62, s12, 0
	v_lshl_add_u64 v[22:23], v[22:23], 1, s[8:9]
	v_mov_b32_e32 v61, 0
	v_mov_b32_e32 v70, 0
	s_cbranch_vccnz .LBB231_49
; %bb.48:
	v_lshl_add_u64 v[26:27], v[16:17], 1, v[22:23]
	flat_load_ushort v26, v[26:27]
	s_waitcnt vmcnt(0) lgkmcnt(0)
	v_mul_f16_e32 v70, v40, v26
.LBB231_49:
	v_pk_max_f16 v26, v0, v0
	v_pk_max_f16 v27, v1, v1
	v_pk_min_f16 v0, v29, v26
	v_pk_min_f16 v1, v30, v27
	v_pk_add_f16 v0, v0, v69
	s_and_b64 vcc, exec, s[0:1]
	v_pk_add_f16 v69, v1, v0
	v_mad_i64_i32 v[0:1], s[4:5], v62, s13, 0
	v_lshl_add_u64 v[0:1], v[0:1], 1, s[2:3]
	v_add_f16_sdwa v62, v69, v69 dst_sel:DWORD dst_unused:UNUSED_PAD src0_sel:DWORD src1_sel:WORD_1
	v_add_f16_e32 v62, v62, v70
	v_lshl_add_u64 v[70:71], v[16:17], 1, v[0:1]
	global_store_short v[70:71], v62, off
	s_cbranch_vccnz .LBB231_51
; %bb.50:
	v_lshl_add_u64 v[70:71], v[20:21], 1, v[22:23]
	flat_load_ushort v61, v[70:71]
	s_waitcnt vmcnt(0) lgkmcnt(0)
	v_mul_f16_e32 v61, v40, v61
.LBB231_51:
	v_pk_min_f16 v62, v31, v26
	s_and_b64 vcc, exec, s[0:1]
	v_pk_add_f16 v62, v62, v68
	v_pk_min_f16 v68, v32, v27
	s_nop 0
	v_pk_add_f16 v62, v68, v62
	v_lshl_add_u64 v[68:69], v[20:21], 1, v[0:1]
	v_add_f16_sdwa v62, v62, v62 dst_sel:DWORD dst_unused:UNUSED_PAD src0_sel:DWORD src1_sel:WORD_1
	v_add_f16_e32 v61, v62, v61
	global_store_short v[68:69], v61, off
	v_mov_b32_e32 v61, 0
	v_mov_b32_e32 v62, 0
	s_cbranch_vccnz .LBB231_53
; %bb.52:
	v_lshl_add_u64 v[68:69], v[12:13], 1, v[22:23]
	flat_load_ushort v62, v[68:69]
	s_waitcnt vmcnt(0) lgkmcnt(0)
	v_mul_f16_e32 v62, v40, v62
.LBB231_53:
	v_pk_min_f16 v68, v33, v26
	s_and_b64 vcc, exec, s[0:1]
	v_pk_add_f16 v66, v68, v66
	v_pk_min_f16 v68, v34, v27
	s_nop 0
	v_pk_add_f16 v66, v68, v66
	v_lshl_add_u64 v[68:69], v[12:13], 1, v[0:1]
	v_add_f16_sdwa v66, v66, v66 dst_sel:DWORD dst_unused:UNUSED_PAD src0_sel:DWORD src1_sel:WORD_1
	v_add_f16_e32 v62, v66, v62
	global_store_short v[68:69], v62, off
	s_cbranch_vccnz .LBB231_55
; %bb.54:
	v_lshl_add_u64 v[68:69], v[14:15], 1, v[22:23]
	flat_load_ushort v61, v[68:69]
	s_waitcnt vmcnt(0) lgkmcnt(0)
	v_mul_f16_e32 v61, v40, v61
.LBB231_55:
	v_pk_min_f16 v62, v35, v26
	v_lshl_add_u64 v[68:69], v[14:15], 1, v[0:1]
	v_pk_add_f16 v62, v62, v65
	v_pk_min_f16 v65, v36, v27
	s_and_b64 vcc, exec, s[0:1]
	v_pk_add_f16 v62, v65, v62
	s_nop 0
	v_add_f16_sdwa v62, v62, v62 dst_sel:DWORD dst_unused:UNUSED_PAD src0_sel:DWORD src1_sel:WORD_1
	v_add_f16_e32 v61, v62, v61
	global_store_short v[68:69], v61, off
	v_mov_b32_e32 v61, 0
	v_mov_b32_e32 v62, 0
	s_cbranch_vccnz .LBB231_57
; %bb.56:
	v_lshl_add_u64 v[68:69], v[8:9], 1, v[22:23]
	flat_load_ushort v62, v[68:69]
	s_waitcnt vmcnt(0) lgkmcnt(0)
	v_mul_f16_e32 v62, v40, v62
.LBB231_57:
	v_pk_min_f16 v65, v37, v26
	s_and_b64 vcc, exec, s[0:1]
	v_pk_add_f16 v64, v65, v64
	v_pk_min_f16 v65, v38, v27
	s_nop 0
	v_pk_add_f16 v64, v65, v64
	s_nop 0
	v_add_f16_sdwa v64, v64, v64 dst_sel:DWORD dst_unused:UNUSED_PAD src0_sel:DWORD src1_sel:WORD_1
	v_add_f16_e32 v62, v64, v62
	v_lshl_add_u64 v[64:65], v[8:9], 1, v[0:1]
	global_store_short v[64:65], v62, off
	s_cbranch_vccnz .LBB231_59
; %bb.58:
	v_lshl_add_u64 v[64:65], v[10:11], 1, v[22:23]
	flat_load_ushort v61, v[64:65]
	s_waitcnt vmcnt(0) lgkmcnt(0)
	v_mul_f16_e32 v61, v40, v61
.LBB231_59:
	v_pk_min_f16 v62, v39, v26
	v_pk_min_f16 v64, v50, v27
	v_pk_add_f16 v62, v62, v67
	s_and_b64 vcc, exec, s[0:1]
	v_pk_add_f16 v62, v64, v62
	v_lshl_add_u64 v[64:65], v[10:11], 1, v[0:1]
	v_add_f16_sdwa v62, v62, v62 dst_sel:DWORD dst_unused:UNUSED_PAD src0_sel:DWORD src1_sel:WORD_1
	v_add_f16_e32 v61, v62, v61
	global_store_short v[64:65], v61, off
	v_mov_b32_e32 v61, 0
	v_mov_b32_e32 v62, 0
	s_cbranch_vccnz .LBB231_61
; %bb.60:
	v_lshl_add_u64 v[64:65], v[4:5], 1, v[22:23]
	flat_load_ushort v62, v[64:65]
	s_waitcnt vmcnt(0) lgkmcnt(0)
	v_mul_f16_e32 v62, v40, v62
.LBB231_61:
	v_pk_min_f16 v64, v51, v26
	s_and_b64 vcc, exec, s[0:1]
	v_pk_add_f16 v63, v64, v63
	v_pk_min_f16 v64, v52, v27
	s_nop 0
	v_pk_add_f16 v63, v64, v63
	s_nop 0
	v_add_f16_sdwa v63, v63, v63 dst_sel:DWORD dst_unused:UNUSED_PAD src0_sel:DWORD src1_sel:WORD_1
	v_add_f16_e32 v64, v63, v62
	v_lshl_add_u64 v[62:63], v[4:5], 1, v[0:1]
	global_store_short v[62:63], v64, off
	s_cbranch_vccnz .LBB231_63
; %bb.62:
	v_lshl_add_u64 v[22:23], v[6:7], 1, v[22:23]
	flat_load_ushort v22, v[22:23]
	s_waitcnt vmcnt(0) lgkmcnt(0)
	v_mul_f16_e32 v61, v40, v22
.LBB231_63:
	v_pk_min_f16 v22, v24, v26
	v_pk_min_f16 v23, v25, v27
	v_pk_add_f16 v22, v22, v60
	v_lshl_add_u64 v[0:1], v[6:7], 1, v[0:1]
	v_pk_add_f16 v22, v23, v22
	v_add_u32_e32 v27, 64, v28
	v_add_f16_sdwa v22, v22, v22 dst_sel:DWORD dst_unused:UNUSED_PAD src0_sel:DWORD src1_sel:WORD_1
	v_add_f16_e32 v22, v22, v61
	global_store_short v[0:1], v22, off
	v_mad_i64_i32 v[0:1], s[4:5], v27, s12, 0
	v_lshl_add_u64 v[0:1], v[0:1], 1, s[8:9]
	s_and_b64 vcc, exec, s[0:1]
	v_mov_b32_e32 v26, 0
	v_mov_b32_e32 v60, 0
	s_cbranch_vccnz .LBB231_65
; %bb.64:
	v_lshl_add_u64 v[22:23], v[16:17], 1, v[0:1]
	flat_load_ushort v22, v[22:23]
	s_waitcnt vmcnt(0) lgkmcnt(0)
	v_mul_f16_e32 v60, v40, v22
.LBB231_65:
	v_pk_max_f16 v22, v2, v2
	v_pk_max_f16 v23, v3, v3
	v_pk_min_f16 v2, v29, v22
	v_pk_min_f16 v3, v30, v23
	v_pk_add_f16 v2, v2, v59
	s_and_b64 vcc, exec, s[0:1]
	v_pk_add_f16 v59, v3, v2
	v_mad_i64_i32 v[2:3], s[4:5], v27, s13, 0
	v_lshl_add_u64 v[2:3], v[2:3], 1, s[2:3]
	v_add_f16_sdwa v27, v59, v59 dst_sel:DWORD dst_unused:UNUSED_PAD src0_sel:DWORD src1_sel:WORD_1
	v_add_f16_e32 v27, v27, v60
	v_lshl_add_u64 v[60:61], v[16:17], 1, v[2:3]
	global_store_short v[60:61], v27, off
	s_cbranch_vccnz .LBB231_67
; %bb.66:
	v_lshl_add_u64 v[26:27], v[20:21], 1, v[0:1]
	flat_load_ushort v26, v[26:27]
	s_waitcnt vmcnt(0) lgkmcnt(0)
	v_mul_f16_e32 v26, v40, v26
.LBB231_67:
	v_pk_min_f16 v27, v31, v22
	s_and_b64 vcc, exec, s[0:1]
	v_pk_add_f16 v27, v27, v58
	v_pk_min_f16 v58, v32, v23
	s_nop 0
	v_pk_add_f16 v27, v58, v27
	s_nop 0
	v_add_f16_sdwa v27, v27, v27 dst_sel:DWORD dst_unused:UNUSED_PAD src0_sel:DWORD src1_sel:WORD_1
	v_add_f16_e32 v58, v27, v26
	v_lshl_add_u64 v[26:27], v[20:21], 1, v[2:3]
	global_store_short v[26:27], v58, off
	v_mov_b32_e32 v26, 0
	v_mov_b32_e32 v27, 0
	s_cbranch_vccnz .LBB231_69
; %bb.68:
	v_lshl_add_u64 v[58:59], v[12:13], 1, v[0:1]
	flat_load_ushort v27, v[58:59]
	s_waitcnt vmcnt(0) lgkmcnt(0)
	v_mul_f16_e32 v27, v40, v27
.LBB231_69:
	v_pk_min_f16 v58, v33, v22
	s_and_b64 vcc, exec, s[0:1]
	v_pk_add_f16 v57, v58, v57
	v_pk_min_f16 v58, v34, v23
	s_nop 0
	v_pk_add_f16 v57, v58, v57
	v_lshl_add_u64 v[58:59], v[12:13], 1, v[2:3]
	v_add_f16_sdwa v57, v57, v57 dst_sel:DWORD dst_unused:UNUSED_PAD src0_sel:DWORD src1_sel:WORD_1
	v_add_f16_e32 v27, v57, v27
	global_store_short v[58:59], v27, off
	s_cbranch_vccnz .LBB231_71
; %bb.70:
	v_lshl_add_u64 v[26:27], v[14:15], 1, v[0:1]
	flat_load_ushort v26, v[26:27]
	s_waitcnt vmcnt(0) lgkmcnt(0)
	v_mul_f16_e32 v26, v40, v26
.LBB231_71:
	v_pk_min_f16 v27, v35, v22
	s_and_b64 vcc, exec, s[0:1]
	v_pk_add_f16 v27, v27, v55
	v_pk_min_f16 v55, v36, v23
	s_nop 0
	v_pk_add_f16 v27, v55, v27
	s_nop 0
	v_add_f16_sdwa v27, v27, v27 dst_sel:DWORD dst_unused:UNUSED_PAD src0_sel:DWORD src1_sel:WORD_1
	v_add_f16_e32 v55, v27, v26
	v_lshl_add_u64 v[26:27], v[14:15], 1, v[2:3]
	global_store_short v[26:27], v55, off
	v_mov_b32_e32 v26, 0
	v_mov_b32_e32 v27, 0
	s_cbranch_vccnz .LBB231_73
; %bb.72:
	v_lshl_add_u64 v[58:59], v[8:9], 1, v[0:1]
	flat_load_ushort v27, v[58:59]
	s_waitcnt vmcnt(0) lgkmcnt(0)
	v_mul_f16_e32 v27, v40, v27
.LBB231_73:
	v_pk_min_f16 v55, v37, v22
	s_and_b64 vcc, exec, s[0:1]
	v_pk_add_f16 v54, v55, v54
	v_pk_min_f16 v55, v38, v23
	s_nop 0
	v_pk_add_f16 v54, v55, v54
	s_nop 0
	v_add_f16_sdwa v54, v54, v54 dst_sel:DWORD dst_unused:UNUSED_PAD src0_sel:DWORD src1_sel:WORD_1
	v_add_f16_e32 v27, v54, v27
	v_lshl_add_u64 v[54:55], v[8:9], 1, v[2:3]
	global_store_short v[54:55], v27, off
	s_cbranch_vccnz .LBB231_75
; %bb.74:
	v_lshl_add_u64 v[26:27], v[10:11], 1, v[0:1]
	flat_load_ushort v26, v[26:27]
	s_waitcnt vmcnt(0) lgkmcnt(0)
	v_mul_f16_e32 v26, v40, v26
.LBB231_75:
	v_pk_min_f16 v27, v39, v22
	v_pk_min_f16 v54, v50, v23
	v_pk_add_f16 v27, v27, v56
	s_and_b64 vcc, exec, s[0:1]
	v_pk_add_f16 v27, v54, v27
	s_nop 0
	v_add_f16_sdwa v27, v27, v27 dst_sel:DWORD dst_unused:UNUSED_PAD src0_sel:DWORD src1_sel:WORD_1
	v_add_f16_e32 v54, v27, v26
	v_lshl_add_u64 v[26:27], v[10:11], 1, v[2:3]
	global_store_short v[26:27], v54, off
	v_mov_b32_e32 v26, 0
	v_mov_b32_e32 v27, 0
	s_cbranch_vccnz .LBB231_77
; %bb.76:
	v_lshl_add_u64 v[54:55], v[4:5], 1, v[0:1]
	flat_load_ushort v27, v[54:55]
	s_waitcnt vmcnt(0) lgkmcnt(0)
	v_mul_f16_e32 v27, v40, v27
.LBB231_77:
	v_pk_min_f16 v54, v51, v22
	s_and_b64 vcc, exec, s[0:1]
	v_pk_add_f16 v53, v54, v53
	v_pk_min_f16 v54, v52, v23
	s_nop 0
	v_pk_add_f16 v53, v54, v53
	v_lshl_add_u64 v[54:55], v[4:5], 1, v[2:3]
	v_add_f16_sdwa v53, v53, v53 dst_sel:DWORD dst_unused:UNUSED_PAD src0_sel:DWORD src1_sel:WORD_1
	v_add_f16_e32 v27, v53, v27
	global_store_short v[54:55], v27, off
	s_cbranch_vccnz .LBB231_79
; %bb.78:
	v_lshl_add_u64 v[0:1], v[6:7], 1, v[0:1]
	flat_load_ushort v0, v[0:1]
	s_waitcnt vmcnt(0) lgkmcnt(0)
	v_mul_f16_e32 v26, v40, v0
.LBB231_79:
	v_pk_min_f16 v0, v24, v22
	v_pk_min_f16 v1, v25, v23
	v_pk_add_f16 v0, v0, v49
	s_and_b64 vcc, exec, s[0:1]
	v_pk_add_f16 v0, v1, v0
	v_mov_b32_e32 v23, 0
	v_add_f16_sdwa v0, v0, v0 dst_sel:DWORD dst_unused:UNUSED_PAD src0_sel:DWORD src1_sel:WORD_1
	v_add_f16_e32 v22, v0, v26
	v_lshl_add_u64 v[0:1], v[6:7], 1, v[2:3]
	v_add_u32_e32 v2, 0x60, v28
	global_store_short v[0:1], v22, off
	v_mad_i64_i32 v[0:1], s[4:5], v2, s12, 0
	v_lshl_add_u64 v[0:1], v[0:1], 1, s[8:9]
	v_mov_b32_e32 v22, 0
	s_cbranch_vccnz .LBB231_81
; %bb.80:
	v_lshl_add_u64 v[26:27], v[16:17], 1, v[0:1]
	flat_load_ushort v3, v[26:27]
	s_waitcnt vmcnt(0) lgkmcnt(0)
	v_mul_f16_e32 v23, v40, v3
.LBB231_81:
	v_pk_max_f16 v18, v18, v18
	v_pk_max_f16 v19, v19, v19
	v_pk_min_f16 v3, v29, v18
	v_pk_min_f16 v26, v30, v19
	v_pk_add_f16 v3, v3, v48
	s_and_b64 vcc, exec, s[0:1]
	v_pk_add_f16 v26, v26, v3
	v_mad_i64_i32 v[2:3], s[4:5], v2, s13, 0
	v_lshl_add_u64 v[2:3], v[2:3], 1, s[2:3]
	v_add_f16_sdwa v26, v26, v26 dst_sel:DWORD dst_unused:UNUSED_PAD src0_sel:DWORD src1_sel:WORD_1
	v_add_f16_e32 v23, v26, v23
	v_lshl_add_u64 v[16:17], v[16:17], 1, v[2:3]
	global_store_short v[16:17], v23, off
	s_cbranch_vccnz .LBB231_83
; %bb.82:
	v_lshl_add_u64 v[16:17], v[20:21], 1, v[0:1]
	flat_load_ushort v16, v[16:17]
	s_waitcnt vmcnt(0) lgkmcnt(0)
	v_mul_f16_e32 v22, v40, v16
.LBB231_83:
	v_pk_min_f16 v16, v31, v18
	v_pk_min_f16 v17, v32, v19
	v_pk_add_f16 v16, v16, v45
	s_and_b64 vcc, exec, s[0:1]
	v_pk_add_f16 v16, v17, v16
	s_nop 0
	v_add_f16_sdwa v16, v16, v16 dst_sel:DWORD dst_unused:UNUSED_PAD src0_sel:DWORD src1_sel:WORD_1
	v_add_f16_e32 v22, v16, v22
	v_lshl_add_u64 v[16:17], v[20:21], 1, v[2:3]
	global_store_short v[16:17], v22, off
	v_mov_b32_e32 v16, 0
	v_mov_b32_e32 v17, 0
	s_cbranch_vccnz .LBB231_85
; %bb.84:
	v_lshl_add_u64 v[20:21], v[12:13], 1, v[0:1]
	flat_load_ushort v17, v[20:21]
	s_waitcnt vmcnt(0) lgkmcnt(0)
	v_mul_f16_e32 v17, v40, v17
.LBB231_85:
	v_pk_min_f16 v20, v33, v18
	v_pk_min_f16 v21, v34, v19
	v_pk_add_f16 v20, v20, v44
	v_lshl_add_u64 v[12:13], v[12:13], 1, v[2:3]
	v_pk_add_f16 v20, v21, v20
	s_and_b64 vcc, exec, s[0:1]
	v_add_f16_sdwa v20, v20, v20 dst_sel:DWORD dst_unused:UNUSED_PAD src0_sel:DWORD src1_sel:WORD_1
	v_add_f16_e32 v17, v20, v17
	global_store_short v[12:13], v17, off
	s_cbranch_vccnz .LBB231_87
; %bb.86:
	v_lshl_add_u64 v[12:13], v[14:15], 1, v[0:1]
	flat_load_ushort v12, v[12:13]
	s_waitcnt vmcnt(0) lgkmcnt(0)
	v_mul_f16_e32 v16, v40, v12
.LBB231_87:
	v_pk_min_f16 v12, v35, v18
	v_pk_min_f16 v13, v36, v19
	v_pk_add_f16 v12, v12, v42
	s_and_b64 vcc, exec, s[0:1]
	v_pk_add_f16 v12, v13, v12
	s_nop 0
	v_add_f16_sdwa v12, v12, v12 dst_sel:DWORD dst_unused:UNUSED_PAD src0_sel:DWORD src1_sel:WORD_1
	v_add_f16_e32 v16, v12, v16
	v_lshl_add_u64 v[12:13], v[14:15], 1, v[2:3]
	global_store_short v[12:13], v16, off
	v_mov_b32_e32 v12, 0
	v_mov_b32_e32 v13, 0
	s_cbranch_vccnz .LBB231_89
; %bb.88:
	v_lshl_add_u64 v[14:15], v[8:9], 1, v[0:1]
	flat_load_ushort v13, v[14:15]
	s_waitcnt vmcnt(0) lgkmcnt(0)
	v_mul_f16_e32 v13, v40, v13
.LBB231_89:
	v_pk_min_f16 v14, v37, v18
	v_pk_min_f16 v15, v38, v19
	v_pk_add_f16 v14, v14, v46
	v_lshl_add_u64 v[8:9], v[8:9], 1, v[2:3]
	v_pk_add_f16 v14, v15, v14
	s_and_b64 vcc, exec, s[0:1]
	v_add_f16_sdwa v14, v14, v14 dst_sel:DWORD dst_unused:UNUSED_PAD src0_sel:DWORD src1_sel:WORD_1
	v_add_f16_e32 v13, v14, v13
	global_store_short v[8:9], v13, off
	s_cbranch_vccnz .LBB231_91
; %bb.90:
	v_lshl_add_u64 v[8:9], v[10:11], 1, v[0:1]
	flat_load_ushort v8, v[8:9]
	s_waitcnt vmcnt(0) lgkmcnt(0)
	v_mul_f16_e32 v12, v40, v8
.LBB231_91:
	v_pk_min_f16 v8, v39, v18
	v_pk_min_f16 v9, v50, v19
	v_pk_add_f16 v8, v8, v43
	v_pk_min_f16 v13, v52, v19
	v_pk_add_f16 v8, v9, v8
	v_pk_min_f16 v9, v51, v18
	v_add_f16_sdwa v8, v8, v8 dst_sel:DWORD dst_unused:UNUSED_PAD src0_sel:DWORD src1_sel:WORD_1
	v_pk_add_f16 v9, v9, v47
	v_add_f16_e32 v12, v8, v12
	v_pk_add_f16 v13, v13, v9
	v_lshl_add_u64 v[8:9], v[10:11], 1, v[2:3]
	global_store_short v[8:9], v12, off
	v_add_f16_sdwa v8, v13, v13 dst_sel:DWORD dst_unused:UNUSED_PAD src0_sel:DWORD src1_sel:WORD_1
	s_mov_b64 vcc, s[6:7]
	s_cbranch_vccz .LBB231_94
; %bb.92:
	v_add_f16_e32 v9, 0, v8
	v_lshl_add_u64 v[10:11], v[4:5], 1, v[2:3]
	s_mov_b32 s2, 0
	global_store_short v[10:11], v9, off
	s_cbranch_execz .LBB231_95
; %bb.93:
	v_mov_b32_e32 v0, s2
	s_branch .LBB231_96
.LBB231_94:
                                        ; implicit-def: $sgpr2
.LBB231_95:
	v_lshlrev_b64 v[4:5], 1, v[4:5]
	v_lshl_add_u64 v[10:11], v[0:1], 0, v[4:5]
	flat_load_ushort v9, v[10:11]
	v_lshl_add_u64 v[4:5], v[2:3], 0, v[4:5]
	v_lshl_add_u64 v[0:1], v[6:7], 1, v[0:1]
	s_waitcnt vmcnt(0) lgkmcnt(0)
	v_fma_f16 v8, v40, v9, v8
	global_store_short v[4:5], v8, off
	flat_load_ushort v0, v[0:1]
	s_waitcnt vmcnt(0) lgkmcnt(0)
	v_mul_f16_e32 v0, v40, v0
.LBB231_96:
	v_pk_min_f16 v4, v24, v18
	v_pk_min_f16 v1, v25, v19
	v_pk_add_f16 v4, v4, v41
	s_nop 0
	v_pk_add_f16 v1, v1, v4
	s_nop 0
	v_add_f16_sdwa v1, v1, v1 dst_sel:DWORD dst_unused:UNUSED_PAD src0_sel:DWORD src1_sel:WORD_1
	v_add_f16_e32 v4, v1, v0
	v_lshl_add_u64 v[0:1], v[6:7], 1, v[2:3]
	global_store_short v[0:1], v4, off
	s_endpgm
	.section	.rodata,"a",@progbits
	.p2align	6, 0x0
	.amdhsa_kernel _ZN12_GLOBAL__N_120geam_min_plus_kernelIDF16_Dv2_DF16_S1_Li8ELi32ELi64ELi128ELi4ELi64ELi4ELi4ELi64ELc78ELc78ELb0ELb0ELb0EPKDF16_KS3_KPDF16_EEviiiT16_PT17_ilS9_ilS7_S9_ilPT18_ili26rocblas_geam_ex_operation_
		.amdhsa_group_segment_fixed_size 3072
		.amdhsa_private_segment_fixed_size 0
		.amdhsa_kernarg_size 136
		.amdhsa_user_sgpr_count 2
		.amdhsa_user_sgpr_dispatch_ptr 0
		.amdhsa_user_sgpr_queue_ptr 0
		.amdhsa_user_sgpr_kernarg_segment_ptr 1
		.amdhsa_user_sgpr_dispatch_id 0
		.amdhsa_user_sgpr_kernarg_preload_length 0
		.amdhsa_user_sgpr_kernarg_preload_offset 0
		.amdhsa_user_sgpr_private_segment_size 0
		.amdhsa_uses_dynamic_stack 0
		.amdhsa_enable_private_segment 0
		.amdhsa_system_sgpr_workgroup_id_x 1
		.amdhsa_system_sgpr_workgroup_id_y 0
		.amdhsa_system_sgpr_workgroup_id_z 1
		.amdhsa_system_sgpr_workgroup_info 0
		.amdhsa_system_vgpr_workitem_id 1
		.amdhsa_next_free_vgpr 129
		.amdhsa_next_free_sgpr 24
		.amdhsa_accum_offset 132
		.amdhsa_reserve_vcc 1
		.amdhsa_float_round_mode_32 0
		.amdhsa_float_round_mode_16_64 0
		.amdhsa_float_denorm_mode_32 3
		.amdhsa_float_denorm_mode_16_64 3
		.amdhsa_dx10_clamp 1
		.amdhsa_ieee_mode 1
		.amdhsa_fp16_overflow 0
		.amdhsa_tg_split 0
		.amdhsa_exception_fp_ieee_invalid_op 0
		.amdhsa_exception_fp_denorm_src 0
		.amdhsa_exception_fp_ieee_div_zero 0
		.amdhsa_exception_fp_ieee_overflow 0
		.amdhsa_exception_fp_ieee_underflow 0
		.amdhsa_exception_fp_ieee_inexact 0
		.amdhsa_exception_int_div_zero 0
	.end_amdhsa_kernel
	.section	.text._ZN12_GLOBAL__N_120geam_min_plus_kernelIDF16_Dv2_DF16_S1_Li8ELi32ELi64ELi128ELi4ELi64ELi4ELi4ELi64ELc78ELc78ELb0ELb0ELb0EPKDF16_KS3_KPDF16_EEviiiT16_PT17_ilS9_ilS7_S9_ilPT18_ili26rocblas_geam_ex_operation_,"axG",@progbits,_ZN12_GLOBAL__N_120geam_min_plus_kernelIDF16_Dv2_DF16_S1_Li8ELi32ELi64ELi128ELi4ELi64ELi4ELi4ELi64ELc78ELc78ELb0ELb0ELb0EPKDF16_KS3_KPDF16_EEviiiT16_PT17_ilS9_ilS7_S9_ilPT18_ili26rocblas_geam_ex_operation_,comdat
.Lfunc_end231:
	.size	_ZN12_GLOBAL__N_120geam_min_plus_kernelIDF16_Dv2_DF16_S1_Li8ELi32ELi64ELi128ELi4ELi64ELi4ELi4ELi64ELc78ELc78ELb0ELb0ELb0EPKDF16_KS3_KPDF16_EEviiiT16_PT17_ilS9_ilS7_S9_ilPT18_ili26rocblas_geam_ex_operation_, .Lfunc_end231-_ZN12_GLOBAL__N_120geam_min_plus_kernelIDF16_Dv2_DF16_S1_Li8ELi32ELi64ELi128ELi4ELi64ELi4ELi4ELi64ELc78ELc78ELb0ELb0ELb0EPKDF16_KS3_KPDF16_EEviiiT16_PT17_ilS9_ilS7_S9_ilPT18_ili26rocblas_geam_ex_operation_
                                        ; -- End function
	.section	.AMDGPU.csdata,"",@progbits
; Kernel info:
; codeLenInByte = 9004
; NumSgprs: 30
; NumVgprs: 129
; NumAgprs: 0
; TotalNumVgprs: 129
; ScratchSize: 0
; MemoryBound: 0
; FloatMode: 240
; IeeeMode: 1
; LDSByteSize: 3072 bytes/workgroup (compile time only)
; SGPRBlocks: 3
; VGPRBlocks: 16
; NumSGPRsForWavesPerEU: 30
; NumVGPRsForWavesPerEU: 129
; AccumOffset: 132
; Occupancy: 3
; WaveLimiterHint : 1
; COMPUTE_PGM_RSRC2:SCRATCH_EN: 0
; COMPUTE_PGM_RSRC2:USER_SGPR: 2
; COMPUTE_PGM_RSRC2:TRAP_HANDLER: 0
; COMPUTE_PGM_RSRC2:TGID_X_EN: 1
; COMPUTE_PGM_RSRC2:TGID_Y_EN: 0
; COMPUTE_PGM_RSRC2:TGID_Z_EN: 1
; COMPUTE_PGM_RSRC2:TIDIG_COMP_CNT: 1
; COMPUTE_PGM_RSRC3_GFX90A:ACCUM_OFFSET: 32
; COMPUTE_PGM_RSRC3_GFX90A:TG_SPLIT: 0
	.section	.text._ZN12_GLOBAL__N_120geam_min_plus_kernelIDF16_Dv2_DF16_S1_Li8ELi32ELi64ELi128ELi4ELi64ELi4ELi4ELi64ELc78ELc78ELb1ELb0ELb0EDF16_KPKDF16_KPDF16_EEviiiT16_PT17_ilS9_ilS7_S9_ilPT18_ili26rocblas_geam_ex_operation_,"axG",@progbits,_ZN12_GLOBAL__N_120geam_min_plus_kernelIDF16_Dv2_DF16_S1_Li8ELi32ELi64ELi128ELi4ELi64ELi4ELi4ELi64ELc78ELc78ELb1ELb0ELb0EDF16_KPKDF16_KPDF16_EEviiiT16_PT17_ilS9_ilS7_S9_ilPT18_ili26rocblas_geam_ex_operation_,comdat
	.globl	_ZN12_GLOBAL__N_120geam_min_plus_kernelIDF16_Dv2_DF16_S1_Li8ELi32ELi64ELi128ELi4ELi64ELi4ELi4ELi64ELc78ELc78ELb1ELb0ELb0EDF16_KPKDF16_KPDF16_EEviiiT16_PT17_ilS9_ilS7_S9_ilPT18_ili26rocblas_geam_ex_operation_ ; -- Begin function _ZN12_GLOBAL__N_120geam_min_plus_kernelIDF16_Dv2_DF16_S1_Li8ELi32ELi64ELi128ELi4ELi64ELi4ELi4ELi64ELc78ELc78ELb1ELb0ELb0EDF16_KPKDF16_KPDF16_EEviiiT16_PT17_ilS9_ilS7_S9_ilPT18_ili26rocblas_geam_ex_operation_
	.p2align	8
	.type	_ZN12_GLOBAL__N_120geam_min_plus_kernelIDF16_Dv2_DF16_S1_Li8ELi32ELi64ELi128ELi4ELi64ELi4ELi4ELi64ELc78ELc78ELb1ELb0ELb0EDF16_KPKDF16_KPDF16_EEviiiT16_PT17_ilS9_ilS7_S9_ilPT18_ili26rocblas_geam_ex_operation_,@function
_ZN12_GLOBAL__N_120geam_min_plus_kernelIDF16_Dv2_DF16_S1_Li8ELi32ELi64ELi128ELi4ELi64ELi4ELi4ELi64ELc78ELc78ELb1ELb0ELb0EDF16_KPKDF16_KPDF16_EEviiiT16_PT17_ilS9_ilS7_S9_ilPT18_ili26rocblas_geam_ex_operation_: ; @_ZN12_GLOBAL__N_120geam_min_plus_kernelIDF16_Dv2_DF16_S1_Li8ELi32ELi64ELi128ELi4ELi64ELi4ELi4ELi64ELc78ELc78ELb1ELb0ELb0EDF16_KPKDF16_KPDF16_EEviiiT16_PT17_ilS9_ilS7_S9_ilPT18_ili26rocblas_geam_ex_operation_
; %bb.0:
	s_load_dwordx2 s[12:13], s[0:1], 0x8
	s_load_dwordx4 s[4:7], s[0:1], 0x20
	s_mov_b32 s20, s3
	s_mov_b32 s21, 0
	s_waitcnt lgkmcnt(0)
	v_cmp_eq_f16_e64 s[8:9], s13, 0
	s_and_b64 vcc, exec, s[8:9]
	s_cbranch_vccnz .LBB232_3
; %bb.1:
	s_load_dwordx2 s[10:11], s[0:1], 0x10
	s_lshl_b64 s[14:15], s[20:21], 3
	s_waitcnt lgkmcnt(0)
	s_add_u32 s10, s10, s14
	s_addc_u32 s11, s11, s15
	s_load_dwordx2 s[10:11], s[10:11], 0x0
	s_lshl_b64 s[4:5], s[4:5], 1
	s_waitcnt lgkmcnt(0)
	s_add_u32 s14, s10, s4
	s_addc_u32 s15, s11, s5
	s_andn2_b64 vcc, exec, s[8:9]
	s_cbranch_vccnz .LBB232_4
.LBB232_2:
	s_mov_b64 s[16:17], 0
	s_cbranch_execz .LBB232_5
	s_branch .LBB232_6
.LBB232_3:
	s_mov_b64 s[14:15], 0
	s_andn2_b64 vcc, exec, s[8:9]
	s_cbranch_vccz .LBB232_2
.LBB232_4:
                                        ; implicit-def: $sgpr16_sgpr17
.LBB232_5:
	s_lshl_b64 s[8:9], s[20:21], 3
	s_add_u32 s6, s6, s8
	s_load_dwordx2 s[4:5], s[0:1], 0x38
	s_addc_u32 s7, s7, s9
	s_load_dwordx2 s[6:7], s[6:7], 0x0
	s_waitcnt lgkmcnt(0)
	s_lshl_b64 s[4:5], s[4:5], 1
	s_add_u32 s16, s6, s4
	s_addc_u32 s17, s7, s5
.LBB232_6:
	s_load_dword s13, s[0:1], 0x40
	s_load_dwordx4 s[8:11], s[0:1], 0x58
	s_waitcnt lgkmcnt(0)
	v_cmp_eq_f16_e64 s[4:5], s13, 0
	s_and_b64 s[4:5], exec, s[4:5]
	s_mov_b64 vcc, s[4:5]
	s_cbranch_vccnz .LBB232_8
; %bb.7:
	s_load_dwordx2 s[6:7], s[0:1], 0x48
	s_lshl_b64 s[18:19], s[20:21], 3
	s_waitcnt lgkmcnt(0)
	s_add_u32 s6, s6, s18
	s_addc_u32 s7, s7, s19
	s_load_dwordx2 s[6:7], s[6:7], 0x0
	s_lshl_b64 s[8:9], s[8:9], 1
	s_waitcnt lgkmcnt(0)
	s_add_u32 s6, s6, s8
	s_addc_u32 s7, s7, s9
	s_branch .LBB232_9
.LBB232_8:
	s_mov_b64 s[6:7], 0
.LBB232_9:
	s_load_dword s3, s[0:1], 0x0
	s_load_dword s18, s[0:1], 0x18
	;; [unrolled: 1-line block ×3, first 2 shown]
	s_lshl_b64 s[8:9], s[20:21], 3
	s_add_u32 s8, s10, s8
	s_addc_u32 s9, s11, s9
	s_waitcnt lgkmcnt(0)
	s_add_i32 s3, s3, -1
	s_ashr_i32 s10, s3, 31
	s_lshr_b32 s10, s10, 26
	s_add_i32 s3, s3, s10
	s_ashr_i32 s3, s3, 6
	s_add_i32 s10, s3, 1
	v_cvt_f32_u32_e32 v1, s10
	v_and_b32_e32 v37, 0x3ff, v0
	v_bfe_u32 v38, v0, 10, 10
	s_not_b32 s3, s3
	v_rcp_iflag_f32_e32 v1, v1
	v_lshlrev_b32_e32 v36, 3, v38
	v_and_b32_e32 v4, 3, v37
	v_lshlrev_b32_e32 v24, 1, v4
	v_mul_f32_e32 v0, 0x4f7ffffe, v1
	v_cvt_u32_f32_e32 v0, v0
	v_add_u32_e32 v1, v36, v37
	v_and_b32_e32 v7, 63, v1
	v_lshrrev_b32_e32 v6, 6, v1
	v_readfirstlane_b32 s11, v0
	s_mul_i32 s3, s3, s11
	s_mul_hi_u32 s3, s11, s3
	s_add_i32 s11, s11, s3
	s_mul_hi_u32 s3, s2, s11
	s_mul_i32 s11, s3, s10
	s_sub_i32 s11, s2, s11
	s_add_i32 s20, s3, 1
	s_sub_i32 s21, s11, s10
	s_cmp_ge_u32 s11, s10
	s_cselect_b32 s3, s20, s3
	s_cselect_b32 s11, s21, s11
	s_add_i32 s20, s3, 1
	s_cmp_ge_u32 s11, s10
	s_cselect_b32 s3, s20, s3
	s_mul_i32 s10, s3, s10
	s_sub_i32 s2, s2, s10
	s_lshl_b32 s10, s2, 6
	v_lshrrev_b32_e32 v16, 2, v1
	s_lshl_b32 s11, s3, 7
	v_or_b32_e32 v0, s10, v7
	v_mad_i64_i32 v[2:3], s[2:3], s18, v6, 0
	v_ashrrev_i32_e32 v1, 31, v0
	v_add_u32_e32 v5, s11, v16
	v_lshl_add_u64 v[2:3], v[2:3], 1, s[14:15]
	v_lshlrev_b64 v[8:9], 1, v[0:1]
	v_mov_b32_e32 v25, 0
	v_add_u32_e32 v4, 64, v5
	v_lshl_add_u64 v[10:11], v[2:3], 0, v[8:9]
	v_lshl_add_u64 v[12:13], s[16:17], 0, v[24:25]
	v_mad_i64_i32 v[2:3], s[2:3], v5, s19, 0
	v_mad_i64_i32 v[4:5], s[2:3], v4, s19, 0
	v_lshl_add_u64 v[14:15], v[2:3], 1, v[12:13]
	v_lshl_add_u64 v[12:13], v[4:5], 1, v[12:13]
	flat_load_ushort v17, v[14:15]
	flat_load_ushort v18, v[12:13]
	;; [unrolled: 1-line block ×3, first 2 shown]
	v_add_u32_e32 v10, 4, v6
	s_load_dwordx2 s[2:3], s[8:9], 0x0
	v_mad_i64_i32 v[10:11], s[8:9], s18, v10, 0
	v_lshl_add_u64 v[10:11], v[10:11], 1, s[14:15]
	v_lshl_add_u64 v[8:9], v[10:11], 0, v[8:9]
	flat_load_ushort v34, v[12:13] offset:8
	flat_load_ushort v35, v[14:15] offset:8
	flat_load_ushort v42, v[8:9]
	v_lshlrev_b32_e32 v39, 3, v37
	v_lshlrev_b32_e32 v7, 3, v7
	v_lshl_or_b32 v41, v16, 3, v24
	v_add_u32_e32 v40, 0x800, v39
	v_lshl_add_u32 v7, v6, 1, v7
	s_cmp_lt_i32 s12, 9
	s_waitcnt vmcnt(0) lgkmcnt(0)
	ds_write_b16 v41, v17
	ds_write_b16 v41, v18 offset:512
	ds_write_b16 v7, v19 offset:2048
	s_waitcnt lgkmcnt(0)
	s_barrier
	ds_read2_b64 v[8:11], v36 offset1:32
	ds_read2_b64 v[12:15], v36 offset0:64 offset1:96
	ds_read2_b64 v[16:19], v40 offset1:8
	ds_read2_b64 v[20:23], v40 offset0:16 offset1:24
	ds_read2_b64 v[26:29], v40 offset0:32 offset1:40
	;; [unrolled: 1-line block ×3, first 2 shown]
	s_waitcnt lgkmcnt(5)
	v_pk_max_f16 v8, v8, v8
	v_pk_max_f16 v10, v10, v10
	s_waitcnt lgkmcnt(4)
	v_pk_max_f16 v12, v12, v12
	s_waitcnt lgkmcnt(3)
	;; [unrolled: 2-line block ×3, first 2 shown]
	v_pk_max_f16 v32, v32, v32
	v_pk_max_f16 v14, v14, v14
	;; [unrolled: 1-line block ×8, first 2 shown]
	v_pk_min_f16 v52, v32, v8
	v_pk_max_f16 v30, v30, v30
	v_pk_max_f16 v33, v33, v33
	;; [unrolled: 1-line block ×3, first 2 shown]
	v_pk_min_f16 v43, v16, v8
	v_pk_min_f16 v44, v16, v10
	v_pk_min_f16 v45, v16, v12
	v_pk_min_f16 v16, v16, v14
	v_pk_min_f16 v46, v18, v8
	v_pk_min_f16 v47, v18, v10
	v_pk_min_f16 v48, v18, v12
	v_pk_min_f16 v18, v18, v14
	v_pk_min_f16 v49, v20, v8
	v_pk_min_f16 v50, v20, v10
	v_pk_min_f16 v51, v20, v12
	v_pk_min_f16 v20, v20, v14
	v_pk_min_f16 v56, v22, v8
	v_pk_min_f16 v57, v22, v10
	v_pk_min_f16 v58, v22, v12
	v_pk_min_f16 v22, v22, v14
	v_pk_min_f16 v64, v26, v8
	v_pk_min_f16 v65, v26, v10
	v_pk_min_f16 v72, v26, v12
	v_pk_min_f16 v26, v26, v14
	v_pk_min_f16 v73, v28, v8
	v_pk_min_f16 v74, v28, v10
	v_pk_min_f16 v75, v28, v12
	v_pk_min_f16 v28, v28, v14
	v_pk_min_f16 v8, v30, v8
	v_pk_min_f16 v53, v32, v10
	v_pk_min_f16 v10, v30, v10
	v_pk_min_f16 v54, v32, v12
	v_pk_min_f16 v12, v30, v12
	v_pk_min_f16 v30, v30, v14
	v_pk_min_f16 v14, v32, v14
	v_pk_add_f16 v32, v52, 0
	v_pk_min_f16 v52, v33, v9
	v_pk_max_f16 v13, v13, v13
	v_pk_add_f16 v71, v52, v32
	v_pk_add_f16 v32, v53, 0
	v_pk_min_f16 v52, v33, v11
	v_pk_max_f16 v17, v17, v17
	v_pk_add_f16 v63, v52, v32
	;; [unrolled: 4-line block ×4, first 2 shown]
	v_pk_add_f16 v32, v44, 0
	v_pk_min_f16 v43, v17, v11
	v_pk_add_f16 v16, v16, 0
	v_pk_add_f16 v70, v43, v32
	v_pk_min_f16 v43, v17, v13
	v_pk_min_f16 v17, v17, v15
	v_pk_max_f16 v21, v21, v21
	v_pk_add_f16 v54, v17, v16
	v_pk_add_f16 v16, v46, 0
	v_pk_min_f16 v17, v19, v9
	v_pk_max_f16 v23, v23, v23
	v_pk_add_f16 v80, v17, v16
	v_pk_add_f16 v16, v47, 0
	;; [unrolled: 4-line block ×4, first 2 shown]
	v_pk_min_f16 v17, v19, v15
	v_pk_add_f16 v8, v8, 0
	v_pk_add_f16 v53, v17, v16
	v_pk_add_f16 v16, v49, 0
	v_pk_min_f16 v17, v21, v9
	v_pk_add_f16 v10, v10, 0
	v_pk_add_f16 v79, v17, v16
	v_pk_add_f16 v16, v50, 0
	;; [unrolled: 4-line block ×6, first 2 shown]
	v_pk_min_f16 v17, v23, v11
	ds_write_b16 v7, v42 offset:2560
	ds_write_b16 v41, v35 offset:1024
	;; [unrolled: 1-line block ×3, first 2 shown]
	v_pk_add_f16 v67, v17, v16
	v_pk_add_f16 v16, v58, 0
	v_pk_min_f16 v17, v23, v13
	s_waitcnt lgkmcnt(0)
	v_pk_add_f16 v59, v17, v16
	v_pk_add_f16 v16, v22, 0
	v_pk_min_f16 v17, v23, v15
	s_barrier
	v_pk_add_f16 v51, v17, v16
	v_pk_add_f16 v16, v64, 0
	v_pk_min_f16 v17, v27, v9
	s_nop 0
	v_pk_add_f16 v77, v17, v16
	v_pk_add_f16 v16, v65, 0
	v_pk_min_f16 v17, v27, v11
	s_nop 0
	;; [unrolled: 4-line block ×8, first 2 shown]
	v_pk_add_f16 v48, v17, v16
	v_pk_max_f16 v17, v31, v31
	v_pk_add_f16 v16, v30, 0
	v_pk_min_f16 v9, v17, v9
	s_nop 0
	v_pk_add_f16 v75, v9, v8
	v_pk_min_f16 v8, v17, v11
	s_nop 0
	;; [unrolled: 3-line block ×5, first 2 shown]
	v_pk_add_f16 v47, v8, v14
	s_cbranch_scc1 .LBB232_12
; %bb.10:
	v_lshl_add_u64 v[26:27], v[0:1], 1, s[14:15]
	v_mov_b32_e32 v0, 0xa00
	v_lshl_add_u32 v45, v37, 3, v0
	v_add_u32_e32 v0, 8, v6
	v_mad_i64_i32 v[0:1], s[8:9], v0, s18, 0
	v_lshlrev_b64 v[32:33], 1, v[0:1]
	v_add_u32_e32 v0, 12, v6
	s_ashr_i32 s19, s18, 31
	v_mad_i64_i32 v[0:1], s[14:15], v0, s18, 0
	v_or_b32_e32 v42, 0x800, v7
	v_add_u32_e32 v43, 0xa00, v7
	v_add_u32_e32 v44, 0x400, v41
	s_add_i32 s12, s12, -8
	v_add_u32_e32 v46, 0x400, v36
	v_lshl_add_u64 v[28:29], v[4:5], 1, s[16:17]
	v_lshl_add_u64 v[30:31], v[2:3], 1, s[16:17]
	s_lshl_b64 s[8:9], s[18:19], 4
	v_lshlrev_b64 v[34:35], 1, v[0:1]
	s_mov_b32 s14, 0
.LBB232_11:                             ; =>This Inner Loop Header: Depth=1
	ds_read2_b64 v[0:3], v45 offset0:48 offset1:56
	ds_read2_b64 v[4:7], v46 offset0:64 offset1:96
	ds_read2_b64 v[20:23], v46 offset1:32
	ds_read2_b64 v[16:19], v45 offset1:8
	ds_read2_b64 v[12:15], v45 offset0:16 offset1:24
	ds_read2_b64 v[8:11], v45 offset0:32 offset1:40
	v_lshl_add_u64 v[72:73], v[26:27], 0, v[32:33]
	s_waitcnt lgkmcnt(5)
	v_pk_max_f16 v2, v2, v2
	s_waitcnt lgkmcnt(3)
	v_pk_max_f16 v20, v20, v20
	v_pk_max_f16 v22, v22, v22
	v_pk_max_f16 v4, v4, v4
	s_waitcnt lgkmcnt(2)
	v_pk_max_f16 v16, v16, v16
	v_pk_max_f16 v6, v6, v6
	;; [unrolled: 4-line block ×3, first 2 shown]
	s_waitcnt lgkmcnt(0)
	v_pk_max_f16 v8, v8, v8
	v_pk_max_f16 v10, v10, v10
	;; [unrolled: 1-line block ×15, first 2 shown]
	flat_load_ushort v72, v[72:73]
	v_pk_min_f16 v73, v16, v20
	v_pk_min_f16 v74, v16, v22
	v_pk_min_f16 v82, v16, v4
	v_pk_min_f16 v83, v18, v20
	v_pk_min_f16 v84, v18, v22
	v_pk_min_f16 v85, v18, v4
	v_pk_min_f16 v86, v12, v20
	v_pk_min_f16 v87, v12, v22
	v_pk_min_f16 v88, v12, v4
	v_pk_min_f16 v89, v14, v20
	v_pk_min_f16 v90, v14, v22
	v_pk_min_f16 v91, v14, v4
	v_pk_min_f16 v92, v8, v20
	v_pk_min_f16 v93, v8, v22
	v_pk_min_f16 v94, v8, v4
	v_pk_min_f16 v95, v10, v20
	v_pk_min_f16 v96, v10, v22
	v_pk_min_f16 v97, v10, v4
	v_pk_min_f16 v98, v2, v20
	v_pk_min_f16 v20, v0, v20
	v_pk_min_f16 v99, v2, v22
	v_pk_min_f16 v22, v0, v22
	v_pk_min_f16 v100, v2, v4
	v_pk_min_f16 v4, v0, v4
	v_pk_min_f16 v101, v0, v6
	v_pk_min_f16 v102, v17, v21
	v_pk_min_f16 v103, v17, v23
	v_pk_min_f16 v105, v19, v21
	v_pk_min_f16 v106, v19, v23
	v_pk_min_f16 v108, v13, v21
	v_pk_min_f16 v109, v13, v23
	v_pk_min_f16 v111, v15, v21
	v_pk_min_f16 v112, v15, v23
	v_pk_min_f16 v114, v9, v21
	v_pk_min_f16 v115, v9, v23
	v_pk_min_f16 v117, v11, v21
	v_pk_min_f16 v118, v11, v23
	v_pk_min_f16 v120, v3, v21
	v_pk_min_f16 v21, v1, v21
	v_pk_min_f16 v121, v3, v23
	v_pk_min_f16 v23, v1, v23
	v_pk_min_f16 v123, v1, v5
	v_pk_min_f16 v124, v1, v7
	v_lshl_add_u64 v[0:1], v[30:31], 0, v[24:25]
	v_pk_min_f16 v16, v16, v6
	v_pk_min_f16 v18, v18, v6
	;; [unrolled: 1-line block ×21, first 2 shown]
	v_pk_add_f16 v70, v74, v70
	v_pk_add_f16 v74, v83, v80
	;; [unrolled: 1-line block ×3, first 2 shown]
	v_lshl_add_u64 v[2:3], v[28:29], 0, v[24:25]
	flat_load_ushort v88, v[0:1] offset:16
	v_pk_add_f16 v78, v89, v78
	flat_load_ushort v89, v[2:3] offset:16
	v_pk_add_f16 v55, v100, v55
	v_pk_add_f16 v73, v73, v81
	;; [unrolled: 1-line block ×4, first 2 shown]
	v_lshl_add_u64 v[4:5], v[26:27], 0, v[34:35]
	v_pk_add_f16 v62, v82, v62
	v_pk_add_f16 v16, v16, v54
	;; [unrolled: 1-line block ×6, first 2 shown]
	s_waitcnt vmcnt(0) lgkmcnt(0)
	ds_write_b16 v42, v72
	ds_write_b16 v41, v88
	ds_write_b16 v41, v89 offset:512
	s_waitcnt lgkmcnt(0)
	s_barrier
	flat_load_ushort v72, v[4:5]
	flat_load_ushort v73, v[0:1] offset:24
	flat_load_ushort v74, v[2:3] offset:24
	v_pk_add_f16 v71, v98, v71
	v_pk_add_f16 v18, v18, v53
	;; [unrolled: 1-line block ×32, first 2 shown]
	ds_read2_b64 v[0:3], v40 offset0:48 offset1:56
	ds_read2_b64 v[20:23], v36 offset1:32
	ds_read2_b64 v[12:15], v36 offset0:64 offset1:96
	ds_read2_b64 v[16:19], v40 offset1:8
	ds_read2_b64 v[8:11], v40 offset0:16 offset1:24
	ds_read2_b64 v[4:7], v40 offset0:32 offset1:40
	v_pk_add_f16 v63, v99, v63
	v_pk_add_f16 v69, v84, v69
	;; [unrolled: 1-line block ×13, first 2 shown]
	s_waitcnt lgkmcnt(0)
	v_pk_max_f16 v20, v20, v20
	v_pk_max_f16 v82, v2, v2
	;; [unrolled: 1-line block ×12, first 2 shown]
	v_pk_add_f16 v61, v107, v61
	v_pk_add_f16 v67, v111, v78
	;; [unrolled: 1-line block ×5, first 2 shown]
	v_pk_max_f16 v2, v21, v21
	v_pk_max_f16 v4, v23, v23
	;; [unrolled: 1-line block ×12, first 2 shown]
	v_pk_min_f16 v94, v16, v20
	v_pk_min_f16 v95, v16, v22
	;; [unrolled: 1-line block ×64, first 2 shown]
	v_pk_add_f16 v6, v118, v52
	v_pk_add_f16 v52, v119, v53
	;; [unrolled: 1-line block ×27, first 2 shown]
	s_add_i32 s14, s14, 8
	v_pk_add_f16 v47, v87, v47
	v_pk_add_f16 v87, v88, v48
	;; [unrolled: 1-line block ×5, first 2 shown]
	v_lshl_add_u64 v[28:29], v[28:29], 0, 16
	v_lshl_add_u64 v[30:31], v[30:31], 0, 16
	;; [unrolled: 1-line block ×3, first 2 shown]
	s_cmp_ge_i32 s14, s12
	v_pk_add_f16 v71, v92, v6
	v_pk_add_f16 v63, v121, v52
	;; [unrolled: 1-line block ×32, first 2 shown]
	s_waitcnt vmcnt(0)
	ds_write_b16 v43, v72
	ds_write_b16 v44, v73
	ds_write_b16 v44, v74 offset:512
	s_waitcnt lgkmcnt(0)
	s_barrier
	s_cbranch_scc0 .LBB232_11
.LBB232_12:
	s_load_dword s12, s[0:1], 0x50
	ds_read_b64 v[20:21], v36 offset:1024
	ds_read_b64 v[26:27], v39 offset:2560
	v_add_u32_e32 v28, s11, v38
	v_cmp_neq_f16_e64 s[8:9], s13, 0
	v_add_u32_e32 v16, s10, v37
	s_waitcnt lgkmcnt(0)
	v_mad_i64_i32 v[0:1], s[10:11], v28, s12, 0
	v_ashrrev_i32_e32 v17, 31, v16
	v_lshl_add_u64 v[22:23], v[0:1], 1, s[6:7]
	s_and_b64 vcc, exec, s[8:9]
	v_mov_b32_e32 v33, 0
	v_mov_b32_e32 v31, 0
	s_cbranch_vccz .LBB232_14
; %bb.13:
	v_lshl_add_u64 v[0:1], v[16:17], 1, v[22:23]
	flat_load_ushort v0, v[0:1]
	s_waitcnt vmcnt(0) lgkmcnt(0)
	v_mul_f16_e32 v31, s13, v0
.LBB232_14:
	ds_read_b64 v[24:25], v39 offset:3008
	ds_read_b64 v[18:19], v36 offset:1792
	ds_read2_b64 v[0:3], v36 offset0:160 offset1:192
	s_load_dword s10, s[0:1], 0x68
	s_load_dwordx2 s[14:15], s[0:1], 0x70
	v_add_u32_e32 v4, 0x800, v39
	v_pk_max_f16 v43, v20, v20
	v_pk_max_f16 v29, v26, v26
	ds_read2_b64 v[12:15], v4 offset0:72 offset1:80
	ds_read2_b64 v[8:11], v4 offset0:88 offset1:96
	;; [unrolled: 1-line block ×3, first 2 shown]
	v_pk_min_f16 v20, v29, v43
	v_pk_max_f16 v44, v21, v21
	v_pk_max_f16 v30, v27, v27
	s_waitcnt lgkmcnt(0)
	s_lshl_b64 s[0:1], s[14:15], 1
	v_pk_add_f16 v20, v20, v81
	v_pk_min_f16 v21, v30, v44
	s_add_u32 s2, s2, s0
	v_pk_add_f16 v32, v21, v20
	s_addc_u32 s3, s3, s1
	v_mad_i64_i32 v[26:27], s[0:1], v28, s10, 0
	v_add_f16_sdwa v32, v32, v32 dst_sel:DWORD dst_unused:UNUSED_PAD src0_sel:DWORD src1_sel:WORD_1
	v_add_u32_e32 v20, 8, v16
	v_lshl_add_u64 v[26:27], v[26:27], 1, s[2:3]
	v_add_f16_e32 v31, v32, v31
	v_cndmask_b32_e64 v32, 0, 1, s[8:9]
	v_ashrrev_i32_e32 v21, 31, v20
	v_lshl_add_u64 v[34:35], v[16:17], 1, v[26:27]
	v_cmp_ne_u32_e64 s[0:1], 1, v32
	s_andn2_b64 vcc, exec, s[8:9]
	global_store_short v[34:35], v31, off
	s_cbranch_vccnz .LBB232_16
; %bb.15:
	v_lshl_add_u64 v[32:33], v[20:21], 1, v[22:23]
	flat_load_ushort v31, v[32:33]
	s_waitcnt vmcnt(0) lgkmcnt(0)
	v_mul_f16_e32 v33, s13, v31
.LBB232_16:
	v_pk_max_f16 v31, v12, v12
	v_pk_max_f16 v32, v13, v13
	v_pk_min_f16 v12, v31, v43
	v_pk_min_f16 v13, v32, v44
	v_pk_add_f16 v12, v12, v80
	s_and_b64 vcc, exec, s[0:1]
	v_pk_add_f16 v12, v13, v12
	v_mov_b32_e32 v37, 0
	v_add_f16_sdwa v34, v12, v12 dst_sel:DWORD dst_unused:UNUSED_PAD src0_sel:DWORD src1_sel:WORD_1
	v_add_u32_e32 v12, 16, v16
	v_add_f16_e32 v33, v34, v33
	v_lshl_add_u64 v[34:35], v[20:21], 1, v[26:27]
	v_ashrrev_i32_e32 v13, 31, v12
	global_store_short v[34:35], v33, off
	v_mov_b32_e32 v35, 0
	s_cbranch_vccnz .LBB232_18
; %bb.17:
	v_lshl_add_u64 v[34:35], v[12:13], 1, v[22:23]
	flat_load_ushort v33, v[34:35]
	s_waitcnt vmcnt(0) lgkmcnt(0)
	v_mul_f16_e32 v35, s13, v33
.LBB232_18:
	v_pk_max_f16 v33, v14, v14
	v_pk_max_f16 v34, v15, v15
	v_pk_min_f16 v14, v33, v43
	v_pk_min_f16 v15, v34, v44
	v_pk_add_f16 v14, v14, v79
	v_lshl_add_u64 v[38:39], v[12:13], 1, v[26:27]
	v_pk_add_f16 v14, v15, v14
	s_and_b64 vcc, exec, s[0:1]
	v_add_f16_sdwa v36, v14, v14 dst_sel:DWORD dst_unused:UNUSED_PAD src0_sel:DWORD src1_sel:WORD_1
	v_add_u32_e32 v14, 24, v16
	v_ashrrev_i32_e32 v15, 31, v14
	v_add_f16_e32 v35, v36, v35
	global_store_short v[38:39], v35, off
	s_cbranch_vccnz .LBB232_20
; %bb.19:
	v_lshl_add_u64 v[36:37], v[14:15], 1, v[22:23]
	flat_load_ushort v35, v[36:37]
	s_waitcnt vmcnt(0) lgkmcnt(0)
	v_mul_f16_e32 v37, s13, v35
.LBB232_20:
	v_pk_max_f16 v35, v8, v8
	v_pk_max_f16 v36, v9, v9
	v_pk_min_f16 v8, v35, v43
	v_pk_min_f16 v9, v36, v44
	v_pk_add_f16 v8, v8, v78
	s_and_b64 vcc, exec, s[0:1]
	v_pk_add_f16 v8, v9, v8
	v_mov_b32_e32 v41, 0
	v_add_f16_sdwa v38, v8, v8 dst_sel:DWORD dst_unused:UNUSED_PAD src0_sel:DWORD src1_sel:WORD_1
	v_add_u32_e32 v8, 32, v16
	v_add_f16_e32 v37, v38, v37
	v_lshl_add_u64 v[38:39], v[14:15], 1, v[26:27]
	v_ashrrev_i32_e32 v9, 31, v8
	global_store_short v[38:39], v37, off
	v_mov_b32_e32 v39, 0
	s_cbranch_vccnz .LBB232_22
; %bb.21:
	v_lshl_add_u64 v[38:39], v[8:9], 1, v[22:23]
	flat_load_ushort v37, v[38:39]
	s_waitcnt vmcnt(0) lgkmcnt(0)
	v_mul_f16_e32 v39, s13, v37
.LBB232_22:
	v_pk_max_f16 v37, v10, v10
	v_pk_max_f16 v38, v11, v11
	v_pk_min_f16 v10, v37, v43
	v_pk_min_f16 v11, v38, v44
	v_pk_add_f16 v10, v10, v77
	v_lshl_add_u64 v[72:73], v[8:9], 1, v[26:27]
	v_pk_add_f16 v10, v11, v10
	s_and_b64 vcc, exec, s[0:1]
	v_add_f16_sdwa v40, v10, v10 dst_sel:DWORD dst_unused:UNUSED_PAD src0_sel:DWORD src1_sel:WORD_1
	v_add_u32_e32 v10, 40, v16
	v_ashrrev_i32_e32 v11, 31, v10
	v_add_f16_e32 v39, v40, v39
	global_store_short v[72:73], v39, off
	s_cbranch_vccnz .LBB232_24
; %bb.23:
	v_lshl_add_u64 v[40:41], v[10:11], 1, v[22:23]
	flat_load_ushort v39, v[40:41]
	s_waitcnt vmcnt(0) lgkmcnt(0)
	v_mul_f16_e32 v41, s13, v39
.LBB232_24:
	v_pk_max_f16 v39, v4, v4
	v_pk_max_f16 v40, v5, v5
	v_pk_min_f16 v4, v39, v43
	v_pk_min_f16 v5, v40, v44
	v_pk_add_f16 v4, v4, v76
	v_lshl_add_u64 v[72:73], v[10:11], 1, v[26:27]
	v_pk_add_f16 v4, v5, v4
	s_and_b64 vcc, exec, s[0:1]
	v_add_f16_sdwa v42, v4, v4 dst_sel:DWORD dst_unused:UNUSED_PAD src0_sel:DWORD src1_sel:WORD_1
	v_add_u32_e32 v4, 48, v16
	v_ashrrev_i32_e32 v5, 31, v4
	v_add_f16_e32 v41, v42, v41
	v_mov_b32_e32 v45, 0
	v_mov_b32_e32 v46, 0
	global_store_short v[72:73], v41, off
	s_cbranch_vccnz .LBB232_26
; %bb.25:
	v_lshl_add_u64 v[72:73], v[4:5], 1, v[22:23]
	flat_load_ushort v41, v[72:73]
	s_waitcnt vmcnt(0) lgkmcnt(0)
	v_mul_f16_e32 v46, s13, v41
.LBB232_26:
	v_pk_max_f16 v41, v6, v6
	v_pk_max_f16 v42, v7, v7
	v_pk_min_f16 v6, v41, v43
	v_pk_min_f16 v7, v42, v44
	v_pk_add_f16 v6, v6, v75
	s_and_b64 vcc, exec, s[0:1]
	v_pk_add_f16 v6, v7, v6
	s_nop 0
	v_add_f16_sdwa v72, v6, v6 dst_sel:DWORD dst_unused:UNUSED_PAD src0_sel:DWORD src1_sel:WORD_1
	v_add_u32_e32 v6, 56, v16
	v_ashrrev_i32_e32 v7, 31, v6
	v_add_f16_e32 v46, v72, v46
	v_lshl_add_u64 v[72:73], v[4:5], 1, v[26:27]
	global_store_short v[72:73], v46, off
	s_cbranch_vccnz .LBB232_28
; %bb.27:
	v_lshl_add_u64 v[22:23], v[6:7], 1, v[22:23]
	flat_load_ushort v22, v[22:23]
	s_waitcnt vmcnt(0) lgkmcnt(0)
	v_mul_f16_e32 v45, s13, v22
.LBB232_28:
	v_pk_max_f16 v24, v24, v24
	v_pk_max_f16 v25, v25, v25
	v_pk_min_f16 v22, v24, v43
	v_pk_min_f16 v23, v25, v44
	v_pk_add_f16 v22, v22, v71
	v_add_u32_e32 v44, 32, v28
	v_pk_add_f16 v22, v23, v22
	s_and_b64 vcc, exec, s[0:1]
	v_add_f16_sdwa v22, v22, v22 dst_sel:DWORD dst_unused:UNUSED_PAD src0_sel:DWORD src1_sel:WORD_1
	v_add_f16_e32 v43, v22, v45
	v_lshl_add_u64 v[22:23], v[6:7], 1, v[26:27]
	global_store_short v[22:23], v43, off
	v_mad_i64_i32 v[22:23], s[8:9], v44, s12, 0
	v_lshl_add_u64 v[22:23], v[22:23], 1, s[6:7]
	v_mov_b32_e32 v43, 0
	v_mov_b32_e32 v45, 0
	s_cbranch_vccnz .LBB232_30
; %bb.29:
	v_lshl_add_u64 v[26:27], v[16:17], 1, v[22:23]
	flat_load_ushort v26, v[26:27]
	s_waitcnt vmcnt(0) lgkmcnt(0)
	v_mul_f16_e32 v45, s13, v26
.LBB232_30:
	v_pk_max_f16 v26, v0, v0
	v_pk_max_f16 v27, v1, v1
	v_pk_min_f16 v0, v29, v26
	v_pk_min_f16 v1, v30, v27
	v_pk_add_f16 v0, v0, v70
	s_and_b64 vcc, exec, s[0:1]
	v_pk_add_f16 v46, v1, v0
	v_mad_i64_i32 v[0:1], s[8:9], v44, s10, 0
	v_lshl_add_u64 v[0:1], v[0:1], 1, s[2:3]
	v_add_f16_sdwa v44, v46, v46 dst_sel:DWORD dst_unused:UNUSED_PAD src0_sel:DWORD src1_sel:WORD_1
	v_add_f16_e32 v46, v44, v45
	v_lshl_add_u64 v[44:45], v[16:17], 1, v[0:1]
	global_store_short v[44:45], v46, off
	s_cbranch_vccnz .LBB232_32
; %bb.31:
	v_lshl_add_u64 v[44:45], v[20:21], 1, v[22:23]
	flat_load_ushort v43, v[44:45]
	s_waitcnt vmcnt(0) lgkmcnt(0)
	v_mul_f16_e32 v43, s13, v43
.LBB232_32:
	v_pk_min_f16 v44, v31, v26
	v_pk_min_f16 v45, v32, v27
	v_pk_add_f16 v44, v44, v69
	s_and_b64 vcc, exec, s[0:1]
	v_pk_add_f16 v44, v45, v44
	s_nop 0
	v_add_f16_sdwa v44, v44, v44 dst_sel:DWORD dst_unused:UNUSED_PAD src0_sel:DWORD src1_sel:WORD_1
	v_add_f16_e32 v43, v44, v43
	v_lshl_add_u64 v[44:45], v[20:21], 1, v[0:1]
	global_store_short v[44:45], v43, off
	v_mov_b32_e32 v43, 0
	v_mov_b32_e32 v44, 0
	s_cbranch_vccnz .LBB232_34
; %bb.33:
	v_lshl_add_u64 v[44:45], v[12:13], 1, v[22:23]
	flat_load_ushort v44, v[44:45]
	s_waitcnt vmcnt(0) lgkmcnt(0)
	v_mul_f16_e32 v44, s13, v44
.LBB232_34:
	v_pk_min_f16 v45, v33, v26
	v_pk_min_f16 v46, v34, v27
	v_pk_add_f16 v45, v45, v68
	s_and_b64 vcc, exec, s[0:1]
	v_pk_add_f16 v45, v46, v45
	s_nop 0
	v_add_f16_sdwa v45, v45, v45 dst_sel:DWORD dst_unused:UNUSED_PAD src0_sel:DWORD src1_sel:WORD_1
	v_add_f16_e32 v46, v45, v44
	v_lshl_add_u64 v[44:45], v[12:13], 1, v[0:1]
	global_store_short v[44:45], v46, off
	s_cbranch_vccnz .LBB232_36
; %bb.35:
	v_lshl_add_u64 v[44:45], v[14:15], 1, v[22:23]
	flat_load_ushort v43, v[44:45]
	s_waitcnt vmcnt(0) lgkmcnt(0)
	v_mul_f16_e32 v43, s13, v43
.LBB232_36:
	v_pk_min_f16 v44, v35, v26
	v_pk_min_f16 v45, v36, v27
	v_pk_add_f16 v44, v44, v67
	s_and_b64 vcc, exec, s[0:1]
	v_pk_add_f16 v44, v45, v44
	s_nop 0
	v_add_f16_sdwa v44, v44, v44 dst_sel:DWORD dst_unused:UNUSED_PAD src0_sel:DWORD src1_sel:WORD_1
	v_add_f16_e32 v43, v44, v43
	v_lshl_add_u64 v[44:45], v[14:15], 1, v[0:1]
	global_store_short v[44:45], v43, off
	v_mov_b32_e32 v43, 0
	v_mov_b32_e32 v44, 0
	s_cbranch_vccnz .LBB232_38
; %bb.37:
	v_lshl_add_u64 v[44:45], v[8:9], 1, v[22:23]
	flat_load_ushort v44, v[44:45]
	s_waitcnt vmcnt(0) lgkmcnt(0)
	v_mul_f16_e32 v44, s13, v44
.LBB232_38:
	v_pk_min_f16 v45, v37, v26
	v_pk_min_f16 v46, v38, v27
	v_pk_add_f16 v45, v45, v66
	s_and_b64 vcc, exec, s[0:1]
	v_pk_add_f16 v45, v46, v45
	s_nop 0
	;; [unrolled: 36-line block ×3, first 2 shown]
	v_add_f16_sdwa v45, v45, v45 dst_sel:DWORD dst_unused:UNUSED_PAD src0_sel:DWORD src1_sel:WORD_1
	v_add_f16_e32 v46, v45, v44
	v_lshl_add_u64 v[44:45], v[4:5], 1, v[0:1]
	global_store_short v[44:45], v46, off
	s_cbranch_vccnz .LBB232_44
; %bb.43:
	v_lshl_add_u64 v[22:23], v[6:7], 1, v[22:23]
	flat_load_ushort v22, v[22:23]
	s_waitcnt vmcnt(0) lgkmcnt(0)
	v_mul_f16_e32 v43, s13, v22
.LBB232_44:
	v_pk_min_f16 v22, v24, v26
	v_pk_min_f16 v23, v25, v27
	v_pk_add_f16 v22, v22, v63
	v_lshl_add_u64 v[0:1], v[6:7], 1, v[0:1]
	v_pk_add_f16 v22, v23, v22
	v_add_u32_e32 v27, 64, v28
	v_add_f16_sdwa v22, v22, v22 dst_sel:DWORD dst_unused:UNUSED_PAD src0_sel:DWORD src1_sel:WORD_1
	v_add_f16_e32 v22, v22, v43
	global_store_short v[0:1], v22, off
	v_mad_i64_i32 v[0:1], s[8:9], v27, s12, 0
	v_lshl_add_u64 v[0:1], v[0:1], 1, s[6:7]
	s_and_b64 vcc, exec, s[0:1]
	v_mov_b32_e32 v26, 0
	v_mov_b32_e32 v43, 0
	s_cbranch_vccnz .LBB232_46
; %bb.45:
	v_lshl_add_u64 v[22:23], v[16:17], 1, v[0:1]
	flat_load_ushort v22, v[22:23]
	s_waitcnt vmcnt(0) lgkmcnt(0)
	v_mul_f16_e32 v43, s13, v22
.LBB232_46:
	v_pk_max_f16 v22, v2, v2
	v_pk_max_f16 v23, v3, v3
	v_pk_min_f16 v2, v29, v22
	v_pk_min_f16 v3, v30, v23
	v_pk_add_f16 v2, v2, v62
	s_and_b64 vcc, exec, s[0:1]
	v_pk_add_f16 v44, v3, v2
	v_mad_i64_i32 v[2:3], s[8:9], v27, s10, 0
	v_lshl_add_u64 v[2:3], v[2:3], 1, s[2:3]
	v_add_f16_sdwa v27, v44, v44 dst_sel:DWORD dst_unused:UNUSED_PAD src0_sel:DWORD src1_sel:WORD_1
	v_add_f16_e32 v27, v27, v43
	v_lshl_add_u64 v[44:45], v[16:17], 1, v[2:3]
	global_store_short v[44:45], v27, off
	s_cbranch_vccnz .LBB232_48
; %bb.47:
	v_lshl_add_u64 v[26:27], v[20:21], 1, v[0:1]
	flat_load_ushort v26, v[26:27]
	s_waitcnt vmcnt(0) lgkmcnt(0)
	v_mul_f16_e32 v26, s13, v26
.LBB232_48:
	v_pk_min_f16 v27, v31, v22
	v_pk_min_f16 v43, v32, v23
	v_pk_add_f16 v27, v27, v61
	s_and_b64 vcc, exec, s[0:1]
	v_pk_add_f16 v27, v43, v27
	s_nop 0
	v_add_f16_sdwa v27, v27, v27 dst_sel:DWORD dst_unused:UNUSED_PAD src0_sel:DWORD src1_sel:WORD_1
	v_add_f16_e32 v43, v27, v26
	v_lshl_add_u64 v[26:27], v[20:21], 1, v[2:3]
	global_store_short v[26:27], v43, off
	v_mov_b32_e32 v26, 0
	v_mov_b32_e32 v27, 0
	s_cbranch_vccnz .LBB232_50
; %bb.49:
	v_lshl_add_u64 v[44:45], v[12:13], 1, v[0:1]
	flat_load_ushort v27, v[44:45]
	s_waitcnt vmcnt(0) lgkmcnt(0)
	v_mul_f16_e32 v27, s13, v27
.LBB232_50:
	v_pk_min_f16 v43, v33, v22
	v_pk_min_f16 v44, v34, v23
	v_pk_add_f16 v43, v43, v60
	s_and_b64 vcc, exec, s[0:1]
	v_pk_add_f16 v43, v44, v43
	v_lshl_add_u64 v[44:45], v[12:13], 1, v[2:3]
	v_add_f16_sdwa v43, v43, v43 dst_sel:DWORD dst_unused:UNUSED_PAD src0_sel:DWORD src1_sel:WORD_1
	v_add_f16_e32 v27, v43, v27
	global_store_short v[44:45], v27, off
	s_cbranch_vccnz .LBB232_52
; %bb.51:
	v_lshl_add_u64 v[26:27], v[14:15], 1, v[0:1]
	flat_load_ushort v26, v[26:27]
	s_waitcnt vmcnt(0) lgkmcnt(0)
	v_mul_f16_e32 v26, s13, v26
.LBB232_52:
	v_pk_min_f16 v27, v35, v22
	v_pk_min_f16 v43, v36, v23
	v_pk_add_f16 v27, v27, v59
	s_and_b64 vcc, exec, s[0:1]
	v_pk_add_f16 v27, v43, v27
	s_nop 0
	v_add_f16_sdwa v27, v27, v27 dst_sel:DWORD dst_unused:UNUSED_PAD src0_sel:DWORD src1_sel:WORD_1
	v_add_f16_e32 v43, v27, v26
	v_lshl_add_u64 v[26:27], v[14:15], 1, v[2:3]
	global_store_short v[26:27], v43, off
	v_mov_b32_e32 v26, 0
	v_mov_b32_e32 v27, 0
	s_cbranch_vccnz .LBB232_54
; %bb.53:
	v_lshl_add_u64 v[44:45], v[8:9], 1, v[0:1]
	flat_load_ushort v27, v[44:45]
	s_waitcnt vmcnt(0) lgkmcnt(0)
	v_mul_f16_e32 v27, s13, v27
.LBB232_54:
	v_pk_min_f16 v43, v37, v22
	v_pk_min_f16 v44, v38, v23
	v_pk_add_f16 v43, v43, v58
	s_and_b64 vcc, exec, s[0:1]
	v_pk_add_f16 v43, v44, v43
	v_lshl_add_u64 v[44:45], v[8:9], 1, v[2:3]
	v_add_f16_sdwa v43, v43, v43 dst_sel:DWORD dst_unused:UNUSED_PAD src0_sel:DWORD src1_sel:WORD_1
	v_add_f16_e32 v27, v43, v27
	;; [unrolled: 35-line block ×3, first 2 shown]
	global_store_short v[44:45], v27, off
	s_cbranch_vccnz .LBB232_60
; %bb.59:
	v_lshl_add_u64 v[0:1], v[6:7], 1, v[0:1]
	flat_load_ushort v0, v[0:1]
	s_waitcnt vmcnt(0) lgkmcnt(0)
	v_mul_f16_e32 v26, s13, v0
.LBB232_60:
	v_pk_min_f16 v0, v24, v22
	v_pk_min_f16 v1, v25, v23
	v_pk_add_f16 v0, v0, v55
	s_and_b64 vcc, exec, s[0:1]
	v_pk_add_f16 v0, v1, v0
	v_mov_b32_e32 v23, 0
	v_add_f16_sdwa v0, v0, v0 dst_sel:DWORD dst_unused:UNUSED_PAD src0_sel:DWORD src1_sel:WORD_1
	v_add_f16_e32 v22, v0, v26
	v_lshl_add_u64 v[0:1], v[6:7], 1, v[2:3]
	v_add_u32_e32 v2, 0x60, v28
	global_store_short v[0:1], v22, off
	v_mad_i64_i32 v[0:1], s[8:9], v2, s12, 0
	v_lshl_add_u64 v[0:1], v[0:1], 1, s[6:7]
	v_mov_b32_e32 v22, 0
	s_cbranch_vccnz .LBB232_62
; %bb.61:
	v_lshl_add_u64 v[26:27], v[16:17], 1, v[0:1]
	flat_load_ushort v3, v[26:27]
	s_waitcnt vmcnt(0) lgkmcnt(0)
	v_mul_f16_e32 v23, s13, v3
.LBB232_62:
	v_pk_max_f16 v18, v18, v18
	v_pk_max_f16 v19, v19, v19
	v_pk_min_f16 v3, v29, v18
	v_pk_min_f16 v26, v30, v19
	v_pk_add_f16 v3, v3, v54
	s_and_b64 vcc, exec, s[0:1]
	v_pk_add_f16 v26, v26, v3
	v_mad_i64_i32 v[2:3], s[6:7], v2, s10, 0
	v_lshl_add_u64 v[2:3], v[2:3], 1, s[2:3]
	v_add_f16_sdwa v26, v26, v26 dst_sel:DWORD dst_unused:UNUSED_PAD src0_sel:DWORD src1_sel:WORD_1
	v_add_f16_e32 v23, v26, v23
	v_lshl_add_u64 v[16:17], v[16:17], 1, v[2:3]
	global_store_short v[16:17], v23, off
	s_cbranch_vccnz .LBB232_64
; %bb.63:
	v_lshl_add_u64 v[16:17], v[20:21], 1, v[0:1]
	flat_load_ushort v16, v[16:17]
	s_waitcnt vmcnt(0) lgkmcnt(0)
	v_mul_f16_e32 v22, s13, v16
.LBB232_64:
	v_pk_min_f16 v16, v31, v18
	v_pk_min_f16 v17, v32, v19
	v_pk_add_f16 v16, v16, v53
	s_and_b64 vcc, exec, s[0:1]
	v_pk_add_f16 v16, v17, v16
	s_nop 0
	v_add_f16_sdwa v16, v16, v16 dst_sel:DWORD dst_unused:UNUSED_PAD src0_sel:DWORD src1_sel:WORD_1
	v_add_f16_e32 v22, v16, v22
	v_lshl_add_u64 v[16:17], v[20:21], 1, v[2:3]
	global_store_short v[16:17], v22, off
	v_mov_b32_e32 v16, 0
	v_mov_b32_e32 v17, 0
	s_cbranch_vccnz .LBB232_66
; %bb.65:
	v_lshl_add_u64 v[20:21], v[12:13], 1, v[0:1]
	flat_load_ushort v17, v[20:21]
	s_waitcnt vmcnt(0) lgkmcnt(0)
	v_mul_f16_e32 v17, s13, v17
.LBB232_66:
	v_pk_min_f16 v20, v33, v18
	v_pk_min_f16 v21, v34, v19
	v_pk_add_f16 v20, v20, v52
	v_lshl_add_u64 v[12:13], v[12:13], 1, v[2:3]
	v_pk_add_f16 v20, v21, v20
	s_and_b64 vcc, exec, s[0:1]
	v_add_f16_sdwa v20, v20, v20 dst_sel:DWORD dst_unused:UNUSED_PAD src0_sel:DWORD src1_sel:WORD_1
	v_add_f16_e32 v17, v20, v17
	global_store_short v[12:13], v17, off
	s_cbranch_vccnz .LBB232_68
; %bb.67:
	v_lshl_add_u64 v[12:13], v[14:15], 1, v[0:1]
	flat_load_ushort v12, v[12:13]
	s_waitcnt vmcnt(0) lgkmcnt(0)
	v_mul_f16_e32 v16, s13, v12
.LBB232_68:
	v_pk_min_f16 v12, v35, v18
	v_pk_min_f16 v13, v36, v19
	v_pk_add_f16 v12, v12, v51
	s_and_b64 vcc, exec, s[0:1]
	v_pk_add_f16 v12, v13, v12
	s_nop 0
	v_add_f16_sdwa v12, v12, v12 dst_sel:DWORD dst_unused:UNUSED_PAD src0_sel:DWORD src1_sel:WORD_1
	v_add_f16_e32 v16, v12, v16
	v_lshl_add_u64 v[12:13], v[14:15], 1, v[2:3]
	global_store_short v[12:13], v16, off
	v_mov_b32_e32 v12, 0
	v_mov_b32_e32 v13, 0
	s_cbranch_vccnz .LBB232_70
; %bb.69:
	v_lshl_add_u64 v[14:15], v[8:9], 1, v[0:1]
	flat_load_ushort v13, v[14:15]
	s_waitcnt vmcnt(0) lgkmcnt(0)
	v_mul_f16_e32 v13, s13, v13
.LBB232_70:
	v_pk_min_f16 v14, v37, v18
	v_pk_min_f16 v15, v38, v19
	v_pk_add_f16 v14, v14, v50
	v_lshl_add_u64 v[8:9], v[8:9], 1, v[2:3]
	v_pk_add_f16 v14, v15, v14
	s_and_b64 vcc, exec, s[0:1]
	v_add_f16_sdwa v14, v14, v14 dst_sel:DWORD dst_unused:UNUSED_PAD src0_sel:DWORD src1_sel:WORD_1
	v_add_f16_e32 v13, v14, v13
	global_store_short v[8:9], v13, off
	s_cbranch_vccnz .LBB232_72
; %bb.71:
	v_lshl_add_u64 v[8:9], v[10:11], 1, v[0:1]
	flat_load_ushort v8, v[8:9]
	s_waitcnt vmcnt(0) lgkmcnt(0)
	v_mul_f16_e32 v12, s13, v8
.LBB232_72:
	v_pk_min_f16 v8, v39, v18
	v_pk_min_f16 v9, v40, v19
	v_pk_add_f16 v8, v8, v48
	v_pk_min_f16 v13, v42, v19
	v_pk_add_f16 v8, v9, v8
	v_pk_min_f16 v9, v41, v18
	v_add_f16_sdwa v8, v8, v8 dst_sel:DWORD dst_unused:UNUSED_PAD src0_sel:DWORD src1_sel:WORD_1
	v_pk_add_f16 v9, v9, v49
	v_add_f16_e32 v12, v8, v12
	v_pk_add_f16 v13, v13, v9
	v_lshl_add_u64 v[8:9], v[10:11], 1, v[2:3]
	global_store_short v[8:9], v12, off
	v_add_f16_sdwa v8, v13, v13 dst_sel:DWORD dst_unused:UNUSED_PAD src0_sel:DWORD src1_sel:WORD_1
	s_mov_b64 vcc, s[4:5]
	s_cbranch_vccz .LBB232_75
; %bb.73:
	v_add_f16_e32 v9, 0, v8
	v_lshl_add_u64 v[10:11], v[4:5], 1, v[2:3]
	s_mov_b32 s2, 0
	global_store_short v[10:11], v9, off
	s_cbranch_execz .LBB232_76
; %bb.74:
	v_mov_b32_e32 v0, s2
	s_branch .LBB232_77
.LBB232_75:
                                        ; implicit-def: $sgpr2
.LBB232_76:
	v_lshlrev_b64 v[4:5], 1, v[4:5]
	v_lshl_add_u64 v[10:11], v[0:1], 0, v[4:5]
	flat_load_ushort v9, v[10:11]
	v_lshl_add_u64 v[4:5], v[2:3], 0, v[4:5]
	v_lshl_add_u64 v[0:1], v[6:7], 1, v[0:1]
	s_waitcnt vmcnt(0) lgkmcnt(0)
	v_fma_f16 v8, v9, s13, v8
	global_store_short v[4:5], v8, off
	flat_load_ushort v0, v[0:1]
	s_waitcnt vmcnt(0) lgkmcnt(0)
	v_mul_f16_e32 v0, s13, v0
.LBB232_77:
	v_pk_min_f16 v4, v24, v18
	v_pk_min_f16 v1, v25, v19
	v_pk_add_f16 v4, v4, v47
	s_nop 0
	v_pk_add_f16 v1, v1, v4
	s_nop 0
	v_add_f16_sdwa v1, v1, v1 dst_sel:DWORD dst_unused:UNUSED_PAD src0_sel:DWORD src1_sel:WORD_1
	v_add_f16_e32 v4, v1, v0
	v_lshl_add_u64 v[0:1], v[6:7], 1, v[2:3]
	global_store_short v[0:1], v4, off
	s_endpgm
	.section	.rodata,"a",@progbits
	.p2align	6, 0x0
	.amdhsa_kernel _ZN12_GLOBAL__N_120geam_min_plus_kernelIDF16_Dv2_DF16_S1_Li8ELi32ELi64ELi128ELi4ELi64ELi4ELi4ELi64ELc78ELc78ELb1ELb0ELb0EDF16_KPKDF16_KPDF16_EEviiiT16_PT17_ilS9_ilS7_S9_ilPT18_ili26rocblas_geam_ex_operation_
		.amdhsa_group_segment_fixed_size 3072
		.amdhsa_private_segment_fixed_size 0
		.amdhsa_kernarg_size 128
		.amdhsa_user_sgpr_count 2
		.amdhsa_user_sgpr_dispatch_ptr 0
		.amdhsa_user_sgpr_queue_ptr 0
		.amdhsa_user_sgpr_kernarg_segment_ptr 1
		.amdhsa_user_sgpr_dispatch_id 0
		.amdhsa_user_sgpr_kernarg_preload_length 0
		.amdhsa_user_sgpr_kernarg_preload_offset 0
		.amdhsa_user_sgpr_private_segment_size 0
		.amdhsa_uses_dynamic_stack 0
		.amdhsa_enable_private_segment 0
		.amdhsa_system_sgpr_workgroup_id_x 1
		.amdhsa_system_sgpr_workgroup_id_y 0
		.amdhsa_system_sgpr_workgroup_id_z 1
		.amdhsa_system_sgpr_workgroup_info 0
		.amdhsa_system_vgpr_workitem_id 1
		.amdhsa_next_free_vgpr 125
		.amdhsa_next_free_sgpr 22
		.amdhsa_accum_offset 128
		.amdhsa_reserve_vcc 1
		.amdhsa_float_round_mode_32 0
		.amdhsa_float_round_mode_16_64 0
		.amdhsa_float_denorm_mode_32 3
		.amdhsa_float_denorm_mode_16_64 3
		.amdhsa_dx10_clamp 1
		.amdhsa_ieee_mode 1
		.amdhsa_fp16_overflow 0
		.amdhsa_tg_split 0
		.amdhsa_exception_fp_ieee_invalid_op 0
		.amdhsa_exception_fp_denorm_src 0
		.amdhsa_exception_fp_ieee_div_zero 0
		.amdhsa_exception_fp_ieee_overflow 0
		.amdhsa_exception_fp_ieee_underflow 0
		.amdhsa_exception_fp_ieee_inexact 0
		.amdhsa_exception_int_div_zero 0
	.end_amdhsa_kernel
	.section	.text._ZN12_GLOBAL__N_120geam_min_plus_kernelIDF16_Dv2_DF16_S1_Li8ELi32ELi64ELi128ELi4ELi64ELi4ELi4ELi64ELc78ELc78ELb1ELb0ELb0EDF16_KPKDF16_KPDF16_EEviiiT16_PT17_ilS9_ilS7_S9_ilPT18_ili26rocblas_geam_ex_operation_,"axG",@progbits,_ZN12_GLOBAL__N_120geam_min_plus_kernelIDF16_Dv2_DF16_S1_Li8ELi32ELi64ELi128ELi4ELi64ELi4ELi4ELi64ELc78ELc78ELb1ELb0ELb0EDF16_KPKDF16_KPDF16_EEviiiT16_PT17_ilS9_ilS7_S9_ilPT18_ili26rocblas_geam_ex_operation_,comdat
.Lfunc_end232:
	.size	_ZN12_GLOBAL__N_120geam_min_plus_kernelIDF16_Dv2_DF16_S1_Li8ELi32ELi64ELi128ELi4ELi64ELi4ELi4ELi64ELc78ELc78ELb1ELb0ELb0EDF16_KPKDF16_KPDF16_EEviiiT16_PT17_ilS9_ilS7_S9_ilPT18_ili26rocblas_geam_ex_operation_, .Lfunc_end232-_ZN12_GLOBAL__N_120geam_min_plus_kernelIDF16_Dv2_DF16_S1_Li8ELi32ELi64ELi128ELi4ELi64ELi4ELi4ELi64ELc78ELc78ELb1ELb0ELb0EDF16_KPKDF16_KPDF16_EEviiiT16_PT17_ilS9_ilS7_S9_ilPT18_ili26rocblas_geam_ex_operation_
                                        ; -- End function
	.section	.AMDGPU.csdata,"",@progbits
; Kernel info:
; codeLenInByte = 8660
; NumSgprs: 28
; NumVgprs: 125
; NumAgprs: 0
; TotalNumVgprs: 125
; ScratchSize: 0
; MemoryBound: 0
; FloatMode: 240
; IeeeMode: 1
; LDSByteSize: 3072 bytes/workgroup (compile time only)
; SGPRBlocks: 3
; VGPRBlocks: 15
; NumSGPRsForWavesPerEU: 28
; NumVGPRsForWavesPerEU: 125
; AccumOffset: 128
; Occupancy: 4
; WaveLimiterHint : 1
; COMPUTE_PGM_RSRC2:SCRATCH_EN: 0
; COMPUTE_PGM_RSRC2:USER_SGPR: 2
; COMPUTE_PGM_RSRC2:TRAP_HANDLER: 0
; COMPUTE_PGM_RSRC2:TGID_X_EN: 1
; COMPUTE_PGM_RSRC2:TGID_Y_EN: 0
; COMPUTE_PGM_RSRC2:TGID_Z_EN: 1
; COMPUTE_PGM_RSRC2:TIDIG_COMP_CNT: 1
; COMPUTE_PGM_RSRC3_GFX90A:ACCUM_OFFSET: 31
; COMPUTE_PGM_RSRC3_GFX90A:TG_SPLIT: 0
	.section	.text._ZN12_GLOBAL__N_120geam_min_plus_kernelIDF16_Dv2_DF16_S1_Li8ELi32ELi64ELi128ELi4ELi64ELi4ELi4ELi64ELc78ELc78ELb0ELb0ELb0EDF16_KPKDF16_KPDF16_EEviiiT16_PT17_ilS9_ilS7_S9_ilPT18_ili26rocblas_geam_ex_operation_,"axG",@progbits,_ZN12_GLOBAL__N_120geam_min_plus_kernelIDF16_Dv2_DF16_S1_Li8ELi32ELi64ELi128ELi4ELi64ELi4ELi4ELi64ELc78ELc78ELb0ELb0ELb0EDF16_KPKDF16_KPDF16_EEviiiT16_PT17_ilS9_ilS7_S9_ilPT18_ili26rocblas_geam_ex_operation_,comdat
	.globl	_ZN12_GLOBAL__N_120geam_min_plus_kernelIDF16_Dv2_DF16_S1_Li8ELi32ELi64ELi128ELi4ELi64ELi4ELi4ELi64ELc78ELc78ELb0ELb0ELb0EDF16_KPKDF16_KPDF16_EEviiiT16_PT17_ilS9_ilS7_S9_ilPT18_ili26rocblas_geam_ex_operation_ ; -- Begin function _ZN12_GLOBAL__N_120geam_min_plus_kernelIDF16_Dv2_DF16_S1_Li8ELi32ELi64ELi128ELi4ELi64ELi4ELi4ELi64ELc78ELc78ELb0ELb0ELb0EDF16_KPKDF16_KPDF16_EEviiiT16_PT17_ilS9_ilS7_S9_ilPT18_ili26rocblas_geam_ex_operation_
	.p2align	8
	.type	_ZN12_GLOBAL__N_120geam_min_plus_kernelIDF16_Dv2_DF16_S1_Li8ELi32ELi64ELi128ELi4ELi64ELi4ELi4ELi64ELc78ELc78ELb0ELb0ELb0EDF16_KPKDF16_KPDF16_EEviiiT16_PT17_ilS9_ilS7_S9_ilPT18_ili26rocblas_geam_ex_operation_,@function
_ZN12_GLOBAL__N_120geam_min_plus_kernelIDF16_Dv2_DF16_S1_Li8ELi32ELi64ELi128ELi4ELi64ELi4ELi4ELi64ELc78ELc78ELb0ELb0ELb0EDF16_KPKDF16_KPDF16_EEviiiT16_PT17_ilS9_ilS7_S9_ilPT18_ili26rocblas_geam_ex_operation_: ; @_ZN12_GLOBAL__N_120geam_min_plus_kernelIDF16_Dv2_DF16_S1_Li8ELi32ELi64ELi128ELi4ELi64ELi4ELi4ELi64ELc78ELc78ELb0ELb0ELb0EDF16_KPKDF16_KPDF16_EEviiiT16_PT17_ilS9_ilS7_S9_ilPT18_ili26rocblas_geam_ex_operation_
; %bb.0:
	s_load_dwordx2 s[12:13], s[0:1], 0x8
	s_load_dwordx4 s[4:7], s[0:1], 0x20
	s_mov_b32 s20, s3
	s_mov_b32 s21, 0
	s_waitcnt lgkmcnt(0)
	v_cmp_eq_f16_e64 s[8:9], s13, 0
	s_and_b64 vcc, exec, s[8:9]
	s_cbranch_vccnz .LBB233_3
; %bb.1:
	s_load_dwordx2 s[10:11], s[0:1], 0x10
	s_lshl_b64 s[14:15], s[20:21], 3
	s_waitcnt lgkmcnt(0)
	s_add_u32 s10, s10, s14
	s_addc_u32 s11, s11, s15
	s_load_dwordx2 s[10:11], s[10:11], 0x0
	s_lshl_b64 s[4:5], s[4:5], 1
	s_waitcnt lgkmcnt(0)
	s_add_u32 s14, s10, s4
	s_addc_u32 s15, s11, s5
	s_andn2_b64 vcc, exec, s[8:9]
	s_cbranch_vccnz .LBB233_4
.LBB233_2:
	s_mov_b64 s[16:17], 0
	s_cbranch_execz .LBB233_5
	s_branch .LBB233_6
.LBB233_3:
	s_mov_b64 s[14:15], 0
	s_andn2_b64 vcc, exec, s[8:9]
	s_cbranch_vccz .LBB233_2
.LBB233_4:
                                        ; implicit-def: $sgpr16_sgpr17
.LBB233_5:
	s_lshl_b64 s[8:9], s[20:21], 3
	s_add_u32 s6, s6, s8
	s_load_dwordx2 s[4:5], s[0:1], 0x38
	s_addc_u32 s7, s7, s9
	s_load_dwordx2 s[6:7], s[6:7], 0x0
	s_waitcnt lgkmcnt(0)
	s_lshl_b64 s[4:5], s[4:5], 1
	s_add_u32 s16, s6, s4
	s_addc_u32 s17, s7, s5
.LBB233_6:
	s_load_dword s24, s[0:1], 0x40
	s_load_dwordx4 s[8:11], s[0:1], 0x58
	v_cmp_neq_f16_e64 s[22:23], s13, 0
	s_waitcnt lgkmcnt(0)
	v_cmp_eq_f16_e64 s[4:5], s24, 0
	s_and_b64 s[6:7], exec, s[4:5]
	s_mov_b64 vcc, s[6:7]
	s_cbranch_vccnz .LBB233_8
; %bb.7:
	s_load_dwordx2 s[4:5], s[0:1], 0x48
	s_lshl_b64 s[18:19], s[20:21], 3
	s_waitcnt lgkmcnt(0)
	s_add_u32 s4, s4, s18
	s_addc_u32 s5, s5, s19
	s_load_dwordx2 s[4:5], s[4:5], 0x0
	s_lshl_b64 s[8:9], s[8:9], 1
	s_waitcnt lgkmcnt(0)
	s_add_u32 s8, s4, s8
	s_addc_u32 s9, s5, s9
	s_branch .LBB233_9
.LBB233_8:
	s_mov_b64 s[8:9], 0
.LBB233_9:
	s_load_dword s18, s[0:1], 0x18
	s_load_dword s3, s[0:1], 0x0
	s_lshl_b64 s[4:5], s[20:21], 3
	v_and_b32_e32 v49, 0x3ff, v0
	v_bfe_u32 v50, v0, 10, 10
	s_waitcnt lgkmcnt(0)
	s_ashr_i32 s19, s18, 31
	s_add_u32 s10, s10, s4
	s_addc_u32 s11, s11, s5
	s_add_i32 s3, s3, -1
	s_ashr_i32 s4, s3, 31
	s_lshr_b32 s4, s4, 26
	s_add_i32 s3, s3, s4
	s_ashr_i32 s3, s3, 6
	s_add_i32 s20, s3, 1
	v_cvt_f32_u32_e32 v1, s20
	s_not_b32 s3, s3
	v_lshl_add_u32 v4, v50, 3, v49
	v_and_b32_e32 v3, 63, v4
	v_rcp_iflag_f32_e32 v0, v1
	v_cndmask_b32_e64 v1, 0, 1, s[22:23]
	v_cmp_ne_u32_e64 s[4:5], 1, v1
	v_lshrrev_b32_e32 v2, 6, v4
	v_mul_f32_e32 v0, 0x4f7ffffe, v0
	v_cvt_u32_f32_e32 v0, v0
	s_nop 0
	v_readfirstlane_b32 s21, v0
	s_mul_i32 s3, s3, s21
	s_mul_hi_u32 s3, s21, s3
	s_add_i32 s21, s21, s3
	s_mul_hi_u32 s3, s2, s21
	s_mul_i32 s21, s3, s20
	s_sub_i32 s21, s2, s21
	s_add_i32 s25, s3, 1
	s_sub_i32 s26, s21, s20
	s_cmp_ge_u32 s21, s20
	s_cselect_b32 s3, s25, s3
	s_cselect_b32 s21, s26, s21
	s_add_i32 s25, s3, 1
	s_cmp_ge_u32 s21, s20
	s_cselect_b32 s21, s25, s3
	s_mul_i32 s3, s21, s20
	s_sub_i32 s20, s2, s3
	s_lshl_b32 s20, s20, 6
	v_or_b32_e32 v0, s20, v3
	s_andn2_b64 vcc, exec, s[22:23]
	v_ashrrev_i32_e32 v1, 31, v0
	s_cbranch_vccnz .LBB233_11
; %bb.10:
	v_mad_i64_i32 v[6:7], s[22:23], s18, v2, 0
	v_lshl_add_u64 v[6:7], v[6:7], 1, s[14:15]
	v_lshl_add_u64 v[6:7], v[0:1], 1, v[6:7]
	flat_load_ushort v5, v[6:7]
	s_waitcnt vmcnt(0) lgkmcnt(0)
	v_mul_f16_e32 v8, s13, v5
	s_branch .LBB233_12
.LBB233_11:
	v_mov_b32_e32 v8, 0
.LBB233_12:
	s_load_dword s22, s[0:1], 0x30
	v_lshrrev_b32_e32 v9, 2, v4
	s_lshl_b32 s21, s21, 7
	v_and_b32_e32 v5, 3, v49
	v_add_u32_e32 v4, s21, v9
	s_and_b64 vcc, exec, s[4:5]
	v_lshlrev_b32_e32 v24, 1, v5
	v_add_u32_e32 v5, 64, v4
	s_cbranch_vccnz .LBB233_16
; %bb.13:
	v_mov_b32_e32 v25, 0
	v_lshl_add_u64 v[6:7], s[16:17], 0, v[24:25]
	s_waitcnt lgkmcnt(0)
	v_mad_i64_i32 v[10:11], s[26:27], v4, s22, 0
	v_lshl_add_u64 v[10:11], v[10:11], 1, v[6:7]
	v_mad_i64_i32 v[12:13], s[26:27], v5, s22, 0
	v_lshl_add_u64 v[6:7], v[12:13], 1, v[6:7]
	flat_load_ushort v12, v[10:11]
	flat_load_ushort v13, v[6:7]
	s_waitcnt vmcnt(0) lgkmcnt(0)
	v_mul_f16_e32 v10, s13, v12
	v_mul_f16_e32 v11, s13, v13
	s_and_b64 vcc, exec, s[4:5]
	s_cbranch_vccnz .LBB233_17
.LBB233_14:
	v_add_u32_e32 v6, 4, v2
	v_mad_i64_i32 v[6:7], s[26:27], s18, v6, 0
	v_lshl_add_u64 v[6:7], v[6:7], 1, s[14:15]
	v_lshl_add_u64 v[0:1], v[0:1], 1, v[6:7]
	flat_load_ushort v0, v[0:1]
	s_waitcnt vmcnt(0) lgkmcnt(0)
	v_mul_f16_e32 v0, s13, v0
	s_and_b64 vcc, exec, s[4:5]
	s_cbranch_vccnz .LBB233_18
.LBB233_15:
	v_mov_b32_e32 v25, 0
	v_lshl_add_u64 v[6:7], s[16:17], 0, v[24:25]
	s_waitcnt lgkmcnt(0)
	v_mad_i64_i32 v[12:13], s[26:27], v4, s22, 0
	v_lshl_add_u64 v[12:13], v[12:13], 1, v[6:7]
	v_mad_i64_i32 v[14:15], s[26:27], v5, s22, 0
	v_lshl_add_u64 v[6:7], v[14:15], 1, v[6:7]
	flat_load_ushort v1, v[12:13] offset:8
	flat_load_ushort v14, v[6:7] offset:8
	s_waitcnt vmcnt(0) lgkmcnt(0)
	v_mul_f16_e32 v1, s13, v1
	v_mul_f16_e32 v7, s13, v14
	s_branch .LBB233_19
.LBB233_16:
	v_mov_b32_e32 v10, 0
	v_mov_b32_e32 v11, 0
	s_and_b64 vcc, exec, s[4:5]
	s_cbranch_vccz .LBB233_14
.LBB233_17:
	v_mov_b32_e32 v0, 0
	s_and_b64 vcc, exec, s[4:5]
	s_cbranch_vccz .LBB233_15
.LBB233_18:
	v_mov_b32_e32 v1, 0
	v_mov_b32_e32 v7, 0
.LBB233_19:
	v_lshlrev_b32_e32 v6, 3, v3
	v_lshl_add_u32 v6, v2, 1, v6
	v_lshl_or_b32 v68, v9, 3, v24
	v_lshlrev_b32_e32 v59, 3, v49
	v_lshlrev_b32_e32 v60, 3, v50
	s_load_dwordx2 s[10:11], s[10:11], 0x0
	ds_write_b16 v6, v8 offset:2048
	ds_write_b16 v68, v10
	ds_write_b16 v68, v11 offset:512
	s_waitcnt lgkmcnt(0)
	s_barrier
	ds_read2_b64 v[8:11], v60 offset1:32
	v_add_u32_e32 v70, 0x800, v59
	ds_read2_b64 v[12:15], v70 offset0:48 offset1:56
	ds_read2_b64 v[16:19], v60 offset0:64 offset1:96
	ds_read2_b64 v[20:23], v70 offset1:8
	ds_read2_b64 v[26:29], v70 offset0:16 offset1:24
	ds_read2_b64 v[30:33], v70 offset0:32 offset1:40
	s_waitcnt lgkmcnt(5)
	v_pk_max_f16 v8, v8, v8
	s_waitcnt lgkmcnt(4)
	v_pk_max_f16 v14, v14, v14
	v_pk_max_f16 v10, v10, v10
	v_pk_min_f16 v25, v14, v8
	s_waitcnt lgkmcnt(3)
	v_pk_max_f16 v16, v16, v16
	s_waitcnt lgkmcnt(2)
	v_pk_max_f16 v20, v20, v20
	v_pk_max_f16 v18, v18, v18
	v_pk_max_f16 v22, v22, v22
	s_waitcnt lgkmcnt(1)
	v_pk_max_f16 v26, v26, v26
	v_pk_max_f16 v28, v28, v28
	;; [unrolled: 4-line block ×3, first 2 shown]
	v_pk_max_f16 v12, v12, v12
	v_pk_max_f16 v15, v15, v15
	v_pk_min_f16 v34, v20, v8
	v_pk_min_f16 v35, v20, v10
	;; [unrolled: 1-line block ×14, first 2 shown]
	v_pk_max_f16 v11, v11, v11
	v_pk_min_f16 v51, v28, v16
	v_pk_min_f16 v28, v28, v18
	v_pk_min_f16 v52, v30, v8
	v_pk_min_f16 v54, v30, v10
	v_pk_min_f16 v61, v30, v16
	v_pk_min_f16 v30, v30, v18
	v_pk_min_f16 v64, v32, v8
	v_pk_min_f16 v71, v32, v10
	v_pk_min_f16 v72, v32, v16
	v_pk_min_f16 v32, v32, v18
	v_pk_min_f16 v8, v12, v8
	v_pk_min_f16 v43, v14, v10
	v_pk_min_f16 v10, v12, v10
	v_pk_min_f16 v44, v14, v16
	v_pk_min_f16 v16, v12, v16
	v_pk_min_f16 v12, v12, v18
	v_pk_min_f16 v14, v14, v18
	v_pk_add_f16 v18, v25, 0
	v_pk_min_f16 v25, v15, v9
	v_pk_max_f16 v17, v17, v17
	v_pk_add_f16 v69, v25, v18
	v_pk_add_f16 v18, v43, 0
	v_pk_min_f16 v25, v15, v11
	v_pk_max_f16 v21, v21, v21
	v_pk_add_f16 v58, v25, v18
	;; [unrolled: 4-line block ×6, first 2 shown]
	v_pk_add_f16 v18, v20, 0
	v_pk_min_f16 v20, v21, v19
	v_pk_min_f16 v21, v29, v19
	v_pk_add_f16 v47, v20, v18
	v_pk_add_f16 v18, v37, 0
	v_pk_min_f16 v20, v23, v9
	v_pk_max_f16 v13, v13, v13
	v_pk_add_f16 v76, v20, v18
	v_pk_add_f16 v18, v38, 0
	v_pk_min_f16 v20, v23, v11
	v_pk_add_f16 v8, v8, 0
	v_pk_add_f16 v66, v20, v18
	v_pk_add_f16 v18, v39, 0
	v_pk_min_f16 v20, v23, v17
	v_pk_add_f16 v10, v10, 0
	v_pk_add_f16 v56, v20, v18
	v_pk_add_f16 v18, v22, 0
	v_pk_min_f16 v20, v23, v19
	v_pk_add_f16 v22, v71, 0
	v_pk_add_f16 v44, v20, v18
	v_pk_add_f16 v18, v40, 0
	v_pk_min_f16 v20, v27, v9
	v_pk_add_f16 v16, v16, 0
	v_pk_add_f16 v75, v20, v18
	v_pk_add_f16 v18, v41, 0
	v_pk_min_f16 v20, v27, v11
	v_pk_add_f16 v23, v72, 0
	v_pk_add_f16 v65, v20, v18
	v_pk_add_f16 v18, v42, 0
	v_pk_min_f16 v20, v27, v17
	v_pk_add_f16 v12, v12, 0
	v_pk_add_f16 v55, v20, v18
	v_pk_add_f16 v18, v26, 0
	v_pk_min_f16 v20, v27, v19
	v_pk_add_f16 v25, v32, 0
	v_pk_add_f16 v43, v20, v18
	v_pk_add_f16 v18, v45, 0
	v_pk_min_f16 v20, v29, v9
	v_pk_add_f16 v14, v14, 0
	v_pk_add_f16 v74, v20, v18
	v_pk_add_f16 v18, v46, 0
	v_pk_min_f16 v20, v29, v11
	s_cmp_lt_i32 s12, 9
	v_pk_add_f16 v63, v20, v18
	v_pk_add_f16 v18, v51, 0
	v_pk_min_f16 v20, v29, v17
	ds_write_b16 v6, v0 offset:2560
	ds_write_b16 v68, v1 offset:1024
	;; [unrolled: 1-line block ×3, first 2 shown]
	v_pk_add_f16 v53, v20, v18
	v_pk_add_f16 v18, v28, 0
	;; [unrolled: 1-line block ×4, first 2 shown]
	v_pk_max_f16 v18, v31, v31
	s_waitcnt lgkmcnt(0)
	v_pk_min_f16 v21, v18, v9
	s_barrier
	v_pk_add_f16 v73, v21, v20
	v_pk_add_f16 v20, v54, 0
	v_pk_min_f16 v21, v18, v11
	s_nop 0
	v_pk_add_f16 v62, v21, v20
	v_pk_add_f16 v20, v61, 0
	v_pk_min_f16 v21, v18, v17
	v_pk_min_f16 v18, v18, v19
	v_pk_add_f16 v52, v21, v20
	v_pk_add_f16 v20, v30, 0
	;; [unrolled: 1-line block ×4, first 2 shown]
	v_pk_max_f16 v18, v33, v33
	s_nop 0
	v_pk_min_f16 v20, v18, v9
	v_pk_min_f16 v9, v13, v9
	v_pk_add_f16 v72, v20, v21
	v_pk_add_f16 v71, v9, v8
	v_pk_min_f16 v8, v13, v11
	v_pk_min_f16 v20, v18, v11
	v_pk_add_f16 v61, v8, v10
	v_pk_min_f16 v8, v13, v17
	v_pk_add_f16 v64, v20, v22
	v_pk_add_f16 v51, v8, v16
	v_pk_min_f16 v8, v13, v19
	v_pk_min_f16 v20, v18, v17
	;; [unrolled: 1-line block ×3, first 2 shown]
	v_pk_add_f16 v46, v8, v12
	v_pk_min_f16 v8, v15, v19
	v_pk_add_f16 v54, v20, v23
	v_pk_add_f16 v41, v18, v25
	;; [unrolled: 1-line block ×3, first 2 shown]
	s_cbranch_scc1 .LBB233_33
; %bb.20:
	v_mov_b32_e32 v0, 0xa00
	v_lshl_add_u32 v81, v49, 3, v0
	v_mov_b32_e32 v0, 0x400
	v_lshl_add_u32 v82, v50, 3, v0
	v_mad_i64_i32 v[0:1], s[26:27], s22, v5, 0
	v_lshl_add_u64 v[26:27], v[0:1], 1, s[16:17]
	v_mad_i64_i32 v[0:1], s[22:23], s22, v4, 0
	v_lshl_add_u64 v[28:29], v[0:1], 1, s[16:17]
	v_add_u32_e32 v0, 8, v2
	v_mad_i64_i32 v[0:1], s[16:17], v0, s18, 0
	v_lshlrev_b64 v[30:31], 1, v[0:1]
	v_lshl_or_b32 v0, s2, 6, v3
	s_lshl_b32 s2, s3, 6
	v_subrev_u32_e32 v0, s2, v0
	v_ashrrev_i32_e32 v1, 31, v0
	v_lshl_add_u64 v[32:33], v[0:1], 1, s[14:15]
	v_add_u32_e32 v0, 12, v2
	v_mad_i64_i32 v[0:1], s[14:15], v0, s18, 0
	v_or_b32_e32 v78, 0x800, v6
	v_add_u32_e32 v79, 0xa00, v6
	v_add_u32_e32 v80, 0x400, v68
	s_add_i32 s12, s12, -8
	v_mov_b32_e32 v25, 0
	s_lshl_b64 s[2:3], s[18:19], 4
	v_lshlrev_b64 v[34:35], 1, v[0:1]
	s_mov_b32 s14, 0
	s_branch .LBB233_23
.LBB233_21:                             ;   in Loop: Header=BB233_23 Depth=1
	flat_load_ushort v0, v[36:37] offset:24
	flat_load_ushort v1, v[38:39] offset:24
	s_waitcnt vmcnt(0) lgkmcnt(0)
	v_mul_f16_e32 v0, s13, v0
	v_mul_f16_e32 v1, s13, v1
.LBB233_22:                             ;   in Loop: Header=BB233_23 Depth=1
	v_pk_add_f16 v20, v20, v58
	v_pk_add_f16 v12, v12, v48
	;; [unrolled: 1-line block ×18, first 2 shown]
	ds_read2_b64 v[8:11], v70 offset0:48 offset1:56
	ds_read2_b64 v[12:15], v60 offset1:32
	v_pk_add_f16 v2, v2, v69
	v_pk_add_f16 v16, v16, v77
	;; [unrolled: 1-line block ×4, first 2 shown]
	s_waitcnt lgkmcnt(1)
	v_pk_max_f16 v10, v10, v10
	s_waitcnt lgkmcnt(0)
	v_pk_max_f16 v12, v12, v12
	v_pk_add_f16 v18, v18, v76
	v_pk_add_f16 v37, v85, v66
	;; [unrolled: 1-line block ×10, first 2 shown]
	ds_read2_b64 v[2:5], v60 offset0:64 offset1:96
	v_pk_min_f16 v16, v10, v12
	v_pk_add_f16 v48, v91, v63
	v_pk_add_f16 v63, v19, v18
	;; [unrolled: 1-line block ×4, first 2 shown]
	ds_read2_b64 v[16:19], v70 offset1:8
	v_pk_max_f16 v14, v14, v14
	s_waitcnt lgkmcnt(1)
	v_pk_max_f16 v2, v2, v2
	v_pk_min_f16 v61, v10, v14
	v_pk_add_f16 v57, v100, v71
	v_pk_add_f16 v61, v61, v20
	v_pk_min_f16 v20, v10, v2
	s_waitcnt lgkmcnt(0)
	v_pk_max_f16 v16, v16, v16
	v_pk_add_f16 v67, v20, v21
	v_pk_min_f16 v20, v16, v12
	v_pk_max_f16 v18, v18, v18
	v_pk_add_f16 v62, v20, v62
	v_pk_min_f16 v20, v16, v14
	v_pk_add_f16 v6, v6, v72
	v_pk_add_f16 v71, v20, v22
	v_pk_min_f16 v20, v16, v2
	v_pk_add_f16 v37, v106, v37
	v_pk_add_f16 v72, v20, v23
	v_pk_min_f16 v20, v18, v12
	v_pk_max_f16 v4, v4, v4
	v_pk_add_f16 v63, v20, v63
	v_pk_min_f16 v20, v18, v14
	v_pk_min_f16 v16, v16, v4
	v_pk_add_f16 v73, v20, v37
	ds_read2_b64 v[20:23], v70 offset0:16 offset1:24
	v_pk_add_f16 v38, v107, v38
	v_pk_add_f16 v16, v16, v36
	v_pk_min_f16 v36, v18, v2
	v_pk_add_f16 v44, v109, v44
	s_waitcnt lgkmcnt(0)
	v_pk_max_f16 v20, v20, v20
	v_pk_add_f16 v74, v36, v38
	v_pk_min_f16 v36, v20, v12
	v_pk_add_f16 v47, v110, v47
	v_pk_add_f16 v64, v36, v64
	v_pk_min_f16 v36, v20, v14
	v_pk_max_f16 v22, v22, v22
	v_pk_add_f16 v84, v36, v44
	v_pk_min_f16 v36, v20, v2
	v_pk_add_f16 v39, v108, v39
	v_pk_add_f16 v85, v36, v47
	v_pk_min_f16 v36, v22, v12
	v_pk_add_f16 v48, v112, v48
	v_pk_min_f16 v18, v18, v4
	v_pk_add_f16 v86, v36, v65
	v_pk_min_f16 v36, v22, v14
	v_pk_add_f16 v18, v18, v39
	v_pk_add_f16 v87, v36, v48
	ds_read2_b64 v[36:39], v70 offset0:32 offset1:40
	v_pk_add_f16 v43, v90, v43
	v_pk_add_f16 v42, v93, v42
	;; [unrolled: 1-line block ×3, first 2 shown]
	v_pk_min_f16 v20, v20, v4
	v_pk_add_f16 v42, v114, v42
	v_pk_add_f16 v20, v20, v43
	v_pk_min_f16 v43, v22, v2
	v_pk_min_f16 v22, v22, v4
	s_waitcnt lgkmcnt(0)
	v_pk_max_f16 v36, v36, v36
	v_pk_add_f16 v22, v22, v42
	v_pk_min_f16 v42, v36, v12
	v_pk_add_f16 v52, v95, v52
	v_pk_add_f16 v55, v116, v55
	;; [unrolled: 1-line block ×3, first 2 shown]
	v_pk_min_f16 v42, v36, v14
	v_pk_add_f16 v52, v117, v52
	v_pk_add_f16 v89, v42, v55
	v_pk_min_f16 v42, v36, v2
	v_pk_max_f16 v38, v38, v38
	v_pk_add_f16 v6, v119, v6
	v_pk_add_f16 v52, v42, v52
	v_pk_min_f16 v42, v38, v12
	v_pk_add_f16 v56, v120, v56
	v_pk_add_f16 v6, v42, v6
	v_pk_min_f16 v42, v38, v14
	v_pk_max_f16 v8, v8, v8
	v_pk_min_f16 v36, v36, v4
	v_pk_add_f16 v90, v42, v56
	v_pk_min_f16 v42, v38, v2
	v_pk_min_f16 v38, v38, v4
	;; [unrolled: 1-line block ×7, first 2 shown]
	v_pk_max_f16 v10, v13, v13
	v_pk_add_f16 v4, v4, v7
	v_pk_max_f16 v7, v11, v11
	v_pk_add_f16 v58, v124, v58
	v_pk_min_f16 v11, v7, v10
	v_pk_max_f16 v3, v3, v3
	v_pk_add_f16 v69, v11, v40
	v_pk_max_f16 v11, v15, v15
	v_pk_add_f16 v14, v14, v58
	v_pk_min_f16 v13, v7, v11
	v_pk_max_f16 v5, v5, v5
	v_pk_add_f16 v58, v13, v61
	v_pk_min_f16 v13, v7, v3
	v_pk_add_f16 v57, v123, v57
	v_pk_add_f16 v48, v13, v67
	v_pk_max_f16 v13, v17, v17
	v_pk_add_f16 v12, v12, v57
	v_pk_min_f16 v15, v13, v10
	v_pk_add_f16 v53, v92, v53
	v_pk_add_f16 v77, v15, v62
	v_pk_min_f16 v15, v13, v11
	v_pk_add_f16 v53, v113, v53
	v_pk_add_f16 v67, v15, v71
	v_pk_min_f16 v15, v13, v3
	v_pk_min_f16 v13, v13, v5
	v_pk_add_f16 v57, v15, v72
	v_pk_add_f16 v47, v13, v16
	v_pk_max_f16 v13, v19, v19
	v_pk_add_f16 v53, v43, v53
	v_pk_min_f16 v15, v13, v10
	v_pk_add_f16 v54, v98, v54
	v_pk_add_f16 v76, v15, v63
	v_pk_min_f16 v15, v13, v11
	v_pk_add_f16 v54, v121, v54
	v_pk_add_f16 v66, v15, v73
	v_pk_min_f16 v15, v13, v3
	;; [unrolled: 12-line block ×5, first 2 shown]
	v_pk_min_f16 v13, v13, v5
	v_pk_add_f16 v52, v15, v52
	v_pk_add_f16 v45, v13, v36
	v_pk_max_f16 v13, v39, v39
	v_pk_add_f16 v2, v2, v51
	v_pk_min_f16 v15, v13, v10
	v_pk_add_f16 v8, v8, v46
	v_pk_add_f16 v72, v15, v6
	v_pk_min_f16 v6, v13, v11
	s_add_i32 s14, s14, 8
	v_pk_add_f16 v64, v6, v90
	v_pk_min_f16 v6, v13, v3
	v_lshl_add_u64 v[26:27], v[26:27], 0, 16
	v_pk_add_f16 v54, v6, v54
	v_pk_min_f16 v6, v13, v5
	v_lshl_add_u64 v[28:29], v[28:29], 0, 16
	v_pk_add_f16 v41, v6, v38
	v_pk_max_f16 v6, v9, v9
	s_cmp_ge_i32 s14, s12
	v_pk_min_f16 v3, v6, v3
	v_pk_min_f16 v9, v6, v10
	v_pk_add_f16 v51, v3, v2
	v_pk_min_f16 v2, v6, v5
	v_pk_add_f16 v71, v9, v12
	;; [unrolled: 2-line block ×4, first 2 shown]
	v_pk_add_f16 v40, v2, v4
	v_lshl_add_u64 v[32:33], v[32:33], 0, s[2:3]
	ds_write_b16 v79, v83
	ds_write_b16 v80, v0
	ds_write_b16 v80, v1 offset:512
	s_waitcnt lgkmcnt(0)
	s_barrier
	s_cbranch_scc1 .LBB233_33
.LBB233_23:                             ; =>This Inner Loop Header: Depth=1
	s_and_b64 vcc, exec, s[4:5]
	v_mov_b32_e32 v83, 0
	s_cbranch_vccnz .LBB233_25
; %bb.24:                               ;   in Loop: Header=BB233_23 Depth=1
	v_lshl_add_u64 v[0:1], v[32:33], 0, v[30:31]
	flat_load_ushort v0, v[0:1]
	s_waitcnt vmcnt(0) lgkmcnt(0)
	v_mul_f16_e32 v83, s13, v0
.LBB233_25:                             ;   in Loop: Header=BB233_23 Depth=1
	s_and_b64 vcc, exec, s[4:5]
	v_lshl_add_u64 v[36:37], v[28:29], 0, v[24:25]
	v_lshl_add_u64 v[38:39], v[26:27], 0, v[24:25]
	s_cbranch_vccnz .LBB233_27
; %bb.26:                               ;   in Loop: Header=BB233_23 Depth=1
	flat_load_ushort v0, v[36:37] offset:16
	flat_load_ushort v1, v[38:39] offset:16
	s_waitcnt vmcnt(0) lgkmcnt(0)
	v_mul_f16_e32 v84, s13, v0
	v_mul_f16_e32 v85, s13, v1
	s_branch .LBB233_28
.LBB233_27:                             ;   in Loop: Header=BB233_23 Depth=1
	v_mov_b32_e32 v84, 0
	v_mov_b32_e32 v85, 0
.LBB233_28:                             ;   in Loop: Header=BB233_23 Depth=1
	ds_read2_b64 v[0:3], v81 offset0:48 offset1:56
	ds_read2_b64 v[12:15], v82 offset0:64 offset1:96
	ds_read2_b64 v[20:23], v82 offset1:32
	ds_read2_b64 v[16:19], v81 offset1:8
	ds_read2_b64 v[8:11], v81 offset0:16 offset1:24
	ds_read2_b64 v[4:7], v81 offset0:32 offset1:40
	s_and_b64 vcc, exec, s[4:5]
	ds_write_b16 v78, v83
	ds_write_b16 v68, v84
	ds_write_b16 v68, v85 offset:512
	s_waitcnt lgkmcnt(0)
	s_barrier
	s_cbranch_vccnz .LBB233_30
; %bb.29:                               ;   in Loop: Header=BB233_23 Depth=1
	v_lshl_add_u64 v[84:85], v[32:33], 0, v[34:35]
	flat_load_ushort v83, v[84:85]
	s_waitcnt vmcnt(0) lgkmcnt(0)
	v_mul_f16_e32 v83, s13, v83
	s_branch .LBB233_31
.LBB233_30:                             ;   in Loop: Header=BB233_23 Depth=1
	v_mov_b32_e32 v83, 0
.LBB233_31:                             ;   in Loop: Header=BB233_23 Depth=1
	v_pk_max_f16 v104, v2, v2
	v_pk_max_f16 v100, v20, v20
	;; [unrolled: 1-line block ×17, first 2 shown]
	v_pk_min_f16 v2, v104, v100
	v_pk_min_f16 v20, v104, v101
	;; [unrolled: 1-line block ×26, first 2 shown]
	v_pk_max_f16 v0, v3, v3
	v_pk_max_f16 v106, v17, v17
	;; [unrolled: 1-line block ×5, first 2 shown]
	v_pk_min_f16 v115, v5, v123
	v_pk_min_f16 v116, v5, v124
	;; [unrolled: 1-line block ×4, first 2 shown]
	v_pk_max_f16 v5, v7, v7
	v_pk_max_f16 v1, v1, v1
	v_pk_min_f16 v87, v87, v105
	v_pk_min_f16 v90, v90, v105
	;; [unrolled: 1-line block ×33, first 2 shown]
	s_and_b64 vcc, exec, s[4:5]
	v_pk_min_f16 v7, v0, v126
	s_cbranch_vccz .LBB233_21
; %bb.32:                               ;   in Loop: Header=BB233_23 Depth=1
	v_mov_b32_e32 v0, 0
	v_mov_b32_e32 v1, 0
	s_branch .LBB233_22
.LBB233_33:
	s_load_dword s12, s[0:1], 0x50
	ds_read_b64 v[20:21], v60 offset:1024
	ds_read_b64 v[26:27], v59 offset:2560
	v_add_u32_e32 v28, s21, v50
	v_cmp_neq_f16_e64 s[4:5], s24, 0
	v_add_u32_e32 v16, s20, v49
	s_waitcnt lgkmcnt(0)
	v_mad_i64_i32 v[0:1], s[2:3], v28, s12, 0
	v_ashrrev_i32_e32 v17, 31, v16
	v_lshl_add_u64 v[22:23], v[0:1], 1, s[8:9]
	s_and_b64 vcc, exec, s[4:5]
	v_mov_b32_e32 v33, 0
	v_mov_b32_e32 v31, 0
	s_cbranch_vccz .LBB233_35
; %bb.34:
	v_lshl_add_u64 v[0:1], v[16:17], 1, v[22:23]
	flat_load_ushort v0, v[0:1]
	s_waitcnt vmcnt(0) lgkmcnt(0)
	v_mul_f16_e32 v31, s24, v0
.LBB233_35:
	ds_read_b64 v[24:25], v59 offset:3008
	ds_read_b64 v[18:19], v60 offset:1792
	ds_read2_b64 v[0:3], v60 offset0:160 offset1:192
	s_load_dword s13, s[0:1], 0x68
	s_load_dwordx2 s[2:3], s[0:1], 0x70
	v_add_u32_e32 v4, 0x800, v59
	v_pk_max_f16 v60, v20, v20
	v_pk_max_f16 v29, v26, v26
	ds_read2_b64 v[12:15], v4 offset0:72 offset1:80
	ds_read2_b64 v[8:11], v4 offset0:88 offset1:96
	;; [unrolled: 1-line block ×3, first 2 shown]
	v_pk_min_f16 v20, v29, v60
	v_pk_max_f16 v68, v21, v21
	v_pk_max_f16 v30, v27, v27
	s_waitcnt lgkmcnt(0)
	s_lshl_b64 s[0:1], s[2:3], 1
	v_pk_add_f16 v20, v20, v77
	v_pk_min_f16 v21, v30, v68
	s_add_u32 s2, s10, s0
	v_pk_add_f16 v32, v21, v20
	s_addc_u32 s3, s11, s1
	v_mad_i64_i32 v[26:27], s[0:1], v28, s13, 0
	v_add_f16_sdwa v32, v32, v32 dst_sel:DWORD dst_unused:UNUSED_PAD src0_sel:DWORD src1_sel:WORD_1
	v_add_u32_e32 v20, 8, v16
	v_lshl_add_u64 v[26:27], v[26:27], 1, s[2:3]
	v_add_f16_e32 v31, v32, v31
	v_cndmask_b32_e64 v32, 0, 1, s[4:5]
	v_ashrrev_i32_e32 v21, 31, v20
	v_lshl_add_u64 v[34:35], v[16:17], 1, v[26:27]
	v_cmp_ne_u32_e64 s[0:1], 1, v32
	s_andn2_b64 vcc, exec, s[4:5]
	global_store_short v[34:35], v31, off
	s_cbranch_vccnz .LBB233_37
; %bb.36:
	v_lshl_add_u64 v[32:33], v[20:21], 1, v[22:23]
	flat_load_ushort v31, v[32:33]
	s_waitcnt vmcnt(0) lgkmcnt(0)
	v_mul_f16_e32 v33, s24, v31
.LBB233_37:
	v_pk_max_f16 v31, v12, v12
	v_pk_max_f16 v32, v13, v13
	v_pk_min_f16 v12, v31, v60
	v_pk_min_f16 v13, v32, v68
	v_pk_add_f16 v12, v12, v76
	s_and_b64 vcc, exec, s[0:1]
	v_pk_add_f16 v12, v13, v12
	v_mov_b32_e32 v37, 0
	v_add_f16_sdwa v34, v12, v12 dst_sel:DWORD dst_unused:UNUSED_PAD src0_sel:DWORD src1_sel:WORD_1
	v_add_u32_e32 v12, 16, v16
	v_add_f16_e32 v33, v34, v33
	v_lshl_add_u64 v[34:35], v[20:21], 1, v[26:27]
	v_ashrrev_i32_e32 v13, 31, v12
	global_store_short v[34:35], v33, off
	v_mov_b32_e32 v35, 0
	s_cbranch_vccnz .LBB233_39
; %bb.38:
	v_lshl_add_u64 v[34:35], v[12:13], 1, v[22:23]
	flat_load_ushort v33, v[34:35]
	s_waitcnt vmcnt(0) lgkmcnt(0)
	v_mul_f16_e32 v35, s24, v33
.LBB233_39:
	v_pk_max_f16 v33, v14, v14
	v_pk_max_f16 v34, v15, v15
	v_pk_min_f16 v14, v33, v60
	v_pk_min_f16 v15, v34, v68
	v_pk_add_f16 v14, v14, v75
	v_lshl_add_u64 v[38:39], v[12:13], 1, v[26:27]
	v_pk_add_f16 v14, v15, v14
	s_and_b64 vcc, exec, s[0:1]
	v_add_f16_sdwa v36, v14, v14 dst_sel:DWORD dst_unused:UNUSED_PAD src0_sel:DWORD src1_sel:WORD_1
	v_add_u32_e32 v14, 24, v16
	v_ashrrev_i32_e32 v15, 31, v14
	v_add_f16_e32 v35, v36, v35
	global_store_short v[38:39], v35, off
	s_cbranch_vccnz .LBB233_41
; %bb.40:
	v_lshl_add_u64 v[36:37], v[14:15], 1, v[22:23]
	flat_load_ushort v35, v[36:37]
	s_waitcnt vmcnt(0) lgkmcnt(0)
	v_mul_f16_e32 v37, s24, v35
.LBB233_41:
	v_pk_max_f16 v35, v8, v8
	v_pk_max_f16 v36, v9, v9
	v_pk_min_f16 v8, v35, v60
	v_pk_min_f16 v9, v36, v68
	v_pk_add_f16 v8, v8, v74
	s_and_b64 vcc, exec, s[0:1]
	v_pk_add_f16 v8, v9, v8
	v_mov_b32_e32 v50, 0
	v_add_f16_sdwa v38, v8, v8 dst_sel:DWORD dst_unused:UNUSED_PAD src0_sel:DWORD src1_sel:WORD_1
	v_add_u32_e32 v8, 32, v16
	v_add_f16_e32 v37, v38, v37
	v_lshl_add_u64 v[38:39], v[14:15], 1, v[26:27]
	v_ashrrev_i32_e32 v9, 31, v8
	global_store_short v[38:39], v37, off
	v_mov_b32_e32 v39, 0
	s_cbranch_vccnz .LBB233_43
; %bb.42:
	v_lshl_add_u64 v[38:39], v[8:9], 1, v[22:23]
	flat_load_ushort v37, v[38:39]
	s_waitcnt vmcnt(0) lgkmcnt(0)
	v_mul_f16_e32 v39, s24, v37
.LBB233_43:
	v_pk_max_f16 v37, v10, v10
	v_pk_max_f16 v38, v11, v11
	v_pk_min_f16 v10, v37, v60
	v_pk_min_f16 v11, v38, v68
	v_pk_add_f16 v10, v10, v73
	v_lshl_add_u64 v[74:75], v[8:9], 1, v[26:27]
	v_pk_add_f16 v10, v11, v10
	s_and_b64 vcc, exec, s[0:1]
	v_add_f16_sdwa v49, v10, v10 dst_sel:DWORD dst_unused:UNUSED_PAD src0_sel:DWORD src1_sel:WORD_1
	v_add_u32_e32 v10, 40, v16
	v_ashrrev_i32_e32 v11, 31, v10
	v_add_f16_e32 v39, v49, v39
	global_store_short v[74:75], v39, off
	s_cbranch_vccnz .LBB233_45
; %bb.44:
	v_lshl_add_u64 v[74:75], v[10:11], 1, v[22:23]
	flat_load_ushort v39, v[74:75]
	s_waitcnt vmcnt(0) lgkmcnt(0)
	v_mul_f16_e32 v50, s24, v39
.LBB233_45:
	v_pk_max_f16 v39, v4, v4
	v_pk_max_f16 v49, v5, v5
	v_pk_min_f16 v4, v39, v60
	v_pk_min_f16 v5, v49, v68
	v_pk_add_f16 v4, v4, v72
	v_lshl_add_u64 v[72:73], v[10:11], 1, v[26:27]
	v_pk_add_f16 v4, v5, v4
	s_and_b64 vcc, exec, s[0:1]
	v_add_f16_sdwa v59, v4, v4 dst_sel:DWORD dst_unused:UNUSED_PAD src0_sel:DWORD src1_sel:WORD_1
	v_add_u32_e32 v4, 48, v16
	v_add_f16_e32 v50, v59, v50
	v_ashrrev_i32_e32 v5, 31, v4
	global_store_short v[72:73], v50, off
	v_mov_b32_e32 v70, 0
	v_mov_b32_e32 v72, 0
	s_cbranch_vccnz .LBB233_47
; %bb.46:
	v_lshl_add_u64 v[72:73], v[4:5], 1, v[22:23]
	flat_load_ushort v50, v[72:73]
	s_waitcnt vmcnt(0) lgkmcnt(0)
	v_mul_f16_e32 v72, s24, v50
.LBB233_47:
	v_pk_max_f16 v50, v6, v6
	v_pk_max_f16 v59, v7, v7
	v_pk_min_f16 v6, v50, v60
	v_pk_min_f16 v7, v59, v68
	v_pk_add_f16 v6, v6, v71
	s_and_b64 vcc, exec, s[0:1]
	v_pk_add_f16 v6, v7, v6
	s_nop 0
	v_add_f16_sdwa v71, v6, v6 dst_sel:DWORD dst_unused:UNUSED_PAD src0_sel:DWORD src1_sel:WORD_1
	v_add_u32_e32 v6, 56, v16
	v_ashrrev_i32_e32 v7, 31, v6
	v_add_f16_e32 v71, v71, v72
	v_lshl_add_u64 v[72:73], v[4:5], 1, v[26:27]
	global_store_short v[72:73], v71, off
	s_cbranch_vccnz .LBB233_49
; %bb.48:
	v_lshl_add_u64 v[22:23], v[6:7], 1, v[22:23]
	flat_load_ushort v22, v[22:23]
	s_waitcnt vmcnt(0) lgkmcnt(0)
	v_mul_f16_e32 v70, s24, v22
.LBB233_49:
	v_pk_max_f16 v24, v24, v24
	v_pk_max_f16 v25, v25, v25
	v_pk_min_f16 v22, v24, v60
	v_pk_min_f16 v23, v25, v68
	v_pk_add_f16 v22, v22, v69
	v_add_u32_e32 v68, 32, v28
	v_pk_add_f16 v22, v23, v22
	s_and_b64 vcc, exec, s[0:1]
	v_add_f16_sdwa v22, v22, v22 dst_sel:DWORD dst_unused:UNUSED_PAD src0_sel:DWORD src1_sel:WORD_1
	v_add_f16_e32 v60, v22, v70
	v_lshl_add_u64 v[22:23], v[6:7], 1, v[26:27]
	global_store_short v[22:23], v60, off
	v_mad_i64_i32 v[22:23], s[4:5], v68, s12, 0
	v_lshl_add_u64 v[22:23], v[22:23], 1, s[8:9]
	v_mov_b32_e32 v60, 0
	v_mov_b32_e32 v69, 0
	s_cbranch_vccnz .LBB233_51
; %bb.50:
	v_lshl_add_u64 v[26:27], v[16:17], 1, v[22:23]
	flat_load_ushort v26, v[26:27]
	s_waitcnt vmcnt(0) lgkmcnt(0)
	v_mul_f16_e32 v69, s24, v26
.LBB233_51:
	v_pk_max_f16 v26, v0, v0
	v_pk_max_f16 v27, v1, v1
	v_pk_min_f16 v0, v29, v26
	v_pk_min_f16 v1, v30, v27
	v_pk_add_f16 v0, v0, v67
	s_and_b64 vcc, exec, s[0:1]
	v_pk_add_f16 v67, v1, v0
	v_mad_i64_i32 v[0:1], s[4:5], v68, s13, 0
	v_lshl_add_u64 v[0:1], v[0:1], 1, s[2:3]
	v_add_f16_sdwa v67, v67, v67 dst_sel:DWORD dst_unused:UNUSED_PAD src0_sel:DWORD src1_sel:WORD_1
	v_add_f16_e32 v67, v67, v69
	v_lshl_add_u64 v[68:69], v[16:17], 1, v[0:1]
	global_store_short v[68:69], v67, off
	s_cbranch_vccnz .LBB233_53
; %bb.52:
	v_lshl_add_u64 v[68:69], v[20:21], 1, v[22:23]
	flat_load_ushort v60, v[68:69]
	s_waitcnt vmcnt(0) lgkmcnt(0)
	v_mul_f16_e32 v60, s24, v60
.LBB233_53:
	v_pk_min_f16 v67, v31, v26
	s_and_b64 vcc, exec, s[0:1]
	v_pk_add_f16 v66, v67, v66
	v_pk_min_f16 v67, v32, v27
	s_nop 0
	v_pk_add_f16 v66, v67, v66
	s_nop 0
	v_add_f16_sdwa v66, v66, v66 dst_sel:DWORD dst_unused:UNUSED_PAD src0_sel:DWORD src1_sel:WORD_1
	v_add_f16_e32 v60, v66, v60
	v_lshl_add_u64 v[66:67], v[20:21], 1, v[0:1]
	global_store_short v[66:67], v60, off
	v_mov_b32_e32 v60, 0
	v_mov_b32_e32 v66, 0
	s_cbranch_vccnz .LBB233_55
; %bb.54:
	v_lshl_add_u64 v[66:67], v[12:13], 1, v[22:23]
	flat_load_ushort v66, v[66:67]
	s_waitcnt vmcnt(0) lgkmcnt(0)
	v_mul_f16_e32 v66, s24, v66
.LBB233_55:
	v_pk_min_f16 v67, v33, v26
	s_and_b64 vcc, exec, s[0:1]
	v_pk_add_f16 v65, v67, v65
	v_pk_min_f16 v67, v34, v27
	s_nop 0
	v_pk_add_f16 v65, v67, v65
	s_nop 0
	v_add_f16_sdwa v65, v65, v65 dst_sel:DWORD dst_unused:UNUSED_PAD src0_sel:DWORD src1_sel:WORD_1
	v_add_f16_e32 v65, v65, v66
	v_lshl_add_u64 v[66:67], v[12:13], 1, v[0:1]
	global_store_short v[66:67], v65, off
	s_cbranch_vccnz .LBB233_57
; %bb.56:
	v_lshl_add_u64 v[66:67], v[14:15], 1, v[22:23]
	flat_load_ushort v60, v[66:67]
	s_waitcnt vmcnt(0) lgkmcnt(0)
	v_mul_f16_e32 v60, s24, v60
.LBB233_57:
	v_pk_min_f16 v65, v35, v26
	v_lshl_add_u64 v[66:67], v[14:15], 1, v[0:1]
	v_pk_add_f16 v63, v65, v63
	v_pk_min_f16 v65, v36, v27
	s_and_b64 vcc, exec, s[0:1]
	v_pk_add_f16 v63, v65, v63
	s_nop 0
	v_add_f16_sdwa v63, v63, v63 dst_sel:DWORD dst_unused:UNUSED_PAD src0_sel:DWORD src1_sel:WORD_1
	v_add_f16_e32 v60, v63, v60
	global_store_short v[66:67], v60, off
	v_mov_b32_e32 v60, 0
	v_mov_b32_e32 v63, 0
	s_cbranch_vccnz .LBB233_59
; %bb.58:
	v_lshl_add_u64 v[66:67], v[8:9], 1, v[22:23]
	flat_load_ushort v63, v[66:67]
	s_waitcnt vmcnt(0) lgkmcnt(0)
	v_mul_f16_e32 v63, s24, v63
.LBB233_59:
	v_pk_min_f16 v65, v37, v26
	s_and_b64 vcc, exec, s[0:1]
	v_pk_add_f16 v62, v65, v62
	v_pk_min_f16 v65, v38, v27
	s_nop 0
	v_pk_add_f16 v62, v65, v62
	s_nop 0
	v_add_f16_sdwa v62, v62, v62 dst_sel:DWORD dst_unused:UNUSED_PAD src0_sel:DWORD src1_sel:WORD_1
	v_add_f16_e32 v65, v62, v63
	v_lshl_add_u64 v[62:63], v[8:9], 1, v[0:1]
	global_store_short v[62:63], v65, off
	s_cbranch_vccnz .LBB233_61
; %bb.60:
	v_lshl_add_u64 v[62:63], v[10:11], 1, v[22:23]
	flat_load_ushort v60, v[62:63]
	s_waitcnt vmcnt(0) lgkmcnt(0)
	v_mul_f16_e32 v60, s24, v60
.LBB233_61:
	v_pk_min_f16 v62, v39, v26
	v_pk_min_f16 v63, v49, v27
	v_pk_add_f16 v62, v62, v64
	s_and_b64 vcc, exec, s[0:1]
	v_pk_add_f16 v62, v63, v62
	s_nop 0
	v_add_f16_sdwa v62, v62, v62 dst_sel:DWORD dst_unused:UNUSED_PAD src0_sel:DWORD src1_sel:WORD_1
	v_add_f16_e32 v60, v62, v60
	v_lshl_add_u64 v[62:63], v[10:11], 1, v[0:1]
	global_store_short v[62:63], v60, off
	v_mov_b32_e32 v60, 0
	v_mov_b32_e32 v62, 0
	s_cbranch_vccnz .LBB233_63
; %bb.62:
	v_lshl_add_u64 v[62:63], v[4:5], 1, v[22:23]
	flat_load_ushort v62, v[62:63]
	s_waitcnt vmcnt(0) lgkmcnt(0)
	v_mul_f16_e32 v62, s24, v62
.LBB233_63:
	v_pk_min_f16 v63, v50, v26
	s_and_b64 vcc, exec, s[0:1]
	v_pk_add_f16 v61, v63, v61
	v_pk_min_f16 v63, v59, v27
	s_nop 0
	v_pk_add_f16 v61, v63, v61
	s_nop 0
	v_add_f16_sdwa v61, v61, v61 dst_sel:DWORD dst_unused:UNUSED_PAD src0_sel:DWORD src1_sel:WORD_1
	v_add_f16_e32 v61, v61, v62
	v_lshl_add_u64 v[62:63], v[4:5], 1, v[0:1]
	global_store_short v[62:63], v61, off
	s_cbranch_vccnz .LBB233_65
; %bb.64:
	v_lshl_add_u64 v[22:23], v[6:7], 1, v[22:23]
	flat_load_ushort v22, v[22:23]
	s_waitcnt vmcnt(0) lgkmcnt(0)
	v_mul_f16_e32 v60, s24, v22
.LBB233_65:
	v_pk_min_f16 v22, v24, v26
	v_pk_min_f16 v23, v25, v27
	v_pk_add_f16 v22, v22, v58
	v_lshl_add_u64 v[0:1], v[6:7], 1, v[0:1]
	v_pk_add_f16 v22, v23, v22
	v_add_u32_e32 v27, 64, v28
	v_add_f16_sdwa v22, v22, v22 dst_sel:DWORD dst_unused:UNUSED_PAD src0_sel:DWORD src1_sel:WORD_1
	v_add_f16_e32 v22, v22, v60
	global_store_short v[0:1], v22, off
	v_mad_i64_i32 v[0:1], s[4:5], v27, s12, 0
	v_lshl_add_u64 v[0:1], v[0:1], 1, s[8:9]
	s_and_b64 vcc, exec, s[0:1]
	v_mov_b32_e32 v26, 0
	v_mov_b32_e32 v58, 0
	s_cbranch_vccnz .LBB233_67
; %bb.66:
	v_lshl_add_u64 v[22:23], v[16:17], 1, v[0:1]
	flat_load_ushort v22, v[22:23]
	s_waitcnt vmcnt(0) lgkmcnt(0)
	v_mul_f16_e32 v58, s24, v22
.LBB233_67:
	v_pk_max_f16 v22, v2, v2
	v_pk_max_f16 v23, v3, v3
	v_pk_min_f16 v2, v29, v22
	v_pk_min_f16 v3, v30, v23
	v_pk_add_f16 v2, v2, v57
	s_and_b64 vcc, exec, s[0:1]
	v_pk_add_f16 v57, v3, v2
	v_mad_i64_i32 v[2:3], s[4:5], v27, s13, 0
	v_lshl_add_u64 v[2:3], v[2:3], 1, s[2:3]
	v_add_f16_sdwa v27, v57, v57 dst_sel:DWORD dst_unused:UNUSED_PAD src0_sel:DWORD src1_sel:WORD_1
	v_add_f16_e32 v27, v27, v58
	v_lshl_add_u64 v[60:61], v[16:17], 1, v[2:3]
	global_store_short v[60:61], v27, off
	s_cbranch_vccnz .LBB233_69
; %bb.68:
	v_lshl_add_u64 v[26:27], v[20:21], 1, v[0:1]
	flat_load_ushort v26, v[26:27]
	s_waitcnt vmcnt(0) lgkmcnt(0)
	v_mul_f16_e32 v26, s24, v26
.LBB233_69:
	v_pk_min_f16 v27, v31, v22
	s_and_b64 vcc, exec, s[0:1]
	v_pk_add_f16 v27, v27, v56
	v_pk_min_f16 v56, v32, v23
	s_nop 0
	v_pk_add_f16 v27, v56, v27
	s_nop 0
	v_add_f16_sdwa v27, v27, v27 dst_sel:DWORD dst_unused:UNUSED_PAD src0_sel:DWORD src1_sel:WORD_1
	v_add_f16_e32 v56, v27, v26
	v_lshl_add_u64 v[26:27], v[20:21], 1, v[2:3]
	global_store_short v[26:27], v56, off
	v_mov_b32_e32 v26, 0
	v_mov_b32_e32 v27, 0
	s_cbranch_vccnz .LBB233_71
; %bb.70:
	v_lshl_add_u64 v[56:57], v[12:13], 1, v[0:1]
	flat_load_ushort v27, v[56:57]
	s_waitcnt vmcnt(0) lgkmcnt(0)
	v_mul_f16_e32 v27, s24, v27
.LBB233_71:
	v_pk_min_f16 v56, v33, v22
	s_and_b64 vcc, exec, s[0:1]
	v_pk_add_f16 v55, v56, v55
	v_pk_min_f16 v56, v34, v23
	s_nop 0
	v_pk_add_f16 v55, v56, v55
	v_lshl_add_u64 v[56:57], v[12:13], 1, v[2:3]
	v_add_f16_sdwa v55, v55, v55 dst_sel:DWORD dst_unused:UNUSED_PAD src0_sel:DWORD src1_sel:WORD_1
	v_add_f16_e32 v27, v55, v27
	global_store_short v[56:57], v27, off
	s_cbranch_vccnz .LBB233_73
; %bb.72:
	v_lshl_add_u64 v[26:27], v[14:15], 1, v[0:1]
	flat_load_ushort v26, v[26:27]
	s_waitcnt vmcnt(0) lgkmcnt(0)
	v_mul_f16_e32 v26, s24, v26
.LBB233_73:
	v_pk_min_f16 v27, v35, v22
	s_and_b64 vcc, exec, s[0:1]
	v_pk_add_f16 v27, v27, v53
	v_pk_min_f16 v53, v36, v23
	s_nop 0
	v_pk_add_f16 v27, v53, v27
	s_nop 0
	v_add_f16_sdwa v27, v27, v27 dst_sel:DWORD dst_unused:UNUSED_PAD src0_sel:DWORD src1_sel:WORD_1
	v_add_f16_e32 v53, v27, v26
	v_lshl_add_u64 v[26:27], v[14:15], 1, v[2:3]
	global_store_short v[26:27], v53, off
	v_mov_b32_e32 v26, 0
	v_mov_b32_e32 v27, 0
	s_cbranch_vccnz .LBB233_75
; %bb.74:
	v_lshl_add_u64 v[56:57], v[8:9], 1, v[0:1]
	flat_load_ushort v27, v[56:57]
	s_waitcnt vmcnt(0) lgkmcnt(0)
	v_mul_f16_e32 v27, s24, v27
.LBB233_75:
	v_pk_min_f16 v53, v37, v22
	s_and_b64 vcc, exec, s[0:1]
	v_pk_add_f16 v52, v53, v52
	v_pk_min_f16 v53, v38, v23
	s_nop 0
	v_pk_add_f16 v52, v53, v52
	s_nop 0
	v_add_f16_sdwa v52, v52, v52 dst_sel:DWORD dst_unused:UNUSED_PAD src0_sel:DWORD src1_sel:WORD_1
	v_add_f16_e32 v27, v52, v27
	v_lshl_add_u64 v[52:53], v[8:9], 1, v[2:3]
	global_store_short v[52:53], v27, off
	s_cbranch_vccnz .LBB233_77
; %bb.76:
	v_lshl_add_u64 v[26:27], v[10:11], 1, v[0:1]
	flat_load_ushort v26, v[26:27]
	s_waitcnt vmcnt(0) lgkmcnt(0)
	v_mul_f16_e32 v26, s24, v26
.LBB233_77:
	v_pk_min_f16 v27, v39, v22
	v_pk_min_f16 v52, v49, v23
	v_pk_add_f16 v27, v27, v54
	s_and_b64 vcc, exec, s[0:1]
	v_pk_add_f16 v27, v52, v27
	s_nop 0
	v_add_f16_sdwa v27, v27, v27 dst_sel:DWORD dst_unused:UNUSED_PAD src0_sel:DWORD src1_sel:WORD_1
	v_add_f16_e32 v52, v27, v26
	v_lshl_add_u64 v[26:27], v[10:11], 1, v[2:3]
	global_store_short v[26:27], v52, off
	v_mov_b32_e32 v26, 0
	v_mov_b32_e32 v27, 0
	s_cbranch_vccnz .LBB233_79
; %bb.78:
	v_lshl_add_u64 v[52:53], v[4:5], 1, v[0:1]
	flat_load_ushort v27, v[52:53]
	s_waitcnt vmcnt(0) lgkmcnt(0)
	v_mul_f16_e32 v27, s24, v27
.LBB233_79:
	v_pk_min_f16 v52, v50, v22
	s_and_b64 vcc, exec, s[0:1]
	v_pk_add_f16 v51, v52, v51
	v_pk_min_f16 v52, v59, v23
	s_nop 0
	v_pk_add_f16 v51, v52, v51
	v_lshl_add_u64 v[52:53], v[4:5], 1, v[2:3]
	v_add_f16_sdwa v51, v51, v51 dst_sel:DWORD dst_unused:UNUSED_PAD src0_sel:DWORD src1_sel:WORD_1
	v_add_f16_e32 v27, v51, v27
	global_store_short v[52:53], v27, off
	s_cbranch_vccnz .LBB233_81
; %bb.80:
	v_lshl_add_u64 v[0:1], v[6:7], 1, v[0:1]
	flat_load_ushort v0, v[0:1]
	s_waitcnt vmcnt(0) lgkmcnt(0)
	v_mul_f16_e32 v26, s24, v0
.LBB233_81:
	v_pk_min_f16 v0, v24, v22
	v_pk_min_f16 v1, v25, v23
	v_pk_add_f16 v0, v0, v48
	s_and_b64 vcc, exec, s[0:1]
	v_pk_add_f16 v0, v1, v0
	v_mov_b32_e32 v23, 0
	v_add_f16_sdwa v0, v0, v0 dst_sel:DWORD dst_unused:UNUSED_PAD src0_sel:DWORD src1_sel:WORD_1
	v_add_f16_e32 v22, v0, v26
	v_lshl_add_u64 v[0:1], v[6:7], 1, v[2:3]
	v_add_u32_e32 v2, 0x60, v28
	global_store_short v[0:1], v22, off
	v_mad_i64_i32 v[0:1], s[4:5], v2, s12, 0
	v_lshl_add_u64 v[0:1], v[0:1], 1, s[8:9]
	v_mov_b32_e32 v22, 0
	s_cbranch_vccnz .LBB233_83
; %bb.82:
	v_lshl_add_u64 v[26:27], v[16:17], 1, v[0:1]
	flat_load_ushort v3, v[26:27]
	s_waitcnt vmcnt(0) lgkmcnt(0)
	v_mul_f16_e32 v23, s24, v3
.LBB233_83:
	v_pk_max_f16 v18, v18, v18
	v_pk_max_f16 v19, v19, v19
	v_pk_min_f16 v3, v29, v18
	v_pk_min_f16 v26, v30, v19
	v_pk_add_f16 v3, v3, v47
	s_and_b64 vcc, exec, s[0:1]
	v_pk_add_f16 v26, v26, v3
	v_mad_i64_i32 v[2:3], s[4:5], v2, s13, 0
	v_lshl_add_u64 v[2:3], v[2:3], 1, s[2:3]
	v_add_f16_sdwa v26, v26, v26 dst_sel:DWORD dst_unused:UNUSED_PAD src0_sel:DWORD src1_sel:WORD_1
	v_add_f16_e32 v23, v26, v23
	v_lshl_add_u64 v[16:17], v[16:17], 1, v[2:3]
	global_store_short v[16:17], v23, off
	s_cbranch_vccnz .LBB233_85
; %bb.84:
	v_lshl_add_u64 v[16:17], v[20:21], 1, v[0:1]
	flat_load_ushort v16, v[16:17]
	s_waitcnt vmcnt(0) lgkmcnt(0)
	v_mul_f16_e32 v22, s24, v16
.LBB233_85:
	v_pk_min_f16 v16, v31, v18
	v_pk_min_f16 v17, v32, v19
	v_pk_add_f16 v16, v16, v44
	s_and_b64 vcc, exec, s[0:1]
	v_pk_add_f16 v16, v17, v16
	s_nop 0
	v_add_f16_sdwa v16, v16, v16 dst_sel:DWORD dst_unused:UNUSED_PAD src0_sel:DWORD src1_sel:WORD_1
	v_add_f16_e32 v22, v16, v22
	v_lshl_add_u64 v[16:17], v[20:21], 1, v[2:3]
	global_store_short v[16:17], v22, off
	v_mov_b32_e32 v16, 0
	v_mov_b32_e32 v17, 0
	s_cbranch_vccnz .LBB233_87
; %bb.86:
	v_lshl_add_u64 v[20:21], v[12:13], 1, v[0:1]
	flat_load_ushort v17, v[20:21]
	s_waitcnt vmcnt(0) lgkmcnt(0)
	v_mul_f16_e32 v17, s24, v17
.LBB233_87:
	v_pk_min_f16 v20, v33, v18
	v_pk_min_f16 v21, v34, v19
	v_pk_add_f16 v20, v20, v43
	v_lshl_add_u64 v[12:13], v[12:13], 1, v[2:3]
	v_pk_add_f16 v20, v21, v20
	s_and_b64 vcc, exec, s[0:1]
	v_add_f16_sdwa v20, v20, v20 dst_sel:DWORD dst_unused:UNUSED_PAD src0_sel:DWORD src1_sel:WORD_1
	v_add_f16_e32 v17, v20, v17
	global_store_short v[12:13], v17, off
	s_cbranch_vccnz .LBB233_89
; %bb.88:
	v_lshl_add_u64 v[12:13], v[14:15], 1, v[0:1]
	flat_load_ushort v12, v[12:13]
	s_waitcnt vmcnt(0) lgkmcnt(0)
	v_mul_f16_e32 v16, s24, v12
.LBB233_89:
	v_pk_min_f16 v12, v35, v18
	v_pk_min_f16 v13, v36, v19
	v_pk_add_f16 v12, v12, v42
	s_and_b64 vcc, exec, s[0:1]
	v_pk_add_f16 v12, v13, v12
	s_nop 0
	v_add_f16_sdwa v12, v12, v12 dst_sel:DWORD dst_unused:UNUSED_PAD src0_sel:DWORD src1_sel:WORD_1
	v_add_f16_e32 v16, v12, v16
	v_lshl_add_u64 v[12:13], v[14:15], 1, v[2:3]
	global_store_short v[12:13], v16, off
	v_mov_b32_e32 v12, 0
	v_mov_b32_e32 v13, 0
	s_cbranch_vccnz .LBB233_91
; %bb.90:
	v_lshl_add_u64 v[14:15], v[8:9], 1, v[0:1]
	flat_load_ushort v13, v[14:15]
	s_waitcnt vmcnt(0) lgkmcnt(0)
	v_mul_f16_e32 v13, s24, v13
.LBB233_91:
	v_pk_min_f16 v14, v37, v18
	v_pk_min_f16 v15, v38, v19
	v_pk_add_f16 v14, v14, v45
	v_lshl_add_u64 v[8:9], v[8:9], 1, v[2:3]
	v_pk_add_f16 v14, v15, v14
	s_and_b64 vcc, exec, s[0:1]
	v_add_f16_sdwa v14, v14, v14 dst_sel:DWORD dst_unused:UNUSED_PAD src0_sel:DWORD src1_sel:WORD_1
	v_add_f16_e32 v13, v14, v13
	global_store_short v[8:9], v13, off
	s_cbranch_vccnz .LBB233_93
; %bb.92:
	v_lshl_add_u64 v[8:9], v[10:11], 1, v[0:1]
	flat_load_ushort v8, v[8:9]
	s_waitcnt vmcnt(0) lgkmcnt(0)
	v_mul_f16_e32 v12, s24, v8
.LBB233_93:
	v_pk_min_f16 v8, v39, v18
	v_pk_min_f16 v9, v49, v19
	v_pk_add_f16 v8, v8, v41
	v_pk_min_f16 v13, v59, v19
	v_pk_add_f16 v8, v9, v8
	v_pk_min_f16 v9, v50, v18
	v_add_f16_sdwa v8, v8, v8 dst_sel:DWORD dst_unused:UNUSED_PAD src0_sel:DWORD src1_sel:WORD_1
	v_pk_add_f16 v9, v9, v46
	v_add_f16_e32 v12, v8, v12
	v_pk_add_f16 v13, v13, v9
	v_lshl_add_u64 v[8:9], v[10:11], 1, v[2:3]
	global_store_short v[8:9], v12, off
	v_add_f16_sdwa v8, v13, v13 dst_sel:DWORD dst_unused:UNUSED_PAD src0_sel:DWORD src1_sel:WORD_1
	s_mov_b64 vcc, s[6:7]
	s_cbranch_vccz .LBB233_96
; %bb.94:
	v_add_f16_e32 v9, 0, v8
	v_lshl_add_u64 v[10:11], v[4:5], 1, v[2:3]
	s_mov_b32 s2, 0
	global_store_short v[10:11], v9, off
	s_cbranch_execz .LBB233_97
; %bb.95:
	v_mov_b32_e32 v0, s2
	s_branch .LBB233_98
.LBB233_96:
                                        ; implicit-def: $sgpr2
.LBB233_97:
	v_lshlrev_b64 v[4:5], 1, v[4:5]
	v_lshl_add_u64 v[10:11], v[0:1], 0, v[4:5]
	flat_load_ushort v9, v[10:11]
	v_lshl_add_u64 v[4:5], v[2:3], 0, v[4:5]
	v_lshl_add_u64 v[0:1], v[6:7], 1, v[0:1]
	s_waitcnt vmcnt(0) lgkmcnt(0)
	v_fma_f16 v8, v9, s24, v8
	global_store_short v[4:5], v8, off
	flat_load_ushort v0, v[0:1]
	s_waitcnt vmcnt(0) lgkmcnt(0)
	v_mul_f16_e32 v0, s24, v0
.LBB233_98:
	v_pk_min_f16 v4, v24, v18
	v_pk_min_f16 v1, v25, v19
	v_pk_add_f16 v4, v4, v40
	s_nop 0
	v_pk_add_f16 v1, v1, v4
	s_nop 0
	v_add_f16_sdwa v1, v1, v1 dst_sel:DWORD dst_unused:UNUSED_PAD src0_sel:DWORD src1_sel:WORD_1
	v_add_f16_e32 v4, v1, v0
	v_lshl_add_u64 v[0:1], v[6:7], 1, v[2:3]
	global_store_short v[0:1], v4, off
	s_endpgm
	.section	.rodata,"a",@progbits
	.p2align	6, 0x0
	.amdhsa_kernel _ZN12_GLOBAL__N_120geam_min_plus_kernelIDF16_Dv2_DF16_S1_Li8ELi32ELi64ELi128ELi4ELi64ELi4ELi4ELi64ELc78ELc78ELb0ELb0ELb0EDF16_KPKDF16_KPDF16_EEviiiT16_PT17_ilS9_ilS7_S9_ilPT18_ili26rocblas_geam_ex_operation_
		.amdhsa_group_segment_fixed_size 3072
		.amdhsa_private_segment_fixed_size 0
		.amdhsa_kernarg_size 128
		.amdhsa_user_sgpr_count 2
		.amdhsa_user_sgpr_dispatch_ptr 0
		.amdhsa_user_sgpr_queue_ptr 0
		.amdhsa_user_sgpr_kernarg_segment_ptr 1
		.amdhsa_user_sgpr_dispatch_id 0
		.amdhsa_user_sgpr_kernarg_preload_length 0
		.amdhsa_user_sgpr_kernarg_preload_offset 0
		.amdhsa_user_sgpr_private_segment_size 0
		.amdhsa_uses_dynamic_stack 0
		.amdhsa_enable_private_segment 0
		.amdhsa_system_sgpr_workgroup_id_x 1
		.amdhsa_system_sgpr_workgroup_id_y 0
		.amdhsa_system_sgpr_workgroup_id_z 1
		.amdhsa_system_sgpr_workgroup_info 0
		.amdhsa_system_vgpr_workitem_id 1
		.amdhsa_next_free_vgpr 127
		.amdhsa_next_free_sgpr 28
		.amdhsa_accum_offset 128
		.amdhsa_reserve_vcc 1
		.amdhsa_float_round_mode_32 0
		.amdhsa_float_round_mode_16_64 0
		.amdhsa_float_denorm_mode_32 3
		.amdhsa_float_denorm_mode_16_64 3
		.amdhsa_dx10_clamp 1
		.amdhsa_ieee_mode 1
		.amdhsa_fp16_overflow 0
		.amdhsa_tg_split 0
		.amdhsa_exception_fp_ieee_invalid_op 0
		.amdhsa_exception_fp_denorm_src 0
		.amdhsa_exception_fp_ieee_div_zero 0
		.amdhsa_exception_fp_ieee_overflow 0
		.amdhsa_exception_fp_ieee_underflow 0
		.amdhsa_exception_fp_ieee_inexact 0
		.amdhsa_exception_int_div_zero 0
	.end_amdhsa_kernel
	.section	.text._ZN12_GLOBAL__N_120geam_min_plus_kernelIDF16_Dv2_DF16_S1_Li8ELi32ELi64ELi128ELi4ELi64ELi4ELi4ELi64ELc78ELc78ELb0ELb0ELb0EDF16_KPKDF16_KPDF16_EEviiiT16_PT17_ilS9_ilS7_S9_ilPT18_ili26rocblas_geam_ex_operation_,"axG",@progbits,_ZN12_GLOBAL__N_120geam_min_plus_kernelIDF16_Dv2_DF16_S1_Li8ELi32ELi64ELi128ELi4ELi64ELi4ELi4ELi64ELc78ELc78ELb0ELb0ELb0EDF16_KPKDF16_KPDF16_EEviiiT16_PT17_ilS9_ilS7_S9_ilPT18_ili26rocblas_geam_ex_operation_,comdat
.Lfunc_end233:
	.size	_ZN12_GLOBAL__N_120geam_min_plus_kernelIDF16_Dv2_DF16_S1_Li8ELi32ELi64ELi128ELi4ELi64ELi4ELi4ELi64ELc78ELc78ELb0ELb0ELb0EDF16_KPKDF16_KPDF16_EEviiiT16_PT17_ilS9_ilS7_S9_ilPT18_ili26rocblas_geam_ex_operation_, .Lfunc_end233-_ZN12_GLOBAL__N_120geam_min_plus_kernelIDF16_Dv2_DF16_S1_Li8ELi32ELi64ELi128ELi4ELi64ELi4ELi4ELi64ELc78ELc78ELb0ELb0ELb0EDF16_KPKDF16_KPDF16_EEviiiT16_PT17_ilS9_ilS7_S9_ilPT18_ili26rocblas_geam_ex_operation_
                                        ; -- End function
	.section	.AMDGPU.csdata,"",@progbits
; Kernel info:
; codeLenInByte = 9008
; NumSgprs: 34
; NumVgprs: 127
; NumAgprs: 0
; TotalNumVgprs: 127
; ScratchSize: 0
; MemoryBound: 0
; FloatMode: 240
; IeeeMode: 1
; LDSByteSize: 3072 bytes/workgroup (compile time only)
; SGPRBlocks: 4
; VGPRBlocks: 15
; NumSGPRsForWavesPerEU: 34
; NumVGPRsForWavesPerEU: 127
; AccumOffset: 128
; Occupancy: 4
; WaveLimiterHint : 1
; COMPUTE_PGM_RSRC2:SCRATCH_EN: 0
; COMPUTE_PGM_RSRC2:USER_SGPR: 2
; COMPUTE_PGM_RSRC2:TRAP_HANDLER: 0
; COMPUTE_PGM_RSRC2:TGID_X_EN: 1
; COMPUTE_PGM_RSRC2:TGID_Y_EN: 0
; COMPUTE_PGM_RSRC2:TGID_Z_EN: 1
; COMPUTE_PGM_RSRC2:TIDIG_COMP_CNT: 1
; COMPUTE_PGM_RSRC3_GFX90A:ACCUM_OFFSET: 31
; COMPUTE_PGM_RSRC3_GFX90A:TG_SPLIT: 0
	.section	.text._ZN12_GLOBAL__N_120geam_min_plus_kernelIDF16_Dv2_DF16_S1_Li8ELi32ELi64ELi128ELi4ELi64ELi4ELi4ELi64ELc78ELc78ELb0ELb1ELb0EPKDF16_KS3_KPDF16_EEviiiT16_PT17_ilS9_ilS7_S9_ilPT18_ili26rocblas_geam_ex_operation_,"axG",@progbits,_ZN12_GLOBAL__N_120geam_min_plus_kernelIDF16_Dv2_DF16_S1_Li8ELi32ELi64ELi128ELi4ELi64ELi4ELi4ELi64ELc78ELc78ELb0ELb1ELb0EPKDF16_KS3_KPDF16_EEviiiT16_PT17_ilS9_ilS7_S9_ilPT18_ili26rocblas_geam_ex_operation_,comdat
	.globl	_ZN12_GLOBAL__N_120geam_min_plus_kernelIDF16_Dv2_DF16_S1_Li8ELi32ELi64ELi128ELi4ELi64ELi4ELi4ELi64ELc78ELc78ELb0ELb1ELb0EPKDF16_KS3_KPDF16_EEviiiT16_PT17_ilS9_ilS7_S9_ilPT18_ili26rocblas_geam_ex_operation_ ; -- Begin function _ZN12_GLOBAL__N_120geam_min_plus_kernelIDF16_Dv2_DF16_S1_Li8ELi32ELi64ELi128ELi4ELi64ELi4ELi4ELi64ELc78ELc78ELb0ELb1ELb0EPKDF16_KS3_KPDF16_EEviiiT16_PT17_ilS9_ilS7_S9_ilPT18_ili26rocblas_geam_ex_operation_
	.p2align	8
	.type	_ZN12_GLOBAL__N_120geam_min_plus_kernelIDF16_Dv2_DF16_S1_Li8ELi32ELi64ELi128ELi4ELi64ELi4ELi4ELi64ELc78ELc78ELb0ELb1ELb0EPKDF16_KS3_KPDF16_EEviiiT16_PT17_ilS9_ilS7_S9_ilPT18_ili26rocblas_geam_ex_operation_,@function
_ZN12_GLOBAL__N_120geam_min_plus_kernelIDF16_Dv2_DF16_S1_Li8ELi32ELi64ELi128ELi4ELi64ELi4ELi4ELi64ELc78ELc78ELb0ELb1ELb0EPKDF16_KS3_KPDF16_EEviiiT16_PT17_ilS9_ilS7_S9_ilPT18_ili26rocblas_geam_ex_operation_: ; @_ZN12_GLOBAL__N_120geam_min_plus_kernelIDF16_Dv2_DF16_S1_Li8ELi32ELi64ELi128ELi4ELi64ELi4ELi4ELi64ELc78ELc78ELb0ELb1ELb0EPKDF16_KS3_KPDF16_EEviiiT16_PT17_ilS9_ilS7_S9_ilPT18_ili26rocblas_geam_ex_operation_
; %bb.0:
	s_load_dwordx4 s[4:7], s[0:1], 0x10
	s_load_dwordx4 s[8:11], s[0:1], 0x28
	;; [unrolled: 1-line block ×3, first 2 shown]
	s_load_dwordx2 s[20:21], s[0:1], 0x50
	s_mov_b32 s28, s3
	s_mov_b32 s29, 0
	s_lshl_b64 s[16:17], s[28:29], 1
	s_waitcnt lgkmcnt(0)
	s_add_u32 s4, s4, s16
	s_addc_u32 s5, s5, s17
	v_mov_b32_e32 v1, 0
	global_load_ushort v38, v1, s[4:5]
	s_add_u32 s4, s14, s16
	s_addc_u32 s5, s15, s17
	global_load_ushort v44, v1, s[4:5]
	s_mov_b64 s[16:17], 0
	s_mov_b64 s[18:19], 0
	s_waitcnt vmcnt(1)
	v_cmp_eq_f16_e32 vcc, 0, v38
	v_cmp_neq_f16_e64 s[4:5], 0, v38
	s_cbranch_vccnz .LBB234_2
; %bb.1:
	s_lshl_b64 s[14:15], s[28:29], 3
	s_add_u32 s6, s6, s14
	s_addc_u32 s7, s7, s15
	s_load_dwordx2 s[6:7], s[6:7], 0x0
	s_lshl_b64 s[8:9], s[8:9], 1
	s_waitcnt lgkmcnt(0)
	s_add_u32 s18, s6, s8
	s_addc_u32 s19, s7, s9
.LBB234_2:
	s_andn2_b64 vcc, exec, s[4:5]
	s_cbranch_vccnz .LBB234_4
; %bb.3:
	s_lshl_b64 s[6:7], s[28:29], 3
	s_add_u32 s6, s10, s6
	s_addc_u32 s7, s11, s7
	s_load_dwordx2 s[6:7], s[6:7], 0x0
	s_lshl_b64 s[8:9], s[12:13], 1
	s_waitcnt lgkmcnt(0)
	s_add_u32 s16, s6, s8
	s_addc_u32 s17, s7, s9
.LBB234_4:
	s_load_dwordx4 s[12:15], s[0:1], 0x60
	s_waitcnt vmcnt(0)
	v_cmp_eq_f16_e32 vcc, 0, v44
	v_cmp_neq_f16_e64 s[8:9], 0, v44
	s_cbranch_vccnz .LBB234_6
; %bb.5:
	s_lshl_b64 s[6:7], s[28:29], 3
	s_add_u32 s6, s20, s6
	s_addc_u32 s7, s21, s7
	s_load_dwordx2 s[6:7], s[6:7], 0x0
	s_waitcnt lgkmcnt(0)
	s_lshl_b64 s[10:11], s[12:13], 1
	s_add_u32 s24, s6, s10
	s_addc_u32 s25, s7, s11
	s_branch .LBB234_7
.LBB234_6:
	s_mov_b64 s[24:25], 0
.LBB234_7:
	s_load_dword s26, s[0:1], 0x20
	s_load_dwordx4 s[20:23], s[0:1], 0x0
	s_lshl_b64 s[6:7], s[28:29], 3
	v_and_b32_e32 v36, 0x3ff, v0
	v_bfe_u32 v37, v0, 10, 10
	s_waitcnt lgkmcnt(0)
	s_ashr_i32 s27, s26, 31
	s_add_u32 s10, s14, s6
	s_addc_u32 s11, s15, s7
	s_add_i32 s3, s20, -1
	s_ashr_i32 s6, s3, 31
	s_lshr_b32 s6, s6, 26
	s_add_i32 s3, s3, s6
	s_ashr_i32 s3, s3, 6
	s_add_i32 s13, s3, 1
	v_cvt_f32_u32_e32 v1, s13
	s_not_b32 s3, s3
	v_lshl_add_u32 v2, v37, 3, v36
	v_and_b32_e32 v9, 63, v2
	v_rcp_iflag_f32_e32 v0, v1
	s_load_dwordx2 s[10:11], s[10:11], 0x0
	v_lshrrev_b32_e32 v39, 6, v2
	v_cmp_gt_i32_e64 s[6:7], s22, v39
	v_mul_f32_e32 v0, 0x4f7ffffe, v0
	v_cvt_u32_f32_e32 v0, v0
	v_mov_b32_e32 v10, 0
	v_mov_b32_e32 v11, 0
	v_readfirstlane_b32 s12, v0
	s_mul_i32 s3, s3, s12
	s_mul_hi_u32 s3, s12, s3
	s_add_i32 s12, s12, s3
	s_mul_hi_u32 s3, s2, s12
	s_mul_i32 s12, s3, s13
	s_sub_i32 s12, s2, s12
	s_add_i32 s14, s3, 1
	s_sub_i32 s15, s12, s13
	s_cmp_ge_u32 s12, s13
	s_cselect_b32 s3, s14, s3
	s_cselect_b32 s12, s15, s12
	s_add_i32 s14, s3, 1
	s_cmp_ge_u32 s12, s13
	s_cselect_b32 s12, s14, s3
	s_mul_i32 s3, s12, s13
	s_sub_i32 s2, s2, s3
	s_lshl_b32 s28, s2, 6
	v_or_b32_e32 v0, s28, v9
	v_cmp_gt_i32_e32 vcc, s20, v0
	s_and_b64 s[2:3], s[6:7], vcc
	s_and_b64 s[6:7], s[4:5], s[2:3]
	v_ashrrev_i32_e32 v1, 31, v0
	s_and_saveexec_b64 s[2:3], s[6:7]
	s_cbranch_execz .LBB234_9
; %bb.8:
	v_mad_i64_i32 v[4:5], s[6:7], s26, v39, 0
	v_lshl_add_u64 v[4:5], v[4:5], 1, s[18:19]
	v_lshl_add_u64 v[4:5], v[0:1], 1, v[4:5]
	flat_load_ushort v3, v[4:5]
	s_waitcnt vmcnt(0) lgkmcnt(0)
	v_mul_f16_e32 v11, v38, v3
.LBB234_9:
	s_or_b64 exec, exec, s[2:3]
	v_lshrrev_b32_e32 v12, 2, v2
	s_lshl_b32 s29, s12, 7
	s_load_dword s33, s[0:1], 0x38
	v_add_u32_e32 v4, s29, v12
	v_and_b32_e32 v40, 3, v36
	s_add_i32 s23, s22, -1
	v_cmp_le_i32_e64 s[2:3], s21, v4
	s_xor_b64 s[14:15], s[4:5], -1
	v_cmp_le_i32_e64 s[6:7], s22, v40
	v_min_i32_e32 v2, s23, v40
	s_or_b64 s[12:13], s[2:3], s[14:15]
	v_ashrrev_i32_e32 v3, 31, v2
	s_or_b64 s[2:3], s[6:7], s[12:13]
	v_lshl_add_u64 v[2:3], v[2:3], 1, s[16:17]
	s_xor_b64 s[30:31], s[2:3], -1
	s_and_saveexec_b64 s[2:3], s[30:31]
	s_cbranch_execz .LBB234_11
; %bb.10:
	s_waitcnt lgkmcnt(0)
	v_mad_i64_i32 v[6:7], s[30:31], v4, s33, 0
	v_lshl_add_u64 v[6:7], v[6:7], 1, v[2:3]
	flat_load_ushort v5, v[6:7]
	s_waitcnt vmcnt(0) lgkmcnt(0)
	v_mul_f16_e32 v10, v38, v5
.LBB234_11:
	s_or_b64 exec, exec, s[2:3]
	v_add_u32_e32 v5, 64, v4
	v_cmp_le_i32_e64 s[2:3], s21, v5
	s_or_b64 s[14:15], s[2:3], s[14:15]
	s_or_b64 s[2:3], s[6:7], s[14:15]
	s_xor_b64 s[6:7], s[2:3], -1
	v_mov_b32_e32 v6, 0
	v_mov_b32_e32 v13, 0
	s_and_saveexec_b64 s[2:3], s[6:7]
	s_cbranch_execz .LBB234_13
; %bb.12:
	s_waitcnt lgkmcnt(0)
	v_mad_i64_i32 v[14:15], s[6:7], v5, s33, 0
	v_lshl_add_u64 v[2:3], v[14:15], 1, v[2:3]
	flat_load_ushort v2, v[2:3]
	s_waitcnt vmcnt(0) lgkmcnt(0)
	v_mul_f16_e32 v13, v38, v2
.LBB234_13:
	s_or_b64 exec, exec, s[2:3]
	v_add_u32_e32 v2, 4, v39
	v_cmp_gt_i32_e64 s[2:3], s22, v2
	s_and_b64 s[2:3], vcc, s[2:3]
	s_and_b64 s[6:7], s[4:5], s[2:3]
	s_and_saveexec_b64 s[2:3], s[6:7]
	s_cbranch_execz .LBB234_15
; %bb.14:
	v_mad_u64_u32 v[6:7], s[6:7], s26, v2, 0
	v_mov_b32_e32 v8, v7
	v_mad_u64_u32 v[2:3], s[6:7], s27, v2, v[8:9]
	v_mov_b32_e32 v7, v2
	v_lshl_add_u64 v[2:3], v[6:7], 1, s[18:19]
	v_lshl_add_u64 v[2:3], v[0:1], 1, v[2:3]
	flat_load_ushort v2, v[2:3]
	s_waitcnt vmcnt(0) lgkmcnt(0)
	v_mul_f16_e32 v6, v38, v2
.LBB234_15:
	s_or_b64 exec, exec, s[2:3]
	v_or_b32_e32 v2, 4, v40
	v_cmp_le_i32_e64 s[6:7], s22, v2
	v_min_i32_e32 v2, s23, v2
	v_ashrrev_i32_e32 v3, 31, v2
	s_or_b64 s[2:3], s[6:7], s[12:13]
	v_lshl_add_u64 v[2:3], v[2:3], 1, s[16:17]
	s_xor_b64 s[30:31], s[2:3], -1
	v_mov_b32_e32 v7, 0
	v_mov_b32_e32 v8, 0
	s_and_saveexec_b64 s[2:3], s[30:31]
	s_cbranch_execz .LBB234_17
; %bb.16:
	s_waitcnt lgkmcnt(0)
	v_mad_i64_i32 v[14:15], s[30:31], v4, s33, 0
	v_lshl_add_u64 v[14:15], v[14:15], 1, v[2:3]
	flat_load_ushort v8, v[14:15]
	s_waitcnt vmcnt(0) lgkmcnt(0)
	v_mul_f16_e32 v8, v38, v8
.LBB234_17:
	s_or_b64 exec, exec, s[2:3]
	s_or_b64 s[2:3], s[6:7], s[14:15]
	s_xor_b64 s[6:7], s[2:3], -1
	s_and_saveexec_b64 s[2:3], s[6:7]
	s_cbranch_execz .LBB234_19
; %bb.18:
	s_waitcnt lgkmcnt(0)
	v_mad_i64_i32 v[14:15], s[6:7], v5, s33, 0
	v_lshl_add_u64 v[2:3], v[14:15], 1, v[2:3]
	flat_load_ushort v2, v[2:3]
	s_waitcnt vmcnt(0) lgkmcnt(0)
	v_mul_f16_e32 v7, v38, v2
.LBB234_19:
	s_or_b64 exec, exec, s[2:3]
	v_lshlrev_b32_e32 v2, 3, v9
	v_lshlrev_b32_e32 v3, 1, v40
	;; [unrolled: 1-line block ×3, first 2 shown]
	v_lshl_add_u32 v2, v39, 1, v2
	v_lshl_or_b32 v43, v12, 3, v3
	v_lshlrev_b32_e32 v41, 3, v37
	v_add_u32_e32 v70, 0x800, v42
	ds_write_b16 v2, v11 offset:2048
	ds_write_b16 v43, v10
	ds_write_b16 v43, v13 offset:512
	s_waitcnt lgkmcnt(0)
	s_barrier
	ds_read2_b64 v[10:13], v41 offset1:32
	ds_read2_b64 v[14:17], v70 offset0:48 offset1:56
	ds_read2_b64 v[18:21], v41 offset0:64 offset1:96
	ds_read2_b64 v[22:25], v70 offset1:8
	ds_read2_b64 v[26:29], v70 offset0:16 offset1:24
	ds_read2_b64 v[30:33], v70 offset0:32 offset1:40
	s_waitcnt lgkmcnt(5)
	v_pk_max_f16 v3, v10, v10
	s_waitcnt lgkmcnt(4)
	v_pk_max_f16 v9, v16, v16
	v_pk_max_f16 v12, v12, v12
	v_pk_min_f16 v10, v9, v3
	s_waitcnt lgkmcnt(3)
	v_pk_max_f16 v18, v18, v18
	s_waitcnt lgkmcnt(2)
	v_pk_max_f16 v22, v22, v22
	v_pk_max_f16 v20, v20, v20
	v_pk_max_f16 v24, v24, v24
	s_waitcnt lgkmcnt(1)
	v_pk_max_f16 v26, v26, v26
	v_pk_max_f16 v28, v28, v28
	;; [unrolled: 4-line block ×3, first 2 shown]
	v_pk_max_f16 v14, v14, v14
	v_pk_max_f16 v17, v17, v17
	v_pk_min_f16 v16, v9, v12
	v_pk_min_f16 v34, v22, v3
	;; [unrolled: 1-line block ×17, first 2 shown]
	v_pk_max_f16 v13, v13, v13
	v_pk_min_f16 v57, v30, v3
	v_pk_min_f16 v58, v30, v12
	;; [unrolled: 1-line block ×14, first 2 shown]
	v_pk_add_f16 v10, v10, 0
	v_pk_min_f16 v20, v17, v11
	v_pk_max_f16 v19, v19, v19
	v_pk_add_f16 v69, v10, v20
	v_pk_add_f16 v10, v16, 0
	v_pk_min_f16 v16, v17, v13
	v_pk_max_f16 v23, v23, v23
	v_pk_add_f16 v61, v10, v16
	;; [unrolled: 4-line block ×5, first 2 shown]
	v_pk_add_f16 v10, v45, 0
	v_pk_min_f16 v16, v23, v19
	v_pk_add_f16 v20, v50, 0
	v_pk_add_f16 v60, v10, v16
	;; [unrolled: 1-line block ×3, first 2 shown]
	v_pk_min_f16 v16, v23, v21
	v_pk_add_f16 v22, v51, 0
	v_pk_add_f16 v52, v10, v16
	;; [unrolled: 1-line block ×3, first 2 shown]
	v_pk_min_f16 v16, v25, v11
	v_pk_max_f16 v29, v29, v29
	v_pk_add_f16 v76, v10, v16
	v_pk_add_f16 v10, v47, 0
	v_pk_min_f16 v16, v25, v13
	v_pk_add_f16 v23, v26, 0
	v_pk_add_f16 v67, v10, v16
	;; [unrolled: 1-line block ×3, first 2 shown]
	v_pk_min_f16 v16, v25, v19
	v_pk_min_f16 v25, v25, v21
	v_pk_add_f16 v59, v10, v16
	v_pk_add_f16 v10, v24, 0
	;; [unrolled: 1-line block ×4, first 2 shown]
	v_pk_min_f16 v10, v27, v11
	v_pk_add_f16 v45, v58, 0
	v_pk_add_f16 v75, v16, v10
	v_pk_min_f16 v10, v27, v13
	v_pk_add_f16 v24, v54, 0
	v_pk_add_f16 v66, v20, v10
	v_pk_min_f16 v10, v27, v19
	v_pk_add_f16 v26, v55, 0
	v_pk_add_f16 v58, v22, v10
	v_pk_min_f16 v10, v27, v21
	v_pk_add_f16 v34, v56, 0
	v_pk_add_f16 v50, v23, v10
	v_pk_min_f16 v10, v29, v11
	v_pk_add_f16 v55, v65, 0
	v_pk_add_f16 v74, v24, v10
	v_pk_min_f16 v10, v29, v13
	v_pk_add_f16 v28, v28, 0
	v_pk_add_f16 v65, v26, v10
	v_pk_min_f16 v10, v29, v19
	v_pk_add_f16 v35, v57, 0
	v_pk_add_f16 v57, v34, v10
	v_pk_min_f16 v10, v29, v21
	v_pk_add_f16 v30, v30, 0
	v_pk_add_f16 v49, v28, v10
	v_pk_max_f16 v10, v31, v31
	v_pk_add_f16 v54, v64, 0
	v_pk_min_f16 v16, v10, v11
	v_pk_add_f16 v46, v62, 0
	v_pk_add_f16 v73, v35, v16
	v_pk_min_f16 v16, v10, v13
	v_pk_add_f16 v47, v63, 0
	v_pk_add_f16 v64, v45, v16
	v_pk_min_f16 v16, v10, v19
	v_pk_min_f16 v10, v10, v21
	v_pk_add_f16 v56, v46, v16
	v_pk_add_f16 v48, v30, v10
	v_pk_max_f16 v10, v33, v33
	v_pk_add_f16 v32, v32, 0
	v_pk_min_f16 v16, v10, v11
	v_pk_add_f16 v3, v3, 0
	v_pk_add_f16 v72, v47, v16
	v_pk_min_f16 v16, v10, v13
	v_pk_add_f16 v12, v12, 0
	v_pk_add_f16 v63, v54, v16
	v_pk_min_f16 v16, v10, v19
	v_pk_min_f16 v10, v10, v21
	v_pk_add_f16 v18, v18, 0
	v_pk_add_f16 v47, v32, v10
	v_pk_max_f16 v10, v15, v15
	v_pk_add_f16 v14, v14, 0
	v_pk_min_f16 v11, v10, v11
	v_pk_add_f16 v9, v9, 0
	v_pk_add_f16 v71, v3, v11
	v_pk_min_f16 v3, v10, v13
	s_mov_b32 s30, 0
	v_pk_add_f16 v62, v12, v3
	v_pk_min_f16 v3, v10, v19
	v_pk_add_f16 v55, v55, v16
	v_pk_add_f16 v54, v18, v3
	v_pk_min_f16 v3, v10, v21
	s_cmp_lt_i32 s22, 9
	v_pk_add_f16 v46, v14, v3
	v_pk_min_f16 v3, v17, v21
	ds_write_b16 v2, v6 offset:2560
	ds_write_b16 v43, v8 offset:1024
	;; [unrolled: 1-line block ×3, first 2 shown]
	v_pk_add_f16 v45, v9, v3
	s_waitcnt lgkmcnt(0)
	s_barrier
	s_cbranch_scc1 .LBB234_34
; %bb.20:
	v_lshl_add_u64 v[24:25], v[0:1], 1, s[18:19]
	v_mov_b32_e32 v0, 0xa00
	v_lshl_add_u32 v81, v36, 3, v0
	v_add_u32_e32 v0, v41, v36
	v_or_b32_e32 v78, 0x800, v2
	v_add_u32_e32 v79, 0xa00, v2
	v_lshrrev_b32_e32 v2, 6, v0
	v_add_u32_e32 v0, 12, v2
	v_mad_i64_i32 v[0:1], s[2:3], v0, s26, 0
	v_lshlrev_b64 v[30:31], 1, v[0:1]
	v_add_u32_e32 v0, 8, v2
	v_mad_i64_i32 v[0:1], s[2:3], v0, s26, 0
	v_add_u32_e32 v80, 0x400, v43
	s_add_i32 s31, s22, -8
	v_mad_i64_i32 v[26:27], s[2:3], v4, s33, 0
	v_mad_i64_i32 v[28:29], s[2:3], v5, s33, 0
	v_add_u32_e32 v82, 0x400, v41
	s_lshl_b64 s[18:19], s[26:27], 4
	v_lshlrev_b64 v[32:33], 1, v[0:1]
	s_branch .LBB234_22
.LBB234_21:                             ;   in Loop: Header=BB234_22 Depth=1
	s_or_b64 exec, exec, s[2:3]
	v_pk_add_f16 v20, v61, v20
	v_pk_add_f16 v12, v53, v12
	;; [unrolled: 1-line block ×19, first 2 shown]
	ds_read2_b64 v[6:9], v70 offset0:48 offset1:56
	ds_read2_b64 v[10:13], v41 offset1:32
	v_pk_add_f16 v2, v69, v2
	v_pk_add_f16 v22, v68, v22
	;; [unrolled: 1-line block ×5, first 2 shown]
	s_waitcnt lgkmcnt(1)
	v_pk_max_f16 v8, v8, v8
	s_waitcnt lgkmcnt(0)
	v_pk_max_f16 v10, v10, v10
	v_pk_add_f16 v16, v77, v16
	v_pk_add_f16 v61, v63, v99
	v_pk_add_f16 v45, v45, v105
	v_pk_add_f16 v63, v2, v3
	v_pk_add_f16 v22, v22, v23
	v_pk_add_f16 v23, v34, v106
	v_pk_add_f16 v34, v14, v15
	v_pk_add_f16 v67, v0, v123
	v_pk_add_f16 v46, v46, v1
	ds_read2_b64 v[0:3], v41 offset0:64 offset1:96
	v_pk_min_f16 v14, v8, v10
	v_pk_add_f16 v60, v64, v96
	v_pk_add_f16 v64, v16, v17
	;; [unrolled: 1-line block ×4, first 2 shown]
	ds_read2_b64 v[14:17], v70 offset1:8
	v_pk_max_f16 v12, v12, v12
	s_waitcnt lgkmcnt(1)
	v_pk_max_f16 v0, v0, v0
	v_pk_min_f16 v63, v8, v12
	v_pk_max_f16 v2, v2, v2
	v_pk_add_f16 v63, v20, v63
	v_pk_min_f16 v20, v8, v0
	s_waitcnt lgkmcnt(0)
	v_pk_max_f16 v14, v14, v14
	v_pk_add_f16 v68, v21, v20
	v_pk_min_f16 v20, v14, v10
	v_pk_max_f16 v16, v16, v16
	v_pk_add_f16 v64, v64, v20
	v_pk_min_f16 v20, v14, v12
	v_pk_add_f16 v51, v51, v89
	v_pk_add_f16 v22, v22, v20
	v_pk_min_f16 v20, v14, v0
	v_pk_min_f16 v14, v14, v2
	v_pk_add_f16 v23, v23, v20
	v_pk_min_f16 v20, v16, v10
	v_pk_add_f16 v14, v34, v14
	v_pk_add_f16 v34, v18, v20
	v_pk_min_f16 v18, v16, v12
	v_pk_add_f16 v51, v51, v109
	v_pk_add_f16 v71, v19, v18
	ds_read2_b64 v[18:21], v70 offset0:16 offset1:24
	v_pk_min_f16 v69, v16, v0
	v_pk_min_f16 v16, v16, v2
	v_pk_add_f16 v50, v50, v92
	v_pk_add_f16 v16, v51, v16
	s_waitcnt lgkmcnt(0)
	v_pk_max_f16 v18, v18, v18
	v_pk_add_f16 v53, v53, v110
	v_pk_min_f16 v51, v18, v10
	ds_read2_b64 v[86:89], v70 offset0:32 offset1:40
	v_pk_add_f16 v72, v52, v51
	v_pk_min_f16 v51, v18, v12
	v_pk_add_f16 v4, v73, v4
	v_pk_add_f16 v50, v50, v112
	;; [unrolled: 1-line block ×3, first 2 shown]
	v_pk_min_f16 v51, v18, v0
	v_pk_min_f16 v18, v18, v2
	v_pk_max_f16 v20, v20, v20
	v_pk_add_f16 v18, v50, v18
	v_pk_min_f16 v50, v20, v10
	v_pk_add_f16 v49, v49, v95
	v_pk_add_f16 v59, v59, v113
	;; [unrolled: 1-line block ×3, first 2 shown]
	v_pk_min_f16 v50, v20, v12
	v_pk_add_f16 v57, v57, v94
	v_pk_add_f16 v49, v49, v115
	;; [unrolled: 1-line block ×3, first 2 shown]
	v_pk_min_f16 v50, v20, v0
	v_pk_min_f16 v20, v20, v2
	v_pk_add_f16 v57, v57, v114
	v_pk_add_f16 v20, v49, v20
	s_waitcnt lgkmcnt(0)
	v_pk_max_f16 v49, v86, v86
	v_pk_add_f16 v4, v4, v116
	v_pk_add_f16 v57, v57, v50
	v_pk_min_f16 v50, v49, v10
	v_pk_add_f16 v48, v48, v98
	v_pk_add_f16 v60, v60, v117
	;; [unrolled: 1-line block ×3, first 2 shown]
	v_pk_min_f16 v50, v49, v12
	v_pk_add_f16 v56, v56, v97
	v_pk_add_f16 v48, v48, v119
	;; [unrolled: 1-line block ×3, first 2 shown]
	v_pk_min_f16 v50, v49, v0
	v_pk_min_f16 v49, v49, v2
	v_pk_add_f16 v56, v56, v118
	v_pk_add_f16 v48, v48, v49
	v_pk_max_f16 v49, v88, v88
	v_pk_add_f16 v56, v56, v50
	v_pk_min_f16 v50, v49, v10
	v_pk_add_f16 v61, v61, v120
	v_pk_add_f16 v88, v66, v50
	v_pk_min_f16 v50, v49, v12
	v_pk_max_f16 v6, v6, v6
	v_pk_add_f16 v58, v58, v91
	v_pk_add_f16 v91, v61, v50
	v_pk_min_f16 v50, v49, v0
	v_pk_min_f16 v49, v49, v2
	;; [unrolled: 1-line block ×7, first 2 shown]
	v_pk_max_f16 v8, v11, v11
	v_pk_add_f16 v2, v5, v2
	v_pk_max_f16 v5, v9, v9
	v_pk_add_f16 v35, v35, v69
	v_pk_min_f16 v9, v5, v8
	v_pk_max_f16 v1, v1, v1
	v_pk_add_f16 v69, v45, v9
	v_pk_max_f16 v9, v13, v13
	v_pk_max_f16 v3, v3, v3
	v_pk_min_f16 v11, v5, v9
	v_pk_add_f16 v58, v58, v111
	v_pk_add_f16 v61, v63, v11
	v_pk_min_f16 v11, v5, v1
	v_pk_add_f16 v10, v67, v10
	v_pk_add_f16 v53, v68, v11
	v_pk_max_f16 v11, v15, v15
	v_pk_add_f16 v58, v58, v51
	v_pk_min_f16 v13, v11, v8
	v_pk_add_f16 v55, v55, v100
	v_pk_add_f16 v77, v64, v13
	v_pk_min_f16 v13, v11, v9
	v_pk_add_f16 v55, v55, v121
	v_pk_add_f16 v68, v22, v13
	v_pk_min_f16 v13, v11, v1
	v_pk_min_f16 v11, v11, v3
	v_pk_add_f16 v60, v23, v13
	v_pk_add_f16 v52, v14, v11
	v_pk_max_f16 v11, v17, v17
	v_pk_add_f16 v55, v55, v50
	v_pk_min_f16 v13, v11, v8
	v_pk_add_f16 v47, v47, v101
	v_pk_add_f16 v76, v34, v13
	v_pk_min_f16 v13, v11, v9
	v_pk_add_f16 v47, v47, v122
	v_pk_add_f16 v67, v71, v13
	v_pk_min_f16 v13, v11, v1
	;; [unrolled: 12-line block ×4, first 2 shown]
	v_pk_min_f16 v11, v11, v3
	v_pk_add_f16 v57, v57, v13
	v_pk_add_f16 v49, v20, v11
	v_pk_max_f16 v11, v87, v87
	v_pk_add_f16 v6, v46, v6
	v_pk_min_f16 v13, v11, v8
	v_pk_add_f16 v12, v62, v12
	v_pk_add_f16 v73, v4, v13
	v_pk_min_f16 v4, v11, v9
	s_add_i32 s30, s30, 8
	v_pk_add_f16 v64, v86, v4
	v_pk_min_f16 v4, v11, v1
	s_cmp_ge_i32 s30, s31
	v_pk_add_f16 v56, v56, v4
	v_pk_min_f16 v4, v11, v3
	v_lshl_add_u64 v[24:25], v[24:25], 0, s[18:19]
	v_pk_add_f16 v48, v48, v4
	v_pk_max_f16 v4, v89, v89
	ds_write_b16 v79, v83
	ds_write_b16 v80, v85
	ds_write_b16 v80, v84 offset:512
	v_pk_min_f16 v11, v4, v8
	s_waitcnt lgkmcnt(0)
	v_pk_add_f16 v72, v88, v11
	v_pk_min_f16 v11, v4, v9
	s_barrier
	v_pk_add_f16 v63, v91, v11
	v_pk_min_f16 v11, v4, v1
	v_pk_min_f16 v4, v4, v3
	v_pk_add_f16 v55, v55, v11
	v_pk_add_f16 v47, v47, v4
	v_pk_max_f16 v4, v7, v7
	s_nop 0
	v_pk_min_f16 v1, v4, v1
	v_pk_min_f16 v7, v4, v8
	v_pk_add_f16 v54, v0, v1
	v_pk_min_f16 v0, v4, v3
	v_pk_add_f16 v71, v10, v7
	;; [unrolled: 2-line block ×4, first 2 shown]
	v_pk_add_f16 v45, v2, v0
	s_cbranch_scc1 .LBB234_34
.LBB234_22:                             ; =>This Inner Loop Header: Depth=1
	v_add_u32_e32 v34, s30, v39
	v_add_u32_e32 v0, 8, v34
	v_cmp_gt_i32_e64 s[2:3], s22, v0
	s_and_b64 s[2:3], vcc, s[2:3]
	s_and_b64 s[6:7], s[4:5], s[2:3]
	v_mov_b32_e32 v84, 0
	v_mov_b32_e32 v85, 0
	s_and_saveexec_b64 s[2:3], s[6:7]
	s_cbranch_execz .LBB234_24
; %bb.23:                               ;   in Loop: Header=BB234_22 Depth=1
	v_lshl_add_u64 v[0:1], v[24:25], 0, v[32:33]
	flat_load_ushort v0, v[0:1]
	s_waitcnt vmcnt(0) lgkmcnt(0)
	v_mul_f16_e32 v85, v38, v0
.LBB234_24:                             ;   in Loop: Header=BB234_22 Depth=1
	s_or_b64 exec, exec, s[2:3]
	v_add_u32_e32 v35, s30, v40
	v_add_u32_e32 v0, 8, v35
	v_cmp_le_i32_e64 s[6:7], s22, v0
	v_min_i32_e32 v0, s23, v0
	v_ashrrev_i32_e32 v1, 31, v0
	s_or_b64 s[2:3], s[12:13], s[6:7]
	v_lshl_add_u64 v[0:1], v[0:1], 1, s[16:17]
	s_xor_b64 s[26:27], s[2:3], -1
	s_and_saveexec_b64 s[2:3], s[26:27]
	s_cbranch_execz .LBB234_26
; %bb.25:                               ;   in Loop: Header=BB234_22 Depth=1
	v_lshl_add_u64 v[2:3], v[26:27], 1, v[0:1]
	flat_load_ushort v2, v[2:3]
	s_waitcnt vmcnt(0) lgkmcnt(0)
	v_mul_f16_e32 v84, v38, v2
.LBB234_26:                             ;   in Loop: Header=BB234_22 Depth=1
	s_or_b64 exec, exec, s[2:3]
	s_or_b64 s[2:3], s[14:15], s[6:7]
	s_xor_b64 s[6:7], s[2:3], -1
	v_mov_b32_e32 v83, 0
	v_mov_b32_e32 v86, 0
	s_and_saveexec_b64 s[2:3], s[6:7]
	s_cbranch_execz .LBB234_28
; %bb.27:                               ;   in Loop: Header=BB234_22 Depth=1
	v_lshl_add_u64 v[0:1], v[28:29], 1, v[0:1]
	flat_load_ushort v0, v[0:1]
	s_waitcnt vmcnt(0) lgkmcnt(0)
	v_mul_f16_e32 v86, v38, v0
.LBB234_28:                             ;   in Loop: Header=BB234_22 Depth=1
	s_or_b64 exec, exec, s[2:3]
	ds_read2_b64 v[0:3], v81 offset0:48 offset1:56
	ds_read2_b64 v[12:15], v82 offset0:64 offset1:96
	ds_read2_b64 v[20:23], v82 offset1:32
	ds_read2_b64 v[16:19], v81 offset1:8
	ds_read2_b64 v[8:11], v81 offset0:16 offset1:24
	ds_read2_b64 v[4:7], v81 offset0:32 offset1:40
	v_add_u32_e32 v34, 12, v34
	v_cmp_gt_i32_e64 s[2:3], s22, v34
	s_and_b64 s[2:3], vcc, s[2:3]
	s_and_b64 s[6:7], s[4:5], s[2:3]
	ds_write_b16 v78, v85
	ds_write_b16 v43, v84
	ds_write_b16 v43, v86 offset:512
	s_waitcnt lgkmcnt(0)
	s_barrier
	s_and_saveexec_b64 s[2:3], s[6:7]
	s_cbranch_execz .LBB234_30
; %bb.29:                               ;   in Loop: Header=BB234_22 Depth=1
	v_lshl_add_u64 v[84:85], v[24:25], 0, v[30:31]
	flat_load_ushort v34, v[84:85]
	s_waitcnt vmcnt(0) lgkmcnt(0)
	v_mul_f16_e32 v83, v38, v34
.LBB234_30:                             ;   in Loop: Header=BB234_22 Depth=1
	s_or_b64 exec, exec, s[2:3]
	v_add_u32_e32 v34, 12, v35
	v_cmp_le_i32_e64 s[6:7], s22, v34
	v_min_i32_e32 v34, s23, v34
	v_ashrrev_i32_e32 v35, 31, v34
	s_or_b64 s[2:3], s[12:13], s[6:7]
	v_lshl_add_u64 v[34:35], v[34:35], 1, s[16:17]
	s_xor_b64 s[26:27], s[2:3], -1
	v_mov_b32_e32 v84, 0
	v_mov_b32_e32 v85, 0
	s_and_saveexec_b64 s[2:3], s[26:27]
	s_cbranch_execz .LBB234_32
; %bb.31:                               ;   in Loop: Header=BB234_22 Depth=1
	v_lshl_add_u64 v[86:87], v[26:27], 1, v[34:35]
	flat_load_ushort v85, v[86:87]
	s_waitcnt vmcnt(0) lgkmcnt(0)
	v_mul_f16_e32 v85, v38, v85
.LBB234_32:                             ;   in Loop: Header=BB234_22 Depth=1
	s_or_b64 exec, exec, s[2:3]
	v_pk_max_f16 v105, v2, v2
	v_pk_max_f16 v102, v20, v20
	;; [unrolled: 1-line block ×17, first 2 shown]
	v_pk_min_f16 v2, v105, v102
	v_pk_min_f16 v20, v105, v103
	;; [unrolled: 1-line block ×26, first 2 shown]
	v_pk_max_f16 v126, v3, v3
	v_pk_max_f16 v107, v17, v17
	;; [unrolled: 1-line block ×5, first 2 shown]
	v_pk_min_f16 v116, v5, v123
	v_pk_min_f16 v117, v5, v124
	;; [unrolled: 1-line block ×4, first 2 shown]
	v_pk_max_f16 v5, v7, v7
	v_pk_max_f16 v1, v1, v1
	s_or_b64 s[2:3], s[14:15], s[6:7]
	v_pk_min_f16 v89, v89, v106
	v_pk_min_f16 v92, v92, v106
	;; [unrolled: 1-line block ×34, first 2 shown]
	s_xor_b64 s[6:7], s[2:3], -1
	s_and_saveexec_b64 s[2:3], s[6:7]
	s_cbranch_execz .LBB234_21
; %bb.33:                               ;   in Loop: Header=BB234_22 Depth=1
	v_lshl_add_u64 v[34:35], v[28:29], 1, v[34:35]
	flat_load_ushort v34, v[34:35]
	s_waitcnt vmcnt(0) lgkmcnt(0)
	v_mul_f16_e32 v84, v38, v34
	s_branch .LBB234_21
.LBB234_34:
	s_load_dwordx2 s[2:3], s[0:1], 0x78
	s_load_dword s31, s[0:1], 0x58
	s_load_dword s30, s[0:1], 0x70
	v_add_u32_e32 v8, 0x800, v42
	ds_read2_b64 v[0:3], v8 offset0:112 offset1:120
	ds_read2_b64 v[4:7], v41 offset0:192 offset1:224
	;; [unrolled: 1-line block ×6, first 2 shown]
	s_waitcnt lgkmcnt(0)
	s_lshl_b64 s[0:1], s[2:3], 1
	s_add_u32 s22, s10, s0
	v_add_u32_e32 v70, s29, v37
	s_addc_u32 s23, s11, s1
	v_mad_i64_i32 v[26:27], s[0:1], v70, s31, 0
	v_add_u32_e32 v24, s28, v36
	v_lshl_add_u64 v[42:43], v[26:27], 1, s[24:25]
	v_mad_i64_i32 v[26:27], s[0:1], v70, s30, 0
	v_cmp_gt_i32_e64 s[18:19], s21, v70
	v_lshl_add_u64 v[40:41], v[26:27], 1, s[22:23]
	v_cmp_gt_i32_e64 s[4:5], s20, v24
	v_cndmask_b32_e64 v26, 0, 1, s[8:9]
	s_and_b64 s[6:7], s[4:5], s[18:19]
	v_ashrrev_i32_e32 v25, 31, v24
	v_cmp_ne_u32_e64 s[0:1], 1, v26
	s_and_saveexec_b64 s[2:3], s[6:7]
	s_cbranch_execz .LBB234_39
; %bb.35:
	s_and_b64 vcc, exec, s[0:1]
	s_cbranch_vccnz .LBB234_37
; %bb.36:
	v_lshl_add_u64 v[26:27], v[24:25], 1, v[42:43]
	flat_load_ushort v26, v[26:27]
	s_waitcnt vmcnt(0) lgkmcnt(0)
	v_mul_f16_e32 v26, v44, v26
	s_branch .LBB234_38
.LBB234_37:
	v_mov_b32_e32 v26, 0
.LBB234_38:
	v_pk_max_f16 v27, v20, v20
	v_pk_max_f16 v28, v16, v16
	v_pk_max_f16 v29, v17, v17
	v_pk_min_f16 v27, v28, v27
	v_pk_max_f16 v28, v21, v21
	v_pk_add_f16 v27, v77, v27
	v_pk_min_f16 v28, v29, v28
	s_nop 0
	v_pk_add_f16 v27, v27, v28
	s_nop 0
	v_add_f16_sdwa v27, v27, v27 dst_sel:DWORD dst_unused:UNUSED_PAD src0_sel:DWORD src1_sel:WORD_1
	v_add_f16_e32 v28, v27, v26
	v_lshl_add_u64 v[26:27], v[24:25], 1, v[40:41]
	global_store_short v[26:27], v28, off
.LBB234_39:
	s_or_b64 exec, exec, s[2:3]
	v_add_u32_e32 v26, 8, v24
	v_cmp_gt_i32_e64 s[2:3], s20, v26
	s_and_b64 s[8:9], s[2:3], s[18:19]
	v_ashrrev_i32_e32 v27, 31, v26
	s_and_saveexec_b64 s[6:7], s[8:9]
	s_cbranch_execz .LBB234_44
; %bb.40:
	s_and_b64 vcc, exec, s[0:1]
	s_cbranch_vccnz .LBB234_42
; %bb.41:
	v_lshl_add_u64 v[28:29], v[26:27], 1, v[42:43]
	flat_load_ushort v28, v[28:29]
	s_waitcnt vmcnt(0) lgkmcnt(0)
	v_mul_f16_e32 v28, v44, v28
	s_branch .LBB234_43
.LBB234_42:
	v_mov_b32_e32 v28, 0
.LBB234_43:
	v_pk_max_f16 v29, v20, v20
	v_pk_max_f16 v30, v18, v18
	v_pk_max_f16 v31, v19, v19
	v_pk_min_f16 v29, v30, v29
	v_pk_max_f16 v30, v21, v21
	v_pk_add_f16 v29, v76, v29
	v_pk_min_f16 v30, v31, v30
	s_nop 0
	v_pk_add_f16 v29, v29, v30
	s_nop 0
	v_add_f16_sdwa v29, v29, v29 dst_sel:DWORD dst_unused:UNUSED_PAD src0_sel:DWORD src1_sel:WORD_1
	v_add_f16_e32 v30, v29, v28
	v_lshl_add_u64 v[28:29], v[26:27], 1, v[40:41]
	global_store_short v[28:29], v30, off
.LBB234_44:
	s_or_b64 exec, exec, s[6:7]
	v_add_u32_e32 v28, 16, v24
	v_cmp_gt_i32_e64 s[6:7], s20, v28
	s_and_b64 s[10:11], s[6:7], s[18:19]
	v_ashrrev_i32_e32 v29, 31, v28
	;; [unrolled: 34-line block ×6, first 2 shown]
	s_and_saveexec_b64 s[16:17], s[26:27]
	s_cbranch_execz .LBB234_69
; %bb.65:
	s_and_b64 vcc, exec, s[0:1]
	s_cbranch_vccnz .LBB234_67
; %bb.66:
	v_lshl_add_u64 v[38:39], v[36:37], 1, v[42:43]
	flat_load_ushort v38, v[38:39]
	s_waitcnt vmcnt(0) lgkmcnt(0)
	v_mul_f16_e32 v38, v44, v38
	s_branch .LBB234_68
.LBB234_67:
	v_mov_b32_e32 v38, 0
.LBB234_68:
	v_pk_max_f16 v39, v20, v20
	v_pk_max_f16 v72, v0, v0
	s_nop 0
	v_pk_min_f16 v39, v72, v39
	v_pk_max_f16 v72, v1, v1
	v_pk_add_f16 v39, v71, v39
	v_pk_max_f16 v71, v21, v21
	s_nop 0
	v_pk_min_f16 v71, v72, v71
	s_nop 0
	v_pk_add_f16 v39, v39, v71
	s_nop 0
	v_add_f16_sdwa v39, v39, v39 dst_sel:DWORD dst_unused:UNUSED_PAD src0_sel:DWORD src1_sel:WORD_1
	v_add_f16_e32 v71, v39, v38
	v_lshl_add_u64 v[38:39], v[36:37], 1, v[40:41]
	global_store_short v[38:39], v71, off
.LBB234_69:
	s_or_b64 exec, exec, s[16:17]
	v_add_u32_e32 v38, 56, v24
	v_cmp_gt_i32_e64 s[16:17], s20, v38
	s_and_b64 s[26:27], s[16:17], s[18:19]
	v_ashrrev_i32_e32 v39, 31, v38
	s_and_saveexec_b64 s[18:19], s[26:27]
	s_cbranch_execz .LBB234_74
; %bb.70:
	s_and_b64 vcc, exec, s[0:1]
	s_cbranch_vccnz .LBB234_72
; %bb.71:
	v_lshl_add_u64 v[42:43], v[38:39], 1, v[42:43]
	flat_load_ushort v42, v[42:43]
	s_waitcnt vmcnt(0) lgkmcnt(0)
	v_mul_f16_e32 v42, v44, v42
	s_branch .LBB234_73
.LBB234_72:
	v_mov_b32_e32 v42, 0
.LBB234_73:
	v_pk_max_f16 v20, v20, v20
	v_pk_max_f16 v43, v2, v2
	;; [unrolled: 1-line block ×3, first 2 shown]
	v_pk_min_f16 v20, v43, v20
	v_pk_max_f16 v43, v3, v3
	v_pk_add_f16 v20, v69, v20
	v_pk_min_f16 v21, v43, v21
	s_nop 0
	v_pk_add_f16 v20, v20, v21
	s_nop 0
	v_add_f16_sdwa v20, v20, v20 dst_sel:DWORD dst_unused:UNUSED_PAD src0_sel:DWORD src1_sel:WORD_1
	v_add_f16_e32 v42, v20, v42
	v_lshl_add_u64 v[20:21], v[38:39], 1, v[40:41]
	global_store_short v[20:21], v42, off
.LBB234_74:
	s_or_b64 exec, exec, s[18:19]
	v_add_u32_e32 v42, 32, v70
	v_mad_i64_i32 v[20:21], s[26:27], v42, s31, 0
	v_cmp_gt_i32_e64 s[18:19], s21, v42
	v_lshl_add_u64 v[40:41], v[20:21], 1, s[24:25]
	v_mad_i64_i32 v[20:21], s[26:27], v42, s30, 0
	v_lshl_add_u64 v[20:21], v[20:21], 1, s[22:23]
	s_and_b64 s[28:29], s[4:5], s[18:19]
	s_and_saveexec_b64 s[26:27], s[28:29]
	s_cbranch_execnz .LBB234_82
; %bb.75:
	s_or_b64 exec, exec, s[26:27]
	s_and_b64 s[28:29], s[2:3], s[18:19]
	s_and_saveexec_b64 s[26:27], s[28:29]
	s_cbranch_execnz .LBB234_86
.LBB234_76:
	s_or_b64 exec, exec, s[26:27]
	s_and_b64 s[28:29], s[6:7], s[18:19]
	s_and_saveexec_b64 s[26:27], s[28:29]
	s_cbranch_execnz .LBB234_90
.LBB234_77:
	s_or_b64 exec, exec, s[26:27]
	s_and_b64 s[28:29], s[8:9], s[18:19]
	s_and_saveexec_b64 s[26:27], s[28:29]
	s_cbranch_execnz .LBB234_94
.LBB234_78:
	s_or_b64 exec, exec, s[26:27]
	s_and_b64 s[28:29], s[10:11], s[18:19]
	s_and_saveexec_b64 s[26:27], s[28:29]
	s_cbranch_execnz .LBB234_98
.LBB234_79:
	s_or_b64 exec, exec, s[26:27]
	s_and_b64 s[28:29], s[12:13], s[18:19]
	s_and_saveexec_b64 s[26:27], s[28:29]
	s_cbranch_execnz .LBB234_102
.LBB234_80:
	s_or_b64 exec, exec, s[26:27]
	s_and_b64 s[28:29], s[14:15], s[18:19]
	s_and_saveexec_b64 s[26:27], s[28:29]
	s_cbranch_execnz .LBB234_106
.LBB234_81:
	s_or_b64 exec, exec, s[26:27]
	s_and_b64 s[26:27], s[16:17], s[18:19]
	s_and_saveexec_b64 s[18:19], s[26:27]
	s_cbranch_execnz .LBB234_110
	s_branch .LBB234_114
.LBB234_82:
	s_and_b64 vcc, exec, s[0:1]
	s_cbranch_vccnz .LBB234_84
; %bb.83:
	v_lshl_add_u64 v[42:43], v[24:25], 1, v[40:41]
	flat_load_ushort v42, v[42:43]
	s_waitcnt vmcnt(0) lgkmcnt(0)
	v_mul_f16_e32 v42, v44, v42
	s_branch .LBB234_85
.LBB234_84:
	v_mov_b32_e32 v42, 0
.LBB234_85:
	v_pk_max_f16 v43, v22, v22
	v_pk_max_f16 v69, v16, v16
	s_nop 0
	v_pk_min_f16 v43, v69, v43
	v_pk_max_f16 v69, v17, v17
	v_pk_add_f16 v43, v68, v43
	v_pk_max_f16 v68, v23, v23
	s_nop 0
	v_pk_min_f16 v68, v69, v68
	s_nop 0
	v_pk_add_f16 v43, v43, v68
	s_nop 0
	v_add_f16_sdwa v43, v43, v43 dst_sel:DWORD dst_unused:UNUSED_PAD src0_sel:DWORD src1_sel:WORD_1
	v_add_f16_e32 v68, v43, v42
	v_lshl_add_u64 v[42:43], v[24:25], 1, v[20:21]
	global_store_short v[42:43], v68, off
	s_or_b64 exec, exec, s[26:27]
	s_and_b64 s[28:29], s[2:3], s[18:19]
	s_and_saveexec_b64 s[26:27], s[28:29]
	s_cbranch_execz .LBB234_76
.LBB234_86:
	s_and_b64 vcc, exec, s[0:1]
	s_cbranch_vccnz .LBB234_88
; %bb.87:
	v_lshl_add_u64 v[42:43], v[26:27], 1, v[40:41]
	flat_load_ushort v42, v[42:43]
	s_waitcnt vmcnt(0) lgkmcnt(0)
	v_mul_f16_e32 v42, v44, v42
	s_branch .LBB234_89
.LBB234_88:
	v_mov_b32_e32 v42, 0
.LBB234_89:
	v_pk_max_f16 v43, v22, v22
	v_pk_max_f16 v68, v18, v18
	s_nop 0
	v_pk_min_f16 v43, v68, v43
	v_pk_max_f16 v68, v19, v19
	v_pk_add_f16 v43, v67, v43
	v_pk_max_f16 v67, v23, v23
	s_nop 0
	v_pk_min_f16 v67, v68, v67
	s_nop 0
	v_pk_add_f16 v43, v43, v67
	s_nop 0
	v_add_f16_sdwa v43, v43, v43 dst_sel:DWORD dst_unused:UNUSED_PAD src0_sel:DWORD src1_sel:WORD_1
	v_add_f16_e32 v67, v43, v42
	v_lshl_add_u64 v[42:43], v[26:27], 1, v[20:21]
	global_store_short v[42:43], v67, off
	s_or_b64 exec, exec, s[26:27]
	s_and_b64 s[28:29], s[6:7], s[18:19]
	s_and_saveexec_b64 s[26:27], s[28:29]
	s_cbranch_execz .LBB234_77
.LBB234_90:
	s_and_b64 vcc, exec, s[0:1]
	s_cbranch_vccnz .LBB234_92
; %bb.91:
	v_lshl_add_u64 v[42:43], v[28:29], 1, v[40:41]
	flat_load_ushort v42, v[42:43]
	s_waitcnt vmcnt(0) lgkmcnt(0)
	v_mul_f16_e32 v42, v44, v42
	s_branch .LBB234_93
.LBB234_92:
	v_mov_b32_e32 v42, 0
.LBB234_93:
	v_pk_max_f16 v43, v22, v22
	v_pk_max_f16 v67, v12, v12
	s_nop 0
	v_pk_min_f16 v43, v67, v43
	v_pk_max_f16 v67, v13, v13
	v_pk_add_f16 v43, v66, v43
	v_pk_max_f16 v66, v23, v23
	s_nop 0
	v_pk_min_f16 v66, v67, v66
	s_nop 0
	v_pk_add_f16 v43, v43, v66
	s_nop 0
	v_add_f16_sdwa v43, v43, v43 dst_sel:DWORD dst_unused:UNUSED_PAD src0_sel:DWORD src1_sel:WORD_1
	v_add_f16_e32 v66, v43, v42
	v_lshl_add_u64 v[42:43], v[28:29], 1, v[20:21]
	global_store_short v[42:43], v66, off
	s_or_b64 exec, exec, s[26:27]
	s_and_b64 s[28:29], s[8:9], s[18:19]
	s_and_saveexec_b64 s[26:27], s[28:29]
	s_cbranch_execz .LBB234_78
.LBB234_94:
	s_and_b64 vcc, exec, s[0:1]
	s_cbranch_vccnz .LBB234_96
; %bb.95:
	v_lshl_add_u64 v[42:43], v[30:31], 1, v[40:41]
	flat_load_ushort v42, v[42:43]
	s_waitcnt vmcnt(0) lgkmcnt(0)
	v_mul_f16_e32 v42, v44, v42
	s_branch .LBB234_97
.LBB234_96:
	v_mov_b32_e32 v42, 0
.LBB234_97:
	v_pk_max_f16 v43, v22, v22
	v_pk_max_f16 v66, v14, v14
	s_nop 0
	v_pk_min_f16 v43, v66, v43
	v_pk_max_f16 v66, v15, v15
	v_pk_add_f16 v43, v65, v43
	v_pk_max_f16 v65, v23, v23
	s_nop 0
	v_pk_min_f16 v65, v66, v65
	s_nop 0
	v_pk_add_f16 v43, v43, v65
	s_nop 0
	v_add_f16_sdwa v43, v43, v43 dst_sel:DWORD dst_unused:UNUSED_PAD src0_sel:DWORD src1_sel:WORD_1
	v_add_f16_e32 v65, v43, v42
	v_lshl_add_u64 v[42:43], v[30:31], 1, v[20:21]
	global_store_short v[42:43], v65, off
	s_or_b64 exec, exec, s[26:27]
	s_and_b64 s[28:29], s[10:11], s[18:19]
	s_and_saveexec_b64 s[26:27], s[28:29]
	s_cbranch_execz .LBB234_79
.LBB234_98:
	s_and_b64 vcc, exec, s[0:1]
	s_cbranch_vccnz .LBB234_100
; %bb.99:
	v_lshl_add_u64 v[42:43], v[32:33], 1, v[40:41]
	flat_load_ushort v42, v[42:43]
	s_waitcnt vmcnt(0) lgkmcnt(0)
	v_mul_f16_e32 v42, v44, v42
	s_branch .LBB234_101
.LBB234_100:
	v_mov_b32_e32 v42, 0
.LBB234_101:
	v_pk_max_f16 v43, v22, v22
	v_pk_max_f16 v65, v8, v8
	s_nop 0
	v_pk_min_f16 v43, v65, v43
	v_pk_max_f16 v65, v9, v9
	v_pk_add_f16 v43, v64, v43
	v_pk_max_f16 v64, v23, v23
	s_nop 0
	v_pk_min_f16 v64, v65, v64
	s_nop 0
	v_pk_add_f16 v43, v43, v64
	s_nop 0
	v_add_f16_sdwa v43, v43, v43 dst_sel:DWORD dst_unused:UNUSED_PAD src0_sel:DWORD src1_sel:WORD_1
	v_add_f16_e32 v64, v43, v42
	v_lshl_add_u64 v[42:43], v[32:33], 1, v[20:21]
	global_store_short v[42:43], v64, off
	s_or_b64 exec, exec, s[26:27]
	s_and_b64 s[28:29], s[12:13], s[18:19]
	s_and_saveexec_b64 s[26:27], s[28:29]
	s_cbranch_execz .LBB234_80
.LBB234_102:
	s_and_b64 vcc, exec, s[0:1]
	s_cbranch_vccnz .LBB234_104
; %bb.103:
	v_lshl_add_u64 v[42:43], v[34:35], 1, v[40:41]
	flat_load_ushort v42, v[42:43]
	s_waitcnt vmcnt(0) lgkmcnt(0)
	v_mul_f16_e32 v42, v44, v42
	s_branch .LBB234_105
.LBB234_104:
	v_mov_b32_e32 v42, 0
.LBB234_105:
	v_pk_max_f16 v43, v22, v22
	v_pk_max_f16 v64, v10, v10
	s_nop 0
	v_pk_min_f16 v43, v64, v43
	v_pk_max_f16 v64, v11, v11
	v_pk_add_f16 v43, v63, v43
	v_pk_max_f16 v63, v23, v23
	s_nop 0
	v_pk_min_f16 v63, v64, v63
	s_nop 0
	v_pk_add_f16 v43, v43, v63
	s_nop 0
	v_add_f16_sdwa v43, v43, v43 dst_sel:DWORD dst_unused:UNUSED_PAD src0_sel:DWORD src1_sel:WORD_1
	v_add_f16_e32 v63, v43, v42
	v_lshl_add_u64 v[42:43], v[34:35], 1, v[20:21]
	global_store_short v[42:43], v63, off
	s_or_b64 exec, exec, s[26:27]
	s_and_b64 s[28:29], s[14:15], s[18:19]
	s_and_saveexec_b64 s[26:27], s[28:29]
	s_cbranch_execz .LBB234_81
.LBB234_106:
	s_and_b64 vcc, exec, s[0:1]
	s_cbranch_vccnz .LBB234_108
; %bb.107:
	v_lshl_add_u64 v[42:43], v[36:37], 1, v[40:41]
	flat_load_ushort v42, v[42:43]
	s_waitcnt vmcnt(0) lgkmcnt(0)
	v_mul_f16_e32 v42, v44, v42
	s_branch .LBB234_109
.LBB234_108:
	v_mov_b32_e32 v42, 0
.LBB234_109:
	v_pk_max_f16 v43, v22, v22
	v_pk_max_f16 v63, v0, v0
	s_nop 0
	v_pk_min_f16 v43, v63, v43
	v_pk_max_f16 v63, v1, v1
	v_pk_add_f16 v43, v62, v43
	v_pk_max_f16 v62, v23, v23
	s_nop 0
	v_pk_min_f16 v62, v63, v62
	s_nop 0
	v_pk_add_f16 v43, v43, v62
	s_nop 0
	v_add_f16_sdwa v43, v43, v43 dst_sel:DWORD dst_unused:UNUSED_PAD src0_sel:DWORD src1_sel:WORD_1
	v_add_f16_e32 v62, v43, v42
	v_lshl_add_u64 v[42:43], v[36:37], 1, v[20:21]
	global_store_short v[42:43], v62, off
	s_or_b64 exec, exec, s[26:27]
	s_and_b64 s[26:27], s[16:17], s[18:19]
	s_and_saveexec_b64 s[18:19], s[26:27]
	s_cbranch_execz .LBB234_114
.LBB234_110:
	s_and_b64 vcc, exec, s[0:1]
	s_cbranch_vccnz .LBB234_112
; %bb.111:
	v_lshl_add_u64 v[40:41], v[38:39], 1, v[40:41]
	flat_load_ushort v40, v[40:41]
	s_waitcnt vmcnt(0) lgkmcnt(0)
	v_mul_f16_e32 v40, v44, v40
	s_branch .LBB234_113
.LBB234_112:
	v_mov_b32_e32 v40, 0
.LBB234_113:
	v_pk_max_f16 v22, v22, v22
	v_pk_max_f16 v41, v2, v2
	;; [unrolled: 1-line block ×3, first 2 shown]
	v_pk_min_f16 v22, v41, v22
	v_pk_max_f16 v41, v3, v3
	v_pk_add_f16 v22, v61, v22
	v_pk_min_f16 v23, v41, v23
	v_lshl_add_u64 v[20:21], v[38:39], 1, v[20:21]
	v_pk_add_f16 v22, v22, v23
	s_nop 0
	v_add_f16_sdwa v22, v22, v22 dst_sel:DWORD dst_unused:UNUSED_PAD src0_sel:DWORD src1_sel:WORD_1
	v_add_f16_e32 v22, v22, v40
	global_store_short v[20:21], v22, off
.LBB234_114:
	s_or_b64 exec, exec, s[18:19]
	v_add_u32_e32 v40, 64, v70
	v_mad_i64_i32 v[20:21], s[26:27], v40, s31, 0
	v_cmp_gt_i32_e64 s[18:19], s21, v40
	v_lshl_add_u64 v[22:23], v[20:21], 1, s[24:25]
	v_mad_i64_i32 v[20:21], s[26:27], v40, s30, 0
	v_lshl_add_u64 v[20:21], v[20:21], 1, s[22:23]
	s_and_b64 s[28:29], s[4:5], s[18:19]
	s_and_saveexec_b64 s[26:27], s[28:29]
	s_cbranch_execnz .LBB234_122
; %bb.115:
	s_or_b64 exec, exec, s[26:27]
	s_and_b64 s[28:29], s[2:3], s[18:19]
	s_and_saveexec_b64 s[26:27], s[28:29]
	s_cbranch_execnz .LBB234_126
.LBB234_116:
	s_or_b64 exec, exec, s[26:27]
	s_and_b64 s[28:29], s[6:7], s[18:19]
	s_and_saveexec_b64 s[26:27], s[28:29]
	s_cbranch_execnz .LBB234_130
.LBB234_117:
	s_or_b64 exec, exec, s[26:27]
	s_and_b64 s[28:29], s[8:9], s[18:19]
	s_and_saveexec_b64 s[26:27], s[28:29]
	s_cbranch_execnz .LBB234_134
.LBB234_118:
	s_or_b64 exec, exec, s[26:27]
	s_and_b64 s[28:29], s[10:11], s[18:19]
	s_and_saveexec_b64 s[26:27], s[28:29]
	s_cbranch_execnz .LBB234_138
.LBB234_119:
	s_or_b64 exec, exec, s[26:27]
	s_and_b64 s[28:29], s[12:13], s[18:19]
	s_and_saveexec_b64 s[26:27], s[28:29]
	s_cbranch_execnz .LBB234_142
.LBB234_120:
	s_or_b64 exec, exec, s[26:27]
	s_and_b64 s[28:29], s[14:15], s[18:19]
	s_and_saveexec_b64 s[26:27], s[28:29]
	s_cbranch_execnz .LBB234_146
.LBB234_121:
	s_or_b64 exec, exec, s[26:27]
	s_and_b64 s[26:27], s[16:17], s[18:19]
	s_and_saveexec_b64 s[18:19], s[26:27]
	s_cbranch_execnz .LBB234_150
	s_branch .LBB234_154
.LBB234_122:
	s_and_b64 vcc, exec, s[0:1]
	s_cbranch_vccnz .LBB234_124
; %bb.123:
	v_lshl_add_u64 v[40:41], v[24:25], 1, v[22:23]
	flat_load_ushort v40, v[40:41]
	s_waitcnt vmcnt(0) lgkmcnt(0)
	v_mul_f16_e32 v40, v44, v40
	s_branch .LBB234_125
.LBB234_124:
	v_mov_b32_e32 v40, 0
.LBB234_125:
	v_pk_max_f16 v41, v4, v4
	v_pk_max_f16 v42, v16, v16
	;; [unrolled: 1-line block ×3, first 2 shown]
	v_pk_min_f16 v41, v42, v41
	v_pk_max_f16 v42, v5, v5
	v_pk_add_f16 v41, v60, v41
	v_pk_min_f16 v42, v43, v42
	s_nop 0
	v_pk_add_f16 v41, v41, v42
	s_nop 0
	v_add_f16_sdwa v41, v41, v41 dst_sel:DWORD dst_unused:UNUSED_PAD src0_sel:DWORD src1_sel:WORD_1
	v_add_f16_e32 v42, v41, v40
	v_lshl_add_u64 v[40:41], v[24:25], 1, v[20:21]
	global_store_short v[40:41], v42, off
	s_or_b64 exec, exec, s[26:27]
	s_and_b64 s[28:29], s[2:3], s[18:19]
	s_and_saveexec_b64 s[26:27], s[28:29]
	s_cbranch_execz .LBB234_116
.LBB234_126:
	s_and_b64 vcc, exec, s[0:1]
	s_cbranch_vccnz .LBB234_128
; %bb.127:
	v_lshl_add_u64 v[40:41], v[26:27], 1, v[22:23]
	flat_load_ushort v40, v[40:41]
	s_waitcnt vmcnt(0) lgkmcnt(0)
	v_mul_f16_e32 v40, v44, v40
	s_branch .LBB234_129
.LBB234_128:
	v_mov_b32_e32 v40, 0
.LBB234_129:
	v_pk_max_f16 v41, v4, v4
	v_pk_max_f16 v42, v18, v18
	v_pk_max_f16 v43, v19, v19
	v_pk_min_f16 v41, v42, v41
	v_pk_max_f16 v42, v5, v5
	v_pk_add_f16 v41, v59, v41
	v_pk_min_f16 v42, v43, v42
	s_nop 0
	v_pk_add_f16 v41, v41, v42
	s_nop 0
	v_add_f16_sdwa v41, v41, v41 dst_sel:DWORD dst_unused:UNUSED_PAD src0_sel:DWORD src1_sel:WORD_1
	v_add_f16_e32 v42, v41, v40
	v_lshl_add_u64 v[40:41], v[26:27], 1, v[20:21]
	global_store_short v[40:41], v42, off
	s_or_b64 exec, exec, s[26:27]
	s_and_b64 s[28:29], s[6:7], s[18:19]
	s_and_saveexec_b64 s[26:27], s[28:29]
	s_cbranch_execz .LBB234_117
.LBB234_130:
	s_and_b64 vcc, exec, s[0:1]
	s_cbranch_vccnz .LBB234_132
; %bb.131:
	v_lshl_add_u64 v[40:41], v[28:29], 1, v[22:23]
	flat_load_ushort v40, v[40:41]
	s_waitcnt vmcnt(0) lgkmcnt(0)
	v_mul_f16_e32 v40, v44, v40
	s_branch .LBB234_133
.LBB234_132:
	v_mov_b32_e32 v40, 0
.LBB234_133:
	v_pk_max_f16 v41, v4, v4
	v_pk_max_f16 v42, v12, v12
	;; [unrolled: 1-line block ×3, first 2 shown]
	v_pk_min_f16 v41, v42, v41
	v_pk_max_f16 v42, v5, v5
	v_pk_add_f16 v41, v58, v41
	v_pk_min_f16 v42, v43, v42
	s_nop 0
	v_pk_add_f16 v41, v41, v42
	s_nop 0
	v_add_f16_sdwa v41, v41, v41 dst_sel:DWORD dst_unused:UNUSED_PAD src0_sel:DWORD src1_sel:WORD_1
	v_add_f16_e32 v42, v41, v40
	v_lshl_add_u64 v[40:41], v[28:29], 1, v[20:21]
	global_store_short v[40:41], v42, off
	s_or_b64 exec, exec, s[26:27]
	s_and_b64 s[28:29], s[8:9], s[18:19]
	s_and_saveexec_b64 s[26:27], s[28:29]
	s_cbranch_execz .LBB234_118
.LBB234_134:
	s_and_b64 vcc, exec, s[0:1]
	s_cbranch_vccnz .LBB234_136
; %bb.135:
	v_lshl_add_u64 v[40:41], v[30:31], 1, v[22:23]
	flat_load_ushort v40, v[40:41]
	s_waitcnt vmcnt(0) lgkmcnt(0)
	v_mul_f16_e32 v40, v44, v40
	s_branch .LBB234_137
.LBB234_136:
	v_mov_b32_e32 v40, 0
.LBB234_137:
	v_pk_max_f16 v41, v4, v4
	v_pk_max_f16 v42, v14, v14
	;; [unrolled: 1-line block ×3, first 2 shown]
	v_pk_min_f16 v41, v42, v41
	v_pk_max_f16 v42, v5, v5
	v_pk_add_f16 v41, v57, v41
	v_pk_min_f16 v42, v43, v42
	s_nop 0
	v_pk_add_f16 v41, v41, v42
	s_nop 0
	v_add_f16_sdwa v41, v41, v41 dst_sel:DWORD dst_unused:UNUSED_PAD src0_sel:DWORD src1_sel:WORD_1
	v_add_f16_e32 v42, v41, v40
	v_lshl_add_u64 v[40:41], v[30:31], 1, v[20:21]
	global_store_short v[40:41], v42, off
	s_or_b64 exec, exec, s[26:27]
	s_and_b64 s[28:29], s[10:11], s[18:19]
	s_and_saveexec_b64 s[26:27], s[28:29]
	s_cbranch_execz .LBB234_119
.LBB234_138:
	s_and_b64 vcc, exec, s[0:1]
	s_cbranch_vccnz .LBB234_140
; %bb.139:
	v_lshl_add_u64 v[40:41], v[32:33], 1, v[22:23]
	flat_load_ushort v40, v[40:41]
	s_waitcnt vmcnt(0) lgkmcnt(0)
	v_mul_f16_e32 v40, v44, v40
	s_branch .LBB234_141
.LBB234_140:
	v_mov_b32_e32 v40, 0
.LBB234_141:
	v_pk_max_f16 v41, v4, v4
	v_pk_max_f16 v42, v8, v8
	;; [unrolled: 1-line block ×3, first 2 shown]
	v_pk_min_f16 v41, v42, v41
	v_pk_max_f16 v42, v5, v5
	v_pk_add_f16 v41, v56, v41
	v_pk_min_f16 v42, v43, v42
	s_nop 0
	v_pk_add_f16 v41, v41, v42
	s_nop 0
	v_add_f16_sdwa v41, v41, v41 dst_sel:DWORD dst_unused:UNUSED_PAD src0_sel:DWORD src1_sel:WORD_1
	v_add_f16_e32 v42, v41, v40
	v_lshl_add_u64 v[40:41], v[32:33], 1, v[20:21]
	global_store_short v[40:41], v42, off
	s_or_b64 exec, exec, s[26:27]
	s_and_b64 s[28:29], s[12:13], s[18:19]
	s_and_saveexec_b64 s[26:27], s[28:29]
	s_cbranch_execz .LBB234_120
.LBB234_142:
	s_and_b64 vcc, exec, s[0:1]
	s_cbranch_vccnz .LBB234_144
; %bb.143:
	v_lshl_add_u64 v[40:41], v[34:35], 1, v[22:23]
	flat_load_ushort v40, v[40:41]
	s_waitcnt vmcnt(0) lgkmcnt(0)
	v_mul_f16_e32 v40, v44, v40
	s_branch .LBB234_145
.LBB234_144:
	v_mov_b32_e32 v40, 0
.LBB234_145:
	v_pk_max_f16 v41, v4, v4
	v_pk_max_f16 v42, v10, v10
	;; [unrolled: 1-line block ×3, first 2 shown]
	v_pk_min_f16 v41, v42, v41
	v_pk_max_f16 v42, v5, v5
	v_pk_add_f16 v41, v55, v41
	v_pk_min_f16 v42, v43, v42
	s_nop 0
	v_pk_add_f16 v41, v41, v42
	s_nop 0
	v_add_f16_sdwa v41, v41, v41 dst_sel:DWORD dst_unused:UNUSED_PAD src0_sel:DWORD src1_sel:WORD_1
	v_add_f16_e32 v42, v41, v40
	v_lshl_add_u64 v[40:41], v[34:35], 1, v[20:21]
	global_store_short v[40:41], v42, off
	s_or_b64 exec, exec, s[26:27]
	s_and_b64 s[28:29], s[14:15], s[18:19]
	s_and_saveexec_b64 s[26:27], s[28:29]
	s_cbranch_execz .LBB234_121
.LBB234_146:
	s_and_b64 vcc, exec, s[0:1]
	s_cbranch_vccnz .LBB234_148
; %bb.147:
	v_lshl_add_u64 v[40:41], v[36:37], 1, v[22:23]
	flat_load_ushort v40, v[40:41]
	s_waitcnt vmcnt(0) lgkmcnt(0)
	v_mul_f16_e32 v40, v44, v40
	s_branch .LBB234_149
.LBB234_148:
	v_mov_b32_e32 v40, 0
.LBB234_149:
	v_pk_max_f16 v41, v4, v4
	v_pk_max_f16 v42, v0, v0
	;; [unrolled: 1-line block ×3, first 2 shown]
	v_pk_min_f16 v41, v42, v41
	v_pk_max_f16 v42, v5, v5
	v_pk_add_f16 v41, v54, v41
	v_pk_min_f16 v42, v43, v42
	s_nop 0
	v_pk_add_f16 v41, v41, v42
	s_nop 0
	v_add_f16_sdwa v41, v41, v41 dst_sel:DWORD dst_unused:UNUSED_PAD src0_sel:DWORD src1_sel:WORD_1
	v_add_f16_e32 v42, v41, v40
	v_lshl_add_u64 v[40:41], v[36:37], 1, v[20:21]
	global_store_short v[40:41], v42, off
	s_or_b64 exec, exec, s[26:27]
	s_and_b64 s[26:27], s[16:17], s[18:19]
	s_and_saveexec_b64 s[18:19], s[26:27]
	s_cbranch_execz .LBB234_154
.LBB234_150:
	s_and_b64 vcc, exec, s[0:1]
	s_cbranch_vccnz .LBB234_152
; %bb.151:
	v_lshl_add_u64 v[22:23], v[38:39], 1, v[22:23]
	flat_load_ushort v22, v[22:23]
	s_waitcnt vmcnt(0) lgkmcnt(0)
	v_mul_f16_e32 v22, v44, v22
	s_branch .LBB234_153
.LBB234_152:
	v_mov_b32_e32 v22, 0
.LBB234_153:
	v_pk_max_f16 v4, v4, v4
	v_pk_max_f16 v23, v2, v2
	;; [unrolled: 1-line block ×3, first 2 shown]
	v_pk_min_f16 v4, v23, v4
	v_pk_max_f16 v23, v3, v3
	v_pk_add_f16 v4, v53, v4
	v_pk_min_f16 v5, v23, v5
	s_nop 0
	v_pk_add_f16 v4, v4, v5
	s_nop 0
	v_add_f16_sdwa v4, v4, v4 dst_sel:DWORD dst_unused:UNUSED_PAD src0_sel:DWORD src1_sel:WORD_1
	v_add_f16_e32 v22, v4, v22
	v_lshl_add_u64 v[4:5], v[38:39], 1, v[20:21]
	global_store_short v[4:5], v22, off
.LBB234_154:
	s_or_b64 exec, exec, s[18:19]
	v_add_u32_e32 v22, 0x60, v70
	v_cmp_gt_i32_e64 s[18:19], s21, v22
	v_mad_i64_i32 v[4:5], s[20:21], v22, s31, 0
	v_lshl_add_u64 v[20:21], v[4:5], 1, s[24:25]
	v_mad_i64_i32 v[4:5], s[20:21], v22, s30, 0
	v_lshl_add_u64 v[4:5], v[4:5], 1, s[22:23]
	s_and_b64 s[20:21], s[4:5], s[18:19]
	s_and_saveexec_b64 s[4:5], s[20:21]
	s_cbranch_execnz .LBB234_163
; %bb.155:
	s_or_b64 exec, exec, s[4:5]
	s_and_b64 s[4:5], s[2:3], s[18:19]
	s_and_saveexec_b64 s[2:3], s[4:5]
	s_cbranch_execnz .LBB234_167
.LBB234_156:
	s_or_b64 exec, exec, s[2:3]
	s_and_b64 s[4:5], s[6:7], s[18:19]
	s_and_saveexec_b64 s[2:3], s[4:5]
	s_cbranch_execnz .LBB234_171
.LBB234_157:
	s_or_b64 exec, exec, s[2:3]
	s_and_b64 s[4:5], s[8:9], s[18:19]
	s_and_saveexec_b64 s[2:3], s[4:5]
	s_cbranch_execnz .LBB234_175
.LBB234_158:
	s_or_b64 exec, exec, s[2:3]
	s_and_b64 s[4:5], s[10:11], s[18:19]
	s_and_saveexec_b64 s[2:3], s[4:5]
	s_cbranch_execnz .LBB234_179
.LBB234_159:
	s_or_b64 exec, exec, s[2:3]
	s_and_b64 s[4:5], s[12:13], s[18:19]
	s_and_saveexec_b64 s[2:3], s[4:5]
	s_cbranch_execnz .LBB234_183
.LBB234_160:
	s_or_b64 exec, exec, s[2:3]
	s_and_b64 s[4:5], s[14:15], s[18:19]
	s_and_saveexec_b64 s[2:3], s[4:5]
	s_cbranch_execnz .LBB234_187
.LBB234_161:
	s_or_b64 exec, exec, s[2:3]
	s_and_b64 s[2:3], s[16:17], s[18:19]
	s_and_saveexec_b64 s[4:5], s[2:3]
	s_cbranch_execnz .LBB234_191
.LBB234_162:
	s_endpgm
.LBB234_163:
	s_and_b64 vcc, exec, s[0:1]
	s_cbranch_vccnz .LBB234_165
; %bb.164:
	v_lshl_add_u64 v[22:23], v[24:25], 1, v[20:21]
	flat_load_ushort v22, v[22:23]
	s_waitcnt vmcnt(0) lgkmcnt(0)
	v_mul_f16_e32 v22, v44, v22
	s_branch .LBB234_166
.LBB234_165:
	v_mov_b32_e32 v22, 0
.LBB234_166:
	v_pk_max_f16 v23, v6, v6
	v_pk_max_f16 v16, v16, v16
	;; [unrolled: 1-line block ×3, first 2 shown]
	v_pk_min_f16 v16, v16, v23
	v_pk_max_f16 v23, v7, v7
	v_pk_add_f16 v16, v52, v16
	v_pk_min_f16 v17, v17, v23
	s_nop 0
	v_pk_add_f16 v16, v16, v17
	s_nop 0
	v_add_f16_sdwa v16, v16, v16 dst_sel:DWORD dst_unused:UNUSED_PAD src0_sel:DWORD src1_sel:WORD_1
	v_add_f16_e32 v22, v16, v22
	v_lshl_add_u64 v[16:17], v[24:25], 1, v[4:5]
	global_store_short v[16:17], v22, off
	s_or_b64 exec, exec, s[4:5]
	s_and_b64 s[4:5], s[2:3], s[18:19]
	s_and_saveexec_b64 s[2:3], s[4:5]
	s_cbranch_execz .LBB234_156
.LBB234_167:
	s_and_b64 vcc, exec, s[0:1]
	s_cbranch_vccnz .LBB234_169
; %bb.168:
	v_lshl_add_u64 v[16:17], v[26:27], 1, v[20:21]
	flat_load_ushort v16, v[16:17]
	s_waitcnt vmcnt(0) lgkmcnt(0)
	v_mul_f16_e32 v16, v44, v16
	s_branch .LBB234_170
.LBB234_169:
	v_mov_b32_e32 v16, 0
.LBB234_170:
	v_pk_max_f16 v17, v6, v6
	v_pk_max_f16 v18, v18, v18
	;; [unrolled: 1-line block ×3, first 2 shown]
	v_pk_min_f16 v17, v18, v17
	v_pk_max_f16 v18, v7, v7
	v_pk_add_f16 v17, v51, v17
	v_pk_min_f16 v18, v19, v18
	s_nop 0
	v_pk_add_f16 v17, v17, v18
	s_nop 0
	v_add_f16_sdwa v17, v17, v17 dst_sel:DWORD dst_unused:UNUSED_PAD src0_sel:DWORD src1_sel:WORD_1
	v_add_f16_e32 v18, v17, v16
	v_lshl_add_u64 v[16:17], v[26:27], 1, v[4:5]
	global_store_short v[16:17], v18, off
	s_or_b64 exec, exec, s[2:3]
	s_and_b64 s[4:5], s[6:7], s[18:19]
	s_and_saveexec_b64 s[2:3], s[4:5]
	s_cbranch_execz .LBB234_157
.LBB234_171:
	s_and_b64 vcc, exec, s[0:1]
	s_cbranch_vccnz .LBB234_173
; %bb.172:
	v_lshl_add_u64 v[16:17], v[28:29], 1, v[20:21]
	flat_load_ushort v16, v[16:17]
	s_waitcnt vmcnt(0) lgkmcnt(0)
	v_mul_f16_e32 v16, v44, v16
	s_branch .LBB234_174
.LBB234_173:
	v_mov_b32_e32 v16, 0
.LBB234_174:
	v_pk_max_f16 v17, v6, v6
	v_pk_max_f16 v12, v12, v12
	;; [unrolled: 1-line block ×3, first 2 shown]
	v_pk_min_f16 v12, v12, v17
	v_pk_max_f16 v17, v7, v7
	v_pk_add_f16 v12, v50, v12
	v_pk_min_f16 v13, v13, v17
	s_nop 0
	v_pk_add_f16 v12, v12, v13
	s_nop 0
	v_add_f16_sdwa v12, v12, v12 dst_sel:DWORD dst_unused:UNUSED_PAD src0_sel:DWORD src1_sel:WORD_1
	v_add_f16_e32 v16, v12, v16
	v_lshl_add_u64 v[12:13], v[28:29], 1, v[4:5]
	global_store_short v[12:13], v16, off
	s_or_b64 exec, exec, s[2:3]
	s_and_b64 s[4:5], s[8:9], s[18:19]
	s_and_saveexec_b64 s[2:3], s[4:5]
	s_cbranch_execz .LBB234_158
.LBB234_175:
	s_and_b64 vcc, exec, s[0:1]
	s_cbranch_vccnz .LBB234_177
; %bb.176:
	v_lshl_add_u64 v[12:13], v[30:31], 1, v[20:21]
	flat_load_ushort v12, v[12:13]
	s_waitcnt vmcnt(0) lgkmcnt(0)
	v_mul_f16_e32 v12, v44, v12
	s_branch .LBB234_178
.LBB234_177:
	v_mov_b32_e32 v12, 0
.LBB234_178:
	v_pk_max_f16 v13, v6, v6
	v_pk_max_f16 v14, v14, v14
	;; [unrolled: 1-line block ×3, first 2 shown]
	v_pk_min_f16 v13, v14, v13
	v_pk_max_f16 v14, v7, v7
	v_pk_add_f16 v13, v49, v13
	v_pk_min_f16 v14, v15, v14
	s_nop 0
	v_pk_add_f16 v13, v13, v14
	s_nop 0
	v_add_f16_sdwa v13, v13, v13 dst_sel:DWORD dst_unused:UNUSED_PAD src0_sel:DWORD src1_sel:WORD_1
	v_add_f16_e32 v14, v13, v12
	v_lshl_add_u64 v[12:13], v[30:31], 1, v[4:5]
	global_store_short v[12:13], v14, off
	s_or_b64 exec, exec, s[2:3]
	s_and_b64 s[4:5], s[10:11], s[18:19]
	s_and_saveexec_b64 s[2:3], s[4:5]
	s_cbranch_execz .LBB234_159
.LBB234_179:
	s_and_b64 vcc, exec, s[0:1]
	s_cbranch_vccnz .LBB234_181
; %bb.180:
	v_lshl_add_u64 v[12:13], v[32:33], 1, v[20:21]
	flat_load_ushort v12, v[12:13]
	s_waitcnt vmcnt(0) lgkmcnt(0)
	v_mul_f16_e32 v12, v44, v12
	s_branch .LBB234_182
.LBB234_181:
	v_mov_b32_e32 v12, 0
.LBB234_182:
	v_pk_max_f16 v13, v6, v6
	v_pk_max_f16 v8, v8, v8
	v_pk_max_f16 v9, v9, v9
	v_pk_min_f16 v8, v8, v13
	v_pk_max_f16 v13, v7, v7
	v_pk_add_f16 v8, v48, v8
	v_pk_min_f16 v9, v9, v13
	s_nop 0
	v_pk_add_f16 v8, v8, v9
	s_nop 0
	v_add_f16_sdwa v8, v8, v8 dst_sel:DWORD dst_unused:UNUSED_PAD src0_sel:DWORD src1_sel:WORD_1
	v_add_f16_e32 v12, v8, v12
	v_lshl_add_u64 v[8:9], v[32:33], 1, v[4:5]
	global_store_short v[8:9], v12, off
	s_or_b64 exec, exec, s[2:3]
	s_and_b64 s[4:5], s[12:13], s[18:19]
	s_and_saveexec_b64 s[2:3], s[4:5]
	s_cbranch_execz .LBB234_160
.LBB234_183:
	s_and_b64 vcc, exec, s[0:1]
	s_cbranch_vccnz .LBB234_185
; %bb.184:
	v_lshl_add_u64 v[8:9], v[34:35], 1, v[20:21]
	flat_load_ushort v8, v[8:9]
	s_waitcnt vmcnt(0) lgkmcnt(0)
	v_mul_f16_e32 v8, v44, v8
	s_branch .LBB234_186
.LBB234_185:
	v_mov_b32_e32 v8, 0
.LBB234_186:
	v_pk_max_f16 v9, v6, v6
	v_pk_max_f16 v10, v10, v10
	;; [unrolled: 1-line block ×3, first 2 shown]
	v_pk_min_f16 v9, v10, v9
	v_pk_max_f16 v10, v7, v7
	v_pk_add_f16 v9, v47, v9
	v_pk_min_f16 v10, v11, v10
	s_nop 0
	v_pk_add_f16 v9, v9, v10
	s_nop 0
	v_add_f16_sdwa v9, v9, v9 dst_sel:DWORD dst_unused:UNUSED_PAD src0_sel:DWORD src1_sel:WORD_1
	v_add_f16_e32 v10, v9, v8
	v_lshl_add_u64 v[8:9], v[34:35], 1, v[4:5]
	global_store_short v[8:9], v10, off
	s_or_b64 exec, exec, s[2:3]
	s_and_b64 s[4:5], s[14:15], s[18:19]
	s_and_saveexec_b64 s[2:3], s[4:5]
	s_cbranch_execz .LBB234_161
.LBB234_187:
	s_and_b64 vcc, exec, s[0:1]
	s_cbranch_vccnz .LBB234_189
; %bb.188:
	v_lshl_add_u64 v[8:9], v[36:37], 1, v[20:21]
	flat_load_ushort v8, v[8:9]
	s_waitcnt vmcnt(0) lgkmcnt(0)
	v_mul_f16_e32 v8, v44, v8
	s_branch .LBB234_190
.LBB234_189:
	v_mov_b32_e32 v8, 0
.LBB234_190:
	v_pk_max_f16 v9, v6, v6
	v_pk_max_f16 v0, v0, v0
	;; [unrolled: 1-line block ×3, first 2 shown]
	v_pk_min_f16 v0, v0, v9
	v_pk_max_f16 v9, v7, v7
	v_pk_add_f16 v0, v46, v0
	v_pk_min_f16 v1, v1, v9
	s_nop 0
	v_pk_add_f16 v0, v0, v1
	s_nop 0
	v_add_f16_sdwa v0, v0, v0 dst_sel:DWORD dst_unused:UNUSED_PAD src0_sel:DWORD src1_sel:WORD_1
	v_add_f16_e32 v8, v0, v8
	v_lshl_add_u64 v[0:1], v[36:37], 1, v[4:5]
	global_store_short v[0:1], v8, off
	s_or_b64 exec, exec, s[2:3]
	s_and_b64 s[2:3], s[16:17], s[18:19]
	s_and_saveexec_b64 s[4:5], s[2:3]
	s_cbranch_execz .LBB234_162
.LBB234_191:
	s_and_b64 vcc, exec, s[0:1]
	s_cbranch_vccnz .LBB234_193
; %bb.192:
	v_lshl_add_u64 v[0:1], v[38:39], 1, v[20:21]
	flat_load_ushort v0, v[0:1]
	s_waitcnt vmcnt(0) lgkmcnt(0)
	v_mul_f16_e32 v0, v44, v0
	s_branch .LBB234_194
.LBB234_193:
	v_mov_b32_e32 v0, 0
.LBB234_194:
	v_pk_max_f16 v1, v6, v6
	v_pk_max_f16 v2, v2, v2
	;; [unrolled: 1-line block ×3, first 2 shown]
	v_pk_min_f16 v1, v2, v1
	v_pk_max_f16 v2, v7, v7
	v_pk_add_f16 v1, v45, v1
	v_pk_min_f16 v2, v3, v2
	s_nop 0
	v_pk_add_f16 v1, v1, v2
	s_nop 0
	v_add_f16_sdwa v1, v1, v1 dst_sel:DWORD dst_unused:UNUSED_PAD src0_sel:DWORD src1_sel:WORD_1
	v_add_f16_e32 v2, v1, v0
	v_lshl_add_u64 v[0:1], v[38:39], 1, v[4:5]
	global_store_short v[0:1], v2, off
	s_endpgm
	.section	.rodata,"a",@progbits
	.p2align	6, 0x0
	.amdhsa_kernel _ZN12_GLOBAL__N_120geam_min_plus_kernelIDF16_Dv2_DF16_S1_Li8ELi32ELi64ELi128ELi4ELi64ELi4ELi4ELi64ELc78ELc78ELb0ELb1ELb0EPKDF16_KS3_KPDF16_EEviiiT16_PT17_ilS9_ilS7_S9_ilPT18_ili26rocblas_geam_ex_operation_
		.amdhsa_group_segment_fixed_size 3072
		.amdhsa_private_segment_fixed_size 0
		.amdhsa_kernarg_size 136
		.amdhsa_user_sgpr_count 2
		.amdhsa_user_sgpr_dispatch_ptr 0
		.amdhsa_user_sgpr_queue_ptr 0
		.amdhsa_user_sgpr_kernarg_segment_ptr 1
		.amdhsa_user_sgpr_dispatch_id 0
		.amdhsa_user_sgpr_kernarg_preload_length 0
		.amdhsa_user_sgpr_kernarg_preload_offset 0
		.amdhsa_user_sgpr_private_segment_size 0
		.amdhsa_uses_dynamic_stack 0
		.amdhsa_enable_private_segment 0
		.amdhsa_system_sgpr_workgroup_id_x 1
		.amdhsa_system_sgpr_workgroup_id_y 0
		.amdhsa_system_sgpr_workgroup_id_z 1
		.amdhsa_system_sgpr_workgroup_info 0
		.amdhsa_system_vgpr_workitem_id 1
		.amdhsa_next_free_vgpr 128
		.amdhsa_next_free_sgpr 34
		.amdhsa_accum_offset 128
		.amdhsa_reserve_vcc 1
		.amdhsa_float_round_mode_32 0
		.amdhsa_float_round_mode_16_64 0
		.amdhsa_float_denorm_mode_32 3
		.amdhsa_float_denorm_mode_16_64 3
		.amdhsa_dx10_clamp 1
		.amdhsa_ieee_mode 1
		.amdhsa_fp16_overflow 0
		.amdhsa_tg_split 0
		.amdhsa_exception_fp_ieee_invalid_op 0
		.amdhsa_exception_fp_denorm_src 0
		.amdhsa_exception_fp_ieee_div_zero 0
		.amdhsa_exception_fp_ieee_overflow 0
		.amdhsa_exception_fp_ieee_underflow 0
		.amdhsa_exception_fp_ieee_inexact 0
		.amdhsa_exception_int_div_zero 0
	.end_amdhsa_kernel
	.section	.text._ZN12_GLOBAL__N_120geam_min_plus_kernelIDF16_Dv2_DF16_S1_Li8ELi32ELi64ELi128ELi4ELi64ELi4ELi4ELi64ELc78ELc78ELb0ELb1ELb0EPKDF16_KS3_KPDF16_EEviiiT16_PT17_ilS9_ilS7_S9_ilPT18_ili26rocblas_geam_ex_operation_,"axG",@progbits,_ZN12_GLOBAL__N_120geam_min_plus_kernelIDF16_Dv2_DF16_S1_Li8ELi32ELi64ELi128ELi4ELi64ELi4ELi4ELi64ELc78ELc78ELb0ELb1ELb0EPKDF16_KS3_KPDF16_EEviiiT16_PT17_ilS9_ilS7_S9_ilPT18_ili26rocblas_geam_ex_operation_,comdat
.Lfunc_end234:
	.size	_ZN12_GLOBAL__N_120geam_min_plus_kernelIDF16_Dv2_DF16_S1_Li8ELi32ELi64ELi128ELi4ELi64ELi4ELi4ELi64ELc78ELc78ELb0ELb1ELb0EPKDF16_KS3_KPDF16_EEviiiT16_PT17_ilS9_ilS7_S9_ilPT18_ili26rocblas_geam_ex_operation_, .Lfunc_end234-_ZN12_GLOBAL__N_120geam_min_plus_kernelIDF16_Dv2_DF16_S1_Li8ELi32ELi64ELi128ELi4ELi64ELi4ELi4ELi64ELc78ELc78ELb0ELb1ELb0EPKDF16_KS3_KPDF16_EEviiiT16_PT17_ilS9_ilS7_S9_ilPT18_ili26rocblas_geam_ex_operation_
                                        ; -- End function
	.section	.AMDGPU.csdata,"",@progbits
; Kernel info:
; codeLenInByte = 11364
; NumSgprs: 40
; NumVgprs: 128
; NumAgprs: 0
; TotalNumVgprs: 128
; ScratchSize: 0
; MemoryBound: 0
; FloatMode: 240
; IeeeMode: 1
; LDSByteSize: 3072 bytes/workgroup (compile time only)
; SGPRBlocks: 4
; VGPRBlocks: 15
; NumSGPRsForWavesPerEU: 40
; NumVGPRsForWavesPerEU: 128
; AccumOffset: 128
; Occupancy: 4
; WaveLimiterHint : 1
; COMPUTE_PGM_RSRC2:SCRATCH_EN: 0
; COMPUTE_PGM_RSRC2:USER_SGPR: 2
; COMPUTE_PGM_RSRC2:TRAP_HANDLER: 0
; COMPUTE_PGM_RSRC2:TGID_X_EN: 1
; COMPUTE_PGM_RSRC2:TGID_Y_EN: 0
; COMPUTE_PGM_RSRC2:TGID_Z_EN: 1
; COMPUTE_PGM_RSRC2:TIDIG_COMP_CNT: 1
; COMPUTE_PGM_RSRC3_GFX90A:ACCUM_OFFSET: 31
; COMPUTE_PGM_RSRC3_GFX90A:TG_SPLIT: 0
	.section	.text._ZN12_GLOBAL__N_120geam_min_plus_kernelIDF16_Dv2_DF16_S1_Li8ELi32ELi64ELi128ELi4ELi64ELi4ELi4ELi64ELc78ELc78ELb1ELb1ELb0EDF16_KPKDF16_KPDF16_EEviiiT16_PT17_ilS9_ilS7_S9_ilPT18_ili26rocblas_geam_ex_operation_,"axG",@progbits,_ZN12_GLOBAL__N_120geam_min_plus_kernelIDF16_Dv2_DF16_S1_Li8ELi32ELi64ELi128ELi4ELi64ELi4ELi4ELi64ELc78ELc78ELb1ELb1ELb0EDF16_KPKDF16_KPDF16_EEviiiT16_PT17_ilS9_ilS7_S9_ilPT18_ili26rocblas_geam_ex_operation_,comdat
	.globl	_ZN12_GLOBAL__N_120geam_min_plus_kernelIDF16_Dv2_DF16_S1_Li8ELi32ELi64ELi128ELi4ELi64ELi4ELi4ELi64ELc78ELc78ELb1ELb1ELb0EDF16_KPKDF16_KPDF16_EEviiiT16_PT17_ilS9_ilS7_S9_ilPT18_ili26rocblas_geam_ex_operation_ ; -- Begin function _ZN12_GLOBAL__N_120geam_min_plus_kernelIDF16_Dv2_DF16_S1_Li8ELi32ELi64ELi128ELi4ELi64ELi4ELi4ELi64ELc78ELc78ELb1ELb1ELb0EDF16_KPKDF16_KPDF16_EEviiiT16_PT17_ilS9_ilS7_S9_ilPT18_ili26rocblas_geam_ex_operation_
	.p2align	8
	.type	_ZN12_GLOBAL__N_120geam_min_plus_kernelIDF16_Dv2_DF16_S1_Li8ELi32ELi64ELi128ELi4ELi64ELi4ELi4ELi64ELc78ELc78ELb1ELb1ELb0EDF16_KPKDF16_KPDF16_EEviiiT16_PT17_ilS9_ilS7_S9_ilPT18_ili26rocblas_geam_ex_operation_,@function
_ZN12_GLOBAL__N_120geam_min_plus_kernelIDF16_Dv2_DF16_S1_Li8ELi32ELi64ELi128ELi4ELi64ELi4ELi4ELi64ELc78ELc78ELb1ELb1ELb0EDF16_KPKDF16_KPDF16_EEviiiT16_PT17_ilS9_ilS7_S9_ilPT18_ili26rocblas_geam_ex_operation_: ; @_ZN12_GLOBAL__N_120geam_min_plus_kernelIDF16_Dv2_DF16_S1_Li8ELi32ELi64ELi128ELi4ELi64ELi4ELi4ELi64ELc78ELc78ELb1ELb1ELb0EDF16_KPKDF16_KPDF16_EEviiiT16_PT17_ilS9_ilS7_S9_ilPT18_ili26rocblas_geam_ex_operation_
; %bb.0:
	s_load_dwordx4 s[20:23], s[0:1], 0x0
	s_load_dwordx4 s[4:7], s[0:1], 0x20
	s_mov_b32 s10, s3
	s_mov_b32 s11, 0
	s_waitcnt lgkmcnt(0)
	v_cmp_eq_f16_e64 s[8:9], s23, 0
	s_and_b64 vcc, exec, s[8:9]
	s_cbranch_vccnz .LBB235_3
; %bb.1:
	s_load_dwordx2 s[12:13], s[0:1], 0x10
	s_lshl_b64 s[14:15], s[10:11], 3
	s_waitcnt lgkmcnt(0)
	s_add_u32 s12, s12, s14
	s_addc_u32 s13, s13, s15
	s_load_dwordx2 s[12:13], s[12:13], 0x0
	s_lshl_b64 s[4:5], s[4:5], 1
	s_waitcnt lgkmcnt(0)
	s_add_u32 s14, s12, s4
	s_addc_u32 s15, s13, s5
	s_andn2_b64 vcc, exec, s[8:9]
	s_cbranch_vccnz .LBB235_4
.LBB235_2:
	s_mov_b64 s[16:17], 0
	s_cbranch_execz .LBB235_5
	s_branch .LBB235_6
.LBB235_3:
	s_mov_b64 s[14:15], 0
	s_andn2_b64 vcc, exec, s[8:9]
	s_cbranch_vccz .LBB235_2
.LBB235_4:
                                        ; implicit-def: $sgpr16_sgpr17
.LBB235_5:
	s_lshl_b64 s[8:9], s[10:11], 3
	s_add_u32 s6, s6, s8
	s_load_dwordx2 s[4:5], s[0:1], 0x38
	s_addc_u32 s7, s7, s9
	s_load_dwordx2 s[6:7], s[6:7], 0x0
	s_waitcnt lgkmcnt(0)
	s_lshl_b64 s[4:5], s[4:5], 1
	s_add_u32 s16, s6, s4
	s_addc_u32 s17, s7, s5
.LBB235_6:
	s_load_dword s28, s[0:1], 0x40
	s_load_dwordx4 s[4:7], s[0:1], 0x58
	s_waitcnt lgkmcnt(0)
	v_cmp_eq_f16_e64 s[12:13], s28, 0
	v_cmp_neq_f16_e64 s[8:9], s28, 0
	s_and_b64 vcc, exec, s[12:13]
	s_cbranch_vccnz .LBB235_8
; %bb.7:
	s_load_dwordx2 s[12:13], s[0:1], 0x48
	s_lshl_b64 s[18:19], s[10:11], 3
	s_waitcnt lgkmcnt(0)
	s_add_u32 s12, s12, s18
	s_addc_u32 s13, s13, s19
	s_load_dwordx2 s[12:13], s[12:13], 0x0
	s_lshl_b64 s[4:5], s[4:5], 1
	s_waitcnt lgkmcnt(0)
	s_add_u32 s24, s12, s4
	s_addc_u32 s25, s13, s5
	s_branch .LBB235_9
.LBB235_8:
	s_mov_b64 s[24:25], 0
.LBB235_9:
	s_load_dword s18, s[0:1], 0x18
	s_lshl_b64 s[4:5], s[10:11], 3
	v_and_b32_e32 v40, 0x3ff, v0
	v_bfe_u32 v41, v0, 10, 10
	v_lshl_add_u32 v2, v41, 3, v40
	s_waitcnt lgkmcnt(0)
	s_ashr_i32 s19, s18, 31
	s_add_u32 s4, s6, s4
	s_addc_u32 s5, s7, s5
	s_add_i32 s3, s20, -1
	s_ashr_i32 s6, s3, 31
	s_lshr_b32 s6, s6, 26
	s_add_i32 s3, s3, s6
	s_ashr_i32 s3, s3, 6
	s_add_i32 s7, s3, 1
	v_cvt_f32_u32_e32 v1, s7
	s_load_dwordx2 s[10:11], s[4:5], 0x0
	s_not_b32 s3, s3
	v_and_b32_e32 v9, 63, v2
	v_rcp_iflag_f32_e32 v0, v1
	v_lshrrev_b32_e32 v42, 6, v2
	v_cmp_gt_i32_e32 vcc, s22, v42
	v_mov_b32_e32 v25, 0
	v_mul_f32_e32 v0, 0x4f7ffffe, v0
	v_cvt_u32_f32_e32 v0, v0
	v_mov_b32_e32 v10, 0
	v_readfirstlane_b32 s4, v0
	s_mul_i32 s3, s3, s4
	s_mul_hi_u32 s3, s4, s3
	s_add_i32 s4, s4, s3
	s_mul_hi_u32 s3, s2, s4
	s_mul_i32 s4, s3, s7
	s_sub_i32 s4, s2, s4
	s_add_i32 s5, s3, 1
	s_sub_i32 s6, s4, s7
	s_cmp_ge_u32 s4, s7
	s_cselect_b32 s3, s5, s3
	s_cselect_b32 s4, s6, s4
	s_add_i32 s5, s3, 1
	s_cmp_ge_u32 s4, s7
	s_cselect_b32 s6, s5, s3
	s_mul_i32 s3, s6, s7
	s_sub_i32 s2, s2, s3
	s_lshl_b32 s26, s2, 6
	v_or_b32_e32 v0, s26, v9
	v_cmp_gt_i32_e64 s[2:3], s20, v0
	v_cmp_le_i32_e64 s[4:5], s20, v0
	s_and_b64 s[12:13], vcc, s[2:3]
	v_ashrrev_i32_e32 v1, 31, v0
	s_and_saveexec_b64 s[2:3], s[12:13]
	s_cbranch_execz .LBB235_11
; %bb.10:
	v_mad_i64_i32 v[4:5], s[12:13], s18, v42, 0
	v_lshl_add_u64 v[4:5], v[4:5], 1, s[14:15]
	v_lshl_add_u64 v[4:5], v[0:1], 1, v[4:5]
	flat_load_ushort v10, v[4:5]
.LBB235_11:
	s_or_b64 exec, exec, s[2:3]
	s_load_dword s30, s[0:1], 0x30
	v_lshrrev_b32_e32 v11, 2, v2
	s_lshl_b32 s27, s6, 7
	v_and_b32_e32 v69, 3, v40
	v_add_u32_e32 v4, s27, v11
	v_cmp_le_i32_e64 s[6:7], s22, v69
	v_cmp_le_i32_e32 vcc, s21, v4
	v_lshlrev_b32_e32 v24, 1, v69
	s_or_b64 s[2:3], s[6:7], vcc
	v_lshl_add_u64 v[2:3], s[16:17], 0, v[24:25]
	s_xor_b64 s[12:13], s[2:3], -1
	s_and_saveexec_b64 s[2:3], s[12:13]
	s_cbranch_execz .LBB235_13
; %bb.12:
	s_waitcnt lgkmcnt(0)
	v_mad_i64_i32 v[6:7], s[12:13], v4, s30, 0
	v_lshl_add_u64 v[6:7], v[6:7], 1, v[2:3]
	flat_load_ushort v25, v[6:7]
.LBB235_13:
	s_or_b64 exec, exec, s[2:3]
	v_add_u32_e32 v5, 64, v4
	v_cmp_le_i32_e64 s[2:3], s21, v5
	s_or_b64 s[6:7], s[6:7], s[2:3]
	s_xor_b64 s[12:13], s[6:7], -1
	v_mov_b32_e32 v6, 0
	v_mov_b32_e32 v12, 0
	s_and_saveexec_b64 s[6:7], s[12:13]
	s_cbranch_execz .LBB235_15
; %bb.14:
	s_waitcnt lgkmcnt(0)
	v_mad_i64_i32 v[12:13], s[12:13], v5, s30, 0
	v_lshl_add_u64 v[12:13], v[12:13], 1, v[2:3]
	flat_load_ushort v12, v[12:13]
.LBB235_15:
	s_or_b64 exec, exec, s[6:7]
	v_add_u32_e32 v7, 4, v42
	v_cmp_gt_i32_e64 s[6:7], s22, v7
	s_xor_b64 s[12:13], s[4:5], -1
	s_and_b64 s[6:7], s[12:13], s[6:7]
	s_and_saveexec_b64 s[4:5], s[6:7]
	s_cbranch_execz .LBB235_17
; %bb.16:
	v_mad_u64_u32 v[14:15], s[6:7], s18, v7, 0
	v_mov_b32_e32 v6, v15
	v_mad_u64_u32 v[6:7], s[6:7], s19, v7, v[6:7]
	v_mov_b32_e32 v15, v6
	v_lshl_add_u64 v[6:7], v[14:15], 1, s[14:15]
	v_lshl_add_u64 v[6:7], v[0:1], 1, v[6:7]
	flat_load_ushort v6, v[6:7]
.LBB235_17:
	s_or_b64 exec, exec, s[4:5]
	v_or_b32_e32 v7, 4, v69
	v_cmp_le_i32_e64 s[4:5], s22, v7
	s_or_b64 s[6:7], s[4:5], vcc
	s_xor_b64 s[34:35], s[6:7], -1
	v_mov_b32_e32 v7, 0
	v_mov_b32_e32 v8, 0
	s_and_saveexec_b64 s[6:7], s[34:35]
	s_cbranch_execz .LBB235_19
; %bb.18:
	s_waitcnt lgkmcnt(0)
	v_mad_i64_i32 v[14:15], s[34:35], v4, s30, 0
	v_lshl_add_u64 v[14:15], v[14:15], 1, v[2:3]
	flat_load_ushort v8, v[14:15] offset:8
.LBB235_19:
	s_or_b64 exec, exec, s[6:7]
	s_or_b64 s[4:5], s[4:5], s[2:3]
	s_xor_b64 s[6:7], s[4:5], -1
	s_and_saveexec_b64 s[4:5], s[6:7]
	s_cbranch_execz .LBB235_21
; %bb.20:
	s_waitcnt lgkmcnt(0)
	v_mad_i64_i32 v[14:15], s[6:7], v5, s30, 0
	v_lshl_add_u64 v[2:3], v[14:15], 1, v[2:3]
	flat_load_ushort v7, v[2:3] offset:8
.LBB235_21:
	s_or_b64 exec, exec, s[4:5]
	v_lshlrev_b32_e32 v2, 3, v9
	v_lshl_add_u32 v2, v42, 1, v2
	v_lshl_or_b32 v71, v11, 3, v24
	v_lshlrev_b32_e32 v70, 3, v40
	v_lshlrev_b32_e32 v43, 3, v41
	s_waitcnt vmcnt(0) lgkmcnt(0)
	ds_write_b16 v2, v10 offset:2048
	ds_write_b16 v71, v25
	ds_write_b16 v71, v12 offset:512
	s_waitcnt lgkmcnt(0)
	s_barrier
	ds_read2_b64 v[10:13], v43 offset1:32
	v_add_u32_e32 v72, 0x800, v70
	ds_read2_b64 v[14:17], v72 offset0:48 offset1:56
	ds_read2_b64 v[18:21], v43 offset0:64 offset1:96
	ds_read2_b64 v[26:29], v72 offset1:8
	ds_read2_b64 v[30:33], v72 offset0:16 offset1:24
	ds_read2_b64 v[34:37], v72 offset0:32 offset1:40
	s_waitcnt lgkmcnt(5)
	v_pk_max_f16 v3, v10, v10
	s_waitcnt lgkmcnt(4)
	v_pk_max_f16 v9, v16, v16
	v_pk_max_f16 v12, v12, v12
	v_pk_min_f16 v10, v9, v3
	s_waitcnt lgkmcnt(3)
	v_pk_max_f16 v16, v18, v18
	s_waitcnt lgkmcnt(2)
	v_pk_max_f16 v18, v26, v26
	v_pk_max_f16 v20, v20, v20
	v_pk_max_f16 v26, v28, v28
	s_waitcnt lgkmcnt(1)
	v_pk_max_f16 v30, v30, v30
	v_pk_max_f16 v32, v32, v32
	v_pk_max_f16 v11, v11, v11
	s_waitcnt lgkmcnt(0)
	v_pk_max_f16 v34, v34, v34
	v_pk_max_f16 v36, v36, v36
	v_pk_max_f16 v14, v14, v14
	v_pk_max_f16 v17, v17, v17
	v_pk_min_f16 v22, v18, v3
	v_pk_min_f16 v23, v18, v12
	;; [unrolled: 1-line block ×16, first 2 shown]
	v_pk_max_f16 v13, v13, v13
	v_pk_min_f16 v53, v34, v3
	v_pk_min_f16 v54, v34, v12
	;; [unrolled: 1-line block ×15, first 2 shown]
	v_pk_add_f16 v10, v10, 0
	v_pk_min_f16 v20, v17, v11
	v_pk_max_f16 v19, v19, v19
	v_pk_add_f16 v68, v10, v20
	v_pk_add_f16 v10, v50, 0
	v_pk_min_f16 v20, v17, v13
	v_pk_max_f16 v27, v27, v27
	v_pk_add_f16 v60, v10, v20
	;; [unrolled: 4-line block ×6, first 2 shown]
	v_pk_add_f16 v10, v18, 0
	v_pk_min_f16 v18, v27, v21
	v_pk_add_f16 v22, v49, 0
	v_pk_add_f16 v51, v10, v18
	v_pk_add_f16 v10, v28, 0
	v_pk_min_f16 v18, v29, v11
	v_pk_add_f16 v20, v48, 0
	v_pk_add_f16 v78, v10, v18
	v_pk_add_f16 v10, v38, 0
	v_pk_min_f16 v18, v29, v13
	v_pk_add_f16 v23, v32, 0
	v_pk_add_f16 v66, v10, v18
	v_pk_add_f16 v10, v39, 0
	v_pk_min_f16 v18, v29, v19
	v_pk_add_f16 v25, v53, 0
	v_pk_add_f16 v58, v10, v18
	v_pk_add_f16 v10, v26, 0
	v_pk_min_f16 v18, v29, v21
	v_pk_add_f16 v29, v56, 0
	v_pk_add_f16 v50, v10, v18
	v_pk_add_f16 v10, v44, 0
	v_pk_min_f16 v18, v31, v11
	v_pk_add_f16 v26, v54, 0
	v_pk_add_f16 v77, v10, v18
	v_pk_add_f16 v10, v45, 0
	v_pk_min_f16 v18, v31, v13
	v_pk_add_f16 v28, v34, 0
	v_pk_add_f16 v65, v10, v18
	v_pk_add_f16 v10, v46, 0
	v_pk_min_f16 v18, v31, v19
	v_pk_min_f16 v31, v31, v21
	v_pk_add_f16 v57, v10, v18
	v_pk_add_f16 v10, v30, 0
	;; [unrolled: 1-line block ×4, first 2 shown]
	v_pk_min_f16 v10, v33, v11
	v_pk_add_f16 v27, v55, 0
	v_pk_add_f16 v76, v18, v10
	v_pk_min_f16 v10, v33, v13
	v_pk_add_f16 v30, v61, 0
	v_pk_add_f16 v64, v20, v10
	;; [unrolled: 3-line block ×4, first 2 shown]
	v_pk_max_f16 v10, v35, v35
	v_pk_add_f16 v3, v3, 0
	v_pk_min_f16 v18, v10, v11
	v_pk_add_f16 v12, v12, 0
	v_pk_add_f16 v75, v25, v18
	v_pk_min_f16 v18, v10, v13
	v_pk_add_f16 v16, v16, 0
	v_pk_add_f16 v63, v26, v18
	v_pk_min_f16 v18, v10, v19
	v_pk_min_f16 v10, v10, v21
	v_pk_add_f16 v55, v27, v18
	v_pk_add_f16 v47, v28, v10
	v_pk_max_f16 v10, v37, v37
	v_pk_add_f16 v14, v14, 0
	v_pk_min_f16 v18, v10, v11
	v_pk_add_f16 v9, v9, 0
	v_pk_add_f16 v74, v29, v18
	v_pk_min_f16 v18, v10, v13
	s_mov_b32 s23, 0
	v_pk_add_f16 v62, v30, v18
	v_pk_min_f16 v18, v10, v19
	v_pk_min_f16 v10, v10, v21
	v_pk_add_f16 v54, v32, v18
	v_pk_add_f16 v46, v34, v10
	v_pk_max_f16 v10, v15, v15
	s_cmp_lt_i32 s22, 9
	v_pk_min_f16 v11, v10, v11
	ds_write_b16 v2, v6 offset:2560
	ds_write_b16 v71, v8 offset:1024
	ds_write_b16 v71, v7 offset:1536
	v_pk_add_f16 v73, v3, v11
	v_pk_min_f16 v3, v10, v13
	s_waitcnt lgkmcnt(0)
	v_pk_add_f16 v61, v12, v3
	v_pk_min_f16 v3, v10, v19
	s_barrier
	v_pk_add_f16 v53, v16, v3
	v_pk_min_f16 v3, v10, v21
	s_nop 0
	v_pk_add_f16 v45, v14, v3
	v_pk_min_f16 v3, v17, v21
	s_nop 0
	v_pk_add_f16 v44, v9, v3
	s_cbranch_scc1 .LBB235_36
; %bb.22:
	v_lshl_add_u64 v[26:27], v[0:1], 1, s[14:15]
	v_mov_b32_e32 v0, 0xa00
	v_lshl_add_u32 v83, v40, 3, v0
	v_mad_i64_i32 v[0:1], s[4:5], s30, v4, 0
	v_lshl_add_u64 v[28:29], v[0:1], 1, s[16:17]
	v_mad_i64_i32 v[0:1], s[4:5], s30, v5, 0
	v_lshl_add_u64 v[30:31], v[0:1], 1, s[16:17]
	v_add_u32_e32 v0, v43, v40
	v_or_b32_e32 v80, 0x800, v2
	v_add_u32_e32 v81, 0xa00, v2
	v_lshrrev_b32_e32 v2, 6, v0
	v_add_u32_e32 v0, 12, v2
	v_mad_i64_i32 v[0:1], s[4:5], v0, s18, 0
	v_lshlrev_b64 v[32:33], 1, v[0:1]
	v_add_u32_e32 v0, 8, v2
	v_mad_i64_i32 v[0:1], s[4:5], v0, s18, 0
	v_add_u32_e32 v82, 0x400, v71
	s_add_i32 s29, s22, -8
	v_add_u32_e32 v84, 0x400, v43
	v_mov_b32_e32 v25, 0
	s_lshl_b64 s[6:7], s[18:19], 4
	v_lshlrev_b64 v[34:35], 1, v[0:1]
	s_branch .LBB235_24
.LBB235_23:                             ;   in Loop: Header=BB235_24 Depth=1
	s_or_b64 exec, exec, s[4:5]
	v_pk_add_f16 v20, v60, v20
	v_pk_add_f16 v12, v52, v12
	;; [unrolled: 1-line block ×23, first 2 shown]
	ds_read2_b64 v[6:9], v72 offset0:48 offset1:56
	ds_read2_b64 v[10:13], v43 offset1:32
	v_pk_add_f16 v2, v68, v2
	v_pk_add_f16 v22, v67, v22
	;; [unrolled: 1-line block ×4, first 2 shown]
	s_waitcnt lgkmcnt(0)
	v_pk_max_f16 v8, v8, v8
	v_pk_max_f16 v10, v10, v10
	v_pk_add_f16 v16, v79, v16
	v_pk_add_f16 v52, v64, v92
	;; [unrolled: 1-line block ×10, first 2 shown]
	ds_read2_b64 v[2:5], v43 offset0:64 offset1:96
	v_pk_min_f16 v14, v8, v10
	v_pk_add_f16 v58, v62, v98
	v_pk_add_f16 v62, v16, v17
	;; [unrolled: 1-line block ×4, first 2 shown]
	ds_read2_b64 v[14:17], v72 offset1:8
	v_pk_max_f16 v12, v12, v12
	s_waitcnt lgkmcnt(0)
	v_pk_max_f16 v2, v2, v2
	v_pk_min_f16 v61, v8, v12
	v_pk_add_f16 v59, v73, v101
	v_pk_add_f16 v61, v20, v61
	v_pk_min_f16 v20, v8, v2
	v_pk_max_f16 v14, v14, v14
	v_pk_add_f16 v66, v21, v20
	v_pk_min_f16 v20, v14, v10
	v_pk_max_f16 v16, v16, v16
	;; [unrolled: 3-line block ×3, first 2 shown]
	v_pk_add_f16 v22, v22, v20
	v_pk_min_f16 v20, v14, v2
	v_pk_min_f16 v14, v14, v4
	v_pk_add_f16 v23, v23, v20
	v_pk_min_f16 v20, v16, v10
	v_pk_add_f16 v14, v36, v14
	v_pk_add_f16 v73, v18, v20
	v_pk_min_f16 v18, v16, v12
	v_pk_min_f16 v36, v16, v2
	v_pk_add_f16 v74, v19, v18
	ds_read2_b64 v[18:21], v72 offset0:16 offset1:24
	v_pk_add_f16 v75, v37, v36
	v_pk_add_f16 v50, v50, v110
	;; [unrolled: 1-line block ×4, first 2 shown]
	s_waitcnt lgkmcnt(0)
	v_pk_max_f16 v18, v18, v18
	v_pk_max_f16 v20, v20, v20
	v_pk_min_f16 v36, v18, v10
	v_pk_min_f16 v16, v16, v4
	v_pk_add_f16 v76, v39, v36
	v_pk_min_f16 v36, v18, v12
	v_pk_add_f16 v16, v38, v16
	v_pk_add_f16 v87, v50, v36
	v_pk_min_f16 v36, v18, v2
	v_pk_add_f16 v49, v49, v91
	;; [unrolled: 3-line block ×4, first 2 shown]
	v_pk_add_f16 v89, v52, v36
	ds_read2_b64 v[36:39], v72 offset0:32 offset1:40
	v_pk_min_f16 v18, v18, v4
	v_pk_add_f16 v48, v48, v115
	v_pk_add_f16 v18, v49, v18
	v_pk_min_f16 v49, v20, v2
	v_pk_min_f16 v20, v20, v4
	s_waitcnt lgkmcnt(0)
	v_pk_max_f16 v36, v36, v36
	v_pk_add_f16 v20, v48, v20
	v_pk_min_f16 v48, v36, v10
	v_pk_add_f16 v47, v47, v97
	v_pk_add_f16 v57, v57, v117
	;; [unrolled: 1-line block ×3, first 2 shown]
	v_pk_min_f16 v48, v36, v12
	v_pk_add_f16 v47, v47, v119
	v_pk_add_f16 v91, v57, v48
	v_pk_min_f16 v48, v36, v2
	v_pk_min_f16 v36, v36, v4
	v_pk_max_f16 v38, v38, v38
	v_pk_add_f16 v36, v47, v36
	v_pk_min_f16 v47, v38, v10
	v_pk_add_f16 v58, v58, v120
	v_pk_add_f16 v92, v65, v47
	v_pk_min_f16 v47, v38, v12
	v_pk_max_f16 v6, v6, v6
	v_pk_add_f16 v56, v56, v93
	v_pk_add_f16 v93, v58, v47
	v_pk_min_f16 v47, v38, v2
	v_pk_min_f16 v10, v6, v10
	;; [unrolled: 1-line block ×6, first 2 shown]
	v_pk_add_f16 v1, v1, v6
	v_pk_min_f16 v4, v8, v4
	v_pk_max_f16 v6, v9, v9
	v_pk_max_f16 v8, v11, v11
	v_pk_add_f16 v60, v60, v124
	v_pk_min_f16 v9, v6, v8
	v_pk_max_f16 v3, v3, v3
	v_pk_add_f16 v68, v45, v9
	v_pk_max_f16 v9, v13, v13
	v_pk_add_f16 v12, v60, v12
	v_pk_min_f16 v11, v6, v9
	v_pk_max_f16 v5, v5, v5
	v_pk_add_f16 v60, v61, v11
	v_pk_min_f16 v11, v6, v3
	v_pk_add_f16 v59, v59, v123
	v_pk_add_f16 v52, v66, v11
	v_pk_max_f16 v11, v15, v15
	v_pk_add_f16 v10, v59, v10
	v_pk_min_f16 v13, v11, v8
	v_pk_add_f16 v56, v56, v114
	v_pk_add_f16 v79, v62, v13
	v_pk_min_f16 v13, v11, v9
	v_pk_add_f16 v56, v56, v49
	v_pk_add_f16 v67, v22, v13
	v_pk_min_f16 v13, v11, v3
	v_pk_min_f16 v11, v11, v5
	v_pk_add_f16 v59, v23, v13
	v_pk_add_f16 v51, v14, v11
	v_pk_max_f16 v11, v17, v17
	v_pk_add_f16 v55, v55, v96
	v_pk_min_f16 v13, v11, v8
	v_pk_add_f16 v55, v55, v118
	v_pk_add_f16 v78, v73, v13
	v_pk_min_f16 v13, v11, v9
	v_pk_add_f16 v55, v55, v48
	v_pk_add_f16 v66, v74, v13
	v_pk_min_f16 v13, v11, v3
	;; [unrolled: 12-line block ×3, first 2 shown]
	v_pk_min_f16 v11, v11, v5
	v_pk_add_f16 v57, v88, v13
	v_pk_add_f16 v49, v18, v11
	v_pk_max_f16 v11, v21, v21
	v_pk_add_f16 v53, v53, v103
	v_pk_min_f16 v13, v11, v8
	v_pk_add_f16 v53, v53, v125
	v_pk_add_f16 v76, v63, v13
	v_pk_min_f16 v13, v11, v9
	v_pk_max_f16 v7, v7, v7
	v_pk_add_f16 v64, v89, v13
	v_pk_min_f16 v13, v11, v3
	v_pk_min_f16 v11, v11, v5
	v_pk_add_f16 v56, v56, v13
	v_pk_add_f16 v48, v20, v11
	v_pk_max_f16 v11, v37, v37
	v_pk_add_f16 v46, v46, v100
	v_pk_min_f16 v13, v11, v8
	v_pk_add_f16 v2, v53, v2
	v_pk_add_f16 v75, v90, v13
	v_pk_min_f16 v13, v11, v9
	v_pk_add_f16 v46, v46, v122
	v_pk_add_f16 v63, v91, v13
	v_pk_min_f16 v13, v11, v3
	v_pk_min_f16 v11, v11, v5
	v_pk_add_f16 v55, v55, v13
	v_pk_add_f16 v47, v36, v11
	v_pk_max_f16 v11, v39, v39
	v_pk_add_f16 v38, v46, v38
	v_pk_min_f16 v13, v11, v8
	v_pk_min_f16 v8, v7, v8
	v_pk_add_f16 v74, v92, v13
	v_pk_min_f16 v13, v11, v9
	v_pk_add_f16 v4, v44, v4
	v_pk_add_f16 v62, v93, v13
	v_pk_min_f16 v13, v11, v3
	v_pk_min_f16 v3, v7, v3
	;; [unrolled: 1-line block ×3, first 2 shown]
	v_pk_add_f16 v53, v2, v3
	v_pk_min_f16 v2, v7, v5
	v_pk_add_f16 v73, v10, v8
	v_pk_min_f16 v8, v7, v9
	;; [unrolled: 2-line block ×3, first 2 shown]
	s_add_i32 s23, s23, 8
	v_pk_add_f16 v54, v54, v13
	v_pk_add_f16 v46, v38, v11
	;; [unrolled: 1-line block ×4, first 2 shown]
	v_lshl_add_u64 v[28:29], v[28:29], 0, 16
	v_lshl_add_u64 v[30:31], v[30:31], 0, 16
	s_cmp_ge_i32 s23, s29
	v_lshl_add_u64 v[26:27], v[26:27], 0, s[6:7]
	s_waitcnt vmcnt(0)
	ds_write_b16 v81, v86
	ds_write_b16 v82, v85
	ds_write_b16 v82, v0 offset:512
	s_waitcnt lgkmcnt(0)
	s_barrier
	s_cbranch_scc1 .LBB235_36
.LBB235_24:                             ; =>This Inner Loop Header: Depth=1
	v_add_u32_e32 v85, s23, v42
	v_add_u32_e32 v0, 8, v85
	v_cmp_gt_i32_e64 s[4:5], s22, v0
	s_and_b64 s[14:15], s[12:13], s[4:5]
	v_mov_b32_e32 v86, 0
	s_and_saveexec_b64 s[4:5], s[14:15]
	s_cbranch_execz .LBB235_26
; %bb.25:                               ;   in Loop: Header=BB235_24 Depth=1
	v_lshl_add_u64 v[0:1], v[26:27], 0, v[34:35]
	flat_load_ushort v86, v[0:1]
.LBB235_26:                             ;   in Loop: Header=BB235_24 Depth=1
	s_or_b64 exec, exec, s[4:5]
	v_add_u32_e32 v87, s23, v69
	v_add_u32_e32 v0, 8, v87
	v_cmp_le_i32_e64 s[4:5], s22, v0
	s_or_b64 s[14:15], vcc, s[4:5]
	s_xor_b64 s[16:17], s[14:15], -1
	v_mov_b32_e32 v88, 0
	v_lshl_add_u64 v[38:39], v[28:29], 0, v[24:25]
	v_mov_b32_e32 v89, 0
	s_and_saveexec_b64 s[14:15], s[16:17]
	s_cbranch_execz .LBB235_28
; %bb.27:                               ;   in Loop: Header=BB235_24 Depth=1
	flat_load_ushort v89, v[38:39] offset:16
.LBB235_28:                             ;   in Loop: Header=BB235_24 Depth=1
	s_or_b64 exec, exec, s[14:15]
	s_or_b64 s[4:5], s[2:3], s[4:5]
	s_xor_b64 s[14:15], s[4:5], -1
	v_lshl_add_u64 v[36:37], v[30:31], 0, v[24:25]
	s_and_saveexec_b64 s[4:5], s[14:15]
	s_cbranch_execz .LBB235_30
; %bb.29:                               ;   in Loop: Header=BB235_24 Depth=1
	flat_load_ushort v88, v[36:37] offset:16
.LBB235_30:                             ;   in Loop: Header=BB235_24 Depth=1
	s_or_b64 exec, exec, s[4:5]
	ds_read2_b64 v[0:3], v83 offset0:48 offset1:56
	ds_read2_b64 v[12:15], v84 offset0:64 offset1:96
	ds_read2_b64 v[20:23], v84 offset1:32
	ds_read2_b64 v[16:19], v83 offset1:8
	ds_read2_b64 v[8:11], v83 offset0:16 offset1:24
	ds_read2_b64 v[4:7], v83 offset0:32 offset1:40
	v_add_u32_e32 v85, 12, v85
	v_cmp_gt_i32_e64 s[4:5], s22, v85
	s_waitcnt vmcnt(0) lgkmcnt(0)
	ds_write_b16 v80, v86
	ds_write_b16 v71, v89
	ds_write_b16 v71, v88 offset:512
	s_and_b64 s[14:15], s[12:13], s[4:5]
	v_mov_b32_e32 v85, 0
	v_mov_b32_e32 v86, 0
	s_waitcnt lgkmcnt(0)
	s_barrier
	s_and_saveexec_b64 s[4:5], s[14:15]
	s_cbranch_execz .LBB235_32
; %bb.31:                               ;   in Loop: Header=BB235_24 Depth=1
	v_lshl_add_u64 v[88:89], v[26:27], 0, v[32:33]
	flat_load_ushort v86, v[88:89]
.LBB235_32:                             ;   in Loop: Header=BB235_24 Depth=1
	s_or_b64 exec, exec, s[4:5]
	v_add_u32_e32 v87, 12, v87
	v_cmp_le_i32_e64 s[4:5], s22, v87
	s_or_b64 s[14:15], vcc, s[4:5]
	s_xor_b64 s[16:17], s[14:15], -1
	s_and_saveexec_b64 s[14:15], s[16:17]
	s_cbranch_execz .LBB235_34
; %bb.33:                               ;   in Loop: Header=BB235_24 Depth=1
	flat_load_ushort v85, v[38:39] offset:24
.LBB235_34:                             ;   in Loop: Header=BB235_24 Depth=1
	s_or_b64 exec, exec, s[14:15]
	v_pk_max_f16 v105, v2, v2
	v_pk_max_f16 v101, v20, v20
	;; [unrolled: 1-line block ×17, first 2 shown]
	v_pk_min_f16 v2, v105, v101
	v_pk_min_f16 v20, v105, v102
	;; [unrolled: 1-line block ×26, first 2 shown]
	v_pk_max_f16 v0, v3, v3
	v_pk_max_f16 v107, v17, v17
	;; [unrolled: 1-line block ×5, first 2 shown]
	v_pk_min_f16 v116, v5, v123
	v_pk_min_f16 v117, v5, v124
	;; [unrolled: 1-line block ×4, first 2 shown]
	v_pk_max_f16 v5, v7, v7
	v_pk_max_f16 v1, v1, v1
	s_or_b64 s[4:5], s[2:3], s[4:5]
	v_pk_min_f16 v88, v88, v106
	v_pk_min_f16 v91, v91, v106
	;; [unrolled: 1-line block ×34, first 2 shown]
	s_xor_b64 s[14:15], s[4:5], -1
	v_mov_b32_e32 v0, 0
	s_and_saveexec_b64 s[4:5], s[14:15]
	s_cbranch_execz .LBB235_23
; %bb.35:                               ;   in Loop: Header=BB235_24 Depth=1
	flat_load_ushort v0, v[36:37] offset:24
	s_branch .LBB235_23
.LBB235_36:
	s_load_dwordx2 s[2:3], s[0:1], 0x70
	s_load_dword s30, s[0:1], 0x50
	s_load_dword s29, s[0:1], 0x68
	v_add_u32_e32 v8, 0x800, v70
	ds_read2_b64 v[0:3], v8 offset0:112 offset1:120
	ds_read2_b64 v[4:7], v43 offset0:192 offset1:224
	;; [unrolled: 1-line block ×6, first 2 shown]
	s_waitcnt lgkmcnt(0)
	s_lshl_b64 s[0:1], s[2:3], 1
	s_add_u32 s22, s10, s0
	v_add_u32_e32 v69, s27, v41
	s_addc_u32 s23, s11, s1
	v_mad_i64_i32 v[26:27], s[0:1], v69, s30, 0
	v_add_u32_e32 v24, s26, v40
	v_lshl_add_u64 v[42:43], v[26:27], 1, s[24:25]
	v_mad_i64_i32 v[26:27], s[0:1], v69, s29, 0
	v_cmp_gt_i32_e64 s[18:19], s21, v69
	v_lshl_add_u64 v[40:41], v[26:27], 1, s[22:23]
	v_cmp_gt_i32_e64 s[2:3], s20, v24
	v_cndmask_b32_e64 v26, 0, 1, s[8:9]
	s_and_b64 s[6:7], s[2:3], s[18:19]
	v_ashrrev_i32_e32 v25, 31, v24
	v_cmp_ne_u32_e64 s[0:1], 1, v26
	s_and_saveexec_b64 s[4:5], s[6:7]
	s_cbranch_execz .LBB235_41
; %bb.37:
	s_and_b64 vcc, exec, s[0:1]
	s_cbranch_vccnz .LBB235_39
; %bb.38:
	v_lshl_add_u64 v[26:27], v[24:25], 1, v[42:43]
	flat_load_ushort v26, v[26:27]
	s_waitcnt vmcnt(0) lgkmcnt(0)
	v_mul_f16_e32 v26, s28, v26
	s_branch .LBB235_40
.LBB235_39:
	v_mov_b32_e32 v26, 0
.LBB235_40:
	v_pk_max_f16 v27, v20, v20
	v_pk_max_f16 v28, v16, v16
	v_pk_max_f16 v29, v17, v17
	v_pk_min_f16 v27, v28, v27
	v_pk_max_f16 v28, v21, v21
	v_pk_add_f16 v27, v79, v27
	v_pk_min_f16 v28, v29, v28
	s_nop 0
	v_pk_add_f16 v27, v27, v28
	s_nop 0
	v_add_f16_sdwa v27, v27, v27 dst_sel:DWORD dst_unused:UNUSED_PAD src0_sel:DWORD src1_sel:WORD_1
	v_add_f16_e32 v28, v27, v26
	v_lshl_add_u64 v[26:27], v[24:25], 1, v[40:41]
	global_store_short v[26:27], v28, off
.LBB235_41:
	s_or_b64 exec, exec, s[4:5]
	v_add_u32_e32 v26, 8, v24
	v_cmp_gt_i32_e64 s[4:5], s20, v26
	s_and_b64 s[8:9], s[4:5], s[18:19]
	v_ashrrev_i32_e32 v27, 31, v26
	s_and_saveexec_b64 s[6:7], s[8:9]
	s_cbranch_execz .LBB235_46
; %bb.42:
	s_and_b64 vcc, exec, s[0:1]
	s_cbranch_vccnz .LBB235_44
; %bb.43:
	v_lshl_add_u64 v[28:29], v[26:27], 1, v[42:43]
	flat_load_ushort v28, v[28:29]
	s_waitcnt vmcnt(0) lgkmcnt(0)
	v_mul_f16_e32 v28, s28, v28
	s_branch .LBB235_45
.LBB235_44:
	v_mov_b32_e32 v28, 0
.LBB235_45:
	v_pk_max_f16 v29, v20, v20
	v_pk_max_f16 v30, v18, v18
	v_pk_max_f16 v31, v19, v19
	v_pk_min_f16 v29, v30, v29
	v_pk_max_f16 v30, v21, v21
	v_pk_add_f16 v29, v78, v29
	v_pk_min_f16 v30, v31, v30
	s_nop 0
	v_pk_add_f16 v29, v29, v30
	s_nop 0
	v_add_f16_sdwa v29, v29, v29 dst_sel:DWORD dst_unused:UNUSED_PAD src0_sel:DWORD src1_sel:WORD_1
	v_add_f16_e32 v30, v29, v28
	v_lshl_add_u64 v[28:29], v[26:27], 1, v[40:41]
	global_store_short v[28:29], v30, off
.LBB235_46:
	s_or_b64 exec, exec, s[6:7]
	v_add_u32_e32 v28, 16, v24
	v_cmp_gt_i32_e64 s[6:7], s20, v28
	s_and_b64 s[10:11], s[6:7], s[18:19]
	v_ashrrev_i32_e32 v29, 31, v28
	;; [unrolled: 34-line block ×7, first 2 shown]
	s_and_saveexec_b64 s[18:19], s[26:27]
	s_cbranch_execz .LBB235_76
; %bb.72:
	s_and_b64 vcc, exec, s[0:1]
	s_cbranch_vccnz .LBB235_74
; %bb.73:
	v_lshl_add_u64 v[42:43], v[38:39], 1, v[42:43]
	flat_load_ushort v42, v[42:43]
	s_waitcnt vmcnt(0) lgkmcnt(0)
	v_mul_f16_e32 v42, s28, v42
	s_branch .LBB235_75
.LBB235_74:
	v_mov_b32_e32 v42, 0
.LBB235_75:
	v_pk_max_f16 v20, v20, v20
	v_pk_max_f16 v43, v2, v2
	;; [unrolled: 1-line block ×3, first 2 shown]
	v_pk_min_f16 v20, v43, v20
	v_pk_max_f16 v43, v3, v3
	v_pk_add_f16 v20, v68, v20
	v_pk_min_f16 v21, v43, v21
	s_nop 0
	v_pk_add_f16 v20, v20, v21
	s_nop 0
	v_add_f16_sdwa v20, v20, v20 dst_sel:DWORD dst_unused:UNUSED_PAD src0_sel:DWORD src1_sel:WORD_1
	v_add_f16_e32 v42, v20, v42
	v_lshl_add_u64 v[20:21], v[38:39], 1, v[40:41]
	global_store_short v[20:21], v42, off
.LBB235_76:
	s_or_b64 exec, exec, s[18:19]
	v_add_u32_e32 v42, 32, v69
	v_mad_i64_i32 v[20:21], s[26:27], v42, s30, 0
	v_cmp_gt_i32_e64 s[18:19], s21, v42
	v_lshl_add_u64 v[40:41], v[20:21], 1, s[24:25]
	v_mad_i64_i32 v[20:21], s[26:27], v42, s29, 0
	v_lshl_add_u64 v[20:21], v[20:21], 1, s[22:23]
	s_and_b64 s[34:35], s[2:3], s[18:19]
	s_and_saveexec_b64 s[26:27], s[34:35]
	s_cbranch_execnz .LBB235_84
; %bb.77:
	s_or_b64 exec, exec, s[26:27]
	s_and_b64 s[34:35], s[4:5], s[18:19]
	s_and_saveexec_b64 s[26:27], s[34:35]
	s_cbranch_execnz .LBB235_88
.LBB235_78:
	s_or_b64 exec, exec, s[26:27]
	s_and_b64 s[34:35], s[6:7], s[18:19]
	s_and_saveexec_b64 s[26:27], s[34:35]
	s_cbranch_execnz .LBB235_92
.LBB235_79:
	s_or_b64 exec, exec, s[26:27]
	s_and_b64 s[34:35], s[8:9], s[18:19]
	s_and_saveexec_b64 s[26:27], s[34:35]
	s_cbranch_execnz .LBB235_96
.LBB235_80:
	s_or_b64 exec, exec, s[26:27]
	s_and_b64 s[34:35], s[10:11], s[18:19]
	s_and_saveexec_b64 s[26:27], s[34:35]
	s_cbranch_execnz .LBB235_100
.LBB235_81:
	s_or_b64 exec, exec, s[26:27]
	s_and_b64 s[34:35], s[12:13], s[18:19]
	s_and_saveexec_b64 s[26:27], s[34:35]
	s_cbranch_execnz .LBB235_104
.LBB235_82:
	s_or_b64 exec, exec, s[26:27]
	s_and_b64 s[34:35], s[14:15], s[18:19]
	s_and_saveexec_b64 s[26:27], s[34:35]
	s_cbranch_execnz .LBB235_108
.LBB235_83:
	s_or_b64 exec, exec, s[26:27]
	s_and_b64 s[26:27], s[16:17], s[18:19]
	s_and_saveexec_b64 s[18:19], s[26:27]
	s_cbranch_execnz .LBB235_112
	s_branch .LBB235_116
.LBB235_84:
	s_and_b64 vcc, exec, s[0:1]
	s_cbranch_vccnz .LBB235_86
; %bb.85:
	v_lshl_add_u64 v[42:43], v[24:25], 1, v[40:41]
	flat_load_ushort v42, v[42:43]
	s_waitcnt vmcnt(0) lgkmcnt(0)
	v_mul_f16_e32 v42, s28, v42
	s_branch .LBB235_87
.LBB235_86:
	v_mov_b32_e32 v42, 0
.LBB235_87:
	v_pk_max_f16 v43, v22, v22
	v_pk_max_f16 v68, v16, v16
	s_nop 0
	v_pk_min_f16 v43, v68, v43
	v_pk_max_f16 v68, v17, v17
	v_pk_add_f16 v43, v67, v43
	v_pk_max_f16 v67, v23, v23
	s_nop 0
	v_pk_min_f16 v67, v68, v67
	s_nop 0
	v_pk_add_f16 v43, v43, v67
	s_nop 0
	v_add_f16_sdwa v43, v43, v43 dst_sel:DWORD dst_unused:UNUSED_PAD src0_sel:DWORD src1_sel:WORD_1
	v_add_f16_e32 v67, v43, v42
	v_lshl_add_u64 v[42:43], v[24:25], 1, v[20:21]
	global_store_short v[42:43], v67, off
	s_or_b64 exec, exec, s[26:27]
	s_and_b64 s[34:35], s[4:5], s[18:19]
	s_and_saveexec_b64 s[26:27], s[34:35]
	s_cbranch_execz .LBB235_78
.LBB235_88:
	s_and_b64 vcc, exec, s[0:1]
	s_cbranch_vccnz .LBB235_90
; %bb.89:
	v_lshl_add_u64 v[42:43], v[26:27], 1, v[40:41]
	flat_load_ushort v42, v[42:43]
	s_waitcnt vmcnt(0) lgkmcnt(0)
	v_mul_f16_e32 v42, s28, v42
	s_branch .LBB235_91
.LBB235_90:
	v_mov_b32_e32 v42, 0
.LBB235_91:
	v_pk_max_f16 v43, v22, v22
	v_pk_max_f16 v67, v18, v18
	s_nop 0
	v_pk_min_f16 v43, v67, v43
	v_pk_max_f16 v67, v19, v19
	v_pk_add_f16 v43, v66, v43
	v_pk_max_f16 v66, v23, v23
	s_nop 0
	v_pk_min_f16 v66, v67, v66
	s_nop 0
	v_pk_add_f16 v43, v43, v66
	s_nop 0
	v_add_f16_sdwa v43, v43, v43 dst_sel:DWORD dst_unused:UNUSED_PAD src0_sel:DWORD src1_sel:WORD_1
	v_add_f16_e32 v66, v43, v42
	v_lshl_add_u64 v[42:43], v[26:27], 1, v[20:21]
	global_store_short v[42:43], v66, off
	s_or_b64 exec, exec, s[26:27]
	s_and_b64 s[34:35], s[6:7], s[18:19]
	s_and_saveexec_b64 s[26:27], s[34:35]
	s_cbranch_execz .LBB235_79
.LBB235_92:
	s_and_b64 vcc, exec, s[0:1]
	s_cbranch_vccnz .LBB235_94
; %bb.93:
	v_lshl_add_u64 v[42:43], v[28:29], 1, v[40:41]
	flat_load_ushort v42, v[42:43]
	s_waitcnt vmcnt(0) lgkmcnt(0)
	v_mul_f16_e32 v42, s28, v42
	s_branch .LBB235_95
.LBB235_94:
	v_mov_b32_e32 v42, 0
.LBB235_95:
	v_pk_max_f16 v43, v22, v22
	v_pk_max_f16 v66, v12, v12
	s_nop 0
	v_pk_min_f16 v43, v66, v43
	v_pk_max_f16 v66, v13, v13
	v_pk_add_f16 v43, v65, v43
	v_pk_max_f16 v65, v23, v23
	s_nop 0
	v_pk_min_f16 v65, v66, v65
	s_nop 0
	v_pk_add_f16 v43, v43, v65
	s_nop 0
	v_add_f16_sdwa v43, v43, v43 dst_sel:DWORD dst_unused:UNUSED_PAD src0_sel:DWORD src1_sel:WORD_1
	v_add_f16_e32 v65, v43, v42
	v_lshl_add_u64 v[42:43], v[28:29], 1, v[20:21]
	global_store_short v[42:43], v65, off
	s_or_b64 exec, exec, s[26:27]
	s_and_b64 s[34:35], s[8:9], s[18:19]
	s_and_saveexec_b64 s[26:27], s[34:35]
	s_cbranch_execz .LBB235_80
.LBB235_96:
	s_and_b64 vcc, exec, s[0:1]
	s_cbranch_vccnz .LBB235_98
; %bb.97:
	v_lshl_add_u64 v[42:43], v[30:31], 1, v[40:41]
	flat_load_ushort v42, v[42:43]
	s_waitcnt vmcnt(0) lgkmcnt(0)
	v_mul_f16_e32 v42, s28, v42
	s_branch .LBB235_99
.LBB235_98:
	v_mov_b32_e32 v42, 0
.LBB235_99:
	v_pk_max_f16 v43, v22, v22
	v_pk_max_f16 v65, v14, v14
	s_nop 0
	v_pk_min_f16 v43, v65, v43
	v_pk_max_f16 v65, v15, v15
	v_pk_add_f16 v43, v64, v43
	v_pk_max_f16 v64, v23, v23
	s_nop 0
	v_pk_min_f16 v64, v65, v64
	s_nop 0
	v_pk_add_f16 v43, v43, v64
	s_nop 0
	v_add_f16_sdwa v43, v43, v43 dst_sel:DWORD dst_unused:UNUSED_PAD src0_sel:DWORD src1_sel:WORD_1
	v_add_f16_e32 v64, v43, v42
	v_lshl_add_u64 v[42:43], v[30:31], 1, v[20:21]
	global_store_short v[42:43], v64, off
	s_or_b64 exec, exec, s[26:27]
	s_and_b64 s[34:35], s[10:11], s[18:19]
	s_and_saveexec_b64 s[26:27], s[34:35]
	s_cbranch_execz .LBB235_81
.LBB235_100:
	s_and_b64 vcc, exec, s[0:1]
	s_cbranch_vccnz .LBB235_102
; %bb.101:
	v_lshl_add_u64 v[42:43], v[32:33], 1, v[40:41]
	flat_load_ushort v42, v[42:43]
	s_waitcnt vmcnt(0) lgkmcnt(0)
	v_mul_f16_e32 v42, s28, v42
	s_branch .LBB235_103
.LBB235_102:
	v_mov_b32_e32 v42, 0
.LBB235_103:
	v_pk_max_f16 v43, v22, v22
	v_pk_max_f16 v64, v8, v8
	s_nop 0
	v_pk_min_f16 v43, v64, v43
	v_pk_max_f16 v64, v9, v9
	v_pk_add_f16 v43, v63, v43
	v_pk_max_f16 v63, v23, v23
	s_nop 0
	v_pk_min_f16 v63, v64, v63
	s_nop 0
	v_pk_add_f16 v43, v43, v63
	s_nop 0
	v_add_f16_sdwa v43, v43, v43 dst_sel:DWORD dst_unused:UNUSED_PAD src0_sel:DWORD src1_sel:WORD_1
	v_add_f16_e32 v63, v43, v42
	v_lshl_add_u64 v[42:43], v[32:33], 1, v[20:21]
	global_store_short v[42:43], v63, off
	s_or_b64 exec, exec, s[26:27]
	s_and_b64 s[34:35], s[12:13], s[18:19]
	s_and_saveexec_b64 s[26:27], s[34:35]
	s_cbranch_execz .LBB235_82
.LBB235_104:
	s_and_b64 vcc, exec, s[0:1]
	s_cbranch_vccnz .LBB235_106
; %bb.105:
	v_lshl_add_u64 v[42:43], v[34:35], 1, v[40:41]
	flat_load_ushort v42, v[42:43]
	s_waitcnt vmcnt(0) lgkmcnt(0)
	v_mul_f16_e32 v42, s28, v42
	s_branch .LBB235_107
.LBB235_106:
	v_mov_b32_e32 v42, 0
.LBB235_107:
	v_pk_max_f16 v43, v22, v22
	v_pk_max_f16 v63, v10, v10
	s_nop 0
	v_pk_min_f16 v43, v63, v43
	v_pk_max_f16 v63, v11, v11
	v_pk_add_f16 v43, v62, v43
	v_pk_max_f16 v62, v23, v23
	s_nop 0
	v_pk_min_f16 v62, v63, v62
	s_nop 0
	v_pk_add_f16 v43, v43, v62
	s_nop 0
	v_add_f16_sdwa v43, v43, v43 dst_sel:DWORD dst_unused:UNUSED_PAD src0_sel:DWORD src1_sel:WORD_1
	v_add_f16_e32 v62, v43, v42
	v_lshl_add_u64 v[42:43], v[34:35], 1, v[20:21]
	global_store_short v[42:43], v62, off
	s_or_b64 exec, exec, s[26:27]
	s_and_b64 s[34:35], s[14:15], s[18:19]
	s_and_saveexec_b64 s[26:27], s[34:35]
	s_cbranch_execz .LBB235_83
.LBB235_108:
	s_and_b64 vcc, exec, s[0:1]
	s_cbranch_vccnz .LBB235_110
; %bb.109:
	v_lshl_add_u64 v[42:43], v[36:37], 1, v[40:41]
	flat_load_ushort v42, v[42:43]
	s_waitcnt vmcnt(0) lgkmcnt(0)
	v_mul_f16_e32 v42, s28, v42
	s_branch .LBB235_111
.LBB235_110:
	v_mov_b32_e32 v42, 0
.LBB235_111:
	v_pk_max_f16 v43, v22, v22
	v_pk_max_f16 v62, v0, v0
	s_nop 0
	v_pk_min_f16 v43, v62, v43
	v_pk_max_f16 v62, v1, v1
	v_pk_add_f16 v43, v61, v43
	v_pk_max_f16 v61, v23, v23
	s_nop 0
	v_pk_min_f16 v61, v62, v61
	s_nop 0
	v_pk_add_f16 v43, v43, v61
	s_nop 0
	v_add_f16_sdwa v43, v43, v43 dst_sel:DWORD dst_unused:UNUSED_PAD src0_sel:DWORD src1_sel:WORD_1
	v_add_f16_e32 v61, v43, v42
	v_lshl_add_u64 v[42:43], v[36:37], 1, v[20:21]
	global_store_short v[42:43], v61, off
	s_or_b64 exec, exec, s[26:27]
	s_and_b64 s[26:27], s[16:17], s[18:19]
	s_and_saveexec_b64 s[18:19], s[26:27]
	s_cbranch_execz .LBB235_116
.LBB235_112:
	s_and_b64 vcc, exec, s[0:1]
	s_cbranch_vccnz .LBB235_114
; %bb.113:
	v_lshl_add_u64 v[40:41], v[38:39], 1, v[40:41]
	flat_load_ushort v40, v[40:41]
	s_waitcnt vmcnt(0) lgkmcnt(0)
	v_mul_f16_e32 v40, s28, v40
	s_branch .LBB235_115
.LBB235_114:
	v_mov_b32_e32 v40, 0
.LBB235_115:
	v_pk_max_f16 v22, v22, v22
	v_pk_max_f16 v41, v2, v2
	v_pk_max_f16 v23, v23, v23
	v_pk_min_f16 v22, v41, v22
	v_pk_max_f16 v41, v3, v3
	v_pk_add_f16 v22, v60, v22
	v_pk_min_f16 v23, v41, v23
	v_lshl_add_u64 v[20:21], v[38:39], 1, v[20:21]
	v_pk_add_f16 v22, v22, v23
	s_nop 0
	v_add_f16_sdwa v22, v22, v22 dst_sel:DWORD dst_unused:UNUSED_PAD src0_sel:DWORD src1_sel:WORD_1
	v_add_f16_e32 v22, v22, v40
	global_store_short v[20:21], v22, off
.LBB235_116:
	s_or_b64 exec, exec, s[18:19]
	v_add_u32_e32 v40, 64, v69
	v_mad_i64_i32 v[20:21], s[26:27], v40, s30, 0
	v_cmp_gt_i32_e64 s[18:19], s21, v40
	v_lshl_add_u64 v[22:23], v[20:21], 1, s[24:25]
	v_mad_i64_i32 v[20:21], s[26:27], v40, s29, 0
	v_lshl_add_u64 v[20:21], v[20:21], 1, s[22:23]
	s_and_b64 s[34:35], s[2:3], s[18:19]
	s_and_saveexec_b64 s[26:27], s[34:35]
	s_cbranch_execnz .LBB235_124
; %bb.117:
	s_or_b64 exec, exec, s[26:27]
	s_and_b64 s[34:35], s[4:5], s[18:19]
	s_and_saveexec_b64 s[26:27], s[34:35]
	s_cbranch_execnz .LBB235_128
.LBB235_118:
	s_or_b64 exec, exec, s[26:27]
	s_and_b64 s[34:35], s[6:7], s[18:19]
	s_and_saveexec_b64 s[26:27], s[34:35]
	s_cbranch_execnz .LBB235_132
.LBB235_119:
	s_or_b64 exec, exec, s[26:27]
	s_and_b64 s[34:35], s[8:9], s[18:19]
	s_and_saveexec_b64 s[26:27], s[34:35]
	s_cbranch_execnz .LBB235_136
.LBB235_120:
	s_or_b64 exec, exec, s[26:27]
	s_and_b64 s[34:35], s[10:11], s[18:19]
	s_and_saveexec_b64 s[26:27], s[34:35]
	s_cbranch_execnz .LBB235_140
.LBB235_121:
	s_or_b64 exec, exec, s[26:27]
	s_and_b64 s[34:35], s[12:13], s[18:19]
	s_and_saveexec_b64 s[26:27], s[34:35]
	s_cbranch_execnz .LBB235_144
.LBB235_122:
	s_or_b64 exec, exec, s[26:27]
	s_and_b64 s[34:35], s[14:15], s[18:19]
	s_and_saveexec_b64 s[26:27], s[34:35]
	s_cbranch_execnz .LBB235_148
.LBB235_123:
	s_or_b64 exec, exec, s[26:27]
	s_and_b64 s[26:27], s[16:17], s[18:19]
	s_and_saveexec_b64 s[18:19], s[26:27]
	s_cbranch_execnz .LBB235_152
	s_branch .LBB235_156
.LBB235_124:
	s_and_b64 vcc, exec, s[0:1]
	s_cbranch_vccnz .LBB235_126
; %bb.125:
	v_lshl_add_u64 v[40:41], v[24:25], 1, v[22:23]
	flat_load_ushort v40, v[40:41]
	s_waitcnt vmcnt(0) lgkmcnt(0)
	v_mul_f16_e32 v40, s28, v40
	s_branch .LBB235_127
.LBB235_126:
	v_mov_b32_e32 v40, 0
.LBB235_127:
	v_pk_max_f16 v41, v4, v4
	v_pk_max_f16 v42, v16, v16
	;; [unrolled: 1-line block ×3, first 2 shown]
	v_pk_min_f16 v41, v42, v41
	v_pk_max_f16 v42, v5, v5
	v_pk_add_f16 v41, v59, v41
	v_pk_min_f16 v42, v43, v42
	s_nop 0
	v_pk_add_f16 v41, v41, v42
	s_nop 0
	v_add_f16_sdwa v41, v41, v41 dst_sel:DWORD dst_unused:UNUSED_PAD src0_sel:DWORD src1_sel:WORD_1
	v_add_f16_e32 v42, v41, v40
	v_lshl_add_u64 v[40:41], v[24:25], 1, v[20:21]
	global_store_short v[40:41], v42, off
	s_or_b64 exec, exec, s[26:27]
	s_and_b64 s[34:35], s[4:5], s[18:19]
	s_and_saveexec_b64 s[26:27], s[34:35]
	s_cbranch_execz .LBB235_118
.LBB235_128:
	s_and_b64 vcc, exec, s[0:1]
	s_cbranch_vccnz .LBB235_130
; %bb.129:
	v_lshl_add_u64 v[40:41], v[26:27], 1, v[22:23]
	flat_load_ushort v40, v[40:41]
	s_waitcnt vmcnt(0) lgkmcnt(0)
	v_mul_f16_e32 v40, s28, v40
	s_branch .LBB235_131
.LBB235_130:
	v_mov_b32_e32 v40, 0
.LBB235_131:
	v_pk_max_f16 v41, v4, v4
	v_pk_max_f16 v42, v18, v18
	;; [unrolled: 1-line block ×3, first 2 shown]
	v_pk_min_f16 v41, v42, v41
	v_pk_max_f16 v42, v5, v5
	v_pk_add_f16 v41, v58, v41
	v_pk_min_f16 v42, v43, v42
	s_nop 0
	v_pk_add_f16 v41, v41, v42
	s_nop 0
	v_add_f16_sdwa v41, v41, v41 dst_sel:DWORD dst_unused:UNUSED_PAD src0_sel:DWORD src1_sel:WORD_1
	v_add_f16_e32 v42, v41, v40
	v_lshl_add_u64 v[40:41], v[26:27], 1, v[20:21]
	global_store_short v[40:41], v42, off
	s_or_b64 exec, exec, s[26:27]
	s_and_b64 s[34:35], s[6:7], s[18:19]
	s_and_saveexec_b64 s[26:27], s[34:35]
	s_cbranch_execz .LBB235_119
.LBB235_132:
	s_and_b64 vcc, exec, s[0:1]
	s_cbranch_vccnz .LBB235_134
; %bb.133:
	v_lshl_add_u64 v[40:41], v[28:29], 1, v[22:23]
	flat_load_ushort v40, v[40:41]
	s_waitcnt vmcnt(0) lgkmcnt(0)
	v_mul_f16_e32 v40, s28, v40
	s_branch .LBB235_135
.LBB235_134:
	v_mov_b32_e32 v40, 0
.LBB235_135:
	v_pk_max_f16 v41, v4, v4
	v_pk_max_f16 v42, v12, v12
	;; [unrolled: 1-line block ×3, first 2 shown]
	v_pk_min_f16 v41, v42, v41
	v_pk_max_f16 v42, v5, v5
	v_pk_add_f16 v41, v57, v41
	v_pk_min_f16 v42, v43, v42
	s_nop 0
	v_pk_add_f16 v41, v41, v42
	s_nop 0
	v_add_f16_sdwa v41, v41, v41 dst_sel:DWORD dst_unused:UNUSED_PAD src0_sel:DWORD src1_sel:WORD_1
	v_add_f16_e32 v42, v41, v40
	v_lshl_add_u64 v[40:41], v[28:29], 1, v[20:21]
	global_store_short v[40:41], v42, off
	s_or_b64 exec, exec, s[26:27]
	s_and_b64 s[34:35], s[8:9], s[18:19]
	s_and_saveexec_b64 s[26:27], s[34:35]
	s_cbranch_execz .LBB235_120
.LBB235_136:
	s_and_b64 vcc, exec, s[0:1]
	s_cbranch_vccnz .LBB235_138
; %bb.137:
	v_lshl_add_u64 v[40:41], v[30:31], 1, v[22:23]
	flat_load_ushort v40, v[40:41]
	s_waitcnt vmcnt(0) lgkmcnt(0)
	v_mul_f16_e32 v40, s28, v40
	s_branch .LBB235_139
.LBB235_138:
	v_mov_b32_e32 v40, 0
.LBB235_139:
	v_pk_max_f16 v41, v4, v4
	v_pk_max_f16 v42, v14, v14
	;; [unrolled: 1-line block ×3, first 2 shown]
	v_pk_min_f16 v41, v42, v41
	v_pk_max_f16 v42, v5, v5
	v_pk_add_f16 v41, v56, v41
	v_pk_min_f16 v42, v43, v42
	s_nop 0
	v_pk_add_f16 v41, v41, v42
	s_nop 0
	v_add_f16_sdwa v41, v41, v41 dst_sel:DWORD dst_unused:UNUSED_PAD src0_sel:DWORD src1_sel:WORD_1
	v_add_f16_e32 v42, v41, v40
	v_lshl_add_u64 v[40:41], v[30:31], 1, v[20:21]
	global_store_short v[40:41], v42, off
	s_or_b64 exec, exec, s[26:27]
	s_and_b64 s[34:35], s[10:11], s[18:19]
	s_and_saveexec_b64 s[26:27], s[34:35]
	s_cbranch_execz .LBB235_121
.LBB235_140:
	s_and_b64 vcc, exec, s[0:1]
	s_cbranch_vccnz .LBB235_142
; %bb.141:
	v_lshl_add_u64 v[40:41], v[32:33], 1, v[22:23]
	flat_load_ushort v40, v[40:41]
	s_waitcnt vmcnt(0) lgkmcnt(0)
	v_mul_f16_e32 v40, s28, v40
	s_branch .LBB235_143
.LBB235_142:
	v_mov_b32_e32 v40, 0
.LBB235_143:
	v_pk_max_f16 v41, v4, v4
	v_pk_max_f16 v42, v8, v8
	;; [unrolled: 1-line block ×3, first 2 shown]
	v_pk_min_f16 v41, v42, v41
	v_pk_max_f16 v42, v5, v5
	v_pk_add_f16 v41, v55, v41
	v_pk_min_f16 v42, v43, v42
	s_nop 0
	v_pk_add_f16 v41, v41, v42
	s_nop 0
	v_add_f16_sdwa v41, v41, v41 dst_sel:DWORD dst_unused:UNUSED_PAD src0_sel:DWORD src1_sel:WORD_1
	v_add_f16_e32 v42, v41, v40
	v_lshl_add_u64 v[40:41], v[32:33], 1, v[20:21]
	global_store_short v[40:41], v42, off
	s_or_b64 exec, exec, s[26:27]
	s_and_b64 s[34:35], s[12:13], s[18:19]
	s_and_saveexec_b64 s[26:27], s[34:35]
	s_cbranch_execz .LBB235_122
.LBB235_144:
	s_and_b64 vcc, exec, s[0:1]
	s_cbranch_vccnz .LBB235_146
; %bb.145:
	v_lshl_add_u64 v[40:41], v[34:35], 1, v[22:23]
	flat_load_ushort v40, v[40:41]
	s_waitcnt vmcnt(0) lgkmcnt(0)
	v_mul_f16_e32 v40, s28, v40
	s_branch .LBB235_147
.LBB235_146:
	v_mov_b32_e32 v40, 0
.LBB235_147:
	v_pk_max_f16 v41, v4, v4
	v_pk_max_f16 v42, v10, v10
	v_pk_max_f16 v43, v11, v11
	v_pk_min_f16 v41, v42, v41
	v_pk_max_f16 v42, v5, v5
	v_pk_add_f16 v41, v54, v41
	v_pk_min_f16 v42, v43, v42
	s_nop 0
	v_pk_add_f16 v41, v41, v42
	s_nop 0
	v_add_f16_sdwa v41, v41, v41 dst_sel:DWORD dst_unused:UNUSED_PAD src0_sel:DWORD src1_sel:WORD_1
	v_add_f16_e32 v42, v41, v40
	v_lshl_add_u64 v[40:41], v[34:35], 1, v[20:21]
	global_store_short v[40:41], v42, off
	s_or_b64 exec, exec, s[26:27]
	s_and_b64 s[34:35], s[14:15], s[18:19]
	s_and_saveexec_b64 s[26:27], s[34:35]
	s_cbranch_execz .LBB235_123
.LBB235_148:
	s_and_b64 vcc, exec, s[0:1]
	s_cbranch_vccnz .LBB235_150
; %bb.149:
	v_lshl_add_u64 v[40:41], v[36:37], 1, v[22:23]
	flat_load_ushort v40, v[40:41]
	s_waitcnt vmcnt(0) lgkmcnt(0)
	v_mul_f16_e32 v40, s28, v40
	s_branch .LBB235_151
.LBB235_150:
	v_mov_b32_e32 v40, 0
.LBB235_151:
	v_pk_max_f16 v41, v4, v4
	v_pk_max_f16 v42, v0, v0
	;; [unrolled: 1-line block ×3, first 2 shown]
	v_pk_min_f16 v41, v42, v41
	v_pk_max_f16 v42, v5, v5
	v_pk_add_f16 v41, v53, v41
	v_pk_min_f16 v42, v43, v42
	s_nop 0
	v_pk_add_f16 v41, v41, v42
	s_nop 0
	v_add_f16_sdwa v41, v41, v41 dst_sel:DWORD dst_unused:UNUSED_PAD src0_sel:DWORD src1_sel:WORD_1
	v_add_f16_e32 v42, v41, v40
	v_lshl_add_u64 v[40:41], v[36:37], 1, v[20:21]
	global_store_short v[40:41], v42, off
	s_or_b64 exec, exec, s[26:27]
	s_and_b64 s[26:27], s[16:17], s[18:19]
	s_and_saveexec_b64 s[18:19], s[26:27]
	s_cbranch_execz .LBB235_156
.LBB235_152:
	s_and_b64 vcc, exec, s[0:1]
	s_cbranch_vccnz .LBB235_154
; %bb.153:
	v_lshl_add_u64 v[22:23], v[38:39], 1, v[22:23]
	flat_load_ushort v22, v[22:23]
	s_waitcnt vmcnt(0) lgkmcnt(0)
	v_mul_f16_e32 v22, s28, v22
	s_branch .LBB235_155
.LBB235_154:
	v_mov_b32_e32 v22, 0
.LBB235_155:
	v_pk_max_f16 v4, v4, v4
	v_pk_max_f16 v23, v2, v2
	;; [unrolled: 1-line block ×3, first 2 shown]
	v_pk_min_f16 v4, v23, v4
	v_pk_max_f16 v23, v3, v3
	v_pk_add_f16 v4, v52, v4
	v_pk_min_f16 v5, v23, v5
	s_nop 0
	v_pk_add_f16 v4, v4, v5
	s_nop 0
	v_add_f16_sdwa v4, v4, v4 dst_sel:DWORD dst_unused:UNUSED_PAD src0_sel:DWORD src1_sel:WORD_1
	v_add_f16_e32 v22, v4, v22
	v_lshl_add_u64 v[4:5], v[38:39], 1, v[20:21]
	global_store_short v[4:5], v22, off
.LBB235_156:
	s_or_b64 exec, exec, s[18:19]
	v_add_u32_e32 v22, 0x60, v69
	v_cmp_gt_i32_e64 s[18:19], s21, v22
	v_mad_i64_i32 v[4:5], s[20:21], v22, s30, 0
	v_lshl_add_u64 v[20:21], v[4:5], 1, s[24:25]
	v_mad_i64_i32 v[4:5], s[20:21], v22, s29, 0
	v_lshl_add_u64 v[4:5], v[4:5], 1, s[22:23]
	s_and_b64 s[20:21], s[2:3], s[18:19]
	s_and_saveexec_b64 s[2:3], s[20:21]
	s_cbranch_execnz .LBB235_165
; %bb.157:
	s_or_b64 exec, exec, s[2:3]
	s_and_b64 s[4:5], s[4:5], s[18:19]
	s_and_saveexec_b64 s[2:3], s[4:5]
	s_cbranch_execnz .LBB235_169
.LBB235_158:
	s_or_b64 exec, exec, s[2:3]
	s_and_b64 s[4:5], s[6:7], s[18:19]
	s_and_saveexec_b64 s[2:3], s[4:5]
	s_cbranch_execnz .LBB235_173
.LBB235_159:
	s_or_b64 exec, exec, s[2:3]
	s_and_b64 s[4:5], s[8:9], s[18:19]
	s_and_saveexec_b64 s[2:3], s[4:5]
	s_cbranch_execnz .LBB235_177
.LBB235_160:
	s_or_b64 exec, exec, s[2:3]
	s_and_b64 s[4:5], s[10:11], s[18:19]
	s_and_saveexec_b64 s[2:3], s[4:5]
	s_cbranch_execnz .LBB235_181
.LBB235_161:
	s_or_b64 exec, exec, s[2:3]
	s_and_b64 s[4:5], s[12:13], s[18:19]
	s_and_saveexec_b64 s[2:3], s[4:5]
	s_cbranch_execnz .LBB235_185
.LBB235_162:
	s_or_b64 exec, exec, s[2:3]
	s_and_b64 s[4:5], s[14:15], s[18:19]
	s_and_saveexec_b64 s[2:3], s[4:5]
	s_cbranch_execnz .LBB235_189
.LBB235_163:
	s_or_b64 exec, exec, s[2:3]
	s_and_b64 s[2:3], s[16:17], s[18:19]
	s_and_saveexec_b64 s[4:5], s[2:3]
	s_cbranch_execnz .LBB235_193
.LBB235_164:
	s_endpgm
.LBB235_165:
	s_and_b64 vcc, exec, s[0:1]
	s_cbranch_vccnz .LBB235_167
; %bb.166:
	v_lshl_add_u64 v[22:23], v[24:25], 1, v[20:21]
	flat_load_ushort v22, v[22:23]
	s_waitcnt vmcnt(0) lgkmcnt(0)
	v_mul_f16_e32 v22, s28, v22
	s_branch .LBB235_168
.LBB235_167:
	v_mov_b32_e32 v22, 0
.LBB235_168:
	v_pk_max_f16 v23, v6, v6
	v_pk_max_f16 v16, v16, v16
	;; [unrolled: 1-line block ×3, first 2 shown]
	v_pk_min_f16 v16, v16, v23
	v_pk_max_f16 v23, v7, v7
	v_pk_add_f16 v16, v51, v16
	v_pk_min_f16 v17, v17, v23
	s_nop 0
	v_pk_add_f16 v16, v16, v17
	s_nop 0
	v_add_f16_sdwa v16, v16, v16 dst_sel:DWORD dst_unused:UNUSED_PAD src0_sel:DWORD src1_sel:WORD_1
	v_add_f16_e32 v22, v16, v22
	v_lshl_add_u64 v[16:17], v[24:25], 1, v[4:5]
	global_store_short v[16:17], v22, off
	s_or_b64 exec, exec, s[2:3]
	s_and_b64 s[4:5], s[4:5], s[18:19]
	s_and_saveexec_b64 s[2:3], s[4:5]
	s_cbranch_execz .LBB235_158
.LBB235_169:
	s_and_b64 vcc, exec, s[0:1]
	s_cbranch_vccnz .LBB235_171
; %bb.170:
	v_lshl_add_u64 v[16:17], v[26:27], 1, v[20:21]
	flat_load_ushort v16, v[16:17]
	s_waitcnt vmcnt(0) lgkmcnt(0)
	v_mul_f16_e32 v16, s28, v16
	s_branch .LBB235_172
.LBB235_171:
	v_mov_b32_e32 v16, 0
.LBB235_172:
	v_pk_max_f16 v17, v6, v6
	v_pk_max_f16 v18, v18, v18
	;; [unrolled: 1-line block ×3, first 2 shown]
	v_pk_min_f16 v17, v18, v17
	v_pk_max_f16 v18, v7, v7
	v_pk_add_f16 v17, v50, v17
	v_pk_min_f16 v18, v19, v18
	s_nop 0
	v_pk_add_f16 v17, v17, v18
	s_nop 0
	v_add_f16_sdwa v17, v17, v17 dst_sel:DWORD dst_unused:UNUSED_PAD src0_sel:DWORD src1_sel:WORD_1
	v_add_f16_e32 v18, v17, v16
	v_lshl_add_u64 v[16:17], v[26:27], 1, v[4:5]
	global_store_short v[16:17], v18, off
	s_or_b64 exec, exec, s[2:3]
	s_and_b64 s[4:5], s[6:7], s[18:19]
	s_and_saveexec_b64 s[2:3], s[4:5]
	s_cbranch_execz .LBB235_159
.LBB235_173:
	s_and_b64 vcc, exec, s[0:1]
	s_cbranch_vccnz .LBB235_175
; %bb.174:
	v_lshl_add_u64 v[16:17], v[28:29], 1, v[20:21]
	flat_load_ushort v16, v[16:17]
	s_waitcnt vmcnt(0) lgkmcnt(0)
	v_mul_f16_e32 v16, s28, v16
	s_branch .LBB235_176
.LBB235_175:
	v_mov_b32_e32 v16, 0
.LBB235_176:
	v_pk_max_f16 v17, v6, v6
	v_pk_max_f16 v12, v12, v12
	v_pk_max_f16 v13, v13, v13
	v_pk_min_f16 v12, v12, v17
	v_pk_max_f16 v17, v7, v7
	v_pk_add_f16 v12, v49, v12
	v_pk_min_f16 v13, v13, v17
	s_nop 0
	v_pk_add_f16 v12, v12, v13
	s_nop 0
	v_add_f16_sdwa v12, v12, v12 dst_sel:DWORD dst_unused:UNUSED_PAD src0_sel:DWORD src1_sel:WORD_1
	v_add_f16_e32 v16, v12, v16
	v_lshl_add_u64 v[12:13], v[28:29], 1, v[4:5]
	global_store_short v[12:13], v16, off
	s_or_b64 exec, exec, s[2:3]
	s_and_b64 s[4:5], s[8:9], s[18:19]
	s_and_saveexec_b64 s[2:3], s[4:5]
	s_cbranch_execz .LBB235_160
.LBB235_177:
	s_and_b64 vcc, exec, s[0:1]
	s_cbranch_vccnz .LBB235_179
; %bb.178:
	v_lshl_add_u64 v[12:13], v[30:31], 1, v[20:21]
	flat_load_ushort v12, v[12:13]
	s_waitcnt vmcnt(0) lgkmcnt(0)
	v_mul_f16_e32 v12, s28, v12
	s_branch .LBB235_180
.LBB235_179:
	v_mov_b32_e32 v12, 0
.LBB235_180:
	v_pk_max_f16 v13, v6, v6
	v_pk_max_f16 v14, v14, v14
	;; [unrolled: 1-line block ×3, first 2 shown]
	v_pk_min_f16 v13, v14, v13
	v_pk_max_f16 v14, v7, v7
	v_pk_add_f16 v13, v48, v13
	v_pk_min_f16 v14, v15, v14
	s_nop 0
	v_pk_add_f16 v13, v13, v14
	s_nop 0
	v_add_f16_sdwa v13, v13, v13 dst_sel:DWORD dst_unused:UNUSED_PAD src0_sel:DWORD src1_sel:WORD_1
	v_add_f16_e32 v14, v13, v12
	v_lshl_add_u64 v[12:13], v[30:31], 1, v[4:5]
	global_store_short v[12:13], v14, off
	s_or_b64 exec, exec, s[2:3]
	s_and_b64 s[4:5], s[10:11], s[18:19]
	s_and_saveexec_b64 s[2:3], s[4:5]
	s_cbranch_execz .LBB235_161
.LBB235_181:
	s_and_b64 vcc, exec, s[0:1]
	s_cbranch_vccnz .LBB235_183
; %bb.182:
	v_lshl_add_u64 v[12:13], v[32:33], 1, v[20:21]
	flat_load_ushort v12, v[12:13]
	s_waitcnt vmcnt(0) lgkmcnt(0)
	v_mul_f16_e32 v12, s28, v12
	s_branch .LBB235_184
.LBB235_183:
	v_mov_b32_e32 v12, 0
.LBB235_184:
	v_pk_max_f16 v13, v6, v6
	v_pk_max_f16 v8, v8, v8
	;; [unrolled: 1-line block ×3, first 2 shown]
	v_pk_min_f16 v8, v8, v13
	v_pk_max_f16 v13, v7, v7
	v_pk_add_f16 v8, v47, v8
	v_pk_min_f16 v9, v9, v13
	s_nop 0
	v_pk_add_f16 v8, v8, v9
	s_nop 0
	v_add_f16_sdwa v8, v8, v8 dst_sel:DWORD dst_unused:UNUSED_PAD src0_sel:DWORD src1_sel:WORD_1
	v_add_f16_e32 v12, v8, v12
	v_lshl_add_u64 v[8:9], v[32:33], 1, v[4:5]
	global_store_short v[8:9], v12, off
	s_or_b64 exec, exec, s[2:3]
	s_and_b64 s[4:5], s[12:13], s[18:19]
	s_and_saveexec_b64 s[2:3], s[4:5]
	s_cbranch_execz .LBB235_162
.LBB235_185:
	s_and_b64 vcc, exec, s[0:1]
	s_cbranch_vccnz .LBB235_187
; %bb.186:
	v_lshl_add_u64 v[8:9], v[34:35], 1, v[20:21]
	flat_load_ushort v8, v[8:9]
	s_waitcnt vmcnt(0) lgkmcnt(0)
	v_mul_f16_e32 v8, s28, v8
	s_branch .LBB235_188
.LBB235_187:
	v_mov_b32_e32 v8, 0
.LBB235_188:
	v_pk_max_f16 v9, v6, v6
	v_pk_max_f16 v10, v10, v10
	;; [unrolled: 1-line block ×3, first 2 shown]
	v_pk_min_f16 v9, v10, v9
	v_pk_max_f16 v10, v7, v7
	v_pk_add_f16 v9, v46, v9
	v_pk_min_f16 v10, v11, v10
	s_nop 0
	v_pk_add_f16 v9, v9, v10
	s_nop 0
	v_add_f16_sdwa v9, v9, v9 dst_sel:DWORD dst_unused:UNUSED_PAD src0_sel:DWORD src1_sel:WORD_1
	v_add_f16_e32 v10, v9, v8
	v_lshl_add_u64 v[8:9], v[34:35], 1, v[4:5]
	global_store_short v[8:9], v10, off
	s_or_b64 exec, exec, s[2:3]
	s_and_b64 s[4:5], s[14:15], s[18:19]
	s_and_saveexec_b64 s[2:3], s[4:5]
	s_cbranch_execz .LBB235_163
.LBB235_189:
	s_and_b64 vcc, exec, s[0:1]
	s_cbranch_vccnz .LBB235_191
; %bb.190:
	v_lshl_add_u64 v[8:9], v[36:37], 1, v[20:21]
	flat_load_ushort v8, v[8:9]
	s_waitcnt vmcnt(0) lgkmcnt(0)
	v_mul_f16_e32 v8, s28, v8
	s_branch .LBB235_192
.LBB235_191:
	v_mov_b32_e32 v8, 0
.LBB235_192:
	v_pk_max_f16 v9, v6, v6
	v_pk_max_f16 v0, v0, v0
	;; [unrolled: 1-line block ×3, first 2 shown]
	v_pk_min_f16 v0, v0, v9
	v_pk_max_f16 v9, v7, v7
	v_pk_add_f16 v0, v45, v0
	v_pk_min_f16 v1, v1, v9
	s_nop 0
	v_pk_add_f16 v0, v0, v1
	s_nop 0
	v_add_f16_sdwa v0, v0, v0 dst_sel:DWORD dst_unused:UNUSED_PAD src0_sel:DWORD src1_sel:WORD_1
	v_add_f16_e32 v8, v0, v8
	v_lshl_add_u64 v[0:1], v[36:37], 1, v[4:5]
	global_store_short v[0:1], v8, off
	s_or_b64 exec, exec, s[2:3]
	s_and_b64 s[2:3], s[16:17], s[18:19]
	s_and_saveexec_b64 s[4:5], s[2:3]
	s_cbranch_execz .LBB235_164
.LBB235_193:
	s_and_b64 vcc, exec, s[0:1]
	s_cbranch_vccnz .LBB235_195
; %bb.194:
	v_lshl_add_u64 v[0:1], v[38:39], 1, v[20:21]
	flat_load_ushort v0, v[0:1]
	s_waitcnt vmcnt(0) lgkmcnt(0)
	v_mul_f16_e32 v0, s28, v0
	s_branch .LBB235_196
.LBB235_195:
	v_mov_b32_e32 v0, 0
.LBB235_196:
	v_pk_max_f16 v1, v6, v6
	v_pk_max_f16 v2, v2, v2
	;; [unrolled: 1-line block ×3, first 2 shown]
	v_pk_min_f16 v1, v2, v1
	v_pk_max_f16 v2, v7, v7
	v_pk_add_f16 v1, v44, v1
	v_pk_min_f16 v2, v3, v2
	s_nop 0
	v_pk_add_f16 v1, v1, v2
	s_nop 0
	v_add_f16_sdwa v1, v1, v1 dst_sel:DWORD dst_unused:UNUSED_PAD src0_sel:DWORD src1_sel:WORD_1
	v_add_f16_e32 v2, v1, v0
	v_lshl_add_u64 v[0:1], v[38:39], 1, v[4:5]
	global_store_short v[0:1], v2, off
	s_endpgm
	.section	.rodata,"a",@progbits
	.p2align	6, 0x0
	.amdhsa_kernel _ZN12_GLOBAL__N_120geam_min_plus_kernelIDF16_Dv2_DF16_S1_Li8ELi32ELi64ELi128ELi4ELi64ELi4ELi4ELi64ELc78ELc78ELb1ELb1ELb0EDF16_KPKDF16_KPDF16_EEviiiT16_PT17_ilS9_ilS7_S9_ilPT18_ili26rocblas_geam_ex_operation_
		.amdhsa_group_segment_fixed_size 3072
		.amdhsa_private_segment_fixed_size 0
		.amdhsa_kernarg_size 128
		.amdhsa_user_sgpr_count 2
		.amdhsa_user_sgpr_dispatch_ptr 0
		.amdhsa_user_sgpr_queue_ptr 0
		.amdhsa_user_sgpr_kernarg_segment_ptr 1
		.amdhsa_user_sgpr_dispatch_id 0
		.amdhsa_user_sgpr_kernarg_preload_length 0
		.amdhsa_user_sgpr_kernarg_preload_offset 0
		.amdhsa_user_sgpr_private_segment_size 0
		.amdhsa_uses_dynamic_stack 0
		.amdhsa_enable_private_segment 0
		.amdhsa_system_sgpr_workgroup_id_x 1
		.amdhsa_system_sgpr_workgroup_id_y 0
		.amdhsa_system_sgpr_workgroup_id_z 1
		.amdhsa_system_sgpr_workgroup_info 0
		.amdhsa_system_vgpr_workitem_id 1
		.amdhsa_next_free_vgpr 127
		.amdhsa_next_free_sgpr 36
		.amdhsa_accum_offset 128
		.amdhsa_reserve_vcc 1
		.amdhsa_float_round_mode_32 0
		.amdhsa_float_round_mode_16_64 0
		.amdhsa_float_denorm_mode_32 3
		.amdhsa_float_denorm_mode_16_64 3
		.amdhsa_dx10_clamp 1
		.amdhsa_ieee_mode 1
		.amdhsa_fp16_overflow 0
		.amdhsa_tg_split 0
		.amdhsa_exception_fp_ieee_invalid_op 0
		.amdhsa_exception_fp_denorm_src 0
		.amdhsa_exception_fp_ieee_div_zero 0
		.amdhsa_exception_fp_ieee_overflow 0
		.amdhsa_exception_fp_ieee_underflow 0
		.amdhsa_exception_fp_ieee_inexact 0
		.amdhsa_exception_int_div_zero 0
	.end_amdhsa_kernel
	.section	.text._ZN12_GLOBAL__N_120geam_min_plus_kernelIDF16_Dv2_DF16_S1_Li8ELi32ELi64ELi128ELi4ELi64ELi4ELi4ELi64ELc78ELc78ELb1ELb1ELb0EDF16_KPKDF16_KPDF16_EEviiiT16_PT17_ilS9_ilS7_S9_ilPT18_ili26rocblas_geam_ex_operation_,"axG",@progbits,_ZN12_GLOBAL__N_120geam_min_plus_kernelIDF16_Dv2_DF16_S1_Li8ELi32ELi64ELi128ELi4ELi64ELi4ELi4ELi64ELc78ELc78ELb1ELb1ELb0EDF16_KPKDF16_KPDF16_EEviiiT16_PT17_ilS9_ilS7_S9_ilPT18_ili26rocblas_geam_ex_operation_,comdat
.Lfunc_end235:
	.size	_ZN12_GLOBAL__N_120geam_min_plus_kernelIDF16_Dv2_DF16_S1_Li8ELi32ELi64ELi128ELi4ELi64ELi4ELi4ELi64ELc78ELc78ELb1ELb1ELb0EDF16_KPKDF16_KPDF16_EEviiiT16_PT17_ilS9_ilS7_S9_ilPT18_ili26rocblas_geam_ex_operation_, .Lfunc_end235-_ZN12_GLOBAL__N_120geam_min_plus_kernelIDF16_Dv2_DF16_S1_Li8ELi32ELi64ELi128ELi4ELi64ELi4ELi4ELi64ELc78ELc78ELb1ELb1ELb0EDF16_KPKDF16_KPDF16_EEviiiT16_PT17_ilS9_ilS7_S9_ilPT18_ili26rocblas_geam_ex_operation_
                                        ; -- End function
	.section	.AMDGPU.csdata,"",@progbits
; Kernel info:
; codeLenInByte = 11204
; NumSgprs: 42
; NumVgprs: 127
; NumAgprs: 0
; TotalNumVgprs: 127
; ScratchSize: 0
; MemoryBound: 0
; FloatMode: 240
; IeeeMode: 1
; LDSByteSize: 3072 bytes/workgroup (compile time only)
; SGPRBlocks: 5
; VGPRBlocks: 15
; NumSGPRsForWavesPerEU: 42
; NumVGPRsForWavesPerEU: 127
; AccumOffset: 128
; Occupancy: 4
; WaveLimiterHint : 1
; COMPUTE_PGM_RSRC2:SCRATCH_EN: 0
; COMPUTE_PGM_RSRC2:USER_SGPR: 2
; COMPUTE_PGM_RSRC2:TRAP_HANDLER: 0
; COMPUTE_PGM_RSRC2:TGID_X_EN: 1
; COMPUTE_PGM_RSRC2:TGID_Y_EN: 0
; COMPUTE_PGM_RSRC2:TGID_Z_EN: 1
; COMPUTE_PGM_RSRC2:TIDIG_COMP_CNT: 1
; COMPUTE_PGM_RSRC3_GFX90A:ACCUM_OFFSET: 31
; COMPUTE_PGM_RSRC3_GFX90A:TG_SPLIT: 0
	.section	.text._ZN12_GLOBAL__N_120geam_min_plus_kernelIDF16_Dv2_DF16_S1_Li8ELi32ELi64ELi128ELi4ELi64ELi4ELi4ELi64ELc78ELc78ELb0ELb1ELb0EDF16_KPKDF16_KPDF16_EEviiiT16_PT17_ilS9_ilS7_S9_ilPT18_ili26rocblas_geam_ex_operation_,"axG",@progbits,_ZN12_GLOBAL__N_120geam_min_plus_kernelIDF16_Dv2_DF16_S1_Li8ELi32ELi64ELi128ELi4ELi64ELi4ELi4ELi64ELc78ELc78ELb0ELb1ELb0EDF16_KPKDF16_KPDF16_EEviiiT16_PT17_ilS9_ilS7_S9_ilPT18_ili26rocblas_geam_ex_operation_,comdat
	.globl	_ZN12_GLOBAL__N_120geam_min_plus_kernelIDF16_Dv2_DF16_S1_Li8ELi32ELi64ELi128ELi4ELi64ELi4ELi4ELi64ELc78ELc78ELb0ELb1ELb0EDF16_KPKDF16_KPDF16_EEviiiT16_PT17_ilS9_ilS7_S9_ilPT18_ili26rocblas_geam_ex_operation_ ; -- Begin function _ZN12_GLOBAL__N_120geam_min_plus_kernelIDF16_Dv2_DF16_S1_Li8ELi32ELi64ELi128ELi4ELi64ELi4ELi4ELi64ELc78ELc78ELb0ELb1ELb0EDF16_KPKDF16_KPDF16_EEviiiT16_PT17_ilS9_ilS7_S9_ilPT18_ili26rocblas_geam_ex_operation_
	.p2align	8
	.type	_ZN12_GLOBAL__N_120geam_min_plus_kernelIDF16_Dv2_DF16_S1_Li8ELi32ELi64ELi128ELi4ELi64ELi4ELi4ELi64ELc78ELc78ELb0ELb1ELb0EDF16_KPKDF16_KPDF16_EEviiiT16_PT17_ilS9_ilS7_S9_ilPT18_ili26rocblas_geam_ex_operation_,@function
_ZN12_GLOBAL__N_120geam_min_plus_kernelIDF16_Dv2_DF16_S1_Li8ELi32ELi64ELi128ELi4ELi64ELi4ELi4ELi64ELc78ELc78ELb0ELb1ELb0EDF16_KPKDF16_KPDF16_EEviiiT16_PT17_ilS9_ilS7_S9_ilPT18_ili26rocblas_geam_ex_operation_: ; @_ZN12_GLOBAL__N_120geam_min_plus_kernelIDF16_Dv2_DF16_S1_Li8ELi32ELi64ELi128ELi4ELi64ELi4ELi4ELi64ELc78ELc78ELb0ELb1ELb0EDF16_KPKDF16_KPDF16_EEviiiT16_PT17_ilS9_ilS7_S9_ilPT18_ili26rocblas_geam_ex_operation_
; %bb.0:
	s_load_dwordx4 s[20:23], s[0:1], 0x0
	s_load_dwordx4 s[4:7], s[0:1], 0x20
	s_mov_b32 s14, s3
	s_mov_b32 s15, 0
	s_waitcnt lgkmcnt(0)
	v_cmp_eq_f16_e64 s[8:9], s23, 0
	v_cmp_neq_f16_e64 s[10:11], s23, 0
	s_and_b64 vcc, exec, s[8:9]
	s_cbranch_vccnz .LBB236_3
; %bb.1:
	s_load_dwordx2 s[12:13], s[0:1], 0x10
	s_lshl_b64 s[16:17], s[14:15], 3
	s_waitcnt lgkmcnt(0)
	s_add_u32 s12, s12, s16
	s_addc_u32 s13, s13, s17
	s_load_dwordx2 s[12:13], s[12:13], 0x0
	s_lshl_b64 s[4:5], s[4:5], 1
	s_waitcnt lgkmcnt(0)
	s_add_u32 s16, s12, s4
	s_addc_u32 s17, s13, s5
	s_andn2_b64 vcc, exec, s[8:9]
	s_cbranch_vccnz .LBB236_4
.LBB236_2:
	s_mov_b64 s[12:13], 0
	s_cbranch_execz .LBB236_5
	s_branch .LBB236_6
.LBB236_3:
	s_mov_b64 s[16:17], 0
	s_andn2_b64 vcc, exec, s[8:9]
	s_cbranch_vccz .LBB236_2
.LBB236_4:
                                        ; implicit-def: $sgpr12_sgpr13
.LBB236_5:
	s_lshl_b64 s[8:9], s[14:15], 3
	s_add_u32 s6, s6, s8
	s_load_dwordx2 s[4:5], s[0:1], 0x38
	s_addc_u32 s7, s7, s9
	s_load_dwordx2 s[6:7], s[6:7], 0x0
	s_waitcnt lgkmcnt(0)
	s_lshl_b64 s[4:5], s[4:5], 1
	s_add_u32 s12, s6, s4
	s_addc_u32 s13, s7, s5
.LBB236_6:
	s_load_dword s28, s[0:1], 0x40
	s_load_dwordx4 s[4:7], s[0:1], 0x58
	s_waitcnt lgkmcnt(0)
	v_cmp_eq_f16_e64 s[18:19], s28, 0
	v_cmp_neq_f16_e64 s[8:9], s28, 0
	s_and_b64 vcc, exec, s[18:19]
	s_cbranch_vccnz .LBB236_8
; %bb.7:
	s_load_dwordx2 s[18:19], s[0:1], 0x48
	s_lshl_b64 s[24:25], s[14:15], 3
	s_waitcnt lgkmcnt(0)
	s_add_u32 s18, s18, s24
	s_addc_u32 s19, s19, s25
	s_load_dwordx2 s[18:19], s[18:19], 0x0
	s_lshl_b64 s[4:5], s[4:5], 1
	s_waitcnt lgkmcnt(0)
	s_add_u32 s24, s18, s4
	s_addc_u32 s25, s19, s5
	s_branch .LBB236_9
.LBB236_8:
	s_mov_b64 s[24:25], 0
.LBB236_9:
	s_load_dword s18, s[0:1], 0x18
	s_lshl_b64 s[4:5], s[14:15], 3
	v_and_b32_e32 v36, 0x3ff, v0
	v_bfe_u32 v37, v0, 10, 10
	v_lshl_add_u32 v2, v37, 3, v36
	s_waitcnt lgkmcnt(0)
	s_ashr_i32 s19, s18, 31
	s_add_u32 s6, s6, s4
	s_addc_u32 s7, s7, s5
	s_add_i32 s3, s20, -1
	s_ashr_i32 s4, s3, 31
	s_lshr_b32 s4, s4, 26
	s_add_i32 s3, s3, s4
	s_ashr_i32 s3, s3, 6
	s_add_i32 s15, s3, 1
	v_cvt_f32_u32_e32 v1, s15
	s_not_b32 s3, s3
	v_and_b32_e32 v10, 63, v2
	s_load_dwordx2 s[6:7], s[6:7], 0x0
	v_rcp_iflag_f32_e32 v0, v1
	v_lshrrev_b32_e32 v38, 6, v2
	v_cmp_gt_i32_e64 s[4:5], s22, v38
	v_mov_b32_e32 v9, 0
	v_mul_f32_e32 v0, 0x4f7ffffe, v0
	v_cvt_u32_f32_e32 v0, v0
	v_mov_b32_e32 v11, 0
	v_readfirstlane_b32 s14, v0
	s_mul_i32 s3, s3, s14
	s_mul_hi_u32 s3, s14, s3
	s_add_i32 s14, s14, s3
	s_mul_hi_u32 s3, s2, s14
	s_mul_i32 s14, s3, s15
	s_sub_i32 s14, s2, s14
	s_add_i32 s26, s3, 1
	s_sub_i32 s27, s14, s15
	s_cmp_ge_u32 s14, s15
	s_cselect_b32 s3, s26, s3
	s_cselect_b32 s14, s27, s14
	s_add_i32 s26, s3, 1
	s_cmp_ge_u32 s14, s15
	s_cselect_b32 s14, s26, s3
	s_mul_i32 s3, s14, s15
	s_sub_i32 s2, s2, s3
	s_lshl_b32 s29, s2, 6
	v_or_b32_e32 v0, s29, v10
	v_cmp_gt_i32_e32 vcc, s20, v0
	s_and_b64 s[2:3], s[4:5], vcc
	s_and_b64 s[4:5], s[10:11], s[2:3]
	v_ashrrev_i32_e32 v1, 31, v0
	s_and_saveexec_b64 s[2:3], s[4:5]
	s_cbranch_execz .LBB236_11
; %bb.10:
	v_mad_i64_i32 v[4:5], s[4:5], s18, v38, 0
	v_lshl_add_u64 v[4:5], v[4:5], 1, s[16:17]
	v_lshl_add_u64 v[4:5], v[0:1], 1, v[4:5]
	flat_load_ushort v3, v[4:5]
	s_waitcnt vmcnt(0) lgkmcnt(0)
	v_mul_f16_e32 v11, s23, v3
.LBB236_11:
	s_or_b64 exec, exec, s[2:3]
	v_lshrrev_b32_e32 v12, 2, v2
	s_lshl_b32 s30, s14, 7
	s_load_dword s33, s[0:1], 0x30
	v_add_u32_e32 v4, s30, v12
	v_and_b32_e32 v39, 3, v36
	s_add_i32 s31, s22, -1
	v_cmp_le_i32_e64 s[4:5], s21, v4
	s_xor_b64 s[26:27], s[10:11], -1
	v_cmp_le_i32_e64 s[2:3], s22, v39
	v_min_i32_e32 v2, s31, v39
	s_or_b64 s[14:15], s[4:5], s[26:27]
	v_ashrrev_i32_e32 v3, 31, v2
	s_or_b64 s[4:5], s[2:3], s[14:15]
	v_lshl_add_u64 v[2:3], v[2:3], 1, s[12:13]
	s_xor_b64 s[34:35], s[4:5], -1
	s_and_saveexec_b64 s[4:5], s[34:35]
	s_cbranch_execz .LBB236_13
; %bb.12:
	s_waitcnt lgkmcnt(0)
	v_mad_i64_i32 v[6:7], s[34:35], v4, s33, 0
	v_lshl_add_u64 v[6:7], v[6:7], 1, v[2:3]
	flat_load_ushort v5, v[6:7]
	s_waitcnt vmcnt(0) lgkmcnt(0)
	v_mul_f16_e32 v9, s23, v5
.LBB236_13:
	s_or_b64 exec, exec, s[4:5]
	v_add_u32_e32 v5, 64, v4
	v_cmp_le_i32_e64 s[4:5], s21, v5
	s_or_b64 s[4:5], s[4:5], s[26:27]
	s_or_b64 s[2:3], s[2:3], s[4:5]
	s_xor_b64 s[26:27], s[2:3], -1
	v_mov_b32_e32 v6, 0
	v_mov_b32_e32 v13, 0
	s_and_saveexec_b64 s[2:3], s[26:27]
	s_cbranch_execz .LBB236_15
; %bb.14:
	s_waitcnt lgkmcnt(0)
	v_mad_i64_i32 v[14:15], s[26:27], v5, s33, 0
	v_lshl_add_u64 v[2:3], v[14:15], 1, v[2:3]
	flat_load_ushort v2, v[2:3]
	s_waitcnt vmcnt(0) lgkmcnt(0)
	v_mul_f16_e32 v13, s23, v2
.LBB236_15:
	s_or_b64 exec, exec, s[2:3]
	v_add_u32_e32 v2, 4, v38
	v_cmp_gt_i32_e64 s[2:3], s22, v2
	s_and_b64 s[2:3], vcc, s[2:3]
	s_and_b64 s[26:27], s[10:11], s[2:3]
	s_and_saveexec_b64 s[2:3], s[26:27]
	s_cbranch_execz .LBB236_17
; %bb.16:
	v_mad_u64_u32 v[6:7], s[26:27], s18, v2, 0
	v_mov_b32_e32 v8, v7
	v_mad_u64_u32 v[2:3], s[26:27], s19, v2, v[8:9]
	v_mov_b32_e32 v7, v2
	v_lshl_add_u64 v[2:3], v[6:7], 1, s[16:17]
	v_lshl_add_u64 v[2:3], v[0:1], 1, v[2:3]
	flat_load_ushort v2, v[2:3]
	s_waitcnt vmcnt(0) lgkmcnt(0)
	v_mul_f16_e32 v6, s23, v2
.LBB236_17:
	s_or_b64 exec, exec, s[2:3]
	v_or_b32_e32 v2, 4, v39
	v_cmp_le_i32_e64 s[2:3], s22, v2
	v_min_i32_e32 v2, s31, v2
	v_ashrrev_i32_e32 v3, 31, v2
	s_or_b64 s[26:27], s[2:3], s[14:15]
	v_lshl_add_u64 v[2:3], v[2:3], 1, s[12:13]
	s_xor_b64 s[34:35], s[26:27], -1
	v_mov_b32_e32 v7, 0
	v_mov_b32_e32 v8, 0
	s_and_saveexec_b64 s[26:27], s[34:35]
	s_cbranch_execz .LBB236_19
; %bb.18:
	s_waitcnt lgkmcnt(0)
	v_mad_i64_i32 v[14:15], s[34:35], v4, s33, 0
	v_lshl_add_u64 v[14:15], v[14:15], 1, v[2:3]
	flat_load_ushort v8, v[14:15]
	s_waitcnt vmcnt(0) lgkmcnt(0)
	v_mul_f16_e32 v8, s23, v8
.LBB236_19:
	s_or_b64 exec, exec, s[26:27]
	s_or_b64 s[2:3], s[2:3], s[4:5]
	s_xor_b64 s[26:27], s[2:3], -1
	s_and_saveexec_b64 s[2:3], s[26:27]
	s_cbranch_execz .LBB236_21
; %bb.20:
	s_waitcnt lgkmcnt(0)
	v_mad_i64_i32 v[14:15], s[26:27], v5, s33, 0
	v_lshl_add_u64 v[2:3], v[14:15], 1, v[2:3]
	flat_load_ushort v2, v[2:3]
	s_waitcnt vmcnt(0) lgkmcnt(0)
	v_mul_f16_e32 v7, s23, v2
.LBB236_21:
	s_or_b64 exec, exec, s[2:3]
	v_lshlrev_b32_e32 v2, 3, v10
	v_lshlrev_b32_e32 v3, 1, v39
	;; [unrolled: 1-line block ×3, first 2 shown]
	v_lshl_add_u32 v2, v38, 1, v2
	v_lshl_or_b32 v42, v12, 3, v3
	v_lshlrev_b32_e32 v40, 3, v37
	v_add_u32_e32 v43, 0x800, v41
	ds_write_b16 v2, v11 offset:2048
	ds_write_b16 v42, v9
	ds_write_b16 v42, v13 offset:512
	s_waitcnt lgkmcnt(0)
	s_barrier
	ds_read2_b64 v[10:13], v40 offset1:32
	ds_read2_b64 v[14:17], v43 offset0:48 offset1:56
	ds_read2_b64 v[18:21], v40 offset0:64 offset1:96
	ds_read2_b64 v[22:25], v43 offset1:8
	ds_read2_b64 v[26:29], v43 offset0:16 offset1:24
	ds_read2_b64 v[30:33], v43 offset0:32 offset1:40
	s_waitcnt lgkmcnt(5)
	v_pk_max_f16 v3, v10, v10
	s_waitcnt lgkmcnt(4)
	v_pk_max_f16 v9, v16, v16
	v_pk_max_f16 v12, v12, v12
	v_pk_min_f16 v10, v9, v3
	s_waitcnt lgkmcnt(3)
	v_pk_max_f16 v18, v18, v18
	s_waitcnt lgkmcnt(2)
	v_pk_max_f16 v22, v22, v22
	v_pk_max_f16 v20, v20, v20
	v_pk_max_f16 v24, v24, v24
	s_waitcnt lgkmcnt(1)
	v_pk_max_f16 v26, v26, v26
	v_pk_max_f16 v28, v28, v28
	;; [unrolled: 4-line block ×3, first 2 shown]
	v_pk_max_f16 v14, v14, v14
	v_pk_max_f16 v17, v17, v17
	v_pk_min_f16 v16, v9, v12
	v_pk_min_f16 v34, v22, v3
	;; [unrolled: 1-line block ×17, first 2 shown]
	v_pk_max_f16 v13, v13, v13
	v_pk_min_f16 v56, v30, v3
	v_pk_min_f16 v57, v30, v12
	;; [unrolled: 1-line block ×14, first 2 shown]
	v_pk_add_f16 v10, v10, 0
	v_pk_min_f16 v20, v17, v11
	v_pk_max_f16 v19, v19, v19
	v_pk_add_f16 v68, v10, v20
	v_pk_add_f16 v10, v16, 0
	v_pk_min_f16 v16, v17, v13
	v_pk_max_f16 v23, v23, v23
	v_pk_add_f16 v60, v10, v16
	;; [unrolled: 4-line block ×5, first 2 shown]
	v_pk_add_f16 v10, v44, 0
	v_pk_min_f16 v16, v23, v19
	v_pk_add_f16 v20, v49, 0
	v_pk_add_f16 v59, v10, v16
	;; [unrolled: 1-line block ×3, first 2 shown]
	v_pk_min_f16 v16, v23, v21
	v_pk_add_f16 v22, v50, 0
	v_pk_add_f16 v51, v10, v16
	;; [unrolled: 1-line block ×3, first 2 shown]
	v_pk_min_f16 v16, v25, v11
	v_pk_max_f16 v29, v29, v29
	v_pk_add_f16 v75, v10, v16
	v_pk_add_f16 v10, v46, 0
	v_pk_min_f16 v16, v25, v13
	v_pk_add_f16 v23, v26, 0
	v_pk_add_f16 v66, v10, v16
	;; [unrolled: 1-line block ×3, first 2 shown]
	v_pk_min_f16 v16, v25, v19
	v_pk_min_f16 v25, v25, v21
	v_pk_add_f16 v58, v10, v16
	v_pk_add_f16 v10, v24, 0
	;; [unrolled: 1-line block ×4, first 2 shown]
	v_pk_min_f16 v10, v27, v11
	v_pk_add_f16 v44, v57, 0
	v_pk_add_f16 v74, v16, v10
	v_pk_min_f16 v10, v27, v13
	v_pk_add_f16 v24, v53, 0
	v_pk_add_f16 v65, v20, v10
	;; [unrolled: 3-line block ×8, first 2 shown]
	v_pk_max_f16 v10, v31, v31
	v_pk_add_f16 v53, v63, 0
	v_pk_min_f16 v16, v10, v11
	v_pk_add_f16 v45, v61, 0
	v_pk_add_f16 v72, v35, v16
	v_pk_min_f16 v16, v10, v13
	v_pk_add_f16 v46, v62, 0
	v_pk_add_f16 v63, v44, v16
	v_pk_min_f16 v16, v10, v19
	v_pk_min_f16 v10, v10, v21
	v_pk_add_f16 v55, v45, v16
	v_pk_add_f16 v47, v30, v10
	v_pk_max_f16 v10, v33, v33
	v_pk_add_f16 v32, v32, 0
	v_pk_min_f16 v16, v10, v11
	v_pk_add_f16 v3, v3, 0
	v_pk_add_f16 v71, v46, v16
	v_pk_min_f16 v16, v10, v13
	v_pk_add_f16 v12, v12, 0
	v_pk_add_f16 v62, v53, v16
	v_pk_min_f16 v16, v10, v19
	v_pk_min_f16 v10, v10, v21
	v_pk_add_f16 v18, v18, 0
	v_pk_add_f16 v46, v32, v10
	v_pk_max_f16 v10, v15, v15
	v_pk_add_f16 v14, v14, 0
	v_pk_min_f16 v11, v10, v11
	v_pk_add_f16 v9, v9, 0
	v_pk_add_f16 v70, v3, v11
	v_pk_min_f16 v3, v10, v13
	s_mov_b32 s26, 0
	v_pk_add_f16 v61, v12, v3
	v_pk_min_f16 v3, v10, v19
	v_pk_add_f16 v54, v54, v16
	v_pk_add_f16 v53, v18, v3
	v_pk_min_f16 v3, v10, v21
	s_cmp_lt_i32 s22, 9
	v_pk_add_f16 v45, v14, v3
	v_pk_min_f16 v3, v17, v21
	ds_write_b16 v2, v6 offset:2560
	ds_write_b16 v42, v8 offset:1024
	;; [unrolled: 1-line block ×3, first 2 shown]
	v_pk_add_f16 v44, v9, v3
	s_waitcnt lgkmcnt(0)
	s_barrier
	s_cbranch_scc1 .LBB236_36
; %bb.22:
	v_lshl_add_u64 v[24:25], v[0:1], 1, s[16:17]
	v_mov_b32_e32 v0, 0xa00
	v_lshl_add_u32 v79, v36, 3, v0
	v_add_u32_e32 v0, v40, v36
	v_or_b32_e32 v69, 0x800, v2
	v_add_u32_e32 v77, 0xa00, v2
	v_lshrrev_b32_e32 v2, 6, v0
	v_add_u32_e32 v0, 12, v2
	v_mad_i64_i32 v[0:1], s[2:3], v0, s18, 0
	v_lshlrev_b64 v[30:31], 1, v[0:1]
	v_add_u32_e32 v0, 8, v2
	v_mad_i64_i32 v[0:1], s[2:3], v0, s18, 0
	v_add_u32_e32 v78, 0x400, v42
	s_add_i32 s27, s22, -8
	v_mad_i64_i32 v[26:27], s[2:3], v4, s33, 0
	v_mad_i64_i32 v[28:29], s[2:3], v5, s33, 0
	v_add_u32_e32 v80, 0x400, v40
	s_lshl_b64 s[16:17], s[18:19], 4
	v_lshlrev_b64 v[32:33], 1, v[0:1]
	s_branch .LBB236_24
.LBB236_23:                             ;   in Loop: Header=BB236_24 Depth=1
	s_or_b64 exec, exec, s[2:3]
	v_pk_add_f16 v20, v60, v20
	v_pk_add_f16 v12, v52, v12
	;; [unrolled: 1-line block ×19, first 2 shown]
	ds_read2_b64 v[6:9], v43 offset0:48 offset1:56
	ds_read2_b64 v[10:13], v40 offset1:32
	v_pk_add_f16 v2, v68, v2
	v_pk_add_f16 v22, v67, v22
	;; [unrolled: 1-line block ×5, first 2 shown]
	s_waitcnt lgkmcnt(1)
	v_pk_max_f16 v8, v8, v8
	s_waitcnt lgkmcnt(0)
	v_pk_max_f16 v10, v10, v10
	v_pk_add_f16 v16, v76, v16
	v_pk_add_f16 v60, v62, v97
	;; [unrolled: 1-line block ×9, first 2 shown]
	ds_read2_b64 v[0:3], v40 offset0:64 offset1:96
	v_pk_min_f16 v14, v8, v10
	v_pk_add_f16 v59, v63, v94
	v_pk_add_f16 v63, v16, v17
	;; [unrolled: 1-line block ×4, first 2 shown]
	ds_read2_b64 v[14:17], v43 offset1:8
	v_pk_max_f16 v12, v12, v12
	s_waitcnt lgkmcnt(1)
	v_pk_max_f16 v0, v0, v0
	v_pk_min_f16 v62, v8, v12
	v_pk_max_f16 v2, v2, v2
	v_pk_add_f16 v62, v20, v62
	v_pk_min_f16 v20, v8, v0
	s_waitcnt lgkmcnt(0)
	v_pk_max_f16 v14, v14, v14
	v_pk_add_f16 v67, v21, v20
	v_pk_min_f16 v20, v14, v10
	v_pk_max_f16 v16, v16, v16
	v_pk_add_f16 v63, v63, v20
	v_pk_min_f16 v20, v14, v12
	v_pk_add_f16 v50, v50, v87
	v_pk_add_f16 v22, v22, v20
	v_pk_min_f16 v20, v14, v0
	v_pk_min_f16 v14, v14, v2
	v_pk_add_f16 v23, v23, v20
	v_pk_min_f16 v20, v16, v10
	v_pk_add_f16 v14, v34, v14
	v_pk_add_f16 v34, v18, v20
	v_pk_min_f16 v18, v16, v12
	v_pk_add_f16 v50, v50, v107
	v_pk_add_f16 v70, v19, v18
	ds_read2_b64 v[18:21], v43 offset0:16 offset1:24
	v_pk_min_f16 v68, v16, v0
	v_pk_min_f16 v16, v16, v2
	v_pk_add_f16 v49, v49, v90
	v_pk_add_f16 v16, v50, v16
	s_waitcnt lgkmcnt(0)
	v_pk_max_f16 v18, v18, v18
	v_pk_add_f16 v52, v52, v108
	v_pk_min_f16 v50, v18, v10
	ds_read2_b64 v[84:87], v43 offset0:32 offset1:40
	v_pk_add_f16 v71, v51, v50
	v_pk_min_f16 v50, v18, v12
	v_pk_add_f16 v4, v72, v4
	v_pk_add_f16 v49, v49, v110
	;; [unrolled: 1-line block ×3, first 2 shown]
	v_pk_min_f16 v50, v18, v0
	v_pk_min_f16 v18, v18, v2
	v_pk_max_f16 v20, v20, v20
	v_pk_add_f16 v18, v49, v18
	v_pk_min_f16 v49, v20, v10
	v_pk_add_f16 v48, v48, v93
	v_pk_add_f16 v58, v58, v111
	;; [unrolled: 1-line block ×3, first 2 shown]
	v_pk_min_f16 v49, v20, v12
	v_pk_add_f16 v56, v56, v92
	v_pk_add_f16 v48, v48, v113
	;; [unrolled: 1-line block ×3, first 2 shown]
	v_pk_min_f16 v49, v20, v0
	v_pk_min_f16 v20, v20, v2
	v_pk_add_f16 v56, v56, v112
	v_pk_add_f16 v20, v48, v20
	s_waitcnt lgkmcnt(0)
	v_pk_max_f16 v48, v84, v84
	v_pk_add_f16 v4, v4, v114
	v_pk_add_f16 v56, v56, v49
	v_pk_min_f16 v49, v48, v10
	v_pk_add_f16 v47, v47, v96
	v_pk_add_f16 v59, v59, v115
	v_pk_add_f16 v4, v4, v49
	v_pk_min_f16 v49, v48, v12
	v_pk_add_f16 v55, v55, v95
	v_pk_add_f16 v47, v47, v117
	;; [unrolled: 1-line block ×3, first 2 shown]
	v_pk_min_f16 v49, v48, v0
	v_pk_min_f16 v48, v48, v2
	v_pk_add_f16 v55, v55, v116
	v_pk_add_f16 v47, v47, v48
	v_pk_max_f16 v48, v86, v86
	v_pk_add_f16 v55, v55, v49
	v_pk_min_f16 v49, v48, v10
	v_pk_add_f16 v60, v60, v118
	v_pk_add_f16 v86, v65, v49
	v_pk_min_f16 v49, v48, v12
	v_pk_max_f16 v6, v6, v6
	v_pk_add_f16 v57, v57, v89
	v_pk_add_f16 v89, v60, v49
	v_pk_min_f16 v49, v48, v0
	v_pk_min_f16 v48, v48, v2
	;; [unrolled: 1-line block ×7, first 2 shown]
	v_pk_max_f16 v8, v11, v11
	v_pk_add_f16 v2, v5, v2
	v_pk_max_f16 v5, v9, v9
	v_pk_add_f16 v35, v35, v68
	v_pk_min_f16 v9, v5, v8
	v_pk_max_f16 v1, v1, v1
	v_pk_add_f16 v68, v44, v9
	v_pk_max_f16 v9, v13, v13
	v_pk_max_f16 v3, v3, v3
	v_pk_min_f16 v11, v5, v9
	v_pk_add_f16 v57, v57, v109
	v_pk_add_f16 v60, v62, v11
	v_pk_min_f16 v11, v5, v1
	v_pk_add_f16 v10, v66, v10
	v_pk_add_f16 v52, v67, v11
	v_pk_max_f16 v11, v15, v15
	v_pk_add_f16 v57, v57, v50
	v_pk_min_f16 v13, v11, v8
	v_pk_add_f16 v54, v54, v98
	v_pk_add_f16 v76, v63, v13
	v_pk_min_f16 v13, v11, v9
	v_pk_add_f16 v54, v54, v119
	v_pk_add_f16 v67, v22, v13
	v_pk_min_f16 v13, v11, v1
	v_pk_min_f16 v11, v11, v3
	v_pk_add_f16 v59, v23, v13
	v_pk_add_f16 v51, v14, v11
	v_pk_max_f16 v11, v17, v17
	v_pk_add_f16 v54, v54, v49
	v_pk_min_f16 v13, v11, v8
	v_pk_add_f16 v46, v46, v99
	v_pk_add_f16 v75, v34, v13
	v_pk_min_f16 v13, v11, v9
	v_pk_add_f16 v46, v46, v120
	v_pk_add_f16 v66, v70, v13
	v_pk_min_f16 v13, v11, v1
	;; [unrolled: 12-line block ×4, first 2 shown]
	v_pk_min_f16 v11, v11, v3
	v_pk_add_f16 v56, v56, v13
	v_pk_add_f16 v48, v20, v11
	v_pk_max_f16 v11, v85, v85
	v_pk_add_f16 v6, v45, v6
	v_pk_min_f16 v13, v11, v8
	v_pk_add_f16 v12, v61, v12
	v_pk_add_f16 v72, v4, v13
	v_pk_min_f16 v4, v11, v9
	s_add_i32 s26, s26, 8
	v_pk_add_f16 v63, v84, v4
	v_pk_min_f16 v4, v11, v1
	s_cmp_ge_i32 s26, s27
	v_pk_add_f16 v55, v55, v4
	v_pk_min_f16 v4, v11, v3
	v_lshl_add_u64 v[24:25], v[24:25], 0, s[16:17]
	v_pk_add_f16 v47, v47, v4
	v_pk_max_f16 v4, v87, v87
	ds_write_b16 v77, v81
	ds_write_b16 v78, v83
	ds_write_b16 v78, v82 offset:512
	v_pk_min_f16 v11, v4, v8
	s_waitcnt lgkmcnt(0)
	v_pk_add_f16 v71, v86, v11
	v_pk_min_f16 v11, v4, v9
	s_barrier
	v_pk_add_f16 v62, v89, v11
	v_pk_min_f16 v11, v4, v1
	v_pk_min_f16 v4, v4, v3
	v_pk_add_f16 v54, v54, v11
	v_pk_add_f16 v46, v46, v4
	v_pk_max_f16 v4, v7, v7
	s_nop 0
	v_pk_min_f16 v1, v4, v1
	v_pk_min_f16 v7, v4, v8
	v_pk_add_f16 v53, v0, v1
	v_pk_min_f16 v0, v4, v3
	v_pk_add_f16 v70, v10, v7
	;; [unrolled: 2-line block ×4, first 2 shown]
	v_pk_add_f16 v44, v2, v0
	s_cbranch_scc1 .LBB236_36
.LBB236_24:                             ; =>This Inner Loop Header: Depth=1
	v_add_u32_e32 v34, s26, v38
	v_add_u32_e32 v0, 8, v34
	v_cmp_gt_i32_e64 s[2:3], s22, v0
	s_and_b64 s[2:3], vcc, s[2:3]
	s_and_b64 s[18:19], s[10:11], s[2:3]
	v_mov_b32_e32 v82, 0
	v_mov_b32_e32 v83, 0
	s_and_saveexec_b64 s[2:3], s[18:19]
	s_cbranch_execz .LBB236_26
; %bb.25:                               ;   in Loop: Header=BB236_24 Depth=1
	v_lshl_add_u64 v[0:1], v[24:25], 0, v[32:33]
	flat_load_ushort v0, v[0:1]
	s_waitcnt vmcnt(0) lgkmcnt(0)
	v_mul_f16_e32 v83, s23, v0
.LBB236_26:                             ;   in Loop: Header=BB236_24 Depth=1
	s_or_b64 exec, exec, s[2:3]
	v_add_u32_e32 v35, s26, v39
	v_add_u32_e32 v0, 8, v35
	v_cmp_le_i32_e64 s[2:3], s22, v0
	v_min_i32_e32 v0, s31, v0
	v_ashrrev_i32_e32 v1, 31, v0
	s_or_b64 s[18:19], s[14:15], s[2:3]
	v_lshl_add_u64 v[0:1], v[0:1], 1, s[12:13]
	s_xor_b64 s[34:35], s[18:19], -1
	s_and_saveexec_b64 s[18:19], s[34:35]
	s_cbranch_execz .LBB236_28
; %bb.27:                               ;   in Loop: Header=BB236_24 Depth=1
	v_lshl_add_u64 v[2:3], v[26:27], 1, v[0:1]
	flat_load_ushort v2, v[2:3]
	s_waitcnt vmcnt(0) lgkmcnt(0)
	v_mul_f16_e32 v82, s23, v2
.LBB236_28:                             ;   in Loop: Header=BB236_24 Depth=1
	s_or_b64 exec, exec, s[18:19]
	s_or_b64 s[2:3], s[4:5], s[2:3]
	s_xor_b64 s[18:19], s[2:3], -1
	v_mov_b32_e32 v81, 0
	v_mov_b32_e32 v84, 0
	s_and_saveexec_b64 s[2:3], s[18:19]
	s_cbranch_execz .LBB236_30
; %bb.29:                               ;   in Loop: Header=BB236_24 Depth=1
	v_lshl_add_u64 v[0:1], v[28:29], 1, v[0:1]
	flat_load_ushort v0, v[0:1]
	s_waitcnt vmcnt(0) lgkmcnt(0)
	v_mul_f16_e32 v84, s23, v0
.LBB236_30:                             ;   in Loop: Header=BB236_24 Depth=1
	s_or_b64 exec, exec, s[2:3]
	ds_read2_b64 v[0:3], v79 offset0:48 offset1:56
	ds_read2_b64 v[12:15], v80 offset0:64 offset1:96
	ds_read2_b64 v[20:23], v80 offset1:32
	ds_read2_b64 v[16:19], v79 offset1:8
	ds_read2_b64 v[8:11], v79 offset0:16 offset1:24
	ds_read2_b64 v[4:7], v79 offset0:32 offset1:40
	v_add_u32_e32 v34, 12, v34
	v_cmp_gt_i32_e64 s[2:3], s22, v34
	s_and_b64 s[2:3], vcc, s[2:3]
	s_and_b64 s[18:19], s[10:11], s[2:3]
	ds_write_b16 v69, v83
	ds_write_b16 v42, v82
	ds_write_b16 v42, v84 offset:512
	s_waitcnt lgkmcnt(0)
	s_barrier
	s_and_saveexec_b64 s[2:3], s[18:19]
	s_cbranch_execz .LBB236_32
; %bb.31:                               ;   in Loop: Header=BB236_24 Depth=1
	v_lshl_add_u64 v[82:83], v[24:25], 0, v[30:31]
	flat_load_ushort v34, v[82:83]
	s_waitcnt vmcnt(0) lgkmcnt(0)
	v_mul_f16_e32 v81, s23, v34
.LBB236_32:                             ;   in Loop: Header=BB236_24 Depth=1
	s_or_b64 exec, exec, s[2:3]
	v_add_u32_e32 v34, 12, v35
	v_cmp_le_i32_e64 s[2:3], s22, v34
	v_min_i32_e32 v34, s31, v34
	v_ashrrev_i32_e32 v35, 31, v34
	s_or_b64 s[18:19], s[14:15], s[2:3]
	v_lshl_add_u64 v[34:35], v[34:35], 1, s[12:13]
	s_xor_b64 s[34:35], s[18:19], -1
	v_mov_b32_e32 v82, 0
	v_mov_b32_e32 v83, 0
	s_and_saveexec_b64 s[18:19], s[34:35]
	s_cbranch_execz .LBB236_34
; %bb.33:                               ;   in Loop: Header=BB236_24 Depth=1
	v_lshl_add_u64 v[84:85], v[26:27], 1, v[34:35]
	flat_load_ushort v83, v[84:85]
	s_waitcnt vmcnt(0) lgkmcnt(0)
	v_mul_f16_e32 v83, s23, v83
.LBB236_34:                             ;   in Loop: Header=BB236_24 Depth=1
	s_or_b64 exec, exec, s[18:19]
	v_pk_max_f16 v103, v2, v2
	v_pk_max_f16 v100, v20, v20
	;; [unrolled: 1-line block ×17, first 2 shown]
	v_pk_min_f16 v2, v103, v100
	v_pk_min_f16 v20, v103, v101
	;; [unrolled: 1-line block ×26, first 2 shown]
	v_pk_max_f16 v124, v3, v3
	v_pk_max_f16 v105, v17, v17
	;; [unrolled: 1-line block ×5, first 2 shown]
	v_pk_min_f16 v114, v5, v121
	v_pk_min_f16 v115, v5, v122
	;; [unrolled: 1-line block ×4, first 2 shown]
	v_pk_max_f16 v5, v7, v7
	v_pk_max_f16 v1, v1, v1
	s_or_b64 s[2:3], s[4:5], s[2:3]
	v_pk_min_f16 v87, v87, v104
	v_pk_min_f16 v90, v90, v104
	;; [unrolled: 1-line block ×34, first 2 shown]
	s_xor_b64 s[18:19], s[2:3], -1
	s_and_saveexec_b64 s[2:3], s[18:19]
	s_cbranch_execz .LBB236_23
; %bb.35:                               ;   in Loop: Header=BB236_24 Depth=1
	v_lshl_add_u64 v[34:35], v[28:29], 1, v[34:35]
	flat_load_ushort v34, v[34:35]
	s_waitcnt vmcnt(0) lgkmcnt(0)
	v_mul_f16_e32 v82, s23, v34
	s_branch .LBB236_23
.LBB236_36:
	s_load_dwordx2 s[2:3], s[0:1], 0x70
	s_load_dword s33, s[0:1], 0x50
	s_load_dword s31, s[0:1], 0x68
	v_add_u32_e32 v8, 0x800, v41
	ds_read2_b64 v[0:3], v8 offset0:112 offset1:120
	ds_read2_b64 v[4:7], v40 offset0:192 offset1:224
	;; [unrolled: 1-line block ×6, first 2 shown]
	s_waitcnt lgkmcnt(0)
	s_lshl_b64 s[0:1], s[2:3], 1
	s_add_u32 s22, s6, s0
	v_add_u32_e32 v69, s30, v37
	s_addc_u32 s23, s7, s1
	v_mad_i64_i32 v[26:27], s[0:1], v69, s33, 0
	v_add_u32_e32 v24, s29, v36
	v_lshl_add_u64 v[42:43], v[26:27], 1, s[24:25]
	v_mad_i64_i32 v[26:27], s[0:1], v69, s31, 0
	v_cmp_gt_i32_e64 s[18:19], s21, v69
	v_lshl_add_u64 v[40:41], v[26:27], 1, s[22:23]
	v_cmp_gt_i32_e64 s[2:3], s20, v24
	v_cndmask_b32_e64 v26, 0, 1, s[8:9]
	s_and_b64 s[6:7], s[2:3], s[18:19]
	v_ashrrev_i32_e32 v25, 31, v24
	v_cmp_ne_u32_e64 s[0:1], 1, v26
	s_and_saveexec_b64 s[4:5], s[6:7]
	s_cbranch_execz .LBB236_41
; %bb.37:
	s_and_b64 vcc, exec, s[0:1]
	s_cbranch_vccnz .LBB236_39
; %bb.38:
	v_lshl_add_u64 v[26:27], v[24:25], 1, v[42:43]
	flat_load_ushort v26, v[26:27]
	s_waitcnt vmcnt(0) lgkmcnt(0)
	v_mul_f16_e32 v26, s28, v26
	s_branch .LBB236_40
.LBB236_39:
	v_mov_b32_e32 v26, 0
.LBB236_40:
	v_pk_max_f16 v27, v20, v20
	v_pk_max_f16 v28, v16, v16
	v_pk_max_f16 v29, v17, v17
	v_pk_min_f16 v27, v28, v27
	v_pk_max_f16 v28, v21, v21
	v_pk_add_f16 v27, v76, v27
	v_pk_min_f16 v28, v29, v28
	s_nop 0
	v_pk_add_f16 v27, v27, v28
	s_nop 0
	v_add_f16_sdwa v27, v27, v27 dst_sel:DWORD dst_unused:UNUSED_PAD src0_sel:DWORD src1_sel:WORD_1
	v_add_f16_e32 v28, v27, v26
	v_lshl_add_u64 v[26:27], v[24:25], 1, v[40:41]
	global_store_short v[26:27], v28, off
.LBB236_41:
	s_or_b64 exec, exec, s[4:5]
	v_add_u32_e32 v26, 8, v24
	v_cmp_gt_i32_e64 s[4:5], s20, v26
	s_and_b64 s[8:9], s[4:5], s[18:19]
	v_ashrrev_i32_e32 v27, 31, v26
	s_and_saveexec_b64 s[6:7], s[8:9]
	s_cbranch_execz .LBB236_46
; %bb.42:
	s_and_b64 vcc, exec, s[0:1]
	s_cbranch_vccnz .LBB236_44
; %bb.43:
	v_lshl_add_u64 v[28:29], v[26:27], 1, v[42:43]
	flat_load_ushort v28, v[28:29]
	s_waitcnt vmcnt(0) lgkmcnt(0)
	v_mul_f16_e32 v28, s28, v28
	s_branch .LBB236_45
.LBB236_44:
	v_mov_b32_e32 v28, 0
.LBB236_45:
	v_pk_max_f16 v29, v20, v20
	v_pk_max_f16 v30, v18, v18
	v_pk_max_f16 v31, v19, v19
	v_pk_min_f16 v29, v30, v29
	v_pk_max_f16 v30, v21, v21
	v_pk_add_f16 v29, v75, v29
	v_pk_min_f16 v30, v31, v30
	s_nop 0
	v_pk_add_f16 v29, v29, v30
	s_nop 0
	v_add_f16_sdwa v29, v29, v29 dst_sel:DWORD dst_unused:UNUSED_PAD src0_sel:DWORD src1_sel:WORD_1
	v_add_f16_e32 v30, v29, v28
	v_lshl_add_u64 v[28:29], v[26:27], 1, v[40:41]
	global_store_short v[28:29], v30, off
.LBB236_46:
	s_or_b64 exec, exec, s[6:7]
	v_add_u32_e32 v28, 16, v24
	v_cmp_gt_i32_e64 s[6:7], s20, v28
	s_and_b64 s[10:11], s[6:7], s[18:19]
	v_ashrrev_i32_e32 v29, 31, v28
	;; [unrolled: 34-line block ×6, first 2 shown]
	s_and_saveexec_b64 s[16:17], s[26:27]
	s_cbranch_execz .LBB236_71
; %bb.67:
	s_and_b64 vcc, exec, s[0:1]
	s_cbranch_vccnz .LBB236_69
; %bb.68:
	v_lshl_add_u64 v[38:39], v[36:37], 1, v[42:43]
	flat_load_ushort v38, v[38:39]
	s_waitcnt vmcnt(0) lgkmcnt(0)
	v_mul_f16_e32 v38, s28, v38
	s_branch .LBB236_70
.LBB236_69:
	v_mov_b32_e32 v38, 0
.LBB236_70:
	v_pk_max_f16 v39, v20, v20
	v_pk_max_f16 v71, v0, v0
	s_nop 0
	v_pk_min_f16 v39, v71, v39
	v_pk_max_f16 v71, v1, v1
	v_pk_add_f16 v39, v70, v39
	v_pk_max_f16 v70, v21, v21
	s_nop 0
	v_pk_min_f16 v70, v71, v70
	s_nop 0
	v_pk_add_f16 v39, v39, v70
	s_nop 0
	v_add_f16_sdwa v39, v39, v39 dst_sel:DWORD dst_unused:UNUSED_PAD src0_sel:DWORD src1_sel:WORD_1
	v_add_f16_e32 v70, v39, v38
	v_lshl_add_u64 v[38:39], v[36:37], 1, v[40:41]
	global_store_short v[38:39], v70, off
.LBB236_71:
	s_or_b64 exec, exec, s[16:17]
	v_add_u32_e32 v38, 56, v24
	v_cmp_gt_i32_e64 s[16:17], s20, v38
	s_and_b64 s[26:27], s[16:17], s[18:19]
	v_ashrrev_i32_e32 v39, 31, v38
	s_and_saveexec_b64 s[18:19], s[26:27]
	s_cbranch_execz .LBB236_76
; %bb.72:
	s_and_b64 vcc, exec, s[0:1]
	s_cbranch_vccnz .LBB236_74
; %bb.73:
	v_lshl_add_u64 v[42:43], v[38:39], 1, v[42:43]
	flat_load_ushort v42, v[42:43]
	s_waitcnt vmcnt(0) lgkmcnt(0)
	v_mul_f16_e32 v42, s28, v42
	s_branch .LBB236_75
.LBB236_74:
	v_mov_b32_e32 v42, 0
.LBB236_75:
	v_pk_max_f16 v20, v20, v20
	v_pk_max_f16 v43, v2, v2
	;; [unrolled: 1-line block ×3, first 2 shown]
	v_pk_min_f16 v20, v43, v20
	v_pk_max_f16 v43, v3, v3
	v_pk_add_f16 v20, v68, v20
	v_pk_min_f16 v21, v43, v21
	s_nop 0
	v_pk_add_f16 v20, v20, v21
	s_nop 0
	v_add_f16_sdwa v20, v20, v20 dst_sel:DWORD dst_unused:UNUSED_PAD src0_sel:DWORD src1_sel:WORD_1
	v_add_f16_e32 v42, v20, v42
	v_lshl_add_u64 v[20:21], v[38:39], 1, v[40:41]
	global_store_short v[20:21], v42, off
.LBB236_76:
	s_or_b64 exec, exec, s[18:19]
	v_add_u32_e32 v42, 32, v69
	v_mad_i64_i32 v[20:21], s[26:27], v42, s33, 0
	v_cmp_gt_i32_e64 s[18:19], s21, v42
	v_lshl_add_u64 v[40:41], v[20:21], 1, s[24:25]
	v_mad_i64_i32 v[20:21], s[26:27], v42, s31, 0
	v_lshl_add_u64 v[20:21], v[20:21], 1, s[22:23]
	s_and_b64 s[34:35], s[2:3], s[18:19]
	s_and_saveexec_b64 s[26:27], s[34:35]
	s_cbranch_execnz .LBB236_84
; %bb.77:
	s_or_b64 exec, exec, s[26:27]
	s_and_b64 s[34:35], s[4:5], s[18:19]
	s_and_saveexec_b64 s[26:27], s[34:35]
	s_cbranch_execnz .LBB236_88
.LBB236_78:
	s_or_b64 exec, exec, s[26:27]
	s_and_b64 s[34:35], s[6:7], s[18:19]
	s_and_saveexec_b64 s[26:27], s[34:35]
	s_cbranch_execnz .LBB236_92
.LBB236_79:
	s_or_b64 exec, exec, s[26:27]
	s_and_b64 s[34:35], s[8:9], s[18:19]
	s_and_saveexec_b64 s[26:27], s[34:35]
	s_cbranch_execnz .LBB236_96
.LBB236_80:
	s_or_b64 exec, exec, s[26:27]
	s_and_b64 s[34:35], s[10:11], s[18:19]
	s_and_saveexec_b64 s[26:27], s[34:35]
	s_cbranch_execnz .LBB236_100
.LBB236_81:
	s_or_b64 exec, exec, s[26:27]
	s_and_b64 s[34:35], s[12:13], s[18:19]
	s_and_saveexec_b64 s[26:27], s[34:35]
	s_cbranch_execnz .LBB236_104
.LBB236_82:
	s_or_b64 exec, exec, s[26:27]
	s_and_b64 s[34:35], s[14:15], s[18:19]
	s_and_saveexec_b64 s[26:27], s[34:35]
	s_cbranch_execnz .LBB236_108
.LBB236_83:
	s_or_b64 exec, exec, s[26:27]
	s_and_b64 s[26:27], s[16:17], s[18:19]
	s_and_saveexec_b64 s[18:19], s[26:27]
	s_cbranch_execnz .LBB236_112
	s_branch .LBB236_116
.LBB236_84:
	s_and_b64 vcc, exec, s[0:1]
	s_cbranch_vccnz .LBB236_86
; %bb.85:
	v_lshl_add_u64 v[42:43], v[24:25], 1, v[40:41]
	flat_load_ushort v42, v[42:43]
	s_waitcnt vmcnt(0) lgkmcnt(0)
	v_mul_f16_e32 v42, s28, v42
	s_branch .LBB236_87
.LBB236_86:
	v_mov_b32_e32 v42, 0
.LBB236_87:
	v_pk_max_f16 v43, v22, v22
	v_pk_max_f16 v68, v16, v16
	s_nop 0
	v_pk_min_f16 v43, v68, v43
	v_pk_max_f16 v68, v17, v17
	v_pk_add_f16 v43, v67, v43
	v_pk_max_f16 v67, v23, v23
	s_nop 0
	v_pk_min_f16 v67, v68, v67
	s_nop 0
	v_pk_add_f16 v43, v43, v67
	s_nop 0
	v_add_f16_sdwa v43, v43, v43 dst_sel:DWORD dst_unused:UNUSED_PAD src0_sel:DWORD src1_sel:WORD_1
	v_add_f16_e32 v67, v43, v42
	v_lshl_add_u64 v[42:43], v[24:25], 1, v[20:21]
	global_store_short v[42:43], v67, off
	s_or_b64 exec, exec, s[26:27]
	s_and_b64 s[34:35], s[4:5], s[18:19]
	s_and_saveexec_b64 s[26:27], s[34:35]
	s_cbranch_execz .LBB236_78
.LBB236_88:
	s_and_b64 vcc, exec, s[0:1]
	s_cbranch_vccnz .LBB236_90
; %bb.89:
	v_lshl_add_u64 v[42:43], v[26:27], 1, v[40:41]
	flat_load_ushort v42, v[42:43]
	s_waitcnt vmcnt(0) lgkmcnt(0)
	v_mul_f16_e32 v42, s28, v42
	s_branch .LBB236_91
.LBB236_90:
	v_mov_b32_e32 v42, 0
.LBB236_91:
	v_pk_max_f16 v43, v22, v22
	v_pk_max_f16 v67, v18, v18
	s_nop 0
	v_pk_min_f16 v43, v67, v43
	v_pk_max_f16 v67, v19, v19
	v_pk_add_f16 v43, v66, v43
	v_pk_max_f16 v66, v23, v23
	s_nop 0
	v_pk_min_f16 v66, v67, v66
	s_nop 0
	v_pk_add_f16 v43, v43, v66
	s_nop 0
	v_add_f16_sdwa v43, v43, v43 dst_sel:DWORD dst_unused:UNUSED_PAD src0_sel:DWORD src1_sel:WORD_1
	v_add_f16_e32 v66, v43, v42
	v_lshl_add_u64 v[42:43], v[26:27], 1, v[20:21]
	global_store_short v[42:43], v66, off
	s_or_b64 exec, exec, s[26:27]
	s_and_b64 s[34:35], s[6:7], s[18:19]
	s_and_saveexec_b64 s[26:27], s[34:35]
	s_cbranch_execz .LBB236_79
.LBB236_92:
	s_and_b64 vcc, exec, s[0:1]
	s_cbranch_vccnz .LBB236_94
; %bb.93:
	v_lshl_add_u64 v[42:43], v[28:29], 1, v[40:41]
	flat_load_ushort v42, v[42:43]
	s_waitcnt vmcnt(0) lgkmcnt(0)
	v_mul_f16_e32 v42, s28, v42
	s_branch .LBB236_95
.LBB236_94:
	v_mov_b32_e32 v42, 0
.LBB236_95:
	v_pk_max_f16 v43, v22, v22
	v_pk_max_f16 v66, v12, v12
	s_nop 0
	v_pk_min_f16 v43, v66, v43
	v_pk_max_f16 v66, v13, v13
	v_pk_add_f16 v43, v65, v43
	v_pk_max_f16 v65, v23, v23
	s_nop 0
	v_pk_min_f16 v65, v66, v65
	s_nop 0
	v_pk_add_f16 v43, v43, v65
	s_nop 0
	v_add_f16_sdwa v43, v43, v43 dst_sel:DWORD dst_unused:UNUSED_PAD src0_sel:DWORD src1_sel:WORD_1
	v_add_f16_e32 v65, v43, v42
	v_lshl_add_u64 v[42:43], v[28:29], 1, v[20:21]
	global_store_short v[42:43], v65, off
	s_or_b64 exec, exec, s[26:27]
	s_and_b64 s[34:35], s[8:9], s[18:19]
	s_and_saveexec_b64 s[26:27], s[34:35]
	s_cbranch_execz .LBB236_80
.LBB236_96:
	s_and_b64 vcc, exec, s[0:1]
	s_cbranch_vccnz .LBB236_98
; %bb.97:
	v_lshl_add_u64 v[42:43], v[30:31], 1, v[40:41]
	flat_load_ushort v42, v[42:43]
	s_waitcnt vmcnt(0) lgkmcnt(0)
	v_mul_f16_e32 v42, s28, v42
	s_branch .LBB236_99
.LBB236_98:
	v_mov_b32_e32 v42, 0
.LBB236_99:
	v_pk_max_f16 v43, v22, v22
	v_pk_max_f16 v65, v14, v14
	s_nop 0
	v_pk_min_f16 v43, v65, v43
	v_pk_max_f16 v65, v15, v15
	v_pk_add_f16 v43, v64, v43
	v_pk_max_f16 v64, v23, v23
	s_nop 0
	v_pk_min_f16 v64, v65, v64
	s_nop 0
	v_pk_add_f16 v43, v43, v64
	s_nop 0
	v_add_f16_sdwa v43, v43, v43 dst_sel:DWORD dst_unused:UNUSED_PAD src0_sel:DWORD src1_sel:WORD_1
	v_add_f16_e32 v64, v43, v42
	v_lshl_add_u64 v[42:43], v[30:31], 1, v[20:21]
	global_store_short v[42:43], v64, off
	s_or_b64 exec, exec, s[26:27]
	s_and_b64 s[34:35], s[10:11], s[18:19]
	s_and_saveexec_b64 s[26:27], s[34:35]
	s_cbranch_execz .LBB236_81
.LBB236_100:
	s_and_b64 vcc, exec, s[0:1]
	s_cbranch_vccnz .LBB236_102
; %bb.101:
	v_lshl_add_u64 v[42:43], v[32:33], 1, v[40:41]
	flat_load_ushort v42, v[42:43]
	s_waitcnt vmcnt(0) lgkmcnt(0)
	v_mul_f16_e32 v42, s28, v42
	s_branch .LBB236_103
.LBB236_102:
	v_mov_b32_e32 v42, 0
.LBB236_103:
	v_pk_max_f16 v43, v22, v22
	v_pk_max_f16 v64, v8, v8
	s_nop 0
	v_pk_min_f16 v43, v64, v43
	v_pk_max_f16 v64, v9, v9
	v_pk_add_f16 v43, v63, v43
	v_pk_max_f16 v63, v23, v23
	s_nop 0
	v_pk_min_f16 v63, v64, v63
	s_nop 0
	v_pk_add_f16 v43, v43, v63
	s_nop 0
	v_add_f16_sdwa v43, v43, v43 dst_sel:DWORD dst_unused:UNUSED_PAD src0_sel:DWORD src1_sel:WORD_1
	v_add_f16_e32 v63, v43, v42
	v_lshl_add_u64 v[42:43], v[32:33], 1, v[20:21]
	global_store_short v[42:43], v63, off
	s_or_b64 exec, exec, s[26:27]
	s_and_b64 s[34:35], s[12:13], s[18:19]
	s_and_saveexec_b64 s[26:27], s[34:35]
	s_cbranch_execz .LBB236_82
.LBB236_104:
	s_and_b64 vcc, exec, s[0:1]
	s_cbranch_vccnz .LBB236_106
; %bb.105:
	v_lshl_add_u64 v[42:43], v[34:35], 1, v[40:41]
	flat_load_ushort v42, v[42:43]
	s_waitcnt vmcnt(0) lgkmcnt(0)
	v_mul_f16_e32 v42, s28, v42
	s_branch .LBB236_107
.LBB236_106:
	v_mov_b32_e32 v42, 0
.LBB236_107:
	v_pk_max_f16 v43, v22, v22
	v_pk_max_f16 v63, v10, v10
	s_nop 0
	v_pk_min_f16 v43, v63, v43
	v_pk_max_f16 v63, v11, v11
	v_pk_add_f16 v43, v62, v43
	v_pk_max_f16 v62, v23, v23
	s_nop 0
	v_pk_min_f16 v62, v63, v62
	s_nop 0
	v_pk_add_f16 v43, v43, v62
	s_nop 0
	v_add_f16_sdwa v43, v43, v43 dst_sel:DWORD dst_unused:UNUSED_PAD src0_sel:DWORD src1_sel:WORD_1
	v_add_f16_e32 v62, v43, v42
	v_lshl_add_u64 v[42:43], v[34:35], 1, v[20:21]
	global_store_short v[42:43], v62, off
	s_or_b64 exec, exec, s[26:27]
	s_and_b64 s[34:35], s[14:15], s[18:19]
	s_and_saveexec_b64 s[26:27], s[34:35]
	s_cbranch_execz .LBB236_83
.LBB236_108:
	s_and_b64 vcc, exec, s[0:1]
	s_cbranch_vccnz .LBB236_110
; %bb.109:
	v_lshl_add_u64 v[42:43], v[36:37], 1, v[40:41]
	flat_load_ushort v42, v[42:43]
	s_waitcnt vmcnt(0) lgkmcnt(0)
	v_mul_f16_e32 v42, s28, v42
	s_branch .LBB236_111
.LBB236_110:
	v_mov_b32_e32 v42, 0
.LBB236_111:
	v_pk_max_f16 v43, v22, v22
	v_pk_max_f16 v62, v0, v0
	s_nop 0
	v_pk_min_f16 v43, v62, v43
	v_pk_max_f16 v62, v1, v1
	v_pk_add_f16 v43, v61, v43
	v_pk_max_f16 v61, v23, v23
	s_nop 0
	v_pk_min_f16 v61, v62, v61
	s_nop 0
	v_pk_add_f16 v43, v43, v61
	s_nop 0
	v_add_f16_sdwa v43, v43, v43 dst_sel:DWORD dst_unused:UNUSED_PAD src0_sel:DWORD src1_sel:WORD_1
	v_add_f16_e32 v61, v43, v42
	v_lshl_add_u64 v[42:43], v[36:37], 1, v[20:21]
	global_store_short v[42:43], v61, off
	s_or_b64 exec, exec, s[26:27]
	s_and_b64 s[26:27], s[16:17], s[18:19]
	s_and_saveexec_b64 s[18:19], s[26:27]
	s_cbranch_execz .LBB236_116
.LBB236_112:
	s_and_b64 vcc, exec, s[0:1]
	s_cbranch_vccnz .LBB236_114
; %bb.113:
	v_lshl_add_u64 v[40:41], v[38:39], 1, v[40:41]
	flat_load_ushort v40, v[40:41]
	s_waitcnt vmcnt(0) lgkmcnt(0)
	v_mul_f16_e32 v40, s28, v40
	s_branch .LBB236_115
.LBB236_114:
	v_mov_b32_e32 v40, 0
.LBB236_115:
	v_pk_max_f16 v22, v22, v22
	v_pk_max_f16 v41, v2, v2
	;; [unrolled: 1-line block ×3, first 2 shown]
	v_pk_min_f16 v22, v41, v22
	v_pk_max_f16 v41, v3, v3
	v_pk_add_f16 v22, v60, v22
	v_pk_min_f16 v23, v41, v23
	v_lshl_add_u64 v[20:21], v[38:39], 1, v[20:21]
	v_pk_add_f16 v22, v22, v23
	s_nop 0
	v_add_f16_sdwa v22, v22, v22 dst_sel:DWORD dst_unused:UNUSED_PAD src0_sel:DWORD src1_sel:WORD_1
	v_add_f16_e32 v22, v22, v40
	global_store_short v[20:21], v22, off
.LBB236_116:
	s_or_b64 exec, exec, s[18:19]
	v_add_u32_e32 v40, 64, v69
	v_mad_i64_i32 v[20:21], s[26:27], v40, s33, 0
	v_cmp_gt_i32_e64 s[18:19], s21, v40
	v_lshl_add_u64 v[22:23], v[20:21], 1, s[24:25]
	v_mad_i64_i32 v[20:21], s[26:27], v40, s31, 0
	v_lshl_add_u64 v[20:21], v[20:21], 1, s[22:23]
	s_and_b64 s[34:35], s[2:3], s[18:19]
	s_and_saveexec_b64 s[26:27], s[34:35]
	s_cbranch_execnz .LBB236_124
; %bb.117:
	s_or_b64 exec, exec, s[26:27]
	s_and_b64 s[34:35], s[4:5], s[18:19]
	s_and_saveexec_b64 s[26:27], s[34:35]
	s_cbranch_execnz .LBB236_128
.LBB236_118:
	s_or_b64 exec, exec, s[26:27]
	s_and_b64 s[34:35], s[6:7], s[18:19]
	s_and_saveexec_b64 s[26:27], s[34:35]
	s_cbranch_execnz .LBB236_132
.LBB236_119:
	s_or_b64 exec, exec, s[26:27]
	s_and_b64 s[34:35], s[8:9], s[18:19]
	s_and_saveexec_b64 s[26:27], s[34:35]
	s_cbranch_execnz .LBB236_136
.LBB236_120:
	s_or_b64 exec, exec, s[26:27]
	s_and_b64 s[34:35], s[10:11], s[18:19]
	s_and_saveexec_b64 s[26:27], s[34:35]
	s_cbranch_execnz .LBB236_140
.LBB236_121:
	s_or_b64 exec, exec, s[26:27]
	s_and_b64 s[34:35], s[12:13], s[18:19]
	s_and_saveexec_b64 s[26:27], s[34:35]
	s_cbranch_execnz .LBB236_144
.LBB236_122:
	s_or_b64 exec, exec, s[26:27]
	s_and_b64 s[34:35], s[14:15], s[18:19]
	s_and_saveexec_b64 s[26:27], s[34:35]
	s_cbranch_execnz .LBB236_148
.LBB236_123:
	s_or_b64 exec, exec, s[26:27]
	s_and_b64 s[26:27], s[16:17], s[18:19]
	s_and_saveexec_b64 s[18:19], s[26:27]
	s_cbranch_execnz .LBB236_152
	s_branch .LBB236_156
.LBB236_124:
	s_and_b64 vcc, exec, s[0:1]
	s_cbranch_vccnz .LBB236_126
; %bb.125:
	v_lshl_add_u64 v[40:41], v[24:25], 1, v[22:23]
	flat_load_ushort v40, v[40:41]
	s_waitcnt vmcnt(0) lgkmcnt(0)
	v_mul_f16_e32 v40, s28, v40
	s_branch .LBB236_127
.LBB236_126:
	v_mov_b32_e32 v40, 0
.LBB236_127:
	v_pk_max_f16 v41, v4, v4
	v_pk_max_f16 v42, v16, v16
	v_pk_max_f16 v43, v17, v17
	v_pk_min_f16 v41, v42, v41
	v_pk_max_f16 v42, v5, v5
	v_pk_add_f16 v41, v59, v41
	v_pk_min_f16 v42, v43, v42
	s_nop 0
	v_pk_add_f16 v41, v41, v42
	s_nop 0
	v_add_f16_sdwa v41, v41, v41 dst_sel:DWORD dst_unused:UNUSED_PAD src0_sel:DWORD src1_sel:WORD_1
	v_add_f16_e32 v42, v41, v40
	v_lshl_add_u64 v[40:41], v[24:25], 1, v[20:21]
	global_store_short v[40:41], v42, off
	s_or_b64 exec, exec, s[26:27]
	s_and_b64 s[34:35], s[4:5], s[18:19]
	s_and_saveexec_b64 s[26:27], s[34:35]
	s_cbranch_execz .LBB236_118
.LBB236_128:
	s_and_b64 vcc, exec, s[0:1]
	s_cbranch_vccnz .LBB236_130
; %bb.129:
	v_lshl_add_u64 v[40:41], v[26:27], 1, v[22:23]
	flat_load_ushort v40, v[40:41]
	s_waitcnt vmcnt(0) lgkmcnt(0)
	v_mul_f16_e32 v40, s28, v40
	s_branch .LBB236_131
.LBB236_130:
	v_mov_b32_e32 v40, 0
.LBB236_131:
	v_pk_max_f16 v41, v4, v4
	v_pk_max_f16 v42, v18, v18
	;; [unrolled: 1-line block ×3, first 2 shown]
	v_pk_min_f16 v41, v42, v41
	v_pk_max_f16 v42, v5, v5
	v_pk_add_f16 v41, v58, v41
	v_pk_min_f16 v42, v43, v42
	s_nop 0
	v_pk_add_f16 v41, v41, v42
	s_nop 0
	v_add_f16_sdwa v41, v41, v41 dst_sel:DWORD dst_unused:UNUSED_PAD src0_sel:DWORD src1_sel:WORD_1
	v_add_f16_e32 v42, v41, v40
	v_lshl_add_u64 v[40:41], v[26:27], 1, v[20:21]
	global_store_short v[40:41], v42, off
	s_or_b64 exec, exec, s[26:27]
	s_and_b64 s[34:35], s[6:7], s[18:19]
	s_and_saveexec_b64 s[26:27], s[34:35]
	s_cbranch_execz .LBB236_119
.LBB236_132:
	s_and_b64 vcc, exec, s[0:1]
	s_cbranch_vccnz .LBB236_134
; %bb.133:
	v_lshl_add_u64 v[40:41], v[28:29], 1, v[22:23]
	flat_load_ushort v40, v[40:41]
	s_waitcnt vmcnt(0) lgkmcnt(0)
	v_mul_f16_e32 v40, s28, v40
	s_branch .LBB236_135
.LBB236_134:
	v_mov_b32_e32 v40, 0
.LBB236_135:
	v_pk_max_f16 v41, v4, v4
	v_pk_max_f16 v42, v12, v12
	;; [unrolled: 1-line block ×3, first 2 shown]
	v_pk_min_f16 v41, v42, v41
	v_pk_max_f16 v42, v5, v5
	v_pk_add_f16 v41, v57, v41
	v_pk_min_f16 v42, v43, v42
	s_nop 0
	v_pk_add_f16 v41, v41, v42
	s_nop 0
	v_add_f16_sdwa v41, v41, v41 dst_sel:DWORD dst_unused:UNUSED_PAD src0_sel:DWORD src1_sel:WORD_1
	v_add_f16_e32 v42, v41, v40
	v_lshl_add_u64 v[40:41], v[28:29], 1, v[20:21]
	global_store_short v[40:41], v42, off
	s_or_b64 exec, exec, s[26:27]
	s_and_b64 s[34:35], s[8:9], s[18:19]
	s_and_saveexec_b64 s[26:27], s[34:35]
	s_cbranch_execz .LBB236_120
.LBB236_136:
	s_and_b64 vcc, exec, s[0:1]
	s_cbranch_vccnz .LBB236_138
; %bb.137:
	v_lshl_add_u64 v[40:41], v[30:31], 1, v[22:23]
	flat_load_ushort v40, v[40:41]
	s_waitcnt vmcnt(0) lgkmcnt(0)
	v_mul_f16_e32 v40, s28, v40
	s_branch .LBB236_139
.LBB236_138:
	v_mov_b32_e32 v40, 0
.LBB236_139:
	v_pk_max_f16 v41, v4, v4
	v_pk_max_f16 v42, v14, v14
	;; [unrolled: 1-line block ×3, first 2 shown]
	v_pk_min_f16 v41, v42, v41
	v_pk_max_f16 v42, v5, v5
	v_pk_add_f16 v41, v56, v41
	v_pk_min_f16 v42, v43, v42
	s_nop 0
	v_pk_add_f16 v41, v41, v42
	s_nop 0
	v_add_f16_sdwa v41, v41, v41 dst_sel:DWORD dst_unused:UNUSED_PAD src0_sel:DWORD src1_sel:WORD_1
	v_add_f16_e32 v42, v41, v40
	v_lshl_add_u64 v[40:41], v[30:31], 1, v[20:21]
	global_store_short v[40:41], v42, off
	s_or_b64 exec, exec, s[26:27]
	s_and_b64 s[34:35], s[10:11], s[18:19]
	s_and_saveexec_b64 s[26:27], s[34:35]
	s_cbranch_execz .LBB236_121
.LBB236_140:
	s_and_b64 vcc, exec, s[0:1]
	s_cbranch_vccnz .LBB236_142
; %bb.141:
	v_lshl_add_u64 v[40:41], v[32:33], 1, v[22:23]
	flat_load_ushort v40, v[40:41]
	s_waitcnt vmcnt(0) lgkmcnt(0)
	v_mul_f16_e32 v40, s28, v40
	s_branch .LBB236_143
.LBB236_142:
	v_mov_b32_e32 v40, 0
.LBB236_143:
	v_pk_max_f16 v41, v4, v4
	v_pk_max_f16 v42, v8, v8
	v_pk_max_f16 v43, v9, v9
	v_pk_min_f16 v41, v42, v41
	v_pk_max_f16 v42, v5, v5
	v_pk_add_f16 v41, v55, v41
	v_pk_min_f16 v42, v43, v42
	s_nop 0
	v_pk_add_f16 v41, v41, v42
	s_nop 0
	v_add_f16_sdwa v41, v41, v41 dst_sel:DWORD dst_unused:UNUSED_PAD src0_sel:DWORD src1_sel:WORD_1
	v_add_f16_e32 v42, v41, v40
	v_lshl_add_u64 v[40:41], v[32:33], 1, v[20:21]
	global_store_short v[40:41], v42, off
	s_or_b64 exec, exec, s[26:27]
	s_and_b64 s[34:35], s[12:13], s[18:19]
	s_and_saveexec_b64 s[26:27], s[34:35]
	s_cbranch_execz .LBB236_122
.LBB236_144:
	s_and_b64 vcc, exec, s[0:1]
	s_cbranch_vccnz .LBB236_146
; %bb.145:
	v_lshl_add_u64 v[40:41], v[34:35], 1, v[22:23]
	flat_load_ushort v40, v[40:41]
	s_waitcnt vmcnt(0) lgkmcnt(0)
	v_mul_f16_e32 v40, s28, v40
	s_branch .LBB236_147
.LBB236_146:
	v_mov_b32_e32 v40, 0
.LBB236_147:
	v_pk_max_f16 v41, v4, v4
	v_pk_max_f16 v42, v10, v10
	;; [unrolled: 1-line block ×3, first 2 shown]
	v_pk_min_f16 v41, v42, v41
	v_pk_max_f16 v42, v5, v5
	v_pk_add_f16 v41, v54, v41
	v_pk_min_f16 v42, v43, v42
	s_nop 0
	v_pk_add_f16 v41, v41, v42
	s_nop 0
	v_add_f16_sdwa v41, v41, v41 dst_sel:DWORD dst_unused:UNUSED_PAD src0_sel:DWORD src1_sel:WORD_1
	v_add_f16_e32 v42, v41, v40
	v_lshl_add_u64 v[40:41], v[34:35], 1, v[20:21]
	global_store_short v[40:41], v42, off
	s_or_b64 exec, exec, s[26:27]
	s_and_b64 s[34:35], s[14:15], s[18:19]
	s_and_saveexec_b64 s[26:27], s[34:35]
	s_cbranch_execz .LBB236_123
.LBB236_148:
	s_and_b64 vcc, exec, s[0:1]
	s_cbranch_vccnz .LBB236_150
; %bb.149:
	v_lshl_add_u64 v[40:41], v[36:37], 1, v[22:23]
	flat_load_ushort v40, v[40:41]
	s_waitcnt vmcnt(0) lgkmcnt(0)
	v_mul_f16_e32 v40, s28, v40
	s_branch .LBB236_151
.LBB236_150:
	v_mov_b32_e32 v40, 0
.LBB236_151:
	v_pk_max_f16 v41, v4, v4
	v_pk_max_f16 v42, v0, v0
	;; [unrolled: 1-line block ×3, first 2 shown]
	v_pk_min_f16 v41, v42, v41
	v_pk_max_f16 v42, v5, v5
	v_pk_add_f16 v41, v53, v41
	v_pk_min_f16 v42, v43, v42
	s_nop 0
	v_pk_add_f16 v41, v41, v42
	s_nop 0
	v_add_f16_sdwa v41, v41, v41 dst_sel:DWORD dst_unused:UNUSED_PAD src0_sel:DWORD src1_sel:WORD_1
	v_add_f16_e32 v42, v41, v40
	v_lshl_add_u64 v[40:41], v[36:37], 1, v[20:21]
	global_store_short v[40:41], v42, off
	s_or_b64 exec, exec, s[26:27]
	s_and_b64 s[26:27], s[16:17], s[18:19]
	s_and_saveexec_b64 s[18:19], s[26:27]
	s_cbranch_execz .LBB236_156
.LBB236_152:
	s_and_b64 vcc, exec, s[0:1]
	s_cbranch_vccnz .LBB236_154
; %bb.153:
	v_lshl_add_u64 v[22:23], v[38:39], 1, v[22:23]
	flat_load_ushort v22, v[22:23]
	s_waitcnt vmcnt(0) lgkmcnt(0)
	v_mul_f16_e32 v22, s28, v22
	s_branch .LBB236_155
.LBB236_154:
	v_mov_b32_e32 v22, 0
.LBB236_155:
	v_pk_max_f16 v4, v4, v4
	v_pk_max_f16 v23, v2, v2
	;; [unrolled: 1-line block ×3, first 2 shown]
	v_pk_min_f16 v4, v23, v4
	v_pk_max_f16 v23, v3, v3
	v_pk_add_f16 v4, v52, v4
	v_pk_min_f16 v5, v23, v5
	s_nop 0
	v_pk_add_f16 v4, v4, v5
	s_nop 0
	v_add_f16_sdwa v4, v4, v4 dst_sel:DWORD dst_unused:UNUSED_PAD src0_sel:DWORD src1_sel:WORD_1
	v_add_f16_e32 v22, v4, v22
	v_lshl_add_u64 v[4:5], v[38:39], 1, v[20:21]
	global_store_short v[4:5], v22, off
.LBB236_156:
	s_or_b64 exec, exec, s[18:19]
	v_add_u32_e32 v22, 0x60, v69
	v_cmp_gt_i32_e64 s[18:19], s21, v22
	v_mad_i64_i32 v[4:5], s[20:21], v22, s33, 0
	v_lshl_add_u64 v[20:21], v[4:5], 1, s[24:25]
	v_mad_i64_i32 v[4:5], s[20:21], v22, s31, 0
	v_lshl_add_u64 v[4:5], v[4:5], 1, s[22:23]
	s_and_b64 s[20:21], s[2:3], s[18:19]
	s_and_saveexec_b64 s[2:3], s[20:21]
	s_cbranch_execnz .LBB236_165
; %bb.157:
	s_or_b64 exec, exec, s[2:3]
	s_and_b64 s[4:5], s[4:5], s[18:19]
	s_and_saveexec_b64 s[2:3], s[4:5]
	s_cbranch_execnz .LBB236_169
.LBB236_158:
	s_or_b64 exec, exec, s[2:3]
	s_and_b64 s[4:5], s[6:7], s[18:19]
	s_and_saveexec_b64 s[2:3], s[4:5]
	s_cbranch_execnz .LBB236_173
.LBB236_159:
	s_or_b64 exec, exec, s[2:3]
	s_and_b64 s[4:5], s[8:9], s[18:19]
	s_and_saveexec_b64 s[2:3], s[4:5]
	s_cbranch_execnz .LBB236_177
.LBB236_160:
	s_or_b64 exec, exec, s[2:3]
	s_and_b64 s[4:5], s[10:11], s[18:19]
	s_and_saveexec_b64 s[2:3], s[4:5]
	s_cbranch_execnz .LBB236_181
.LBB236_161:
	s_or_b64 exec, exec, s[2:3]
	s_and_b64 s[4:5], s[12:13], s[18:19]
	s_and_saveexec_b64 s[2:3], s[4:5]
	s_cbranch_execnz .LBB236_185
.LBB236_162:
	s_or_b64 exec, exec, s[2:3]
	s_and_b64 s[4:5], s[14:15], s[18:19]
	s_and_saveexec_b64 s[2:3], s[4:5]
	s_cbranch_execnz .LBB236_189
.LBB236_163:
	s_or_b64 exec, exec, s[2:3]
	s_and_b64 s[2:3], s[16:17], s[18:19]
	s_and_saveexec_b64 s[4:5], s[2:3]
	s_cbranch_execnz .LBB236_193
.LBB236_164:
	s_endpgm
.LBB236_165:
	s_and_b64 vcc, exec, s[0:1]
	s_cbranch_vccnz .LBB236_167
; %bb.166:
	v_lshl_add_u64 v[22:23], v[24:25], 1, v[20:21]
	flat_load_ushort v22, v[22:23]
	s_waitcnt vmcnt(0) lgkmcnt(0)
	v_mul_f16_e32 v22, s28, v22
	s_branch .LBB236_168
.LBB236_167:
	v_mov_b32_e32 v22, 0
.LBB236_168:
	v_pk_max_f16 v23, v6, v6
	v_pk_max_f16 v16, v16, v16
	;; [unrolled: 1-line block ×3, first 2 shown]
	v_pk_min_f16 v16, v16, v23
	v_pk_max_f16 v23, v7, v7
	v_pk_add_f16 v16, v51, v16
	v_pk_min_f16 v17, v17, v23
	s_nop 0
	v_pk_add_f16 v16, v16, v17
	s_nop 0
	v_add_f16_sdwa v16, v16, v16 dst_sel:DWORD dst_unused:UNUSED_PAD src0_sel:DWORD src1_sel:WORD_1
	v_add_f16_e32 v22, v16, v22
	v_lshl_add_u64 v[16:17], v[24:25], 1, v[4:5]
	global_store_short v[16:17], v22, off
	s_or_b64 exec, exec, s[2:3]
	s_and_b64 s[4:5], s[4:5], s[18:19]
	s_and_saveexec_b64 s[2:3], s[4:5]
	s_cbranch_execz .LBB236_158
.LBB236_169:
	s_and_b64 vcc, exec, s[0:1]
	s_cbranch_vccnz .LBB236_171
; %bb.170:
	v_lshl_add_u64 v[16:17], v[26:27], 1, v[20:21]
	flat_load_ushort v16, v[16:17]
	s_waitcnt vmcnt(0) lgkmcnt(0)
	v_mul_f16_e32 v16, s28, v16
	s_branch .LBB236_172
.LBB236_171:
	v_mov_b32_e32 v16, 0
.LBB236_172:
	v_pk_max_f16 v17, v6, v6
	v_pk_max_f16 v18, v18, v18
	;; [unrolled: 1-line block ×3, first 2 shown]
	v_pk_min_f16 v17, v18, v17
	v_pk_max_f16 v18, v7, v7
	v_pk_add_f16 v17, v50, v17
	v_pk_min_f16 v18, v19, v18
	s_nop 0
	v_pk_add_f16 v17, v17, v18
	s_nop 0
	v_add_f16_sdwa v17, v17, v17 dst_sel:DWORD dst_unused:UNUSED_PAD src0_sel:DWORD src1_sel:WORD_1
	v_add_f16_e32 v18, v17, v16
	v_lshl_add_u64 v[16:17], v[26:27], 1, v[4:5]
	global_store_short v[16:17], v18, off
	s_or_b64 exec, exec, s[2:3]
	s_and_b64 s[4:5], s[6:7], s[18:19]
	s_and_saveexec_b64 s[2:3], s[4:5]
	s_cbranch_execz .LBB236_159
.LBB236_173:
	s_and_b64 vcc, exec, s[0:1]
	s_cbranch_vccnz .LBB236_175
; %bb.174:
	v_lshl_add_u64 v[16:17], v[28:29], 1, v[20:21]
	flat_load_ushort v16, v[16:17]
	s_waitcnt vmcnt(0) lgkmcnt(0)
	v_mul_f16_e32 v16, s28, v16
	s_branch .LBB236_176
.LBB236_175:
	v_mov_b32_e32 v16, 0
.LBB236_176:
	v_pk_max_f16 v17, v6, v6
	v_pk_max_f16 v12, v12, v12
	;; [unrolled: 1-line block ×3, first 2 shown]
	v_pk_min_f16 v12, v12, v17
	v_pk_max_f16 v17, v7, v7
	v_pk_add_f16 v12, v49, v12
	v_pk_min_f16 v13, v13, v17
	s_nop 0
	v_pk_add_f16 v12, v12, v13
	s_nop 0
	v_add_f16_sdwa v12, v12, v12 dst_sel:DWORD dst_unused:UNUSED_PAD src0_sel:DWORD src1_sel:WORD_1
	v_add_f16_e32 v16, v12, v16
	v_lshl_add_u64 v[12:13], v[28:29], 1, v[4:5]
	global_store_short v[12:13], v16, off
	s_or_b64 exec, exec, s[2:3]
	s_and_b64 s[4:5], s[8:9], s[18:19]
	s_and_saveexec_b64 s[2:3], s[4:5]
	s_cbranch_execz .LBB236_160
.LBB236_177:
	s_and_b64 vcc, exec, s[0:1]
	s_cbranch_vccnz .LBB236_179
; %bb.178:
	v_lshl_add_u64 v[12:13], v[30:31], 1, v[20:21]
	flat_load_ushort v12, v[12:13]
	s_waitcnt vmcnt(0) lgkmcnt(0)
	v_mul_f16_e32 v12, s28, v12
	s_branch .LBB236_180
.LBB236_179:
	v_mov_b32_e32 v12, 0
.LBB236_180:
	v_pk_max_f16 v13, v6, v6
	v_pk_max_f16 v14, v14, v14
	;; [unrolled: 1-line block ×3, first 2 shown]
	v_pk_min_f16 v13, v14, v13
	v_pk_max_f16 v14, v7, v7
	v_pk_add_f16 v13, v48, v13
	v_pk_min_f16 v14, v15, v14
	s_nop 0
	v_pk_add_f16 v13, v13, v14
	s_nop 0
	v_add_f16_sdwa v13, v13, v13 dst_sel:DWORD dst_unused:UNUSED_PAD src0_sel:DWORD src1_sel:WORD_1
	v_add_f16_e32 v14, v13, v12
	v_lshl_add_u64 v[12:13], v[30:31], 1, v[4:5]
	global_store_short v[12:13], v14, off
	s_or_b64 exec, exec, s[2:3]
	s_and_b64 s[4:5], s[10:11], s[18:19]
	s_and_saveexec_b64 s[2:3], s[4:5]
	s_cbranch_execz .LBB236_161
.LBB236_181:
	s_and_b64 vcc, exec, s[0:1]
	s_cbranch_vccnz .LBB236_183
; %bb.182:
	v_lshl_add_u64 v[12:13], v[32:33], 1, v[20:21]
	flat_load_ushort v12, v[12:13]
	s_waitcnt vmcnt(0) lgkmcnt(0)
	v_mul_f16_e32 v12, s28, v12
	s_branch .LBB236_184
.LBB236_183:
	v_mov_b32_e32 v12, 0
.LBB236_184:
	v_pk_max_f16 v13, v6, v6
	v_pk_max_f16 v8, v8, v8
	v_pk_max_f16 v9, v9, v9
	v_pk_min_f16 v8, v8, v13
	v_pk_max_f16 v13, v7, v7
	v_pk_add_f16 v8, v47, v8
	v_pk_min_f16 v9, v9, v13
	s_nop 0
	v_pk_add_f16 v8, v8, v9
	s_nop 0
	v_add_f16_sdwa v8, v8, v8 dst_sel:DWORD dst_unused:UNUSED_PAD src0_sel:DWORD src1_sel:WORD_1
	v_add_f16_e32 v12, v8, v12
	v_lshl_add_u64 v[8:9], v[32:33], 1, v[4:5]
	global_store_short v[8:9], v12, off
	s_or_b64 exec, exec, s[2:3]
	s_and_b64 s[4:5], s[12:13], s[18:19]
	s_and_saveexec_b64 s[2:3], s[4:5]
	s_cbranch_execz .LBB236_162
.LBB236_185:
	s_and_b64 vcc, exec, s[0:1]
	s_cbranch_vccnz .LBB236_187
; %bb.186:
	v_lshl_add_u64 v[8:9], v[34:35], 1, v[20:21]
	flat_load_ushort v8, v[8:9]
	s_waitcnt vmcnt(0) lgkmcnt(0)
	v_mul_f16_e32 v8, s28, v8
	s_branch .LBB236_188
.LBB236_187:
	v_mov_b32_e32 v8, 0
.LBB236_188:
	v_pk_max_f16 v9, v6, v6
	v_pk_max_f16 v10, v10, v10
	;; [unrolled: 1-line block ×3, first 2 shown]
	v_pk_min_f16 v9, v10, v9
	v_pk_max_f16 v10, v7, v7
	v_pk_add_f16 v9, v46, v9
	v_pk_min_f16 v10, v11, v10
	s_nop 0
	v_pk_add_f16 v9, v9, v10
	s_nop 0
	v_add_f16_sdwa v9, v9, v9 dst_sel:DWORD dst_unused:UNUSED_PAD src0_sel:DWORD src1_sel:WORD_1
	v_add_f16_e32 v10, v9, v8
	v_lshl_add_u64 v[8:9], v[34:35], 1, v[4:5]
	global_store_short v[8:9], v10, off
	s_or_b64 exec, exec, s[2:3]
	s_and_b64 s[4:5], s[14:15], s[18:19]
	s_and_saveexec_b64 s[2:3], s[4:5]
	s_cbranch_execz .LBB236_163
.LBB236_189:
	s_and_b64 vcc, exec, s[0:1]
	s_cbranch_vccnz .LBB236_191
; %bb.190:
	v_lshl_add_u64 v[8:9], v[36:37], 1, v[20:21]
	flat_load_ushort v8, v[8:9]
	s_waitcnt vmcnt(0) lgkmcnt(0)
	v_mul_f16_e32 v8, s28, v8
	s_branch .LBB236_192
.LBB236_191:
	v_mov_b32_e32 v8, 0
.LBB236_192:
	v_pk_max_f16 v9, v6, v6
	v_pk_max_f16 v0, v0, v0
	;; [unrolled: 1-line block ×3, first 2 shown]
	v_pk_min_f16 v0, v0, v9
	v_pk_max_f16 v9, v7, v7
	v_pk_add_f16 v0, v45, v0
	v_pk_min_f16 v1, v1, v9
	s_nop 0
	v_pk_add_f16 v0, v0, v1
	s_nop 0
	v_add_f16_sdwa v0, v0, v0 dst_sel:DWORD dst_unused:UNUSED_PAD src0_sel:DWORD src1_sel:WORD_1
	v_add_f16_e32 v8, v0, v8
	v_lshl_add_u64 v[0:1], v[36:37], 1, v[4:5]
	global_store_short v[0:1], v8, off
	s_or_b64 exec, exec, s[2:3]
	s_and_b64 s[2:3], s[16:17], s[18:19]
	s_and_saveexec_b64 s[4:5], s[2:3]
	s_cbranch_execz .LBB236_164
.LBB236_193:
	s_and_b64 vcc, exec, s[0:1]
	s_cbranch_vccnz .LBB236_195
; %bb.194:
	v_lshl_add_u64 v[0:1], v[38:39], 1, v[20:21]
	flat_load_ushort v0, v[0:1]
	s_waitcnt vmcnt(0) lgkmcnt(0)
	v_mul_f16_e32 v0, s28, v0
	s_branch .LBB236_196
.LBB236_195:
	v_mov_b32_e32 v0, 0
.LBB236_196:
	v_pk_max_f16 v1, v6, v6
	v_pk_max_f16 v2, v2, v2
	;; [unrolled: 1-line block ×3, first 2 shown]
	v_pk_min_f16 v1, v2, v1
	v_pk_max_f16 v2, v7, v7
	v_pk_add_f16 v1, v44, v1
	v_pk_min_f16 v2, v3, v2
	s_nop 0
	v_pk_add_f16 v1, v1, v2
	s_nop 0
	v_add_f16_sdwa v1, v1, v1 dst_sel:DWORD dst_unused:UNUSED_PAD src0_sel:DWORD src1_sel:WORD_1
	v_add_f16_e32 v2, v1, v0
	v_lshl_add_u64 v[0:1], v[38:39], 1, v[4:5]
	global_store_short v[0:1], v2, off
	s_endpgm
	.section	.rodata,"a",@progbits
	.p2align	6, 0x0
	.amdhsa_kernel _ZN12_GLOBAL__N_120geam_min_plus_kernelIDF16_Dv2_DF16_S1_Li8ELi32ELi64ELi128ELi4ELi64ELi4ELi4ELi64ELc78ELc78ELb0ELb1ELb0EDF16_KPKDF16_KPDF16_EEviiiT16_PT17_ilS9_ilS7_S9_ilPT18_ili26rocblas_geam_ex_operation_
		.amdhsa_group_segment_fixed_size 3072
		.amdhsa_private_segment_fixed_size 0
		.amdhsa_kernarg_size 128
		.amdhsa_user_sgpr_count 2
		.amdhsa_user_sgpr_dispatch_ptr 0
		.amdhsa_user_sgpr_queue_ptr 0
		.amdhsa_user_sgpr_kernarg_segment_ptr 1
		.amdhsa_user_sgpr_dispatch_id 0
		.amdhsa_user_sgpr_kernarg_preload_length 0
		.amdhsa_user_sgpr_kernarg_preload_offset 0
		.amdhsa_user_sgpr_private_segment_size 0
		.amdhsa_uses_dynamic_stack 0
		.amdhsa_enable_private_segment 0
		.amdhsa_system_sgpr_workgroup_id_x 1
		.amdhsa_system_sgpr_workgroup_id_y 0
		.amdhsa_system_sgpr_workgroup_id_z 1
		.amdhsa_system_sgpr_workgroup_info 0
		.amdhsa_system_vgpr_workitem_id 1
		.amdhsa_next_free_vgpr 126
		.amdhsa_next_free_sgpr 36
		.amdhsa_accum_offset 128
		.amdhsa_reserve_vcc 1
		.amdhsa_float_round_mode_32 0
		.amdhsa_float_round_mode_16_64 0
		.amdhsa_float_denorm_mode_32 3
		.amdhsa_float_denorm_mode_16_64 3
		.amdhsa_dx10_clamp 1
		.amdhsa_ieee_mode 1
		.amdhsa_fp16_overflow 0
		.amdhsa_tg_split 0
		.amdhsa_exception_fp_ieee_invalid_op 0
		.amdhsa_exception_fp_denorm_src 0
		.amdhsa_exception_fp_ieee_div_zero 0
		.amdhsa_exception_fp_ieee_overflow 0
		.amdhsa_exception_fp_ieee_underflow 0
		.amdhsa_exception_fp_ieee_inexact 0
		.amdhsa_exception_int_div_zero 0
	.end_amdhsa_kernel
	.section	.text._ZN12_GLOBAL__N_120geam_min_plus_kernelIDF16_Dv2_DF16_S1_Li8ELi32ELi64ELi128ELi4ELi64ELi4ELi4ELi64ELc78ELc78ELb0ELb1ELb0EDF16_KPKDF16_KPDF16_EEviiiT16_PT17_ilS9_ilS7_S9_ilPT18_ili26rocblas_geam_ex_operation_,"axG",@progbits,_ZN12_GLOBAL__N_120geam_min_plus_kernelIDF16_Dv2_DF16_S1_Li8ELi32ELi64ELi128ELi4ELi64ELi4ELi4ELi64ELc78ELc78ELb0ELb1ELb0EDF16_KPKDF16_KPDF16_EEviiiT16_PT17_ilS9_ilS7_S9_ilPT18_ili26rocblas_geam_ex_operation_,comdat
.Lfunc_end236:
	.size	_ZN12_GLOBAL__N_120geam_min_plus_kernelIDF16_Dv2_DF16_S1_Li8ELi32ELi64ELi128ELi4ELi64ELi4ELi4ELi64ELc78ELc78ELb0ELb1ELb0EDF16_KPKDF16_KPDF16_EEviiiT16_PT17_ilS9_ilS7_S9_ilPT18_ili26rocblas_geam_ex_operation_, .Lfunc_end236-_ZN12_GLOBAL__N_120geam_min_plus_kernelIDF16_Dv2_DF16_S1_Li8ELi32ELi64ELi128ELi4ELi64ELi4ELi4ELi64ELc78ELc78ELb0ELb1ELb0EDF16_KPKDF16_KPDF16_EEviiiT16_PT17_ilS9_ilS7_S9_ilPT18_ili26rocblas_geam_ex_operation_
                                        ; -- End function
	.section	.AMDGPU.csdata,"",@progbits
; Kernel info:
; codeLenInByte = 11368
; NumSgprs: 42
; NumVgprs: 126
; NumAgprs: 0
; TotalNumVgprs: 126
; ScratchSize: 0
; MemoryBound: 0
; FloatMode: 240
; IeeeMode: 1
; LDSByteSize: 3072 bytes/workgroup (compile time only)
; SGPRBlocks: 5
; VGPRBlocks: 15
; NumSGPRsForWavesPerEU: 42
; NumVGPRsForWavesPerEU: 126
; AccumOffset: 128
; Occupancy: 4
; WaveLimiterHint : 1
; COMPUTE_PGM_RSRC2:SCRATCH_EN: 0
; COMPUTE_PGM_RSRC2:USER_SGPR: 2
; COMPUTE_PGM_RSRC2:TRAP_HANDLER: 0
; COMPUTE_PGM_RSRC2:TGID_X_EN: 1
; COMPUTE_PGM_RSRC2:TGID_Y_EN: 0
; COMPUTE_PGM_RSRC2:TGID_Z_EN: 1
; COMPUTE_PGM_RSRC2:TIDIG_COMP_CNT: 1
; COMPUTE_PGM_RSRC3_GFX90A:ACCUM_OFFSET: 31
; COMPUTE_PGM_RSRC3_GFX90A:TG_SPLIT: 0
	.section	.text._ZN12_GLOBAL__N_120geam_min_plus_kernelIDF16_Dv2_DF16_S1_Li8ELi32ELi64ELi128ELi4ELi4ELi64ELi4ELi64ELc84ELc78ELb0ELb0ELb0EPKDF16_KS3_KPDF16_EEviiiT16_PT17_ilS9_ilS7_S9_ilPT18_ili26rocblas_geam_ex_operation_,"axG",@progbits,_ZN12_GLOBAL__N_120geam_min_plus_kernelIDF16_Dv2_DF16_S1_Li8ELi32ELi64ELi128ELi4ELi4ELi64ELi4ELi64ELc84ELc78ELb0ELb0ELb0EPKDF16_KS3_KPDF16_EEviiiT16_PT17_ilS9_ilS7_S9_ilPT18_ili26rocblas_geam_ex_operation_,comdat
	.globl	_ZN12_GLOBAL__N_120geam_min_plus_kernelIDF16_Dv2_DF16_S1_Li8ELi32ELi64ELi128ELi4ELi4ELi64ELi4ELi64ELc84ELc78ELb0ELb0ELb0EPKDF16_KS3_KPDF16_EEviiiT16_PT17_ilS9_ilS7_S9_ilPT18_ili26rocblas_geam_ex_operation_ ; -- Begin function _ZN12_GLOBAL__N_120geam_min_plus_kernelIDF16_Dv2_DF16_S1_Li8ELi32ELi64ELi128ELi4ELi4ELi64ELi4ELi64ELc84ELc78ELb0ELb0ELb0EPKDF16_KS3_KPDF16_EEviiiT16_PT17_ilS9_ilS7_S9_ilPT18_ili26rocblas_geam_ex_operation_
	.p2align	8
	.type	_ZN12_GLOBAL__N_120geam_min_plus_kernelIDF16_Dv2_DF16_S1_Li8ELi32ELi64ELi128ELi4ELi4ELi64ELi4ELi64ELc84ELc78ELb0ELb0ELb0EPKDF16_KS3_KPDF16_EEviiiT16_PT17_ilS9_ilS7_S9_ilPT18_ili26rocblas_geam_ex_operation_,@function
_ZN12_GLOBAL__N_120geam_min_plus_kernelIDF16_Dv2_DF16_S1_Li8ELi32ELi64ELi128ELi4ELi4ELi64ELi4ELi64ELc84ELc78ELb0ELb0ELb0EPKDF16_KS3_KPDF16_EEviiiT16_PT17_ilS9_ilS7_S9_ilPT18_ili26rocblas_geam_ex_operation_: ; @_ZN12_GLOBAL__N_120geam_min_plus_kernelIDF16_Dv2_DF16_S1_Li8ELi32ELi64ELi128ELi4ELi4ELi64ELi4ELi64ELc84ELc78ELb0ELb0ELb0EPKDF16_KS3_KPDF16_EEviiiT16_PT17_ilS9_ilS7_S9_ilPT18_ili26rocblas_geam_ex_operation_
; %bb.0:
	s_load_dwordx4 s[16:19], s[0:1], 0x10
	s_load_dwordx4 s[8:11], s[0:1], 0x28
	s_mov_b32 s20, s3
	s_mov_b32 s21, 0
	s_lshl_b64 s[4:5], s[20:21], 1
	s_waitcnt lgkmcnt(0)
	s_add_u32 s6, s16, s4
	s_addc_u32 s7, s17, s5
	v_mov_b32_e32 v1, 0
	global_load_ushort v48, v1, s[6:7]
	s_load_dwordx4 s[12:15], s[0:1], 0x40
	s_load_dwordx2 s[22:23], s[0:1], 0x50
	s_mov_b64 s[16:17], 0
	s_waitcnt lgkmcnt(0)
	s_add_u32 s4, s14, s4
	s_addc_u32 s5, s15, s5
	s_mov_b64 s[14:15], 0
	s_waitcnt vmcnt(0)
	v_cmp_eq_f16_e32 vcc, 0, v48
	v_cmp_neq_f16_e64 s[6:7], 0, v48
	s_cbranch_vccnz .LBB237_2
; %bb.1:
	s_lshl_b64 s[14:15], s[20:21], 3
	s_add_u32 s14, s18, s14
	s_addc_u32 s15, s19, s15
	s_load_dwordx2 s[14:15], s[14:15], 0x0
	s_lshl_b64 s[8:9], s[8:9], 1
	s_waitcnt lgkmcnt(0)
	s_add_u32 s14, s14, s8
	s_addc_u32 s15, s15, s9
.LBB237_2:
	global_load_ushort v38, v1, s[4:5]
	v_cndmask_b32_e64 v1, 0, 1, s[6:7]
	v_cmp_ne_u32_e64 s[4:5], 1, v1
	s_andn2_b64 vcc, exec, s[6:7]
	s_cbranch_vccnz .LBB237_4
; %bb.3:
	s_lshl_b64 s[6:7], s[20:21], 3
	s_add_u32 s6, s10, s6
	s_addc_u32 s7, s11, s7
	s_load_dwordx2 s[6:7], s[6:7], 0x0
	s_lshl_b64 s[8:9], s[12:13], 1
	s_waitcnt lgkmcnt(0)
	s_add_u32 s16, s6, s8
	s_addc_u32 s17, s7, s9
.LBB237_4:
	s_load_dwordx4 s[8:11], s[0:1], 0x60
	s_waitcnt vmcnt(0)
	v_cmp_eq_f16_e32 vcc, 0, v38
	s_and_b64 s[6:7], exec, vcc
	s_mov_b64 vcc, s[6:7]
	s_cbranch_vccnz .LBB237_6
; %bb.5:
	s_lshl_b64 s[12:13], s[20:21], 3
	s_add_u32 s12, s22, s12
	s_addc_u32 s13, s23, s13
	s_load_dwordx2 s[12:13], s[12:13], 0x0
	s_waitcnt lgkmcnt(0)
	s_lshl_b64 s[8:9], s[8:9], 1
	s_add_u32 s8, s12, s8
	s_addc_u32 s9, s13, s9
	s_branch .LBB237_7
.LBB237_6:
	s_waitcnt lgkmcnt(0)
	s_mov_b64 s[8:9], 0
.LBB237_7:
	s_load_dword s3, s[0:1], 0x0
	s_load_dword s18, s[0:1], 0x20
	s_lshl_b64 s[12:13], s[20:21], 3
	s_add_u32 s10, s10, s12
	s_addc_u32 s11, s11, s13
	s_waitcnt lgkmcnt(0)
	s_add_i32 s3, s3, -1
	s_ashr_i32 s12, s3, 31
	s_lshr_b32 s12, s12, 26
	s_add_i32 s3, s3, s12
	s_ashr_i32 s3, s3, 6
	s_add_i32 s12, s3, 1
	v_cvt_f32_u32_e32 v1, s12
	s_not_b32 s3, s3
	v_and_b32_e32 v49, 0x3ff, v0
	v_bfe_u32 v50, v0, 10, 10
	v_rcp_iflag_f32_e32 v1, v1
	v_lshl_add_u32 v0, v50, 3, v49
	v_and_b32_e32 v2, 3, v49
	v_lshrrev_b32_e32 v6, 2, v0
	v_mul_f32_e32 v1, 0x4f7ffffe, v1
	v_cvt_u32_f32_e32 v1, v1
	v_lshlrev_b32_e32 v24, 1, v2
	v_readfirstlane_b32 s13, v1
	s_mul_i32 s3, s3, s13
	s_mul_hi_u32 s3, s13, s3
	s_add_i32 s13, s13, s3
	s_mul_hi_u32 s3, s2, s13
	s_mul_i32 s13, s3, s12
	s_sub_i32 s13, s2, s13
	s_add_i32 s19, s3, 1
	s_sub_i32 s20, s13, s12
	s_cmp_ge_u32 s13, s12
	s_cselect_b32 s3, s19, s3
	s_cselect_b32 s13, s20, s13
	s_add_i32 s19, s3, 1
	s_cmp_ge_u32 s13, s12
	s_cselect_b32 s3, s19, s3
	s_mul_i32 s12, s3, s12
	s_sub_i32 s2, s2, s12
	s_lshl_b32 s12, s2, 6
	s_and_b64 vcc, exec, s[4:5]
	v_add_u32_e32 v0, s12, v6
	s_cbranch_vccnz .LBB237_9
; %bb.8:
	v_mad_i64_i32 v[2:3], s[20:21], v0, s18, 0
	v_lshl_add_u64 v[2:3], v[2:3], 1, s[14:15]
	v_mov_b32_e32 v25, 0
	v_lshl_add_u64 v[2:3], v[2:3], 0, v[24:25]
	flat_load_ushort v1, v[2:3]
	s_waitcnt vmcnt(0) lgkmcnt(0)
	v_mul_f16_e32 v7, v48, v1
	s_branch .LBB237_10
.LBB237_9:
	v_mov_b32_e32 v7, 0
.LBB237_10:
	s_load_dword s19, s[0:1], 0x38
	s_lshl_b32 s13, s3, 7
	v_add_u32_e32 v1, s13, v6
	s_and_b64 vcc, exec, s[4:5]
	v_add_u32_e32 v2, 64, v1
	s_cbranch_vccnz .LBB237_14
; %bb.11:
	v_mov_b32_e32 v25, 0
	v_lshl_add_u64 v[4:5], s[16:17], 0, v[24:25]
	s_waitcnt lgkmcnt(0)
	v_mad_i64_i32 v[8:9], s[2:3], v1, s19, 0
	v_lshl_add_u64 v[8:9], v[8:9], 1, v[4:5]
	v_mad_i64_i32 v[10:11], s[2:3], v2, s19, 0
	v_lshl_add_u64 v[4:5], v[10:11], 1, v[4:5]
	flat_load_ushort v3, v[8:9]
	flat_load_ushort v10, v[4:5]
	s_waitcnt vmcnt(0) lgkmcnt(0)
	v_mul_f16_e32 v8, v48, v3
	v_mul_f16_e32 v9, v48, v10
	s_and_b64 vcc, exec, s[4:5]
	s_cbranch_vccnz .LBB237_15
.LBB237_12:
	v_mad_i64_i32 v[4:5], s[2:3], v0, s18, 0
	v_lshl_add_u64 v[4:5], v[4:5], 1, s[14:15]
	v_mov_b32_e32 v25, 0
	v_lshl_add_u64 v[4:5], v[4:5], 0, v[24:25]
	flat_load_ushort v3, v[4:5] offset:8
	s_waitcnt vmcnt(0) lgkmcnt(0)
	v_mul_f16_e32 v3, v48, v3
	s_and_b64 vcc, exec, s[4:5]
	s_cbranch_vccnz .LBB237_16
.LBB237_13:
	v_mov_b32_e32 v25, 0
	v_lshl_add_u64 v[4:5], s[16:17], 0, v[24:25]
	s_waitcnt lgkmcnt(0)
	v_mad_i64_i32 v[10:11], s[2:3], v1, s19, 0
	v_lshl_add_u64 v[10:11], v[10:11], 1, v[4:5]
	v_mad_i64_i32 v[12:13], s[2:3], v2, s19, 0
	v_lshl_add_u64 v[4:5], v[12:13], 1, v[4:5]
	flat_load_ushort v12, v[10:11] offset:8
	flat_load_ushort v13, v[4:5] offset:8
	s_waitcnt vmcnt(0) lgkmcnt(0)
	v_mul_f16_e32 v4, v48, v12
	v_mul_f16_e32 v5, v48, v13
	s_branch .LBB237_17
.LBB237_14:
	v_mov_b32_e32 v8, 0
	v_mov_b32_e32 v9, 0
	s_and_b64 vcc, exec, s[4:5]
	s_cbranch_vccz .LBB237_12
.LBB237_15:
	v_mov_b32_e32 v3, 0
	s_and_b64 vcc, exec, s[4:5]
	s_cbranch_vccz .LBB237_13
.LBB237_16:
	v_mov_b32_e32 v4, 0
	v_mov_b32_e32 v5, 0
.LBB237_17:
	v_lshl_or_b32 v69, v6, 3, v24
	v_lshlrev_b32_e32 v59, 3, v49
	v_lshlrev_b32_e32 v60, 3, v50
	s_load_dwordx2 s[2:3], s[10:11], 0x0
	ds_write_b16 v69, v7 offset:2048
	ds_write_b16 v69, v8
	ds_write_b16 v69, v9 offset:512
	s_waitcnt lgkmcnt(0)
	s_barrier
	ds_read2_b64 v[6:9], v60 offset1:32
	v_add_u32_e32 v70, 0x800, v59
	ds_read2_b64 v[10:13], v70 offset0:48 offset1:56
	ds_read2_b64 v[14:17], v60 offset0:64 offset1:96
	ds_read2_b64 v[18:21], v70 offset1:8
	ds_read2_b64 v[26:29], v70 offset0:16 offset1:24
	ds_read2_b64 v[30:33], v70 offset0:32 offset1:40
	s_waitcnt lgkmcnt(5)
	v_pk_max_f16 v6, v6, v6
	s_waitcnt lgkmcnt(4)
	v_pk_max_f16 v12, v12, v12
	v_pk_max_f16 v8, v8, v8
	v_pk_min_f16 v22, v12, v6
	s_waitcnt lgkmcnt(3)
	v_pk_max_f16 v14, v14, v14
	s_waitcnt lgkmcnt(2)
	v_pk_max_f16 v18, v18, v18
	v_pk_max_f16 v16, v16, v16
	;; [unrolled: 1-line block ×3, first 2 shown]
	s_waitcnt lgkmcnt(1)
	v_pk_max_f16 v26, v26, v26
	v_pk_max_f16 v28, v28, v28
	s_waitcnt lgkmcnt(0)
	v_pk_max_f16 v30, v30, v30
	v_pk_max_f16 v7, v7, v7
	v_pk_max_f16 v32, v32, v32
	v_pk_max_f16 v10, v10, v10
	v_pk_max_f16 v13, v13, v13
	v_pk_min_f16 v23, v18, v6
	v_pk_min_f16 v25, v18, v8
	;; [unrolled: 1-line block ×17, first 2 shown]
	v_pk_max_f16 v9, v9, v9
	v_pk_min_f16 v53, v30, v8
	v_pk_min_f16 v55, v30, v14
	;; [unrolled: 1-line block ×14, first 2 shown]
	v_pk_add_f16 v16, v22, 0
	v_pk_min_f16 v22, v13, v7
	v_pk_max_f16 v15, v15, v15
	v_pk_add_f16 v68, v22, v16
	v_pk_add_f16 v16, v42, 0
	v_pk_min_f16 v22, v13, v9
	v_pk_max_f16 v19, v19, v19
	v_pk_add_f16 v58, v22, v16
	;; [unrolled: 4-line block ×5, first 2 shown]
	v_pk_add_f16 v16, v34, 0
	v_pk_min_f16 v22, v19, v15
	v_pk_add_f16 v25, v30, 0
	v_pk_add_f16 v56, v22, v16
	;; [unrolled: 1-line block ×3, first 2 shown]
	v_pk_min_f16 v18, v19, v17
	v_pk_add_f16 v30, v32, 0
	v_pk_add_f16 v45, v18, v16
	;; [unrolled: 1-line block ×3, first 2 shown]
	v_pk_min_f16 v18, v21, v7
	v_pk_min_f16 v32, v29, v7
	v_pk_add_f16 v75, v18, v16
	v_pk_add_f16 v16, v36, 0
	v_pk_min_f16 v18, v21, v9
	v_pk_add_f16 v22, v53, 0
	v_pk_add_f16 v64, v18, v16
	v_pk_add_f16 v16, v37, 0
	v_pk_min_f16 v18, v21, v15
	v_pk_add_f16 v23, v55, 0
	;; [unrolled: 4-line block ×3, first 2 shown]
	v_pk_add_f16 v42, v18, v16
	v_pk_max_f16 v18, v27, v27
	v_pk_add_f16 v16, v39, 0
	v_pk_min_f16 v19, v18, v7
	v_pk_add_f16 v21, v51, 0
	v_pk_add_f16 v74, v19, v16
	;; [unrolled: 1-line block ×3, first 2 shown]
	v_pk_min_f16 v19, v18, v9
	v_pk_max_f16 v11, v11, v11
	v_pk_add_f16 v62, v19, v16
	v_pk_add_f16 v16, v41, 0
	v_pk_min_f16 v19, v18, v15
	v_pk_min_f16 v18, v18, v17
	v_pk_add_f16 v52, v19, v16
	v_pk_add_f16 v16, v26, 0
	;; [unrolled: 1-line block ×7, first 2 shown]
	v_pk_min_f16 v16, v29, v9
	v_pk_add_f16 v26, v57, 0
	v_pk_add_f16 v67, v16, v18
	v_pk_min_f16 v16, v29, v15
	s_load_dword s10, s[0:1], 0x8
	v_pk_add_f16 v57, v16, v19
	v_pk_min_f16 v16, v29, v17
	v_pk_add_f16 v6, v6, 0
	v_pk_add_f16 v46, v16, v20
	v_pk_max_f16 v16, v31, v31
	v_pk_add_f16 v8, v8, 0
	v_pk_min_f16 v18, v16, v7
	v_pk_add_f16 v27, v61, 0
	v_pk_add_f16 v73, v18, v21
	v_pk_min_f16 v18, v16, v9
	v_pk_add_f16 v14, v14, 0
	v_pk_add_f16 v65, v18, v22
	v_pk_min_f16 v18, v16, v15
	v_pk_min_f16 v16, v16, v17
	v_pk_add_f16 v55, v18, v23
	v_pk_add_f16 v43, v16, v25
	v_pk_max_f16 v16, v33, v33
	v_pk_add_f16 v10, v10, 0
	v_pk_min_f16 v18, v16, v7
	v_pk_min_f16 v7, v11, v7
	v_pk_add_f16 v72, v18, v26
	v_pk_add_f16 v71, v7, v6
	v_pk_min_f16 v6, v11, v9
	v_pk_min_f16 v18, v16, v9
	v_pk_add_f16 v61, v6, v8
	v_pk_min_f16 v6, v11, v15
	v_pk_add_f16 v28, v63, 0
	v_pk_add_f16 v51, v6, v14
	v_pk_min_f16 v6, v11, v17
	v_pk_add_f16 v12, v12, 0
	v_pk_add_f16 v63, v18, v27
	v_pk_min_f16 v18, v16, v15
	v_pk_min_f16 v16, v16, v17
	v_pk_add_f16 v44, v6, v10
	v_pk_min_f16 v6, v13, v17
	v_pk_add_f16 v53, v18, v28
	v_pk_add_f16 v40, v16, v30
	;; [unrolled: 1-line block ×3, first 2 shown]
	s_waitcnt lgkmcnt(0)
	s_cmp_lt_i32 s10, 9
	ds_write_b16 v69, v3 offset:2560
	ds_write_b16 v69, v4 offset:1024
	;; [unrolled: 1-line block ×3, first 2 shown]
	s_waitcnt lgkmcnt(0)
	s_barrier
	s_cbranch_scc1 .LBB237_31
; %bb.18:
	v_mad_i64_i32 v[4:5], s[20:21], v0, s18, 0
	v_mov_b32_e32 v0, 0xa00
	v_lshl_add_u32 v81, v49, 3, v0
	v_mov_b32_e32 v0, 0x400
	v_lshl_add_u64 v[26:27], v[4:5], 1, s[14:15]
	v_lshl_add_u32 v82, v50, 3, v0
	v_mad_i64_i32 v[2:3], s[14:15], s19, v2, 0
	v_mad_i64_i32 v[0:1], s[14:15], s19, v1, 0
	v_add_u32_e32 v78, 0x800, v69
	v_add_u32_e32 v79, 0xa00, v69
	v_add_u32_e32 v80, 0x400, v69
	s_add_i32 s10, s10, -8
	v_mov_b32_e32 v25, 0
	v_lshl_add_u64 v[28:29], v[2:3], 1, s[16:17]
	v_lshl_add_u64 v[30:31], v[0:1], 1, s[16:17]
	s_mov_b32 s11, 0
	s_branch .LBB237_21
.LBB237_19:                             ;   in Loop: Header=BB237_21 Depth=1
	flat_load_ushort v0, v[32:33] offset:24
	flat_load_ushort v1, v[34:35] offset:24
	s_waitcnt vmcnt(0) lgkmcnt(0)
	v_mul_f16_e32 v0, v48, v0
	v_mul_f16_e32 v1, v48, v1
.LBB237_20:                             ;   in Loop: Header=BB237_21 Depth=1
	v_pk_add_f16 v20, v20, v58
	v_pk_add_f16 v12, v12, v47
	;; [unrolled: 1-line block ×18, first 2 shown]
	ds_read2_b64 v[8:11], v70 offset0:48 offset1:56
	ds_read2_b64 v[12:15], v60 offset1:32
	v_pk_add_f16 v2, v2, v68
	v_pk_add_f16 v16, v16, v77
	;; [unrolled: 1-line block ×4, first 2 shown]
	s_waitcnt lgkmcnt(1)
	v_pk_max_f16 v10, v10, v10
	s_waitcnt lgkmcnt(0)
	v_pk_max_f16 v12, v12, v12
	v_pk_add_f16 v18, v18, v75
	v_pk_add_f16 v35, v85, v42
	;; [unrolled: 1-line block ×11, first 2 shown]
	ds_read2_b64 v[2:5], v60 offset0:64 offset1:96
	v_pk_min_f16 v16, v10, v12
	v_pk_add_f16 v37, v86, v62
	v_pk_add_f16 v62, v19, v18
	;; [unrolled: 1-line block ×4, first 2 shown]
	ds_read2_b64 v[16:19], v70 offset1:8
	v_pk_max_f16 v14, v14, v14
	s_waitcnt lgkmcnt(1)
	v_pk_max_f16 v2, v2, v2
	v_pk_min_f16 v58, v10, v14
	v_pk_add_f16 v45, v89, v67
	v_pk_add_f16 v58, v58, v20
	v_pk_min_f16 v20, v10, v2
	s_waitcnt lgkmcnt(0)
	v_pk_max_f16 v16, v16, v16
	v_pk_add_f16 v66, v20, v21
	v_pk_min_f16 v20, v16, v12
	v_pk_max_f16 v18, v18, v18
	v_pk_add_f16 v61, v20, v61
	v_pk_min_f16 v20, v16, v14
	v_pk_add_f16 v56, v98, v71
	v_pk_add_f16 v67, v20, v22
	v_pk_min_f16 v20, v16, v2
	v_pk_add_f16 v33, v104, v33
	;; [unrolled: 3-line block ×3, first 2 shown]
	v_pk_add_f16 v62, v20, v62
	v_pk_min_f16 v20, v18, v14
	v_pk_max_f16 v4, v4, v4
	v_pk_add_f16 v72, v20, v33
	ds_read2_b64 v[20:23], v70 offset0:16 offset1:24
	v_pk_min_f16 v16, v16, v4
	v_pk_add_f16 v34, v105, v34
	v_pk_add_f16 v16, v16, v32
	v_pk_min_f16 v32, v18, v2
	s_waitcnt lgkmcnt(0)
	v_pk_max_f16 v20, v20, v20
	v_pk_add_f16 v73, v32, v34
	v_pk_min_f16 v32, v20, v12
	v_pk_add_f16 v37, v107, v37
	v_pk_add_f16 v63, v32, v63
	v_pk_min_f16 v32, v20, v14
	v_pk_add_f16 v42, v108, v42
	v_pk_add_f16 v37, v32, v37
	v_pk_min_f16 v32, v20, v2
	v_pk_max_f16 v22, v22, v22
	v_pk_add_f16 v76, v32, v42
	v_pk_min_f16 v32, v22, v12
	v_pk_add_f16 v35, v106, v35
	v_pk_add_f16 v45, v110, v45
	v_pk_min_f16 v18, v18, v4
	v_pk_add_f16 v83, v32, v64
	v_pk_min_f16 v32, v22, v14
	v_pk_add_f16 v18, v18, v35
	v_pk_add_f16 v84, v32, v45
	ds_read2_b64 v[32:35], v70 offset0:32 offset1:40
	v_pk_add_f16 v41, v88, v41
	v_pk_min_f16 v20, v20, v4
	v_pk_add_f16 v41, v109, v41
	v_pk_add_f16 v47, v111, v47
	;; [unrolled: 1-line block ×3, first 2 shown]
	v_pk_min_f16 v41, v22, v2
	s_waitcnt lgkmcnt(0)
	v_pk_max_f16 v32, v32, v32
	v_pk_add_f16 v85, v41, v47
	v_pk_min_f16 v41, v32, v12
	v_pk_add_f16 v52, v114, v52
	v_pk_add_f16 v65, v41, v65
	v_pk_min_f16 v41, v32, v14
	v_pk_add_f16 v54, v115, v54
	v_pk_add_f16 v86, v41, v52
	v_pk_min_f16 v41, v32, v2
	v_pk_max_f16 v34, v34, v34
	v_pk_add_f16 v6, v117, v6
	v_pk_add_f16 v87, v41, v54
	v_pk_min_f16 v41, v34, v12
	v_pk_add_f16 v55, v118, v55
	v_pk_add_f16 v6, v41, v6
	v_pk_min_f16 v41, v34, v14
	v_pk_max_f16 v8, v8, v8
	v_pk_min_f16 v22, v22, v4
	v_pk_min_f16 v32, v32, v4
	v_pk_add_f16 v88, v41, v55
	v_pk_min_f16 v41, v34, v2
	v_pk_min_f16 v34, v34, v4
	;; [unrolled: 1-line block ×7, first 2 shown]
	v_pk_max_f16 v10, v13, v13
	v_pk_add_f16 v4, v4, v7
	v_pk_max_f16 v7, v11, v11
	v_pk_max_f16 v3, v3, v3
	v_pk_min_f16 v11, v7, v10
	v_pk_max_f16 v5, v5, v5
	v_pk_add_f16 v68, v11, v39
	v_pk_max_f16 v11, v15, v15
	v_pk_add_f16 v56, v121, v56
	v_pk_min_f16 v13, v7, v11
	v_pk_add_f16 v12, v12, v56
	v_pk_add_f16 v58, v13, v58
	v_pk_min_f16 v13, v7, v3
	v_pk_add_f16 v53, v96, v53
	v_pk_add_f16 v47, v13, v66
	v_pk_max_f16 v13, v17, v17
	v_pk_add_f16 v53, v119, v53
	v_pk_min_f16 v15, v13, v10
	v_pk_add_f16 v53, v41, v53
	v_pk_add_f16 v77, v15, v61
	v_pk_min_f16 v15, v13, v11
	v_pk_add_f16 v46, v91, v46
	v_pk_add_f16 v66, v15, v67
	v_pk_min_f16 v15, v13, v3
	v_pk_min_f16 v13, v13, v5
	v_pk_add_f16 v56, v15, v71
	v_pk_add_f16 v45, v13, v16
	v_pk_max_f16 v13, v19, v19
	v_pk_add_f16 v46, v112, v46
	v_pk_min_f16 v15, v13, v10
	v_pk_add_f16 v22, v22, v46
	v_pk_add_f16 v75, v15, v62
	v_pk_min_f16 v15, v13, v11
	v_pk_add_f16 v57, v122, v57
	v_pk_add_f16 v64, v15, v72
	v_pk_min_f16 v15, v13, v3
	v_pk_min_f16 v13, v13, v5
	v_pk_add_f16 v54, v15, v73
	v_pk_add_f16 v42, v13, v18
	v_pk_max_f16 v13, v21, v21
	v_pk_add_f16 v43, v94, v43
	v_pk_min_f16 v15, v13, v10
	v_pk_add_f16 v14, v14, v57
	v_pk_add_f16 v74, v15, v63
	v_pk_min_f16 v15, v13, v11
	v_pk_add_f16 v43, v116, v43
	v_pk_add_f16 v62, v15, v37
	v_pk_min_f16 v15, v13, v3
	v_pk_min_f16 v13, v13, v5
	v_pk_add_f16 v52, v15, v76
	v_pk_add_f16 v41, v13, v20
	v_pk_max_f16 v13, v23, v23
	v_pk_add_f16 v32, v32, v43
	v_pk_min_f16 v15, v13, v10
	v_pk_add_f16 v40, v97, v40
	v_pk_add_f16 v76, v15, v83
	v_pk_min_f16 v15, v13, v11
	v_pk_add_f16 v40, v120, v40
	v_pk_add_f16 v67, v15, v84
	v_pk_min_f16 v15, v13, v3
	v_pk_min_f16 v13, v13, v5
	v_pk_add_f16 v57, v15, v85
	v_pk_add_f16 v46, v13, v22
	v_pk_max_f16 v13, v33, v33
	v_pk_add_f16 v51, v100, v51
	v_pk_min_f16 v15, v13, v10
	v_pk_add_f16 v34, v34, v40
	v_pk_add_f16 v73, v15, v65
	v_pk_min_f16 v15, v13, v11
	v_pk_add_f16 v51, v123, v51
	v_pk_add_f16 v65, v15, v86
	v_pk_min_f16 v15, v13, v3
	v_pk_min_f16 v13, v13, v5
	v_pk_add_f16 v55, v15, v87
	v_pk_add_f16 v43, v13, v32
	v_pk_max_f16 v13, v35, v35
	v_pk_add_f16 v2, v2, v51
	v_pk_min_f16 v15, v13, v10
	v_pk_add_f16 v8, v8, v44
	v_pk_add_f16 v72, v15, v6
	v_pk_min_f16 v6, v13, v11
	s_add_i32 s11, s11, 8
	v_pk_add_f16 v63, v6, v88
	v_pk_min_f16 v6, v13, v3
	v_lshl_add_u64 v[28:29], v[28:29], 0, 16
	v_pk_add_f16 v53, v6, v53
	v_pk_min_f16 v6, v13, v5
	v_lshl_add_u64 v[30:31], v[30:31], 0, 16
	v_pk_add_f16 v40, v6, v34
	v_pk_max_f16 v6, v9, v9
	s_cmp_ge_i32 s11, s10
	v_pk_min_f16 v3, v6, v3
	v_pk_min_f16 v9, v6, v10
	v_pk_add_f16 v51, v3, v2
	v_pk_min_f16 v2, v6, v5
	v_pk_add_f16 v71, v9, v12
	;; [unrolled: 2-line block ×4, first 2 shown]
	v_pk_add_f16 v39, v2, v4
	v_lshl_add_u64 v[26:27], v[26:27], 0, 16
	ds_write_b16 v79, v36
	ds_write_b16 v80, v0
	ds_write_b16 v80, v1 offset:512
	s_waitcnt lgkmcnt(0)
	s_barrier
	s_cbranch_scc1 .LBB237_31
.LBB237_21:                             ; =>This Inner Loop Header: Depth=1
	s_and_b64 vcc, exec, s[4:5]
	v_lshl_add_u64 v[36:37], v[26:27], 0, v[24:25]
	v_mov_b32_e32 v83, 0
	s_cbranch_vccnz .LBB237_23
; %bb.22:                               ;   in Loop: Header=BB237_21 Depth=1
	flat_load_ushort v0, v[36:37] offset:16
	s_waitcnt vmcnt(0) lgkmcnt(0)
	v_mul_f16_e32 v83, v48, v0
.LBB237_23:                             ;   in Loop: Header=BB237_21 Depth=1
	s_and_b64 vcc, exec, s[4:5]
	v_lshl_add_u64 v[32:33], v[30:31], 0, v[24:25]
	v_lshl_add_u64 v[34:35], v[28:29], 0, v[24:25]
	s_cbranch_vccnz .LBB237_25
; %bb.24:                               ;   in Loop: Header=BB237_21 Depth=1
	flat_load_ushort v0, v[32:33] offset:16
	flat_load_ushort v1, v[34:35] offset:16
	s_waitcnt vmcnt(0) lgkmcnt(0)
	v_mul_f16_e32 v84, v48, v0
	v_mul_f16_e32 v85, v48, v1
	s_branch .LBB237_26
.LBB237_25:                             ;   in Loop: Header=BB237_21 Depth=1
	v_mov_b32_e32 v84, 0
	v_mov_b32_e32 v85, 0
.LBB237_26:                             ;   in Loop: Header=BB237_21 Depth=1
	ds_read2_b64 v[0:3], v81 offset0:48 offset1:56
	ds_read2_b64 v[12:15], v82 offset0:64 offset1:96
	ds_read2_b64 v[20:23], v82 offset1:32
	ds_read2_b64 v[16:19], v81 offset1:8
	ds_read2_b64 v[8:11], v81 offset0:16 offset1:24
	ds_read2_b64 v[4:7], v81 offset0:32 offset1:40
	s_and_b64 vcc, exec, s[4:5]
	ds_write_b16 v78, v83
	ds_write_b16 v69, v84
	ds_write_b16 v69, v85 offset:512
	s_waitcnt lgkmcnt(0)
	s_barrier
	s_cbranch_vccnz .LBB237_28
; %bb.27:                               ;   in Loop: Header=BB237_21 Depth=1
	flat_load_ushort v36, v[36:37] offset:24
	s_waitcnt vmcnt(0) lgkmcnt(0)
	v_mul_f16_e32 v36, v48, v36
	s_branch .LBB237_29
.LBB237_28:                             ;   in Loop: Header=BB237_21 Depth=1
	v_mov_b32_e32 v36, 0
.LBB237_29:                             ;   in Loop: Header=BB237_21 Depth=1
	v_pk_max_f16 v102, v2, v2
	v_pk_max_f16 v98, v20, v20
	;; [unrolled: 1-line block ×17, first 2 shown]
	v_pk_min_f16 v2, v102, v98
	v_pk_min_f16 v20, v102, v99
	;; [unrolled: 1-line block ×26, first 2 shown]
	v_pk_max_f16 v0, v3, v3
	v_pk_max_f16 v104, v17, v17
	;; [unrolled: 1-line block ×5, first 2 shown]
	v_pk_min_f16 v113, v5, v121
	v_pk_min_f16 v114, v5, v122
	;; [unrolled: 1-line block ×4, first 2 shown]
	v_pk_max_f16 v5, v7, v7
	v_pk_max_f16 v1, v1, v1
	v_pk_min_f16 v85, v85, v103
	v_pk_min_f16 v88, v88, v103
	;; [unrolled: 1-line block ×33, first 2 shown]
	s_and_b64 vcc, exec, s[4:5]
	v_pk_min_f16 v7, v0, v124
	s_cbranch_vccz .LBB237_19
; %bb.30:                               ;   in Loop: Header=BB237_21 Depth=1
	v_mov_b32_e32 v0, 0
	v_mov_b32_e32 v1, 0
	s_branch .LBB237_20
.LBB237_31:
	s_load_dword s10, s[0:1], 0x58
	ds_read_b64 v[20:21], v60 offset:1024
	ds_read_b64 v[26:27], v59 offset:2560
	v_add_u32_e32 v28, s13, v50
	v_cmp_neq_f16_e64 s[4:5], 0, v38
	v_add_u32_e32 v16, s12, v49
	s_waitcnt lgkmcnt(0)
	v_mad_i64_i32 v[0:1], s[12:13], v28, s10, 0
	v_ashrrev_i32_e32 v17, 31, v16
	v_lshl_add_u64 v[22:23], v[0:1], 1, s[8:9]
	s_and_b64 vcc, exec, s[4:5]
	v_mov_b32_e32 v33, 0
	v_mov_b32_e32 v31, 0
	s_cbranch_vccz .LBB237_33
; %bb.32:
	v_lshl_add_u64 v[0:1], v[16:17], 1, v[22:23]
	flat_load_ushort v0, v[0:1]
	s_waitcnt vmcnt(0) lgkmcnt(0)
	v_mul_f16_e32 v31, v38, v0
.LBB237_33:
	ds_read_b64 v[24:25], v59 offset:3008
	ds_read_b64 v[18:19], v60 offset:1792
	ds_read2_b64 v[0:3], v60 offset0:160 offset1:192
	s_load_dword s11, s[0:1], 0x70
	s_load_dwordx2 s[12:13], s[0:1], 0x78
	v_add_u32_e32 v4, 0x800, v59
	v_pk_max_f16 v69, v20, v20
	v_pk_max_f16 v29, v26, v26
	ds_read2_b64 v[12:15], v4 offset0:72 offset1:80
	ds_read2_b64 v[8:11], v4 offset0:88 offset1:96
	;; [unrolled: 1-line block ×3, first 2 shown]
	v_pk_min_f16 v20, v29, v69
	v_pk_max_f16 v70, v21, v21
	v_pk_max_f16 v30, v27, v27
	s_waitcnt lgkmcnt(0)
	s_lshl_b64 s[0:1], s[12:13], 1
	v_pk_add_f16 v20, v20, v77
	v_pk_min_f16 v21, v30, v70
	s_add_u32 s2, s2, s0
	v_pk_add_f16 v32, v21, v20
	s_addc_u32 s3, s3, s1
	v_mad_i64_i32 v[26:27], s[0:1], v28, s11, 0
	v_add_f16_sdwa v32, v32, v32 dst_sel:DWORD dst_unused:UNUSED_PAD src0_sel:DWORD src1_sel:WORD_1
	v_add_u32_e32 v20, 8, v16
	v_lshl_add_u64 v[26:27], v[26:27], 1, s[2:3]
	v_add_f16_e32 v31, v32, v31
	v_cndmask_b32_e64 v32, 0, 1, s[4:5]
	v_ashrrev_i32_e32 v21, 31, v20
	v_lshl_add_u64 v[34:35], v[16:17], 1, v[26:27]
	v_cmp_ne_u32_e64 s[0:1], 1, v32
	s_andn2_b64 vcc, exec, s[4:5]
	global_store_short v[34:35], v31, off
	s_cbranch_vccnz .LBB237_35
; %bb.34:
	v_lshl_add_u64 v[32:33], v[20:21], 1, v[22:23]
	flat_load_ushort v31, v[32:33]
	s_waitcnt vmcnt(0) lgkmcnt(0)
	v_mul_f16_e32 v33, v38, v31
.LBB237_35:
	v_pk_max_f16 v31, v12, v12
	v_pk_max_f16 v32, v13, v13
	v_pk_min_f16 v12, v31, v69
	v_pk_min_f16 v13, v32, v70
	v_pk_add_f16 v12, v12, v75
	s_and_b64 vcc, exec, s[0:1]
	v_pk_add_f16 v12, v13, v12
	v_mov_b32_e32 v37, 0
	v_add_f16_sdwa v34, v12, v12 dst_sel:DWORD dst_unused:UNUSED_PAD src0_sel:DWORD src1_sel:WORD_1
	v_add_u32_e32 v12, 16, v16
	v_add_f16_e32 v33, v34, v33
	v_lshl_add_u64 v[34:35], v[20:21], 1, v[26:27]
	v_ashrrev_i32_e32 v13, 31, v12
	global_store_short v[34:35], v33, off
	v_mov_b32_e32 v35, 0
	s_cbranch_vccnz .LBB237_37
; %bb.36:
	v_lshl_add_u64 v[34:35], v[12:13], 1, v[22:23]
	flat_load_ushort v33, v[34:35]
	s_waitcnt vmcnt(0) lgkmcnt(0)
	v_mul_f16_e32 v35, v38, v33
.LBB237_37:
	v_pk_max_f16 v33, v14, v14
	v_pk_max_f16 v34, v15, v15
	v_pk_min_f16 v14, v33, v69
	v_pk_min_f16 v15, v34, v70
	v_pk_add_f16 v14, v14, v74
	v_lshl_add_u64 v[48:49], v[12:13], 1, v[26:27]
	v_pk_add_f16 v14, v15, v14
	s_and_b64 vcc, exec, s[0:1]
	v_add_f16_sdwa v36, v14, v14 dst_sel:DWORD dst_unused:UNUSED_PAD src0_sel:DWORD src1_sel:WORD_1
	v_add_u32_e32 v14, 24, v16
	v_ashrrev_i32_e32 v15, 31, v14
	v_add_f16_e32 v35, v36, v35
	global_store_short v[48:49], v35, off
	s_cbranch_vccnz .LBB237_39
; %bb.38:
	v_lshl_add_u64 v[36:37], v[14:15], 1, v[22:23]
	flat_load_ushort v35, v[36:37]
	s_waitcnt vmcnt(0) lgkmcnt(0)
	v_mul_f16_e32 v37, v38, v35
.LBB237_39:
	v_pk_max_f16 v35, v8, v8
	v_pk_max_f16 v36, v9, v9
	v_pk_min_f16 v8, v35, v69
	v_pk_min_f16 v9, v36, v70
	v_pk_add_f16 v8, v8, v76
	s_and_b64 vcc, exec, s[0:1]
	v_pk_add_f16 v8, v9, v8
	v_mov_b32_e32 v59, 0
	v_add_f16_sdwa v48, v8, v8 dst_sel:DWORD dst_unused:UNUSED_PAD src0_sel:DWORD src1_sel:WORD_1
	v_add_u32_e32 v8, 32, v16
	v_add_f16_e32 v37, v48, v37
	v_lshl_add_u64 v[48:49], v[14:15], 1, v[26:27]
	v_ashrrev_i32_e32 v9, 31, v8
	global_store_short v[48:49], v37, off
	v_mov_b32_e32 v49, 0
	s_cbranch_vccnz .LBB237_41
; %bb.40:
	v_lshl_add_u64 v[48:49], v[8:9], 1, v[22:23]
	flat_load_ushort v37, v[48:49]
	s_waitcnt vmcnt(0) lgkmcnt(0)
	v_mul_f16_e32 v49, v38, v37
.LBB237_41:
	v_pk_max_f16 v37, v10, v10
	v_pk_max_f16 v48, v11, v11
	v_pk_min_f16 v10, v37, v69
	v_pk_min_f16 v11, v48, v70
	v_pk_add_f16 v10, v10, v73
	v_lshl_add_u64 v[74:75], v[8:9], 1, v[26:27]
	v_pk_add_f16 v10, v11, v10
	s_and_b64 vcc, exec, s[0:1]
	v_add_f16_sdwa v50, v10, v10 dst_sel:DWORD dst_unused:UNUSED_PAD src0_sel:DWORD src1_sel:WORD_1
	v_add_u32_e32 v10, 40, v16
	v_ashrrev_i32_e32 v11, 31, v10
	v_add_f16_e32 v49, v50, v49
	global_store_short v[74:75], v49, off
	s_cbranch_vccnz .LBB237_43
; %bb.42:
	v_lshl_add_u64 v[74:75], v[10:11], 1, v[22:23]
	flat_load_ushort v49, v[74:75]
	s_waitcnt vmcnt(0) lgkmcnt(0)
	v_mul_f16_e32 v59, v38, v49
.LBB237_43:
	v_pk_max_f16 v49, v4, v4
	v_pk_max_f16 v50, v5, v5
	v_pk_min_f16 v4, v49, v69
	v_pk_min_f16 v5, v50, v70
	v_pk_add_f16 v4, v4, v72
	v_lshl_add_u64 v[72:73], v[10:11], 1, v[26:27]
	v_pk_add_f16 v4, v5, v4
	s_and_b64 vcc, exec, s[0:1]
	v_add_f16_sdwa v60, v4, v4 dst_sel:DWORD dst_unused:UNUSED_PAD src0_sel:DWORD src1_sel:WORD_1
	v_add_u32_e32 v4, 48, v16
	v_add_f16_e32 v59, v60, v59
	v_ashrrev_i32_e32 v5, 31, v4
	global_store_short v[72:73], v59, off
	v_mov_b32_e32 v72, 0
	v_mov_b32_e32 v73, 0
	s_cbranch_vccnz .LBB237_45
; %bb.44:
	v_lshl_add_u64 v[74:75], v[4:5], 1, v[22:23]
	flat_load_ushort v59, v[74:75]
	s_waitcnt vmcnt(0) lgkmcnt(0)
	v_mul_f16_e32 v73, v38, v59
.LBB237_45:
	v_pk_max_f16 v59, v6, v6
	v_pk_max_f16 v60, v7, v7
	v_pk_min_f16 v6, v59, v69
	v_pk_min_f16 v7, v60, v70
	v_pk_add_f16 v6, v6, v71
	v_lshl_add_u64 v[74:75], v[4:5], 1, v[26:27]
	v_pk_add_f16 v6, v7, v6
	s_and_b64 vcc, exec, s[0:1]
	v_add_f16_sdwa v71, v6, v6 dst_sel:DWORD dst_unused:UNUSED_PAD src0_sel:DWORD src1_sel:WORD_1
	v_add_u32_e32 v6, 56, v16
	v_ashrrev_i32_e32 v7, 31, v6
	v_add_f16_e32 v71, v71, v73
	global_store_short v[74:75], v71, off
	s_cbranch_vccnz .LBB237_47
; %bb.46:
	v_lshl_add_u64 v[22:23], v[6:7], 1, v[22:23]
	flat_load_ushort v22, v[22:23]
	s_waitcnt vmcnt(0) lgkmcnt(0)
	v_mul_f16_e32 v72, v38, v22
.LBB237_47:
	v_pk_max_f16 v24, v24, v24
	v_pk_max_f16 v25, v25, v25
	v_pk_min_f16 v22, v24, v69
	v_pk_min_f16 v23, v25, v70
	v_pk_add_f16 v22, v22, v68
	v_add_u32_e32 v69, 32, v28
	v_pk_add_f16 v22, v23, v22
	s_and_b64 vcc, exec, s[0:1]
	v_add_f16_sdwa v22, v22, v22 dst_sel:DWORD dst_unused:UNUSED_PAD src0_sel:DWORD src1_sel:WORD_1
	v_add_f16_e32 v68, v22, v72
	v_lshl_add_u64 v[22:23], v[6:7], 1, v[26:27]
	global_store_short v[22:23], v68, off
	v_mad_i64_i32 v[22:23], s[4:5], v69, s10, 0
	v_lshl_add_u64 v[22:23], v[22:23], 1, s[8:9]
	v_mov_b32_e32 v68, 0
	v_mov_b32_e32 v70, 0
	s_cbranch_vccnz .LBB237_49
; %bb.48:
	v_lshl_add_u64 v[26:27], v[16:17], 1, v[22:23]
	flat_load_ushort v26, v[26:27]
	s_waitcnt vmcnt(0) lgkmcnt(0)
	v_mul_f16_e32 v70, v38, v26
.LBB237_49:
	v_pk_max_f16 v26, v0, v0
	v_pk_max_f16 v27, v1, v1
	v_pk_min_f16 v0, v29, v26
	v_pk_min_f16 v1, v30, v27
	v_pk_add_f16 v0, v0, v66
	s_and_b64 vcc, exec, s[0:1]
	v_pk_add_f16 v66, v1, v0
	v_mad_i64_i32 v[0:1], s[4:5], v69, s11, 0
	v_lshl_add_u64 v[0:1], v[0:1], 1, s[2:3]
	v_add_f16_sdwa v66, v66, v66 dst_sel:DWORD dst_unused:UNUSED_PAD src0_sel:DWORD src1_sel:WORD_1
	v_add_f16_e32 v66, v66, v70
	v_lshl_add_u64 v[70:71], v[16:17], 1, v[0:1]
	global_store_short v[70:71], v66, off
	s_cbranch_vccnz .LBB237_51
; %bb.50:
	v_lshl_add_u64 v[68:69], v[20:21], 1, v[22:23]
	flat_load_ushort v66, v[68:69]
	s_waitcnt vmcnt(0) lgkmcnt(0)
	v_mul_f16_e32 v68, v38, v66
.LBB237_51:
	v_pk_min_f16 v66, v31, v26
	s_and_b64 vcc, exec, s[0:1]
	v_pk_add_f16 v64, v66, v64
	v_pk_min_f16 v66, v32, v27
	s_nop 0
	v_pk_add_f16 v64, v66, v64
	v_mov_b32_e32 v66, 0
	v_add_f16_sdwa v64, v64, v64 dst_sel:DWORD dst_unused:UNUSED_PAD src0_sel:DWORD src1_sel:WORD_1
	v_add_f16_e32 v64, v64, v68
	v_lshl_add_u64 v[68:69], v[20:21], 1, v[0:1]
	global_store_short v[68:69], v64, off
	v_mov_b32_e32 v64, 0
	s_cbranch_vccnz .LBB237_53
; %bb.52:
	v_lshl_add_u64 v[68:69], v[12:13], 1, v[22:23]
	flat_load_ushort v66, v[68:69]
	s_waitcnt vmcnt(0) lgkmcnt(0)
	v_mul_f16_e32 v66, v38, v66
.LBB237_53:
	v_pk_min_f16 v68, v33, v26
	s_and_b64 vcc, exec, s[0:1]
	v_pk_add_f16 v62, v68, v62
	v_pk_min_f16 v68, v34, v27
	s_nop 0
	v_pk_add_f16 v62, v68, v62
	v_lshl_add_u64 v[68:69], v[12:13], 1, v[0:1]
	v_add_f16_sdwa v62, v62, v62 dst_sel:DWORD dst_unused:UNUSED_PAD src0_sel:DWORD src1_sel:WORD_1
	v_add_f16_e32 v62, v62, v66
	global_store_short v[68:69], v62, off
	s_cbranch_vccnz .LBB237_55
; %bb.54:
	v_lshl_add_u64 v[68:69], v[14:15], 1, v[22:23]
	flat_load_ushort v62, v[68:69]
	s_waitcnt vmcnt(0) lgkmcnt(0)
	v_mul_f16_e32 v64, v38, v62
.LBB237_55:
	v_pk_min_f16 v62, v35, v26
	v_pk_min_f16 v66, v36, v27
	v_pk_add_f16 v62, v62, v67
	s_and_b64 vcc, exec, s[0:1]
	v_pk_add_f16 v62, v66, v62
	v_lshl_add_u64 v[66:67], v[14:15], 1, v[0:1]
	v_add_f16_sdwa v62, v62, v62 dst_sel:DWORD dst_unused:UNUSED_PAD src0_sel:DWORD src1_sel:WORD_1
	v_add_f16_e32 v62, v62, v64
	global_store_short v[66:67], v62, off
	v_mov_b32_e32 v62, 0
	v_mov_b32_e32 v64, 0
	s_cbranch_vccnz .LBB237_57
; %bb.56:
	v_lshl_add_u64 v[66:67], v[8:9], 1, v[22:23]
	flat_load_ushort v64, v[66:67]
	s_waitcnt vmcnt(0) lgkmcnt(0)
	v_mul_f16_e32 v64, v38, v64
.LBB237_57:
	v_pk_min_f16 v66, v37, v26
	s_and_b64 vcc, exec, s[0:1]
	v_pk_add_f16 v65, v66, v65
	v_pk_min_f16 v66, v48, v27
	s_nop 0
	v_pk_add_f16 v65, v66, v65
	s_nop 0
	v_add_f16_sdwa v65, v65, v65 dst_sel:DWORD dst_unused:UNUSED_PAD src0_sel:DWORD src1_sel:WORD_1
	v_add_f16_e32 v66, v65, v64
	v_lshl_add_u64 v[64:65], v[8:9], 1, v[0:1]
	global_store_short v[64:65], v66, off
	s_cbranch_vccnz .LBB237_59
; %bb.58:
	v_lshl_add_u64 v[64:65], v[10:11], 1, v[22:23]
	flat_load_ushort v62, v[64:65]
	s_waitcnt vmcnt(0) lgkmcnt(0)
	v_mul_f16_e32 v62, v38, v62
.LBB237_59:
	v_pk_min_f16 v64, v49, v26
	s_and_b64 vcc, exec, s[0:1]
	v_pk_add_f16 v63, v64, v63
	v_pk_min_f16 v64, v50, v27
	s_nop 0
	v_pk_add_f16 v63, v64, v63
	s_nop 0
	v_add_f16_sdwa v63, v63, v63 dst_sel:DWORD dst_unused:UNUSED_PAD src0_sel:DWORD src1_sel:WORD_1
	v_add_f16_e32 v64, v63, v62
	v_lshl_add_u64 v[62:63], v[10:11], 1, v[0:1]
	global_store_short v[62:63], v64, off
	v_mov_b32_e32 v62, 0
	v_mov_b32_e32 v63, 0
	s_cbranch_vccnz .LBB237_61
; %bb.60:
	v_lshl_add_u64 v[64:65], v[4:5], 1, v[22:23]
	flat_load_ushort v63, v[64:65]
	s_waitcnt vmcnt(0) lgkmcnt(0)
	v_mul_f16_e32 v63, v38, v63
.LBB237_61:
	v_pk_min_f16 v64, v59, v26
	s_and_b64 vcc, exec, s[0:1]
	v_pk_add_f16 v61, v64, v61
	v_pk_min_f16 v64, v60, v27
	s_nop 0
	v_pk_add_f16 v61, v64, v61
	v_lshl_add_u64 v[64:65], v[4:5], 1, v[0:1]
	v_add_f16_sdwa v61, v61, v61 dst_sel:DWORD dst_unused:UNUSED_PAD src0_sel:DWORD src1_sel:WORD_1
	v_add_f16_e32 v61, v61, v63
	global_store_short v[64:65], v61, off
	s_cbranch_vccnz .LBB237_63
; %bb.62:
	v_lshl_add_u64 v[22:23], v[6:7], 1, v[22:23]
	flat_load_ushort v22, v[22:23]
	s_waitcnt vmcnt(0) lgkmcnt(0)
	v_mul_f16_e32 v62, v38, v22
.LBB237_63:
	v_pk_min_f16 v22, v24, v26
	v_pk_min_f16 v23, v25, v27
	v_pk_add_f16 v22, v22, v58
	v_lshl_add_u64 v[0:1], v[6:7], 1, v[0:1]
	v_pk_add_f16 v22, v23, v22
	v_add_u32_e32 v27, 64, v28
	v_add_f16_sdwa v22, v22, v22 dst_sel:DWORD dst_unused:UNUSED_PAD src0_sel:DWORD src1_sel:WORD_1
	v_add_f16_e32 v22, v22, v62
	global_store_short v[0:1], v22, off
	v_mad_i64_i32 v[0:1], s[4:5], v27, s10, 0
	v_lshl_add_u64 v[0:1], v[0:1], 1, s[8:9]
	s_and_b64 vcc, exec, s[0:1]
	v_mov_b32_e32 v26, 0
	v_mov_b32_e32 v58, 0
	s_cbranch_vccnz .LBB237_65
; %bb.64:
	v_lshl_add_u64 v[22:23], v[16:17], 1, v[0:1]
	flat_load_ushort v22, v[22:23]
	s_waitcnt vmcnt(0) lgkmcnt(0)
	v_mul_f16_e32 v58, v38, v22
.LBB237_65:
	v_pk_max_f16 v22, v2, v2
	v_pk_max_f16 v23, v3, v3
	v_pk_min_f16 v2, v29, v22
	v_pk_min_f16 v3, v30, v23
	v_pk_add_f16 v2, v2, v56
	s_and_b64 vcc, exec, s[0:1]
	v_pk_add_f16 v56, v3, v2
	v_mad_i64_i32 v[2:3], s[4:5], v27, s11, 0
	v_lshl_add_u64 v[2:3], v[2:3], 1, s[2:3]
	v_add_f16_sdwa v27, v56, v56 dst_sel:DWORD dst_unused:UNUSED_PAD src0_sel:DWORD src1_sel:WORD_1
	v_add_f16_e32 v27, v27, v58
	v_lshl_add_u64 v[62:63], v[16:17], 1, v[2:3]
	global_store_short v[62:63], v27, off
	s_cbranch_vccnz .LBB237_67
; %bb.66:
	v_lshl_add_u64 v[26:27], v[20:21], 1, v[0:1]
	flat_load_ushort v26, v[26:27]
	s_waitcnt vmcnt(0) lgkmcnt(0)
	v_mul_f16_e32 v26, v38, v26
.LBB237_67:
	v_pk_min_f16 v27, v31, v22
	s_and_b64 vcc, exec, s[0:1]
	v_pk_add_f16 v27, v27, v54
	v_pk_min_f16 v54, v32, v23
	s_nop 0
	v_pk_add_f16 v27, v54, v27
	s_nop 0
	v_add_f16_sdwa v27, v27, v27 dst_sel:DWORD dst_unused:UNUSED_PAD src0_sel:DWORD src1_sel:WORD_1
	v_add_f16_e32 v54, v27, v26
	v_lshl_add_u64 v[26:27], v[20:21], 1, v[2:3]
	global_store_short v[26:27], v54, off
	v_mov_b32_e32 v26, 0
	v_mov_b32_e32 v27, 0
	s_cbranch_vccnz .LBB237_69
; %bb.68:
	v_lshl_add_u64 v[62:63], v[12:13], 1, v[0:1]
	flat_load_ushort v27, v[62:63]
	s_waitcnt vmcnt(0) lgkmcnt(0)
	v_mul_f16_e32 v27, v38, v27
.LBB237_69:
	v_pk_min_f16 v54, v33, v22
	v_lshl_add_u64 v[62:63], v[12:13], 1, v[2:3]
	v_pk_add_f16 v52, v54, v52
	v_pk_min_f16 v54, v34, v23
	s_and_b64 vcc, exec, s[0:1]
	v_pk_add_f16 v52, v54, v52
	s_nop 0
	v_add_f16_sdwa v52, v52, v52 dst_sel:DWORD dst_unused:UNUSED_PAD src0_sel:DWORD src1_sel:WORD_1
	v_add_f16_e32 v27, v52, v27
	global_store_short v[62:63], v27, off
	s_cbranch_vccnz .LBB237_71
; %bb.70:
	v_lshl_add_u64 v[26:27], v[14:15], 1, v[0:1]
	flat_load_ushort v26, v[26:27]
	s_waitcnt vmcnt(0) lgkmcnt(0)
	v_mul_f16_e32 v26, v38, v26
.LBB237_71:
	v_pk_min_f16 v27, v35, v22
	v_pk_min_f16 v52, v36, v23
	v_pk_add_f16 v27, v27, v57
	s_and_b64 vcc, exec, s[0:1]
	v_pk_add_f16 v27, v52, v27
	s_nop 0
	v_add_f16_sdwa v27, v27, v27 dst_sel:DWORD dst_unused:UNUSED_PAD src0_sel:DWORD src1_sel:WORD_1
	v_add_f16_e32 v52, v27, v26
	v_lshl_add_u64 v[26:27], v[14:15], 1, v[2:3]
	global_store_short v[26:27], v52, off
	v_mov_b32_e32 v26, 0
	v_mov_b32_e32 v27, 0
	s_cbranch_vccnz .LBB237_73
; %bb.72:
	v_lshl_add_u64 v[56:57], v[8:9], 1, v[0:1]
	flat_load_ushort v27, v[56:57]
	s_waitcnt vmcnt(0) lgkmcnt(0)
	v_mul_f16_e32 v27, v38, v27
.LBB237_73:
	v_pk_min_f16 v52, v37, v22
	v_pk_min_f16 v54, v48, v23
	v_pk_add_f16 v52, v52, v55
	s_and_b64 vcc, exec, s[0:1]
	v_pk_add_f16 v52, v54, v52
	v_lshl_add_u64 v[54:55], v[8:9], 1, v[2:3]
	v_add_f16_sdwa v52, v52, v52 dst_sel:DWORD dst_unused:UNUSED_PAD src0_sel:DWORD src1_sel:WORD_1
	v_add_f16_e32 v27, v52, v27
	global_store_short v[54:55], v27, off
	s_cbranch_vccnz .LBB237_75
; %bb.74:
	v_lshl_add_u64 v[26:27], v[10:11], 1, v[0:1]
	flat_load_ushort v26, v[26:27]
	s_waitcnt vmcnt(0) lgkmcnt(0)
	v_mul_f16_e32 v26, v38, v26
.LBB237_75:
	v_pk_min_f16 v27, v49, v22
	v_pk_min_f16 v52, v50, v23
	v_pk_add_f16 v27, v27, v53
	s_and_b64 vcc, exec, s[0:1]
	v_pk_add_f16 v27, v52, v27
	s_nop 0
	v_add_f16_sdwa v27, v27, v27 dst_sel:DWORD dst_unused:UNUSED_PAD src0_sel:DWORD src1_sel:WORD_1
	v_add_f16_e32 v52, v27, v26
	v_lshl_add_u64 v[26:27], v[10:11], 1, v[2:3]
	global_store_short v[26:27], v52, off
	v_mov_b32_e32 v26, 0
	v_mov_b32_e32 v27, 0
	s_cbranch_vccnz .LBB237_77
; %bb.76:
	v_lshl_add_u64 v[52:53], v[4:5], 1, v[0:1]
	flat_load_ushort v27, v[52:53]
	s_waitcnt vmcnt(0) lgkmcnt(0)
	v_mul_f16_e32 v27, v38, v27
.LBB237_77:
	v_pk_min_f16 v52, v59, v22
	s_and_b64 vcc, exec, s[0:1]
	v_pk_add_f16 v51, v52, v51
	v_pk_min_f16 v52, v60, v23
	s_nop 0
	v_pk_add_f16 v51, v52, v51
	v_lshl_add_u64 v[52:53], v[4:5], 1, v[2:3]
	v_add_f16_sdwa v51, v51, v51 dst_sel:DWORD dst_unused:UNUSED_PAD src0_sel:DWORD src1_sel:WORD_1
	v_add_f16_e32 v27, v51, v27
	global_store_short v[52:53], v27, off
	s_cbranch_vccnz .LBB237_79
; %bb.78:
	v_lshl_add_u64 v[0:1], v[6:7], 1, v[0:1]
	flat_load_ushort v0, v[0:1]
	s_waitcnt vmcnt(0) lgkmcnt(0)
	v_mul_f16_e32 v26, v38, v0
.LBB237_79:
	v_pk_min_f16 v0, v24, v22
	v_pk_min_f16 v1, v25, v23
	v_pk_add_f16 v0, v0, v47
	s_and_b64 vcc, exec, s[0:1]
	v_pk_add_f16 v0, v1, v0
	v_mov_b32_e32 v23, 0
	v_add_f16_sdwa v0, v0, v0 dst_sel:DWORD dst_unused:UNUSED_PAD src0_sel:DWORD src1_sel:WORD_1
	v_add_f16_e32 v22, v0, v26
	v_lshl_add_u64 v[0:1], v[6:7], 1, v[2:3]
	v_add_u32_e32 v2, 0x60, v28
	global_store_short v[0:1], v22, off
	v_mad_i64_i32 v[0:1], s[4:5], v2, s10, 0
	v_lshl_add_u64 v[0:1], v[0:1], 1, s[8:9]
	v_mov_b32_e32 v22, 0
	s_cbranch_vccnz .LBB237_81
; %bb.80:
	v_lshl_add_u64 v[26:27], v[16:17], 1, v[0:1]
	flat_load_ushort v3, v[26:27]
	s_waitcnt vmcnt(0) lgkmcnt(0)
	v_mul_f16_e32 v23, v38, v3
.LBB237_81:
	v_pk_max_f16 v18, v18, v18
	v_pk_max_f16 v19, v19, v19
	v_pk_min_f16 v3, v29, v18
	v_pk_min_f16 v26, v30, v19
	v_pk_add_f16 v3, v3, v45
	s_and_b64 vcc, exec, s[0:1]
	v_pk_add_f16 v26, v26, v3
	v_mad_i64_i32 v[2:3], s[4:5], v2, s11, 0
	v_lshl_add_u64 v[2:3], v[2:3], 1, s[2:3]
	v_add_f16_sdwa v26, v26, v26 dst_sel:DWORD dst_unused:UNUSED_PAD src0_sel:DWORD src1_sel:WORD_1
	v_add_f16_e32 v23, v26, v23
	v_lshl_add_u64 v[16:17], v[16:17], 1, v[2:3]
	global_store_short v[16:17], v23, off
	s_cbranch_vccnz .LBB237_83
; %bb.82:
	v_lshl_add_u64 v[16:17], v[20:21], 1, v[0:1]
	flat_load_ushort v16, v[16:17]
	s_waitcnt vmcnt(0) lgkmcnt(0)
	v_mul_f16_e32 v22, v38, v16
.LBB237_83:
	v_pk_min_f16 v16, v31, v18
	v_pk_min_f16 v17, v32, v19
	v_pk_add_f16 v16, v16, v42
	s_and_b64 vcc, exec, s[0:1]
	v_pk_add_f16 v16, v17, v16
	s_nop 0
	v_add_f16_sdwa v16, v16, v16 dst_sel:DWORD dst_unused:UNUSED_PAD src0_sel:DWORD src1_sel:WORD_1
	v_add_f16_e32 v22, v16, v22
	v_lshl_add_u64 v[16:17], v[20:21], 1, v[2:3]
	global_store_short v[16:17], v22, off
	v_mov_b32_e32 v16, 0
	v_mov_b32_e32 v17, 0
	s_cbranch_vccnz .LBB237_85
; %bb.84:
	v_lshl_add_u64 v[20:21], v[12:13], 1, v[0:1]
	flat_load_ushort v17, v[20:21]
	s_waitcnt vmcnt(0) lgkmcnt(0)
	v_mul_f16_e32 v17, v38, v17
.LBB237_85:
	v_pk_min_f16 v20, v33, v18
	v_pk_min_f16 v21, v34, v19
	v_pk_add_f16 v20, v20, v41
	v_lshl_add_u64 v[12:13], v[12:13], 1, v[2:3]
	v_pk_add_f16 v20, v21, v20
	s_and_b64 vcc, exec, s[0:1]
	v_add_f16_sdwa v20, v20, v20 dst_sel:DWORD dst_unused:UNUSED_PAD src0_sel:DWORD src1_sel:WORD_1
	v_add_f16_e32 v17, v20, v17
	global_store_short v[12:13], v17, off
	s_cbranch_vccnz .LBB237_87
; %bb.86:
	v_lshl_add_u64 v[12:13], v[14:15], 1, v[0:1]
	flat_load_ushort v12, v[12:13]
	s_waitcnt vmcnt(0) lgkmcnt(0)
	v_mul_f16_e32 v16, v38, v12
.LBB237_87:
	v_pk_min_f16 v12, v35, v18
	v_pk_min_f16 v13, v36, v19
	v_pk_add_f16 v12, v12, v46
	s_and_b64 vcc, exec, s[0:1]
	v_pk_add_f16 v12, v13, v12
	s_nop 0
	v_add_f16_sdwa v12, v12, v12 dst_sel:DWORD dst_unused:UNUSED_PAD src0_sel:DWORD src1_sel:WORD_1
	v_add_f16_e32 v16, v12, v16
	v_lshl_add_u64 v[12:13], v[14:15], 1, v[2:3]
	global_store_short v[12:13], v16, off
	v_mov_b32_e32 v12, 0
	v_mov_b32_e32 v13, 0
	s_cbranch_vccnz .LBB237_89
; %bb.88:
	v_lshl_add_u64 v[14:15], v[8:9], 1, v[0:1]
	flat_load_ushort v13, v[14:15]
	s_waitcnt vmcnt(0) lgkmcnt(0)
	v_mul_f16_e32 v13, v38, v13
.LBB237_89:
	v_pk_min_f16 v14, v37, v18
	v_pk_min_f16 v15, v48, v19
	v_pk_add_f16 v14, v14, v43
	v_lshl_add_u64 v[8:9], v[8:9], 1, v[2:3]
	v_pk_add_f16 v14, v15, v14
	s_and_b64 vcc, exec, s[0:1]
	v_add_f16_sdwa v14, v14, v14 dst_sel:DWORD dst_unused:UNUSED_PAD src0_sel:DWORD src1_sel:WORD_1
	v_add_f16_e32 v13, v14, v13
	global_store_short v[8:9], v13, off
	s_cbranch_vccnz .LBB237_91
; %bb.90:
	v_lshl_add_u64 v[8:9], v[10:11], 1, v[0:1]
	flat_load_ushort v8, v[8:9]
	s_waitcnt vmcnt(0) lgkmcnt(0)
	v_mul_f16_e32 v12, v38, v8
.LBB237_91:
	v_pk_min_f16 v8, v49, v18
	v_pk_min_f16 v9, v50, v19
	v_pk_add_f16 v8, v8, v40
	v_pk_min_f16 v13, v60, v19
	v_pk_add_f16 v8, v9, v8
	v_pk_min_f16 v9, v59, v18
	v_add_f16_sdwa v8, v8, v8 dst_sel:DWORD dst_unused:UNUSED_PAD src0_sel:DWORD src1_sel:WORD_1
	v_pk_add_f16 v9, v9, v44
	v_add_f16_e32 v12, v8, v12
	v_pk_add_f16 v13, v13, v9
	v_lshl_add_u64 v[8:9], v[10:11], 1, v[2:3]
	global_store_short v[8:9], v12, off
	v_add_f16_sdwa v8, v13, v13 dst_sel:DWORD dst_unused:UNUSED_PAD src0_sel:DWORD src1_sel:WORD_1
	s_mov_b64 vcc, s[6:7]
	s_cbranch_vccz .LBB237_94
; %bb.92:
	v_add_f16_e32 v9, 0, v8
	v_lshl_add_u64 v[10:11], v[4:5], 1, v[2:3]
	s_mov_b32 s2, 0
	global_store_short v[10:11], v9, off
	s_cbranch_execz .LBB237_95
; %bb.93:
	v_mov_b32_e32 v0, s2
	s_branch .LBB237_96
.LBB237_94:
                                        ; implicit-def: $sgpr2
.LBB237_95:
	v_lshlrev_b64 v[4:5], 1, v[4:5]
	v_lshl_add_u64 v[10:11], v[0:1], 0, v[4:5]
	flat_load_ushort v9, v[10:11]
	v_lshl_add_u64 v[4:5], v[2:3], 0, v[4:5]
	v_lshl_add_u64 v[0:1], v[6:7], 1, v[0:1]
	s_waitcnt vmcnt(0) lgkmcnt(0)
	v_fma_f16 v8, v38, v9, v8
	global_store_short v[4:5], v8, off
	flat_load_ushort v0, v[0:1]
	s_waitcnt vmcnt(0) lgkmcnt(0)
	v_mul_f16_e32 v0, v38, v0
.LBB237_96:
	v_pk_min_f16 v4, v24, v18
	v_pk_min_f16 v1, v25, v19
	v_pk_add_f16 v4, v4, v39
	s_nop 0
	v_pk_add_f16 v1, v1, v4
	s_nop 0
	v_add_f16_sdwa v1, v1, v1 dst_sel:DWORD dst_unused:UNUSED_PAD src0_sel:DWORD src1_sel:WORD_1
	v_add_f16_e32 v4, v1, v0
	v_lshl_add_u64 v[0:1], v[6:7], 1, v[2:3]
	global_store_short v[0:1], v4, off
	s_endpgm
	.section	.rodata,"a",@progbits
	.p2align	6, 0x0
	.amdhsa_kernel _ZN12_GLOBAL__N_120geam_min_plus_kernelIDF16_Dv2_DF16_S1_Li8ELi32ELi64ELi128ELi4ELi4ELi64ELi4ELi64ELc84ELc78ELb0ELb0ELb0EPKDF16_KS3_KPDF16_EEviiiT16_PT17_ilS9_ilS7_S9_ilPT18_ili26rocblas_geam_ex_operation_
		.amdhsa_group_segment_fixed_size 3072
		.amdhsa_private_segment_fixed_size 0
		.amdhsa_kernarg_size 136
		.amdhsa_user_sgpr_count 2
		.amdhsa_user_sgpr_dispatch_ptr 0
		.amdhsa_user_sgpr_queue_ptr 0
		.amdhsa_user_sgpr_kernarg_segment_ptr 1
		.amdhsa_user_sgpr_dispatch_id 0
		.amdhsa_user_sgpr_kernarg_preload_length 0
		.amdhsa_user_sgpr_kernarg_preload_offset 0
		.amdhsa_user_sgpr_private_segment_size 0
		.amdhsa_uses_dynamic_stack 0
		.amdhsa_enable_private_segment 0
		.amdhsa_system_sgpr_workgroup_id_x 1
		.amdhsa_system_sgpr_workgroup_id_y 0
		.amdhsa_system_sgpr_workgroup_id_z 1
		.amdhsa_system_sgpr_workgroup_info 0
		.amdhsa_system_vgpr_workitem_id 1
		.amdhsa_next_free_vgpr 125
		.amdhsa_next_free_sgpr 24
		.amdhsa_accum_offset 128
		.amdhsa_reserve_vcc 1
		.amdhsa_float_round_mode_32 0
		.amdhsa_float_round_mode_16_64 0
		.amdhsa_float_denorm_mode_32 3
		.amdhsa_float_denorm_mode_16_64 3
		.amdhsa_dx10_clamp 1
		.amdhsa_ieee_mode 1
		.amdhsa_fp16_overflow 0
		.amdhsa_tg_split 0
		.amdhsa_exception_fp_ieee_invalid_op 0
		.amdhsa_exception_fp_denorm_src 0
		.amdhsa_exception_fp_ieee_div_zero 0
		.amdhsa_exception_fp_ieee_overflow 0
		.amdhsa_exception_fp_ieee_underflow 0
		.amdhsa_exception_fp_ieee_inexact 0
		.amdhsa_exception_int_div_zero 0
	.end_amdhsa_kernel
	.section	.text._ZN12_GLOBAL__N_120geam_min_plus_kernelIDF16_Dv2_DF16_S1_Li8ELi32ELi64ELi128ELi4ELi4ELi64ELi4ELi64ELc84ELc78ELb0ELb0ELb0EPKDF16_KS3_KPDF16_EEviiiT16_PT17_ilS9_ilS7_S9_ilPT18_ili26rocblas_geam_ex_operation_,"axG",@progbits,_ZN12_GLOBAL__N_120geam_min_plus_kernelIDF16_Dv2_DF16_S1_Li8ELi32ELi64ELi128ELi4ELi4ELi64ELi4ELi64ELc84ELc78ELb0ELb0ELb0EPKDF16_KS3_KPDF16_EEviiiT16_PT17_ilS9_ilS7_S9_ilPT18_ili26rocblas_geam_ex_operation_,comdat
.Lfunc_end237:
	.size	_ZN12_GLOBAL__N_120geam_min_plus_kernelIDF16_Dv2_DF16_S1_Li8ELi32ELi64ELi128ELi4ELi4ELi64ELi4ELi64ELc84ELc78ELb0ELb0ELb0EPKDF16_KS3_KPDF16_EEviiiT16_PT17_ilS9_ilS7_S9_ilPT18_ili26rocblas_geam_ex_operation_, .Lfunc_end237-_ZN12_GLOBAL__N_120geam_min_plus_kernelIDF16_Dv2_DF16_S1_Li8ELi32ELi64ELi128ELi4ELi4ELi64ELi4ELi64ELc84ELc78ELb0ELb0ELb0EPKDF16_KS3_KPDF16_EEviiiT16_PT17_ilS9_ilS7_S9_ilPT18_ili26rocblas_geam_ex_operation_
                                        ; -- End function
	.section	.AMDGPU.csdata,"",@progbits
; Kernel info:
; codeLenInByte = 8892
; NumSgprs: 30
; NumVgprs: 125
; NumAgprs: 0
; TotalNumVgprs: 125
; ScratchSize: 0
; MemoryBound: 0
; FloatMode: 240
; IeeeMode: 1
; LDSByteSize: 3072 bytes/workgroup (compile time only)
; SGPRBlocks: 3
; VGPRBlocks: 15
; NumSGPRsForWavesPerEU: 30
; NumVGPRsForWavesPerEU: 125
; AccumOffset: 128
; Occupancy: 4
; WaveLimiterHint : 1
; COMPUTE_PGM_RSRC2:SCRATCH_EN: 0
; COMPUTE_PGM_RSRC2:USER_SGPR: 2
; COMPUTE_PGM_RSRC2:TRAP_HANDLER: 0
; COMPUTE_PGM_RSRC2:TGID_X_EN: 1
; COMPUTE_PGM_RSRC2:TGID_Y_EN: 0
; COMPUTE_PGM_RSRC2:TGID_Z_EN: 1
; COMPUTE_PGM_RSRC2:TIDIG_COMP_CNT: 1
; COMPUTE_PGM_RSRC3_GFX90A:ACCUM_OFFSET: 31
; COMPUTE_PGM_RSRC3_GFX90A:TG_SPLIT: 0
	.section	.text._ZN12_GLOBAL__N_120geam_min_plus_kernelIDF16_Dv2_DF16_S1_Li8ELi32ELi64ELi128ELi4ELi4ELi64ELi4ELi64ELc84ELc78ELb1ELb0ELb0EDF16_KPKDF16_KPDF16_EEviiiT16_PT17_ilS9_ilS7_S9_ilPT18_ili26rocblas_geam_ex_operation_,"axG",@progbits,_ZN12_GLOBAL__N_120geam_min_plus_kernelIDF16_Dv2_DF16_S1_Li8ELi32ELi64ELi128ELi4ELi4ELi64ELi4ELi64ELc84ELc78ELb1ELb0ELb0EDF16_KPKDF16_KPDF16_EEviiiT16_PT17_ilS9_ilS7_S9_ilPT18_ili26rocblas_geam_ex_operation_,comdat
	.globl	_ZN12_GLOBAL__N_120geam_min_plus_kernelIDF16_Dv2_DF16_S1_Li8ELi32ELi64ELi128ELi4ELi4ELi64ELi4ELi64ELc84ELc78ELb1ELb0ELb0EDF16_KPKDF16_KPDF16_EEviiiT16_PT17_ilS9_ilS7_S9_ilPT18_ili26rocblas_geam_ex_operation_ ; -- Begin function _ZN12_GLOBAL__N_120geam_min_plus_kernelIDF16_Dv2_DF16_S1_Li8ELi32ELi64ELi128ELi4ELi4ELi64ELi4ELi64ELc84ELc78ELb1ELb0ELb0EDF16_KPKDF16_KPDF16_EEviiiT16_PT17_ilS9_ilS7_S9_ilPT18_ili26rocblas_geam_ex_operation_
	.p2align	8
	.type	_ZN12_GLOBAL__N_120geam_min_plus_kernelIDF16_Dv2_DF16_S1_Li8ELi32ELi64ELi128ELi4ELi4ELi64ELi4ELi64ELc84ELc78ELb1ELb0ELb0EDF16_KPKDF16_KPDF16_EEviiiT16_PT17_ilS9_ilS7_S9_ilPT18_ili26rocblas_geam_ex_operation_,@function
_ZN12_GLOBAL__N_120geam_min_plus_kernelIDF16_Dv2_DF16_S1_Li8ELi32ELi64ELi128ELi4ELi4ELi64ELi4ELi64ELc84ELc78ELb1ELb0ELb0EDF16_KPKDF16_KPDF16_EEviiiT16_PT17_ilS9_ilS7_S9_ilPT18_ili26rocblas_geam_ex_operation_: ; @_ZN12_GLOBAL__N_120geam_min_plus_kernelIDF16_Dv2_DF16_S1_Li8ELi32ELi64ELi128ELi4ELi4ELi64ELi4ELi64ELc84ELc78ELb1ELb0ELb0EDF16_KPKDF16_KPDF16_EEviiiT16_PT17_ilS9_ilS7_S9_ilPT18_ili26rocblas_geam_ex_operation_
; %bb.0:
	s_load_dwordx2 s[12:13], s[0:1], 0x8
	s_load_dwordx4 s[4:7], s[0:1], 0x20
	s_mov_b32 s18, s3
	s_mov_b32 s19, 0
	s_waitcnt lgkmcnt(0)
	v_cmp_eq_f16_e64 s[8:9], s13, 0
	s_and_b64 vcc, exec, s[8:9]
	s_cbranch_vccnz .LBB238_3
; %bb.1:
	s_load_dwordx2 s[10:11], s[0:1], 0x10
	s_lshl_b64 s[14:15], s[18:19], 3
	s_waitcnt lgkmcnt(0)
	s_add_u32 s10, s10, s14
	s_addc_u32 s11, s11, s15
	s_load_dwordx2 s[10:11], s[10:11], 0x0
	s_lshl_b64 s[4:5], s[4:5], 1
	s_waitcnt lgkmcnt(0)
	s_add_u32 s16, s10, s4
	s_addc_u32 s17, s11, s5
	s_andn2_b64 vcc, exec, s[8:9]
	s_cbranch_vccnz .LBB238_4
.LBB238_2:
	s_mov_b64 s[14:15], 0
	s_cbranch_execz .LBB238_5
	s_branch .LBB238_6
.LBB238_3:
	s_mov_b64 s[16:17], 0
	s_andn2_b64 vcc, exec, s[8:9]
	s_cbranch_vccz .LBB238_2
.LBB238_4:
                                        ; implicit-def: $sgpr14_sgpr15
.LBB238_5:
	s_lshl_b64 s[8:9], s[18:19], 3
	s_add_u32 s6, s6, s8
	s_load_dwordx2 s[4:5], s[0:1], 0x38
	s_addc_u32 s7, s7, s9
	s_load_dwordx2 s[6:7], s[6:7], 0x0
	s_waitcnt lgkmcnt(0)
	s_lshl_b64 s[4:5], s[4:5], 1
	s_add_u32 s14, s6, s4
	s_addc_u32 s15, s7, s5
.LBB238_6:
	s_load_dword s13, s[0:1], 0x40
	s_load_dwordx4 s[8:11], s[0:1], 0x58
	s_waitcnt lgkmcnt(0)
	v_cmp_eq_f16_e64 s[4:5], s13, 0
	s_and_b64 s[4:5], exec, s[4:5]
	s_mov_b64 vcc, s[4:5]
	s_cbranch_vccnz .LBB238_8
; %bb.7:
	s_load_dwordx2 s[6:7], s[0:1], 0x48
	s_lshl_b64 s[20:21], s[18:19], 3
	s_waitcnt lgkmcnt(0)
	s_add_u32 s6, s6, s20
	s_addc_u32 s7, s7, s21
	s_load_dwordx2 s[6:7], s[6:7], 0x0
	s_lshl_b64 s[8:9], s[8:9], 1
	s_waitcnt lgkmcnt(0)
	s_add_u32 s6, s6, s8
	s_addc_u32 s7, s7, s9
	s_branch .LBB238_9
.LBB238_8:
	s_mov_b64 s[6:7], 0
.LBB238_9:
	s_load_dword s3, s[0:1], 0x0
	s_load_dword s20, s[0:1], 0x18
	;; [unrolled: 1-line block ×3, first 2 shown]
	s_lshl_b64 s[8:9], s[18:19], 3
	s_add_u32 s8, s10, s8
	s_addc_u32 s9, s11, s9
	s_waitcnt lgkmcnt(0)
	s_add_i32 s3, s3, -1
	s_ashr_i32 s10, s3, 31
	s_lshr_b32 s10, s10, 26
	s_add_i32 s3, s3, s10
	s_ashr_i32 s3, s3, 6
	s_add_i32 s10, s3, 1
	v_cvt_f32_u32_e32 v1, s10
	v_and_b32_e32 v33, 0x3ff, v0
	v_bfe_u32 v34, v0, 10, 10
	s_not_b32 s3, s3
	v_rcp_iflag_f32_e32 v1, v1
	v_lshlrev_b32_e32 v32, 3, v34
	v_and_b32_e32 v2, 3, v33
	v_lshlrev_b32_e32 v26, 1, v2
	v_mul_f32_e32 v0, 0x4f7ffffe, v1
	v_cvt_u32_f32_e32 v0, v0
	v_add_u32_e32 v1, v32, v33
	v_lshrrev_b32_e32 v10, 2, v1
	v_mov_b32_e32 v27, 0
	v_readfirstlane_b32 s11, v0
	s_mul_i32 s3, s3, s11
	s_mul_hi_u32 s3, s11, s3
	s_add_i32 s11, s11, s3
	s_mul_hi_u32 s3, s2, s11
	s_mul_i32 s11, s3, s10
	s_sub_i32 s11, s2, s11
	s_add_i32 s18, s3, 1
	s_sub_i32 s19, s11, s10
	s_cmp_ge_u32 s11, s10
	s_cselect_b32 s3, s18, s3
	s_cselect_b32 s11, s19, s11
	s_add_i32 s18, s3, 1
	s_cmp_ge_u32 s11, s10
	s_cselect_b32 s3, s18, s3
	s_mul_i32 s10, s3, s10
	s_sub_i32 s2, s2, s10
	s_lshl_b32 s11, s3, 7
	s_lshl_b32 s10, s2, 6
	v_add_u32_e32 v6, s11, v10
	v_add_u32_e32 v0, s10, v10
	v_mad_i64_i32 v[4:5], s[2:3], v6, s21, 0
	v_add_u32_e32 v6, 64, v6
	v_mad_i64_i32 v[0:1], s[2:3], v0, s20, 0
	v_lshl_add_u64 v[2:3], s[14:15], 0, v[26:27]
	v_mad_i64_i32 v[6:7], s[2:3], v6, s21, 0
	v_lshl_add_u64 v[24:25], v[0:1], 1, s[16:17]
	v_lshl_add_u64 v[8:9], v[4:5], 1, v[2:3]
	;; [unrolled: 1-line block ×4, first 2 shown]
	flat_load_ushort v11, v[8:9]
	flat_load_ushort v12, v[2:3]
	;; [unrolled: 1-line block ×3, first 2 shown]
	s_load_dwordx2 s[2:3], s[8:9], 0x0
	flat_load_ushort v38, v[2:3] offset:8
	flat_load_ushort v39, v[8:9] offset:8
	;; [unrolled: 1-line block ×3, first 2 shown]
	v_lshlrev_b32_e32 v35, 3, v33
	v_add_u32_e32 v36, 0x800, v35
	v_lshl_or_b32 v37, v10, 3, v26
	s_cmp_lt_i32 s12, 9
	s_waitcnt vmcnt(0) lgkmcnt(0)
	ds_write_b16 v37, v11
	ds_write_b16 v37, v12 offset:512
	ds_write_b16 v37, v13 offset:2048
	s_waitcnt lgkmcnt(0)
	s_barrier
	ds_read2_b64 v[0:3], v36 offset0:48 offset1:56
	ds_read2_b64 v[8:11], v32 offset1:32
	ds_read2_b64 v[12:15], v32 offset0:64 offset1:96
	ds_read2_b64 v[16:19], v36 offset1:8
	ds_read2_b64 v[20:23], v36 offset0:16 offset1:24
	ds_read2_b64 v[28:31], v36 offset0:32 offset1:40
	s_waitcnt lgkmcnt(4)
	v_pk_max_f16 v8, v8, v8
	v_pk_max_f16 v2, v2, v2
	;; [unrolled: 1-line block ×3, first 2 shown]
	s_waitcnt lgkmcnt(3)
	v_pk_max_f16 v12, v12, v12
	s_waitcnt lgkmcnt(2)
	v_pk_max_f16 v16, v16, v16
	v_pk_max_f16 v14, v14, v14
	;; [unrolled: 1-line block ×3, first 2 shown]
	s_waitcnt lgkmcnt(1)
	v_pk_max_f16 v20, v20, v20
	v_pk_max_f16 v22, v22, v22
	s_waitcnt lgkmcnt(0)
	v_pk_max_f16 v28, v28, v28
	v_pk_max_f16 v30, v30, v30
	;; [unrolled: 1-line block ×4, first 2 shown]
	v_pk_min_f16 v49, v2, v8
	v_pk_max_f16 v3, v3, v3
	v_pk_max_f16 v11, v11, v11
	v_pk_min_f16 v41, v16, v8
	v_pk_min_f16 v42, v16, v10
	;; [unrolled: 1-line block ×31, first 2 shown]
	v_pk_add_f16 v14, v49, 0
	v_pk_min_f16 v49, v3, v9
	v_pk_max_f16 v13, v13, v13
	v_pk_add_f16 v67, v49, v14
	v_pk_add_f16 v14, v50, 0
	v_pk_min_f16 v49, v3, v11
	v_pk_max_f16 v17, v17, v17
	v_pk_add_f16 v59, v49, v14
	;; [unrolled: 4-line block ×9, first 2 shown]
	v_pk_add_f16 v14, v46, 0
	v_pk_min_f16 v16, v19, v13
	v_pk_add_f16 v8, v8, 0
	v_pk_add_f16 v57, v16, v14
	v_pk_add_f16 v14, v18, 0
	v_pk_min_f16 v16, v19, v15
	v_pk_add_f16 v17, v70, 0
	v_pk_add_f16 v49, v16, v14
	;; [unrolled: 4-line block ×5, first 2 shown]
	v_pk_add_f16 v14, v20, 0
	v_pk_min_f16 v16, v21, v15
	v_pk_min_f16 v20, v29, v15
	v_pk_add_f16 v48, v16, v14
	v_pk_add_f16 v14, v53, 0
	v_pk_min_f16 v16, v23, v9
	v_pk_add_f16 v19, v30, 0
	v_pk_add_f16 v74, v16, v14
	v_pk_add_f16 v14, v54, 0
	v_pk_min_f16 v16, v23, v11
	v_pk_add_f16 v12, v12, 0
	;; [unrolled: 4-line block ×3, first 2 shown]
	v_pk_add_f16 v55, v16, v14
	v_pk_add_f16 v14, v22, 0
	v_pk_min_f16 v16, v23, v15
	ds_write_b16 v37, v40 offset:2560
	ds_write_b16 v37, v39 offset:1024
	ds_write_b16 v37, v38 offset:1536
	v_pk_add_f16 v47, v16, v14
	v_pk_add_f16 v14, v60, 0
	v_pk_min_f16 v16, v29, v9
	s_waitcnt lgkmcnt(0)
	v_pk_add_f16 v73, v16, v14
	v_pk_add_f16 v14, v61, 0
	v_pk_min_f16 v16, v29, v11
	s_barrier
	v_pk_add_f16 v62, v16, v14
	v_pk_add_f16 v14, v68, 0
	v_pk_min_f16 v16, v29, v13
	s_nop 0
	v_pk_add_f16 v54, v16, v14
	v_pk_add_f16 v14, v28, 0
	;; [unrolled: 1-line block ×4, first 2 shown]
	v_pk_min_f16 v14, v31, v9
	v_pk_min_f16 v9, v1, v9
	v_pk_add_f16 v72, v14, v16
	v_pk_min_f16 v14, v31, v11
	v_pk_add_f16 v71, v9, v8
	;; [unrolled: 2-line block ×4, first 2 shown]
	v_pk_min_f16 v8, v1, v13
	v_pk_min_f16 v1, v1, v15
	v_pk_add_f16 v53, v14, v18
	v_pk_min_f16 v14, v31, v15
	v_pk_add_f16 v45, v1, v0
	;; [unrolled: 2-line block ×3, first 2 shown]
	v_pk_add_f16 v52, v8, v12
	v_pk_add_f16 v43, v0, v2
	s_cbranch_scc1 .LBB238_12
; %bb.10:
	v_mov_b32_e32 v0, 0xa00
	v_lshl_add_u32 v41, v33, 3, v0
	v_mov_b32_e32 v0, 0x400
	v_add_u32_e32 v38, 0x800, v37
	v_add_u32_e32 v39, 0xa00, v37
	;; [unrolled: 1-line block ×3, first 2 shown]
	s_add_i32 s8, s12, -8
	v_lshl_add_u32 v42, v34, 3, v0
	v_lshl_add_u64 v[28:29], v[6:7], 1, s[14:15]
	v_lshl_add_u64 v[30:31], v[4:5], 1, s[14:15]
	s_mov_b32 s9, 0
.LBB238_11:                             ; =>This Inner Loop Header: Depth=1
	ds_read2_b64 v[0:3], v41 offset0:48 offset1:56
	ds_read2_b64 v[4:7], v42 offset0:64 offset1:96
	ds_read2_b64 v[20:23], v42 offset1:32
	ds_read2_b64 v[16:19], v41 offset1:8
	ds_read2_b64 v[12:15], v41 offset0:16 offset1:24
	ds_read2_b64 v[8:11], v41 offset0:32 offset1:40
	s_waitcnt lgkmcnt(5)
	v_pk_max_f16 v2, v2, v2
	s_waitcnt lgkmcnt(3)
	v_pk_max_f16 v20, v20, v20
	v_pk_max_f16 v22, v22, v22
	v_pk_max_f16 v4, v4, v4
	s_waitcnt lgkmcnt(2)
	v_pk_max_f16 v16, v16, v16
	v_pk_max_f16 v6, v6, v6
	;; [unrolled: 4-line block ×3, first 2 shown]
	s_waitcnt lgkmcnt(0)
	v_pk_max_f16 v8, v8, v8
	v_pk_max_f16 v10, v10, v10
	;; [unrolled: 1-line block ×15, first 2 shown]
	v_pk_min_f16 v68, v2, v20
	v_pk_min_f16 v69, v2, v22
	;; [unrolled: 1-line block ×38, first 2 shown]
	v_lshl_add_u64 v[0:1], v[24:25], 0, v[26:27]
	v_pk_min_f16 v82, v18, v4
	v_pk_min_f16 v18, v18, v6
	;; [unrolled: 1-line block ×26, first 2 shown]
	v_pk_add_f16 v16, v16, v50
	v_pk_add_f16 v50, v80, v76
	v_lshl_add_u64 v[2:3], v[30:31], 0, v[26:27]
	flat_load_ushort v80, v[0:1] offset:16
	v_pk_add_f16 v65, v81, v65
	v_lshl_add_u64 v[4:5], v[28:29], 0, v[26:27]
	flat_load_ushort v81, v[2:3] offset:16
	v_pk_add_f16 v59, v69, v59
	v_pk_add_f16 v69, v82, v57
	flat_load_ushort v82, v[4:5] offset:16
	v_pk_add_f16 v67, v68, v67
	v_pk_add_f16 v68, v70, v77
	;; [unrolled: 1-line block ×13, first 2 shown]
	s_waitcnt vmcnt(0) lgkmcnt(0)
	ds_write_b16 v38, v80
	ds_write_b16 v37, v81
	ds_write_b16 v37, v82 offset:512
	s_waitcnt lgkmcnt(0)
	s_barrier
	flat_load_ushort v68, v[0:1] offset:24
	flat_load_ushort v69, v[2:3] offset:24
	flat_load_ushort v70, v[4:5] offset:24
	v_pk_add_f16 v51, v95, v51
	v_pk_add_f16 v58, v79, v58
	;; [unrolled: 1-line block ×35, first 2 shown]
	ds_read2_b64 v[0:3], v36 offset0:48 offset1:56
	ds_read2_b64 v[20:23], v32 offset1:32
	ds_read2_b64 v[12:15], v32 offset0:64 offset1:96
	ds_read2_b64 v[16:19], v36 offset1:8
	ds_read2_b64 v[8:11], v36 offset0:16 offset1:24
	ds_read2_b64 v[4:7], v36 offset0:32 offset1:40
	v_pk_add_f16 v79, v94, v53
	v_pk_add_f16 v64, v84, v64
	;; [unrolled: 1-line block ×5, first 2 shown]
	s_waitcnt lgkmcnt(0)
	v_pk_max_f16 v20, v20, v20
	v_pk_max_f16 v78, v2, v2
	;; [unrolled: 1-line block ×12, first 2 shown]
	v_pk_add_f16 v53, v117, v59
	v_pk_add_f16 v59, v101, v50
	v_pk_add_f16 v63, v104, v49
	v_pk_add_f16 v64, v105, v64
	v_pk_add_f16 v49, v119, v83
	v_pk_add_f16 v50, v120, v84
	v_pk_max_f16 v2, v21, v21
	v_pk_max_f16 v0, v3, v3
	;; [unrolled: 1-line block ×12, first 2 shown]
	v_pk_min_f16 v94, v16, v20
	v_pk_min_f16 v95, v16, v22
	;; [unrolled: 1-line block ×64, first 2 shown]
	v_pk_add_f16 v6, v114, v52
	v_pk_add_f16 v52, v115, v53
	;; [unrolled: 1-line block ×23, first 2 shown]
	s_add_i32 s9, s9, 8
	v_pk_add_f16 v1, v1, v43
	v_pk_add_f16 v5, v5, v44
	;; [unrolled: 1-line block ×9, first 2 shown]
	v_lshl_add_u64 v[28:29], v[28:29], 0, 16
	v_lshl_add_u64 v[30:31], v[30:31], 0, 16
	;; [unrolled: 1-line block ×3, first 2 shown]
	s_cmp_ge_i32 s9, s8
	v_pk_add_f16 v67, v92, v6
	v_pk_add_f16 v59, v117, v52
	;; [unrolled: 1-line block ×32, first 2 shown]
	s_waitcnt vmcnt(0)
	ds_write_b16 v39, v68
	ds_write_b16 v40, v69
	ds_write_b16 v40, v70 offset:512
	s_waitcnt lgkmcnt(0)
	s_barrier
	s_cbranch_scc0 .LBB238_11
.LBB238_12:
	s_load_dword s12, s[0:1], 0x50
	ds_read_b64 v[20:21], v32 offset:1024
	ds_read_b64 v[26:27], v35 offset:2560
	v_add_u32_e32 v28, s11, v34
	v_cmp_neq_f16_e64 s[8:9], s13, 0
	v_add_u32_e32 v16, s10, v33
	s_waitcnt lgkmcnt(0)
	v_mad_i64_i32 v[0:1], s[10:11], v28, s12, 0
	v_ashrrev_i32_e32 v17, 31, v16
	v_lshl_add_u64 v[22:23], v[0:1], 1, s[6:7]
	s_and_b64 vcc, exec, s[8:9]
	v_mov_b32_e32 v33, 0
	v_mov_b32_e32 v31, 0
	s_cbranch_vccz .LBB238_14
; %bb.13:
	v_lshl_add_u64 v[0:1], v[16:17], 1, v[22:23]
	flat_load_ushort v0, v[0:1]
	s_waitcnt vmcnt(0) lgkmcnt(0)
	v_mul_f16_e32 v31, s13, v0
.LBB238_14:
	ds_read_b64 v[24:25], v35 offset:3008
	ds_read_b64 v[18:19], v32 offset:1792
	ds_read2_b64 v[0:3], v32 offset0:160 offset1:192
	s_load_dword s10, s[0:1], 0x68
	s_load_dwordx2 s[14:15], s[0:1], 0x70
	v_add_u32_e32 v4, 0x800, v35
	v_pk_max_f16 v68, v20, v20
	v_pk_max_f16 v29, v26, v26
	ds_read2_b64 v[12:15], v4 offset0:72 offset1:80
	ds_read2_b64 v[8:11], v4 offset0:88 offset1:96
	ds_read2_b64 v[4:7], v4 offset0:104 offset1:112
	v_pk_min_f16 v20, v29, v68
	v_pk_max_f16 v69, v21, v21
	v_pk_max_f16 v30, v27, v27
	s_waitcnt lgkmcnt(0)
	s_lshl_b64 s[0:1], s[14:15], 1
	v_pk_add_f16 v20, v20, v77
	v_pk_min_f16 v21, v30, v69
	s_add_u32 s2, s2, s0
	v_pk_add_f16 v32, v21, v20
	s_addc_u32 s3, s3, s1
	v_mad_i64_i32 v[26:27], s[0:1], v28, s10, 0
	v_add_f16_sdwa v32, v32, v32 dst_sel:DWORD dst_unused:UNUSED_PAD src0_sel:DWORD src1_sel:WORD_1
	v_add_u32_e32 v20, 8, v16
	v_lshl_add_u64 v[26:27], v[26:27], 1, s[2:3]
	v_add_f16_e32 v31, v32, v31
	v_cndmask_b32_e64 v32, 0, 1, s[8:9]
	v_ashrrev_i32_e32 v21, 31, v20
	v_lshl_add_u64 v[34:35], v[16:17], 1, v[26:27]
	v_cmp_ne_u32_e64 s[0:1], 1, v32
	s_andn2_b64 vcc, exec, s[8:9]
	global_store_short v[34:35], v31, off
	s_cbranch_vccnz .LBB238_16
; %bb.15:
	v_lshl_add_u64 v[32:33], v[20:21], 1, v[22:23]
	flat_load_ushort v31, v[32:33]
	s_waitcnt vmcnt(0) lgkmcnt(0)
	v_mul_f16_e32 v33, s13, v31
.LBB238_16:
	v_pk_max_f16 v31, v12, v12
	v_pk_max_f16 v32, v13, v13
	v_pk_min_f16 v12, v31, v68
	v_pk_min_f16 v13, v32, v69
	v_pk_add_f16 v12, v12, v76
	s_and_b64 vcc, exec, s[0:1]
	v_pk_add_f16 v12, v13, v12
	v_mov_b32_e32 v37, 0
	v_add_f16_sdwa v34, v12, v12 dst_sel:DWORD dst_unused:UNUSED_PAD src0_sel:DWORD src1_sel:WORD_1
	v_add_u32_e32 v12, 16, v16
	v_add_f16_e32 v33, v34, v33
	v_lshl_add_u64 v[34:35], v[20:21], 1, v[26:27]
	v_ashrrev_i32_e32 v13, 31, v12
	global_store_short v[34:35], v33, off
	v_mov_b32_e32 v35, 0
	s_cbranch_vccnz .LBB238_18
; %bb.17:
	v_lshl_add_u64 v[34:35], v[12:13], 1, v[22:23]
	flat_load_ushort v33, v[34:35]
	s_waitcnt vmcnt(0) lgkmcnt(0)
	v_mul_f16_e32 v35, s13, v33
.LBB238_18:
	v_pk_max_f16 v33, v14, v14
	v_pk_max_f16 v34, v15, v15
	v_pk_min_f16 v14, v33, v68
	v_pk_min_f16 v15, v34, v69
	v_pk_add_f16 v14, v14, v75
	v_lshl_add_u64 v[38:39], v[12:13], 1, v[26:27]
	v_pk_add_f16 v14, v15, v14
	s_and_b64 vcc, exec, s[0:1]
	v_add_f16_sdwa v36, v14, v14 dst_sel:DWORD dst_unused:UNUSED_PAD src0_sel:DWORD src1_sel:WORD_1
	v_add_u32_e32 v14, 24, v16
	v_ashrrev_i32_e32 v15, 31, v14
	v_add_f16_e32 v35, v36, v35
	global_store_short v[38:39], v35, off
	s_cbranch_vccnz .LBB238_20
; %bb.19:
	v_lshl_add_u64 v[36:37], v[14:15], 1, v[22:23]
	flat_load_ushort v35, v[36:37]
	s_waitcnt vmcnt(0) lgkmcnt(0)
	v_mul_f16_e32 v37, s13, v35
.LBB238_20:
	v_pk_max_f16 v35, v8, v8
	v_pk_max_f16 v36, v9, v9
	v_pk_min_f16 v8, v35, v68
	v_pk_min_f16 v9, v36, v69
	v_pk_add_f16 v8, v8, v74
	s_and_b64 vcc, exec, s[0:1]
	v_pk_add_f16 v8, v9, v8
	v_mov_b32_e32 v41, 0
	v_add_f16_sdwa v38, v8, v8 dst_sel:DWORD dst_unused:UNUSED_PAD src0_sel:DWORD src1_sel:WORD_1
	v_add_u32_e32 v8, 32, v16
	v_add_f16_e32 v37, v38, v37
	v_lshl_add_u64 v[38:39], v[14:15], 1, v[26:27]
	v_ashrrev_i32_e32 v9, 31, v8
	global_store_short v[38:39], v37, off
	v_mov_b32_e32 v39, 0
	s_cbranch_vccnz .LBB238_22
; %bb.21:
	v_lshl_add_u64 v[38:39], v[8:9], 1, v[22:23]
	flat_load_ushort v37, v[38:39]
	s_waitcnt vmcnt(0) lgkmcnt(0)
	v_mul_f16_e32 v39, s13, v37
.LBB238_22:
	v_pk_max_f16 v37, v10, v10
	v_pk_max_f16 v38, v11, v11
	v_pk_min_f16 v10, v37, v68
	v_pk_min_f16 v11, v38, v69
	v_pk_add_f16 v10, v10, v73
	v_lshl_add_u64 v[74:75], v[8:9], 1, v[26:27]
	v_pk_add_f16 v10, v11, v10
	s_and_b64 vcc, exec, s[0:1]
	v_add_f16_sdwa v40, v10, v10 dst_sel:DWORD dst_unused:UNUSED_PAD src0_sel:DWORD src1_sel:WORD_1
	v_add_u32_e32 v10, 40, v16
	v_ashrrev_i32_e32 v11, 31, v10
	v_add_f16_e32 v39, v40, v39
	global_store_short v[74:75], v39, off
	s_cbranch_vccnz .LBB238_24
; %bb.23:
	v_lshl_add_u64 v[40:41], v[10:11], 1, v[22:23]
	flat_load_ushort v39, v[40:41]
	s_waitcnt vmcnt(0) lgkmcnt(0)
	v_mul_f16_e32 v41, s13, v39
.LBB238_24:
	v_pk_max_f16 v39, v4, v4
	v_pk_max_f16 v40, v5, v5
	v_pk_min_f16 v4, v39, v68
	v_pk_min_f16 v5, v40, v69
	v_pk_add_f16 v4, v4, v72
	v_lshl_add_u64 v[72:73], v[10:11], 1, v[26:27]
	v_pk_add_f16 v4, v5, v4
	s_and_b64 vcc, exec, s[0:1]
	v_add_f16_sdwa v42, v4, v4 dst_sel:DWORD dst_unused:UNUSED_PAD src0_sel:DWORD src1_sel:WORD_1
	v_add_u32_e32 v4, 48, v16
	v_add_f16_e32 v41, v42, v41
	v_ashrrev_i32_e32 v5, 31, v4
	global_store_short v[72:73], v41, off
	v_mov_b32_e32 v70, 0
	v_mov_b32_e32 v72, 0
	s_cbranch_vccnz .LBB238_26
; %bb.25:
	v_lshl_add_u64 v[72:73], v[4:5], 1, v[22:23]
	flat_load_ushort v41, v[72:73]
	s_waitcnt vmcnt(0) lgkmcnt(0)
	v_mul_f16_e32 v72, s13, v41
.LBB238_26:
	v_pk_max_f16 v41, v6, v6
	v_pk_max_f16 v42, v7, v7
	v_pk_min_f16 v6, v41, v68
	v_pk_min_f16 v7, v42, v69
	v_pk_add_f16 v6, v6, v71
	s_and_b64 vcc, exec, s[0:1]
	v_pk_add_f16 v6, v7, v6
	s_nop 0
	v_add_f16_sdwa v71, v6, v6 dst_sel:DWORD dst_unused:UNUSED_PAD src0_sel:DWORD src1_sel:WORD_1
	v_add_u32_e32 v6, 56, v16
	v_ashrrev_i32_e32 v7, 31, v6
	v_add_f16_e32 v71, v71, v72
	v_lshl_add_u64 v[72:73], v[4:5], 1, v[26:27]
	global_store_short v[72:73], v71, off
	s_cbranch_vccnz .LBB238_28
; %bb.27:
	v_lshl_add_u64 v[22:23], v[6:7], 1, v[22:23]
	flat_load_ushort v22, v[22:23]
	s_waitcnt vmcnt(0) lgkmcnt(0)
	v_mul_f16_e32 v70, s13, v22
.LBB238_28:
	v_pk_max_f16 v24, v24, v24
	v_pk_max_f16 v25, v25, v25
	v_pk_min_f16 v22, v24, v68
	v_pk_min_f16 v23, v25, v69
	v_pk_add_f16 v22, v22, v67
	v_add_u32_e32 v68, 32, v28
	v_pk_add_f16 v22, v23, v22
	s_and_b64 vcc, exec, s[0:1]
	v_add_f16_sdwa v22, v22, v22 dst_sel:DWORD dst_unused:UNUSED_PAD src0_sel:DWORD src1_sel:WORD_1
	v_add_f16_e32 v67, v22, v70
	v_lshl_add_u64 v[22:23], v[6:7], 1, v[26:27]
	global_store_short v[22:23], v67, off
	v_mad_i64_i32 v[22:23], s[8:9], v68, s12, 0
	v_lshl_add_u64 v[22:23], v[22:23], 1, s[6:7]
	v_mov_b32_e32 v67, 0
	v_mov_b32_e32 v69, 0
	s_cbranch_vccnz .LBB238_30
; %bb.29:
	v_lshl_add_u64 v[26:27], v[16:17], 1, v[22:23]
	flat_load_ushort v26, v[26:27]
	s_waitcnt vmcnt(0) lgkmcnt(0)
	v_mul_f16_e32 v69, s13, v26
.LBB238_30:
	v_pk_max_f16 v26, v0, v0
	v_pk_max_f16 v27, v1, v1
	v_pk_min_f16 v0, v29, v26
	v_pk_min_f16 v1, v30, v27
	v_pk_add_f16 v0, v0, v66
	s_and_b64 vcc, exec, s[0:1]
	v_pk_add_f16 v66, v1, v0
	v_mad_i64_i32 v[0:1], s[8:9], v68, s10, 0
	v_lshl_add_u64 v[0:1], v[0:1], 1, s[2:3]
	v_add_f16_sdwa v66, v66, v66 dst_sel:DWORD dst_unused:UNUSED_PAD src0_sel:DWORD src1_sel:WORD_1
	v_add_f16_e32 v66, v66, v69
	v_lshl_add_u64 v[68:69], v[16:17], 1, v[0:1]
	global_store_short v[68:69], v66, off
	s_cbranch_vccnz .LBB238_32
; %bb.31:
	v_lshl_add_u64 v[66:67], v[20:21], 1, v[22:23]
	flat_load_ushort v66, v[66:67]
	s_waitcnt vmcnt(0) lgkmcnt(0)
	v_mul_f16_e32 v67, s13, v66
.LBB238_32:
	v_pk_min_f16 v66, v31, v26
	s_and_b64 vcc, exec, s[0:1]
	v_pk_add_f16 v65, v66, v65
	v_pk_min_f16 v66, v32, v27
	s_nop 0
	v_pk_add_f16 v65, v66, v65
	s_nop 0
	v_add_f16_sdwa v65, v65, v65 dst_sel:DWORD dst_unused:UNUSED_PAD src0_sel:DWORD src1_sel:WORD_1
	v_add_f16_e32 v65, v65, v67
	v_lshl_add_u64 v[66:67], v[20:21], 1, v[0:1]
	global_store_short v[66:67], v65, off
	v_mov_b32_e32 v65, 0
	v_mov_b32_e32 v66, 0
	s_cbranch_vccnz .LBB238_34
; %bb.33:
	v_lshl_add_u64 v[66:67], v[12:13], 1, v[22:23]
	flat_load_ushort v66, v[66:67]
	s_waitcnt vmcnt(0) lgkmcnt(0)
	v_mul_f16_e32 v66, s13, v66
.LBB238_34:
	v_pk_min_f16 v67, v33, v26
	s_and_b64 vcc, exec, s[0:1]
	v_pk_add_f16 v64, v67, v64
	v_pk_min_f16 v67, v34, v27
	s_nop 0
	v_pk_add_f16 v64, v67, v64
	s_nop 0
	v_add_f16_sdwa v64, v64, v64 dst_sel:DWORD dst_unused:UNUSED_PAD src0_sel:DWORD src1_sel:WORD_1
	v_add_f16_e32 v64, v64, v66
	v_lshl_add_u64 v[66:67], v[12:13], 1, v[0:1]
	global_store_short v[66:67], v64, off
	s_cbranch_vccnz .LBB238_36
; %bb.35:
	v_lshl_add_u64 v[64:65], v[14:15], 1, v[22:23]
	flat_load_ushort v64, v[64:65]
	s_waitcnt vmcnt(0) lgkmcnt(0)
	v_mul_f16_e32 v65, s13, v64
.LBB238_36:
	v_pk_min_f16 v64, v35, v26
	s_and_b64 vcc, exec, s[0:1]
	v_pk_add_f16 v63, v64, v63
	v_pk_min_f16 v64, v36, v27
	s_nop 0
	v_pk_add_f16 v63, v64, v63
	s_nop 0
	v_add_f16_sdwa v63, v63, v63 dst_sel:DWORD dst_unused:UNUSED_PAD src0_sel:DWORD src1_sel:WORD_1
	v_add_f16_e32 v63, v63, v65
	v_lshl_add_u64 v[64:65], v[14:15], 1, v[0:1]
	global_store_short v[64:65], v63, off
	v_mov_b32_e32 v63, 0
	v_mov_b32_e32 v64, 0
	s_cbranch_vccnz .LBB238_38
; %bb.37:
	v_lshl_add_u64 v[64:65], v[8:9], 1, v[22:23]
	flat_load_ushort v64, v[64:65]
	s_waitcnt vmcnt(0) lgkmcnt(0)
	v_mul_f16_e32 v64, s13, v64
.LBB238_38:
	v_pk_min_f16 v65, v37, v26
	s_and_b64 vcc, exec, s[0:1]
	v_pk_add_f16 v62, v65, v62
	v_pk_min_f16 v65, v38, v27
	s_nop 0
	v_pk_add_f16 v62, v65, v62
	s_nop 0
	;; [unrolled: 38-line block ×3, first 2 shown]
	v_add_f16_sdwa v60, v60, v60 dst_sel:DWORD dst_unused:UNUSED_PAD src0_sel:DWORD src1_sel:WORD_1
	v_add_f16_e32 v60, v60, v62
	v_lshl_add_u64 v[62:63], v[4:5], 1, v[0:1]
	global_store_short v[62:63], v60, off
	s_cbranch_vccnz .LBB238_44
; %bb.43:
	v_lshl_add_u64 v[22:23], v[6:7], 1, v[22:23]
	flat_load_ushort v22, v[22:23]
	s_waitcnt vmcnt(0) lgkmcnt(0)
	v_mul_f16_e32 v61, s13, v22
.LBB238_44:
	v_pk_min_f16 v22, v24, v26
	v_pk_min_f16 v23, v25, v27
	v_pk_add_f16 v22, v22, v59
	v_lshl_add_u64 v[0:1], v[6:7], 1, v[0:1]
	v_pk_add_f16 v22, v23, v22
	v_add_u32_e32 v27, 64, v28
	v_add_f16_sdwa v22, v22, v22 dst_sel:DWORD dst_unused:UNUSED_PAD src0_sel:DWORD src1_sel:WORD_1
	v_add_f16_e32 v22, v22, v61
	global_store_short v[0:1], v22, off
	v_mad_i64_i32 v[0:1], s[8:9], v27, s12, 0
	v_lshl_add_u64 v[0:1], v[0:1], 1, s[6:7]
	s_and_b64 vcc, exec, s[0:1]
	v_mov_b32_e32 v26, 0
	v_mov_b32_e32 v59, 0
	s_cbranch_vccnz .LBB238_46
; %bb.45:
	v_lshl_add_u64 v[22:23], v[16:17], 1, v[0:1]
	flat_load_ushort v22, v[22:23]
	s_waitcnt vmcnt(0) lgkmcnt(0)
	v_mul_f16_e32 v59, s13, v22
.LBB238_46:
	v_pk_max_f16 v22, v2, v2
	v_pk_max_f16 v23, v3, v3
	v_pk_min_f16 v2, v29, v22
	v_pk_min_f16 v3, v30, v23
	v_pk_add_f16 v2, v2, v58
	s_and_b64 vcc, exec, s[0:1]
	v_pk_add_f16 v58, v3, v2
	v_mad_i64_i32 v[2:3], s[8:9], v27, s10, 0
	v_lshl_add_u64 v[2:3], v[2:3], 1, s[2:3]
	v_add_f16_sdwa v27, v58, v58 dst_sel:DWORD dst_unused:UNUSED_PAD src0_sel:DWORD src1_sel:WORD_1
	v_add_f16_e32 v27, v27, v59
	v_lshl_add_u64 v[58:59], v[16:17], 1, v[2:3]
	global_store_short v[58:59], v27, off
	s_cbranch_vccnz .LBB238_48
; %bb.47:
	v_lshl_add_u64 v[26:27], v[20:21], 1, v[0:1]
	flat_load_ushort v26, v[26:27]
	s_waitcnt vmcnt(0) lgkmcnt(0)
	v_mul_f16_e32 v26, s13, v26
.LBB238_48:
	v_pk_min_f16 v27, v31, v22
	s_and_b64 vcc, exec, s[0:1]
	v_pk_add_f16 v27, v27, v57
	v_pk_min_f16 v57, v32, v23
	s_nop 0
	v_pk_add_f16 v27, v57, v27
	s_nop 0
	v_add_f16_sdwa v27, v27, v27 dst_sel:DWORD dst_unused:UNUSED_PAD src0_sel:DWORD src1_sel:WORD_1
	v_add_f16_e32 v57, v27, v26
	v_lshl_add_u64 v[26:27], v[20:21], 1, v[2:3]
	global_store_short v[26:27], v57, off
	v_mov_b32_e32 v26, 0
	v_mov_b32_e32 v27, 0
	s_cbranch_vccnz .LBB238_50
; %bb.49:
	v_lshl_add_u64 v[58:59], v[12:13], 1, v[0:1]
	flat_load_ushort v27, v[58:59]
	s_waitcnt vmcnt(0) lgkmcnt(0)
	v_mul_f16_e32 v27, s13, v27
.LBB238_50:
	v_pk_min_f16 v57, v33, v22
	s_and_b64 vcc, exec, s[0:1]
	v_pk_add_f16 v56, v57, v56
	v_pk_min_f16 v57, v34, v23
	s_nop 0
	v_pk_add_f16 v56, v57, v56
	s_nop 0
	v_add_f16_sdwa v56, v56, v56 dst_sel:DWORD dst_unused:UNUSED_PAD src0_sel:DWORD src1_sel:WORD_1
	v_add_f16_e32 v27, v56, v27
	v_lshl_add_u64 v[56:57], v[12:13], 1, v[2:3]
	global_store_short v[56:57], v27, off
	s_cbranch_vccnz .LBB238_52
; %bb.51:
	v_lshl_add_u64 v[26:27], v[14:15], 1, v[0:1]
	flat_load_ushort v26, v[26:27]
	s_waitcnt vmcnt(0) lgkmcnt(0)
	v_mul_f16_e32 v26, s13, v26
.LBB238_52:
	v_pk_min_f16 v27, v35, v22
	s_and_b64 vcc, exec, s[0:1]
	v_pk_add_f16 v27, v27, v55
	v_pk_min_f16 v55, v36, v23
	s_nop 0
	v_pk_add_f16 v27, v55, v27
	s_nop 0
	v_add_f16_sdwa v27, v27, v27 dst_sel:DWORD dst_unused:UNUSED_PAD src0_sel:DWORD src1_sel:WORD_1
	v_add_f16_e32 v55, v27, v26
	v_lshl_add_u64 v[26:27], v[14:15], 1, v[2:3]
	global_store_short v[26:27], v55, off
	v_mov_b32_e32 v26, 0
	v_mov_b32_e32 v27, 0
	s_cbranch_vccnz .LBB238_54
; %bb.53:
	v_lshl_add_u64 v[56:57], v[8:9], 1, v[0:1]
	flat_load_ushort v27, v[56:57]
	s_waitcnt vmcnt(0) lgkmcnt(0)
	v_mul_f16_e32 v27, s13, v27
.LBB238_54:
	v_pk_min_f16 v55, v37, v22
	s_and_b64 vcc, exec, s[0:1]
	v_pk_add_f16 v54, v55, v54
	v_pk_min_f16 v55, v38, v23
	s_nop 0
	v_pk_add_f16 v54, v55, v54
	s_nop 0
	;; [unrolled: 38-line block ×3, first 2 shown]
	v_add_f16_sdwa v52, v52, v52 dst_sel:DWORD dst_unused:UNUSED_PAD src0_sel:DWORD src1_sel:WORD_1
	v_add_f16_e32 v27, v52, v27
	v_lshl_add_u64 v[52:53], v[4:5], 1, v[2:3]
	global_store_short v[52:53], v27, off
	s_cbranch_vccnz .LBB238_60
; %bb.59:
	v_lshl_add_u64 v[0:1], v[6:7], 1, v[0:1]
	flat_load_ushort v0, v[0:1]
	s_waitcnt vmcnt(0) lgkmcnt(0)
	v_mul_f16_e32 v26, s13, v0
.LBB238_60:
	v_pk_min_f16 v0, v24, v22
	v_pk_min_f16 v1, v25, v23
	v_pk_add_f16 v0, v0, v51
	s_and_b64 vcc, exec, s[0:1]
	v_pk_add_f16 v0, v1, v0
	v_mov_b32_e32 v23, 0
	v_add_f16_sdwa v0, v0, v0 dst_sel:DWORD dst_unused:UNUSED_PAD src0_sel:DWORD src1_sel:WORD_1
	v_add_f16_e32 v22, v0, v26
	v_lshl_add_u64 v[0:1], v[6:7], 1, v[2:3]
	v_add_u32_e32 v2, 0x60, v28
	global_store_short v[0:1], v22, off
	v_mad_i64_i32 v[0:1], s[8:9], v2, s12, 0
	v_lshl_add_u64 v[0:1], v[0:1], 1, s[6:7]
	v_mov_b32_e32 v22, 0
	s_cbranch_vccnz .LBB238_62
; %bb.61:
	v_lshl_add_u64 v[26:27], v[16:17], 1, v[0:1]
	flat_load_ushort v3, v[26:27]
	s_waitcnt vmcnt(0) lgkmcnt(0)
	v_mul_f16_e32 v23, s13, v3
.LBB238_62:
	v_pk_max_f16 v18, v18, v18
	v_pk_max_f16 v19, v19, v19
	v_pk_min_f16 v3, v29, v18
	v_pk_min_f16 v26, v30, v19
	v_pk_add_f16 v3, v3, v50
	s_and_b64 vcc, exec, s[0:1]
	v_pk_add_f16 v26, v26, v3
	v_mad_i64_i32 v[2:3], s[6:7], v2, s10, 0
	v_lshl_add_u64 v[2:3], v[2:3], 1, s[2:3]
	v_add_f16_sdwa v26, v26, v26 dst_sel:DWORD dst_unused:UNUSED_PAD src0_sel:DWORD src1_sel:WORD_1
	v_add_f16_e32 v23, v26, v23
	v_lshl_add_u64 v[16:17], v[16:17], 1, v[2:3]
	global_store_short v[16:17], v23, off
	s_cbranch_vccnz .LBB238_64
; %bb.63:
	v_lshl_add_u64 v[16:17], v[20:21], 1, v[0:1]
	flat_load_ushort v16, v[16:17]
	s_waitcnt vmcnt(0) lgkmcnt(0)
	v_mul_f16_e32 v22, s13, v16
.LBB238_64:
	v_pk_min_f16 v16, v31, v18
	v_pk_min_f16 v17, v32, v19
	v_pk_add_f16 v16, v16, v49
	s_and_b64 vcc, exec, s[0:1]
	v_pk_add_f16 v16, v17, v16
	s_nop 0
	v_add_f16_sdwa v16, v16, v16 dst_sel:DWORD dst_unused:UNUSED_PAD src0_sel:DWORD src1_sel:WORD_1
	v_add_f16_e32 v22, v16, v22
	v_lshl_add_u64 v[16:17], v[20:21], 1, v[2:3]
	global_store_short v[16:17], v22, off
	v_mov_b32_e32 v16, 0
	v_mov_b32_e32 v17, 0
	s_cbranch_vccnz .LBB238_66
; %bb.65:
	v_lshl_add_u64 v[20:21], v[12:13], 1, v[0:1]
	flat_load_ushort v17, v[20:21]
	s_waitcnt vmcnt(0) lgkmcnt(0)
	v_mul_f16_e32 v17, s13, v17
.LBB238_66:
	v_pk_min_f16 v20, v33, v18
	v_pk_min_f16 v21, v34, v19
	v_pk_add_f16 v20, v20, v48
	v_lshl_add_u64 v[12:13], v[12:13], 1, v[2:3]
	v_pk_add_f16 v20, v21, v20
	s_and_b64 vcc, exec, s[0:1]
	v_add_f16_sdwa v20, v20, v20 dst_sel:DWORD dst_unused:UNUSED_PAD src0_sel:DWORD src1_sel:WORD_1
	v_add_f16_e32 v17, v20, v17
	global_store_short v[12:13], v17, off
	s_cbranch_vccnz .LBB238_68
; %bb.67:
	v_lshl_add_u64 v[12:13], v[14:15], 1, v[0:1]
	flat_load_ushort v12, v[12:13]
	s_waitcnt vmcnt(0) lgkmcnt(0)
	v_mul_f16_e32 v16, s13, v12
.LBB238_68:
	v_pk_min_f16 v12, v35, v18
	v_pk_min_f16 v13, v36, v19
	v_pk_add_f16 v12, v12, v47
	s_and_b64 vcc, exec, s[0:1]
	v_pk_add_f16 v12, v13, v12
	s_nop 0
	v_add_f16_sdwa v12, v12, v12 dst_sel:DWORD dst_unused:UNUSED_PAD src0_sel:DWORD src1_sel:WORD_1
	v_add_f16_e32 v16, v12, v16
	v_lshl_add_u64 v[12:13], v[14:15], 1, v[2:3]
	global_store_short v[12:13], v16, off
	v_mov_b32_e32 v12, 0
	v_mov_b32_e32 v13, 0
	s_cbranch_vccnz .LBB238_70
; %bb.69:
	v_lshl_add_u64 v[14:15], v[8:9], 1, v[0:1]
	flat_load_ushort v13, v[14:15]
	s_waitcnt vmcnt(0) lgkmcnt(0)
	v_mul_f16_e32 v13, s13, v13
.LBB238_70:
	v_pk_min_f16 v14, v37, v18
	v_pk_min_f16 v15, v38, v19
	v_pk_add_f16 v14, v14, v46
	v_lshl_add_u64 v[8:9], v[8:9], 1, v[2:3]
	v_pk_add_f16 v14, v15, v14
	s_and_b64 vcc, exec, s[0:1]
	v_add_f16_sdwa v14, v14, v14 dst_sel:DWORD dst_unused:UNUSED_PAD src0_sel:DWORD src1_sel:WORD_1
	v_add_f16_e32 v13, v14, v13
	global_store_short v[8:9], v13, off
	s_cbranch_vccnz .LBB238_72
; %bb.71:
	v_lshl_add_u64 v[8:9], v[10:11], 1, v[0:1]
	flat_load_ushort v8, v[8:9]
	s_waitcnt vmcnt(0) lgkmcnt(0)
	v_mul_f16_e32 v12, s13, v8
.LBB238_72:
	v_pk_min_f16 v8, v39, v18
	v_pk_min_f16 v9, v40, v19
	v_pk_add_f16 v8, v8, v44
	v_pk_min_f16 v13, v42, v19
	v_pk_add_f16 v8, v9, v8
	v_pk_min_f16 v9, v41, v18
	v_add_f16_sdwa v8, v8, v8 dst_sel:DWORD dst_unused:UNUSED_PAD src0_sel:DWORD src1_sel:WORD_1
	v_pk_add_f16 v9, v9, v45
	v_add_f16_e32 v12, v8, v12
	v_pk_add_f16 v13, v13, v9
	v_lshl_add_u64 v[8:9], v[10:11], 1, v[2:3]
	global_store_short v[8:9], v12, off
	v_add_f16_sdwa v8, v13, v13 dst_sel:DWORD dst_unused:UNUSED_PAD src0_sel:DWORD src1_sel:WORD_1
	s_mov_b64 vcc, s[4:5]
	s_cbranch_vccz .LBB238_75
; %bb.73:
	v_add_f16_e32 v9, 0, v8
	v_lshl_add_u64 v[10:11], v[4:5], 1, v[2:3]
	s_mov_b32 s2, 0
	global_store_short v[10:11], v9, off
	s_cbranch_execz .LBB238_76
; %bb.74:
	v_mov_b32_e32 v0, s2
	s_branch .LBB238_77
.LBB238_75:
                                        ; implicit-def: $sgpr2
.LBB238_76:
	v_lshlrev_b64 v[4:5], 1, v[4:5]
	v_lshl_add_u64 v[10:11], v[0:1], 0, v[4:5]
	flat_load_ushort v9, v[10:11]
	v_lshl_add_u64 v[4:5], v[2:3], 0, v[4:5]
	v_lshl_add_u64 v[0:1], v[6:7], 1, v[0:1]
	s_waitcnt vmcnt(0) lgkmcnt(0)
	v_fma_f16 v8, v9, s13, v8
	global_store_short v[4:5], v8, off
	flat_load_ushort v0, v[0:1]
	s_waitcnt vmcnt(0) lgkmcnt(0)
	v_mul_f16_e32 v0, s13, v0
.LBB238_77:
	v_pk_min_f16 v4, v24, v18
	v_pk_min_f16 v1, v25, v19
	v_pk_add_f16 v4, v4, v43
	s_nop 0
	v_pk_add_f16 v1, v1, v4
	s_nop 0
	v_add_f16_sdwa v1, v1, v1 dst_sel:DWORD dst_unused:UNUSED_PAD src0_sel:DWORD src1_sel:WORD_1
	v_add_f16_e32 v4, v1, v0
	v_lshl_add_u64 v[0:1], v[6:7], 1, v[2:3]
	global_store_short v[0:1], v4, off
	s_endpgm
	.section	.rodata,"a",@progbits
	.p2align	6, 0x0
	.amdhsa_kernel _ZN12_GLOBAL__N_120geam_min_plus_kernelIDF16_Dv2_DF16_S1_Li8ELi32ELi64ELi128ELi4ELi4ELi64ELi4ELi64ELc84ELc78ELb1ELb0ELb0EDF16_KPKDF16_KPDF16_EEviiiT16_PT17_ilS9_ilS7_S9_ilPT18_ili26rocblas_geam_ex_operation_
		.amdhsa_group_segment_fixed_size 3072
		.amdhsa_private_segment_fixed_size 0
		.amdhsa_kernarg_size 128
		.amdhsa_user_sgpr_count 2
		.amdhsa_user_sgpr_dispatch_ptr 0
		.amdhsa_user_sgpr_queue_ptr 0
		.amdhsa_user_sgpr_kernarg_segment_ptr 1
		.amdhsa_user_sgpr_dispatch_id 0
		.amdhsa_user_sgpr_kernarg_preload_length 0
		.amdhsa_user_sgpr_kernarg_preload_offset 0
		.amdhsa_user_sgpr_private_segment_size 0
		.amdhsa_uses_dynamic_stack 0
		.amdhsa_enable_private_segment 0
		.amdhsa_system_sgpr_workgroup_id_x 1
		.amdhsa_system_sgpr_workgroup_id_y 0
		.amdhsa_system_sgpr_workgroup_id_z 1
		.amdhsa_system_sgpr_workgroup_info 0
		.amdhsa_system_vgpr_workitem_id 1
		.amdhsa_next_free_vgpr 121
		.amdhsa_next_free_sgpr 22
		.amdhsa_accum_offset 124
		.amdhsa_reserve_vcc 1
		.amdhsa_float_round_mode_32 0
		.amdhsa_float_round_mode_16_64 0
		.amdhsa_float_denorm_mode_32 3
		.amdhsa_float_denorm_mode_16_64 3
		.amdhsa_dx10_clamp 1
		.amdhsa_ieee_mode 1
		.amdhsa_fp16_overflow 0
		.amdhsa_tg_split 0
		.amdhsa_exception_fp_ieee_invalid_op 0
		.amdhsa_exception_fp_denorm_src 0
		.amdhsa_exception_fp_ieee_div_zero 0
		.amdhsa_exception_fp_ieee_overflow 0
		.amdhsa_exception_fp_ieee_underflow 0
		.amdhsa_exception_fp_ieee_inexact 0
		.amdhsa_exception_int_div_zero 0
	.end_amdhsa_kernel
	.section	.text._ZN12_GLOBAL__N_120geam_min_plus_kernelIDF16_Dv2_DF16_S1_Li8ELi32ELi64ELi128ELi4ELi4ELi64ELi4ELi64ELc84ELc78ELb1ELb0ELb0EDF16_KPKDF16_KPDF16_EEviiiT16_PT17_ilS9_ilS7_S9_ilPT18_ili26rocblas_geam_ex_operation_,"axG",@progbits,_ZN12_GLOBAL__N_120geam_min_plus_kernelIDF16_Dv2_DF16_S1_Li8ELi32ELi64ELi128ELi4ELi4ELi64ELi4ELi64ELc84ELc78ELb1ELb0ELb0EDF16_KPKDF16_KPDF16_EEviiiT16_PT17_ilS9_ilS7_S9_ilPT18_ili26rocblas_geam_ex_operation_,comdat
.Lfunc_end238:
	.size	_ZN12_GLOBAL__N_120geam_min_plus_kernelIDF16_Dv2_DF16_S1_Li8ELi32ELi64ELi128ELi4ELi4ELi64ELi4ELi64ELc84ELc78ELb1ELb0ELb0EDF16_KPKDF16_KPDF16_EEviiiT16_PT17_ilS9_ilS7_S9_ilPT18_ili26rocblas_geam_ex_operation_, .Lfunc_end238-_ZN12_GLOBAL__N_120geam_min_plus_kernelIDF16_Dv2_DF16_S1_Li8ELi32ELi64ELi128ELi4ELi4ELi64ELi4ELi64ELc84ELc78ELb1ELb0ELb0EDF16_KPKDF16_KPDF16_EEviiiT16_PT17_ilS9_ilS7_S9_ilPT18_ili26rocblas_geam_ex_operation_
                                        ; -- End function
	.section	.AMDGPU.csdata,"",@progbits
; Kernel info:
; codeLenInByte = 8560
; NumSgprs: 28
; NumVgprs: 121
; NumAgprs: 0
; TotalNumVgprs: 121
; ScratchSize: 0
; MemoryBound: 0
; FloatMode: 240
; IeeeMode: 1
; LDSByteSize: 3072 bytes/workgroup (compile time only)
; SGPRBlocks: 3
; VGPRBlocks: 15
; NumSGPRsForWavesPerEU: 28
; NumVGPRsForWavesPerEU: 121
; AccumOffset: 124
; Occupancy: 4
; WaveLimiterHint : 1
; COMPUTE_PGM_RSRC2:SCRATCH_EN: 0
; COMPUTE_PGM_RSRC2:USER_SGPR: 2
; COMPUTE_PGM_RSRC2:TRAP_HANDLER: 0
; COMPUTE_PGM_RSRC2:TGID_X_EN: 1
; COMPUTE_PGM_RSRC2:TGID_Y_EN: 0
; COMPUTE_PGM_RSRC2:TGID_Z_EN: 1
; COMPUTE_PGM_RSRC2:TIDIG_COMP_CNT: 1
; COMPUTE_PGM_RSRC3_GFX90A:ACCUM_OFFSET: 30
; COMPUTE_PGM_RSRC3_GFX90A:TG_SPLIT: 0
	.section	.text._ZN12_GLOBAL__N_120geam_min_plus_kernelIDF16_Dv2_DF16_S1_Li8ELi32ELi64ELi128ELi4ELi4ELi64ELi4ELi64ELc84ELc78ELb0ELb0ELb0EDF16_KPKDF16_KPDF16_EEviiiT16_PT17_ilS9_ilS7_S9_ilPT18_ili26rocblas_geam_ex_operation_,"axG",@progbits,_ZN12_GLOBAL__N_120geam_min_plus_kernelIDF16_Dv2_DF16_S1_Li8ELi32ELi64ELi128ELi4ELi4ELi64ELi4ELi64ELc84ELc78ELb0ELb0ELb0EDF16_KPKDF16_KPDF16_EEviiiT16_PT17_ilS9_ilS7_S9_ilPT18_ili26rocblas_geam_ex_operation_,comdat
	.globl	_ZN12_GLOBAL__N_120geam_min_plus_kernelIDF16_Dv2_DF16_S1_Li8ELi32ELi64ELi128ELi4ELi4ELi64ELi4ELi64ELc84ELc78ELb0ELb0ELb0EDF16_KPKDF16_KPDF16_EEviiiT16_PT17_ilS9_ilS7_S9_ilPT18_ili26rocblas_geam_ex_operation_ ; -- Begin function _ZN12_GLOBAL__N_120geam_min_plus_kernelIDF16_Dv2_DF16_S1_Li8ELi32ELi64ELi128ELi4ELi4ELi64ELi4ELi64ELc84ELc78ELb0ELb0ELb0EDF16_KPKDF16_KPDF16_EEviiiT16_PT17_ilS9_ilS7_S9_ilPT18_ili26rocblas_geam_ex_operation_
	.p2align	8
	.type	_ZN12_GLOBAL__N_120geam_min_plus_kernelIDF16_Dv2_DF16_S1_Li8ELi32ELi64ELi128ELi4ELi4ELi64ELi4ELi64ELc84ELc78ELb0ELb0ELb0EDF16_KPKDF16_KPDF16_EEviiiT16_PT17_ilS9_ilS7_S9_ilPT18_ili26rocblas_geam_ex_operation_,@function
_ZN12_GLOBAL__N_120geam_min_plus_kernelIDF16_Dv2_DF16_S1_Li8ELi32ELi64ELi128ELi4ELi4ELi64ELi4ELi64ELc84ELc78ELb0ELb0ELb0EDF16_KPKDF16_KPDF16_EEviiiT16_PT17_ilS9_ilS7_S9_ilPT18_ili26rocblas_geam_ex_operation_: ; @_ZN12_GLOBAL__N_120geam_min_plus_kernelIDF16_Dv2_DF16_S1_Li8ELi32ELi64ELi128ELi4ELi4ELi64ELi4ELi64ELc84ELc78ELb0ELb0ELb0EDF16_KPKDF16_KPDF16_EEviiiT16_PT17_ilS9_ilS7_S9_ilPT18_ili26rocblas_geam_ex_operation_
; %bb.0:
	s_load_dwordx2 s[12:13], s[0:1], 0x8
	s_load_dwordx4 s[4:7], s[0:1], 0x20
	s_mov_b32 s18, s3
	s_mov_b32 s19, 0
	s_waitcnt lgkmcnt(0)
	v_cmp_eq_f16_e64 s[8:9], s13, 0
	s_and_b64 vcc, exec, s[8:9]
	s_cbranch_vccnz .LBB239_3
; %bb.1:
	s_load_dwordx2 s[10:11], s[0:1], 0x10
	s_lshl_b64 s[14:15], s[18:19], 3
	s_waitcnt lgkmcnt(0)
	s_add_u32 s10, s10, s14
	s_addc_u32 s11, s11, s15
	s_load_dwordx2 s[10:11], s[10:11], 0x0
	s_lshl_b64 s[4:5], s[4:5], 1
	s_waitcnt lgkmcnt(0)
	s_add_u32 s14, s10, s4
	s_addc_u32 s15, s11, s5
	s_andn2_b64 vcc, exec, s[8:9]
	s_cbranch_vccnz .LBB239_4
.LBB239_2:
	s_mov_b64 s[16:17], 0
	s_cbranch_execz .LBB239_5
	s_branch .LBB239_6
.LBB239_3:
	s_mov_b64 s[14:15], 0
	s_andn2_b64 vcc, exec, s[8:9]
	s_cbranch_vccz .LBB239_2
.LBB239_4:
                                        ; implicit-def: $sgpr16_sgpr17
.LBB239_5:
	s_lshl_b64 s[8:9], s[18:19], 3
	s_add_u32 s6, s6, s8
	s_load_dwordx2 s[4:5], s[0:1], 0x38
	s_addc_u32 s7, s7, s9
	s_load_dwordx2 s[6:7], s[6:7], 0x0
	s_waitcnt lgkmcnt(0)
	s_lshl_b64 s[4:5], s[4:5], 1
	s_add_u32 s16, s6, s4
	s_addc_u32 s17, s7, s5
.LBB239_6:
	s_load_dword s22, s[0:1], 0x40
	s_load_dwordx4 s[8:11], s[0:1], 0x58
	v_cmp_neq_f16_e64 s[20:21], s13, 0
	s_waitcnt lgkmcnt(0)
	v_cmp_eq_f16_e64 s[4:5], s22, 0
	s_and_b64 s[6:7], exec, s[4:5]
	s_mov_b64 vcc, s[6:7]
	s_cbranch_vccnz .LBB239_8
; %bb.7:
	s_load_dwordx2 s[4:5], s[0:1], 0x48
	s_lshl_b64 s[24:25], s[18:19], 3
	s_waitcnt lgkmcnt(0)
	s_add_u32 s4, s4, s24
	s_addc_u32 s5, s5, s25
	s_load_dwordx2 s[4:5], s[4:5], 0x0
	s_lshl_b64 s[8:9], s[8:9], 1
	s_waitcnt lgkmcnt(0)
	s_add_u32 s8, s4, s8
	s_addc_u32 s9, s5, s9
	s_branch .LBB239_9
.LBB239_8:
	s_mov_b64 s[8:9], 0
.LBB239_9:
	s_load_dword s3, s[0:1], 0x0
	s_load_dword s23, s[0:1], 0x18
	s_lshl_b64 s[4:5], s[18:19], 3
	s_add_u32 s10, s10, s4
	s_addc_u32 s11, s11, s5
	s_waitcnt lgkmcnt(0)
	s_add_i32 s3, s3, -1
	s_ashr_i32 s4, s3, 31
	s_lshr_b32 s4, s4, 26
	s_add_i32 s3, s3, s4
	s_ashr_i32 s3, s3, 6
	s_add_i32 s4, s3, 1
	v_cvt_f32_u32_e32 v1, s4
	s_not_b32 s3, s3
	v_and_b32_e32 v47, 0x3ff, v0
	v_bfe_u32 v48, v0, 10, 10
	v_rcp_iflag_f32_e32 v1, v1
	v_lshl_add_u32 v2, v48, 3, v47
	v_cndmask_b32_e64 v0, 0, 1, s[20:21]
	v_and_b32_e32 v3, 3, v47
	v_mul_f32_e32 v1, 0x4f7ffffe, v1
	v_cvt_u32_f32_e32 v1, v1
	v_lshrrev_b32_e32 v6, 2, v2
	v_lshlrev_b32_e32 v24, 1, v3
	v_readfirstlane_b32 s5, v1
	s_mul_i32 s3, s3, s5
	s_mul_hi_u32 s3, s5, s3
	s_add_i32 s5, s5, s3
	s_mul_hi_u32 s3, s2, s5
	s_mul_i32 s5, s3, s4
	s_sub_i32 s5, s2, s5
	s_add_i32 s18, s3, 1
	s_sub_i32 s19, s5, s4
	s_cmp_ge_u32 s5, s4
	s_cselect_b32 s3, s18, s3
	s_cselect_b32 s5, s19, s5
	s_add_i32 s18, s3, 1
	s_cmp_ge_u32 s5, s4
	s_cselect_b32 s3, s18, s3
	s_mul_i32 s4, s3, s4
	s_sub_i32 s2, s2, s4
	s_lshl_b32 s18, s2, 6
	v_cmp_ne_u32_e64 s[4:5], 1, v0
	s_andn2_b64 vcc, exec, s[20:21]
	v_add_u32_e32 v0, s18, v6
	s_cbranch_vccnz .LBB239_11
; %bb.10:
	v_mad_i64_i32 v[2:3], s[20:21], v0, s23, 0
	v_lshl_add_u64 v[2:3], v[2:3], 1, s[14:15]
	v_mov_b32_e32 v25, 0
	v_lshl_add_u64 v[2:3], v[2:3], 0, v[24:25]
	flat_load_ushort v1, v[2:3]
	s_waitcnt vmcnt(0) lgkmcnt(0)
	v_mul_f16_e32 v7, s13, v1
	s_branch .LBB239_12
.LBB239_11:
	v_mov_b32_e32 v7, 0
.LBB239_12:
	s_load_dword s20, s[0:1], 0x30
	s_lshl_b32 s19, s3, 7
	v_add_u32_e32 v1, s19, v6
	s_and_b64 vcc, exec, s[4:5]
	v_add_u32_e32 v2, 64, v1
	s_cbranch_vccnz .LBB239_16
; %bb.13:
	v_mov_b32_e32 v25, 0
	v_lshl_add_u64 v[4:5], s[16:17], 0, v[24:25]
	s_waitcnt lgkmcnt(0)
	v_mad_i64_i32 v[8:9], s[2:3], v1, s20, 0
	v_lshl_add_u64 v[8:9], v[8:9], 1, v[4:5]
	v_mad_i64_i32 v[10:11], s[2:3], v2, s20, 0
	v_lshl_add_u64 v[4:5], v[10:11], 1, v[4:5]
	flat_load_ushort v3, v[8:9]
	flat_load_ushort v10, v[4:5]
	s_waitcnt vmcnt(0) lgkmcnt(0)
	v_mul_f16_e32 v8, s13, v3
	v_mul_f16_e32 v9, s13, v10
	s_and_b64 vcc, exec, s[4:5]
	s_cbranch_vccnz .LBB239_17
.LBB239_14:
	v_mad_i64_i32 v[4:5], s[2:3], v0, s23, 0
	v_lshl_add_u64 v[4:5], v[4:5], 1, s[14:15]
	v_mov_b32_e32 v25, 0
	v_lshl_add_u64 v[4:5], v[4:5], 0, v[24:25]
	flat_load_ushort v3, v[4:5] offset:8
	s_waitcnt vmcnt(0) lgkmcnt(0)
	v_mul_f16_e32 v3, s13, v3
	s_and_b64 vcc, exec, s[4:5]
	s_cbranch_vccnz .LBB239_18
.LBB239_15:
	v_mov_b32_e32 v25, 0
	v_lshl_add_u64 v[4:5], s[16:17], 0, v[24:25]
	s_waitcnt lgkmcnt(0)
	v_mad_i64_i32 v[10:11], s[2:3], v1, s20, 0
	v_lshl_add_u64 v[10:11], v[10:11], 1, v[4:5]
	v_mad_i64_i32 v[12:13], s[2:3], v2, s20, 0
	v_lshl_add_u64 v[4:5], v[12:13], 1, v[4:5]
	flat_load_ushort v12, v[10:11] offset:8
	flat_load_ushort v13, v[4:5] offset:8
	s_waitcnt vmcnt(0) lgkmcnt(0)
	v_mul_f16_e32 v4, s13, v12
	v_mul_f16_e32 v5, s13, v13
	s_branch .LBB239_19
.LBB239_16:
	v_mov_b32_e32 v8, 0
	v_mov_b32_e32 v9, 0
	s_and_b64 vcc, exec, s[4:5]
	s_cbranch_vccz .LBB239_14
.LBB239_17:
	v_mov_b32_e32 v3, 0
	s_and_b64 vcc, exec, s[4:5]
	s_cbranch_vccz .LBB239_15
.LBB239_18:
	v_mov_b32_e32 v4, 0
	v_mov_b32_e32 v5, 0
.LBB239_19:
	v_lshl_or_b32 v67, v6, 3, v24
	v_lshlrev_b32_e32 v57, 3, v47
	v_lshlrev_b32_e32 v58, 3, v48
	s_load_dwordx2 s[2:3], s[10:11], 0x0
	ds_write_b16 v67, v7 offset:2048
	ds_write_b16 v67, v8
	ds_write_b16 v67, v9 offset:512
	s_waitcnt lgkmcnt(0)
	s_barrier
	ds_read2_b64 v[6:9], v58 offset1:32
	v_add_u32_e32 v68, 0x800, v57
	ds_read2_b64 v[10:13], v68 offset0:48 offset1:56
	ds_read2_b64 v[14:17], v58 offset0:64 offset1:96
	ds_read2_b64 v[18:21], v68 offset1:8
	ds_read2_b64 v[26:29], v68 offset0:16 offset1:24
	ds_read2_b64 v[30:33], v68 offset0:32 offset1:40
	s_waitcnt lgkmcnt(5)
	v_pk_max_f16 v6, v6, v6
	s_waitcnt lgkmcnt(4)
	v_pk_max_f16 v12, v12, v12
	v_pk_max_f16 v8, v8, v8
	v_pk_min_f16 v22, v12, v6
	s_waitcnt lgkmcnt(3)
	v_pk_max_f16 v14, v14, v14
	s_waitcnt lgkmcnt(2)
	v_pk_max_f16 v18, v18, v18
	v_pk_max_f16 v16, v16, v16
	;; [unrolled: 1-line block ×3, first 2 shown]
	s_waitcnt lgkmcnt(1)
	v_pk_max_f16 v26, v26, v26
	v_pk_max_f16 v28, v28, v28
	s_waitcnt lgkmcnt(0)
	v_pk_max_f16 v30, v30, v30
	v_pk_max_f16 v7, v7, v7
	;; [unrolled: 1-line block ×5, first 2 shown]
	v_pk_min_f16 v23, v18, v6
	v_pk_min_f16 v25, v18, v8
	;; [unrolled: 1-line block ×17, first 2 shown]
	v_pk_max_f16 v9, v9, v9
	v_pk_min_f16 v50, v30, v8
	v_pk_min_f16 v53, v30, v14
	;; [unrolled: 1-line block ×14, first 2 shown]
	v_pk_add_f16 v16, v22, 0
	v_pk_min_f16 v22, v13, v7
	v_pk_max_f16 v15, v15, v15
	v_pk_add_f16 v66, v22, v16
	v_pk_add_f16 v16, v41, 0
	v_pk_min_f16 v22, v13, v9
	v_pk_max_f16 v19, v19, v19
	v_pk_add_f16 v56, v22, v16
	;; [unrolled: 4-line block ×5, first 2 shown]
	v_pk_add_f16 v16, v34, 0
	v_pk_min_f16 v22, v19, v15
	v_pk_add_f16 v25, v30, 0
	v_pk_add_f16 v54, v22, v16
	;; [unrolled: 1-line block ×3, first 2 shown]
	v_pk_min_f16 v18, v19, v17
	v_pk_add_f16 v30, v32, 0
	v_pk_add_f16 v44, v18, v16
	;; [unrolled: 1-line block ×3, first 2 shown]
	v_pk_min_f16 v18, v21, v7
	v_pk_min_f16 v32, v29, v7
	v_pk_add_f16 v74, v18, v16
	v_pk_add_f16 v16, v36, 0
	v_pk_min_f16 v18, v21, v9
	v_pk_add_f16 v22, v50, 0
	v_pk_add_f16 v62, v18, v16
	v_pk_add_f16 v16, v37, 0
	v_pk_min_f16 v18, v21, v15
	v_pk_add_f16 v23, v53, 0
	;; [unrolled: 4-line block ×3, first 2 shown]
	v_pk_add_f16 v41, v18, v16
	v_pk_max_f16 v18, v27, v27
	v_pk_add_f16 v16, v38, 0
	v_pk_min_f16 v19, v18, v7
	v_pk_add_f16 v21, v49, 0
	v_pk_add_f16 v72, v19, v16
	;; [unrolled: 1-line block ×3, first 2 shown]
	v_pk_min_f16 v19, v18, v9
	v_pk_max_f16 v11, v11, v11
	v_pk_add_f16 v60, v19, v16
	v_pk_add_f16 v16, v40, 0
	v_pk_min_f16 v19, v18, v15
	v_pk_min_f16 v18, v18, v17
	v_pk_add_f16 v51, v19, v16
	v_pk_add_f16 v16, v26, 0
	v_pk_add_f16 v19, v45, 0
	v_pk_add_f16 v40, v18, v16
	v_pk_add_f16 v16, v42, 0
	v_pk_add_f16 v18, v43, 0
	v_pk_add_f16 v73, v32, v16
	v_pk_min_f16 v16, v29, v9
	v_pk_add_f16 v26, v55, 0
	v_pk_add_f16 v65, v16, v18
	v_pk_min_f16 v16, v29, v15
	v_pk_add_f16 v6, v6, 0
	v_pk_add_f16 v55, v16, v19
	;; [unrolled: 3-line block ×3, first 2 shown]
	v_pk_max_f16 v16, v31, v31
	v_pk_add_f16 v27, v59, 0
	v_pk_min_f16 v18, v16, v7
	v_pk_add_f16 v14, v14, 0
	v_pk_add_f16 v71, v18, v21
	v_pk_min_f16 v18, v16, v9
	v_pk_add_f16 v10, v10, 0
	v_pk_add_f16 v63, v18, v22
	v_pk_min_f16 v18, v16, v15
	v_pk_min_f16 v16, v16, v17
	v_pk_add_f16 v53, v18, v23
	v_pk_add_f16 v42, v16, v25
	v_pk_max_f16 v16, v33, v33
	v_pk_add_f16 v28, v61, 0
	v_pk_min_f16 v18, v16, v7
	v_pk_min_f16 v7, v11, v7
	v_pk_add_f16 v70, v18, v26
	v_pk_add_f16 v69, v7, v6
	v_pk_min_f16 v6, v11, v9
	v_pk_min_f16 v18, v16, v9
	v_pk_add_f16 v59, v6, v8
	v_pk_min_f16 v6, v11, v15
	v_pk_add_f16 v12, v12, 0
	v_pk_add_f16 v49, v6, v14
	v_pk_min_f16 v6, v11, v17
	v_pk_add_f16 v61, v18, v27
	v_pk_min_f16 v18, v16, v15
	v_pk_min_f16 v16, v16, v17
	v_pk_add_f16 v43, v6, v10
	v_pk_min_f16 v6, v13, v17
	v_pk_add_f16 v50, v18, v28
	v_pk_add_f16 v39, v16, v30
	;; [unrolled: 1-line block ×3, first 2 shown]
	s_cmp_lt_i32 s12, 9
	ds_write_b16 v67, v3 offset:2560
	ds_write_b16 v67, v4 offset:1024
	;; [unrolled: 1-line block ×3, first 2 shown]
	s_waitcnt lgkmcnt(0)
	s_barrier
	s_cbranch_scc1 .LBB239_33
; %bb.20:
	v_mad_i64_i32 v[4:5], s[24:25], v0, s23, 0
	v_mov_b32_e32 v0, 0xa00
	v_lshl_add_u32 v79, v47, 3, v0
	v_mov_b32_e32 v0, 0x400
	v_lshl_add_u64 v[26:27], v[4:5], 1, s[14:15]
	v_lshl_add_u32 v80, v48, 3, v0
	v_mad_i64_i32 v[2:3], s[14:15], s20, v2, 0
	v_mad_i64_i32 v[0:1], s[14:15], s20, v1, 0
	v_add_u32_e32 v76, 0x800, v67
	v_add_u32_e32 v77, 0xa00, v67
	;; [unrolled: 1-line block ×3, first 2 shown]
	s_add_i32 s10, s12, -8
	v_mov_b32_e32 v25, 0
	v_lshl_add_u64 v[28:29], v[2:3], 1, s[16:17]
	v_lshl_add_u64 v[30:31], v[0:1], 1, s[16:17]
	s_mov_b32 s11, 0
	s_branch .LBB239_23
.LBB239_21:                             ;   in Loop: Header=BB239_23 Depth=1
	flat_load_ushort v0, v[32:33] offset:24
	flat_load_ushort v1, v[34:35] offset:24
	s_waitcnt vmcnt(0) lgkmcnt(0)
	v_mul_f16_e32 v0, s13, v0
	v_mul_f16_e32 v1, s13, v1
.LBB239_22:                             ;   in Loop: Header=BB239_23 Depth=1
	v_pk_add_f16 v20, v20, v56
	v_pk_add_f16 v12, v12, v46
	;; [unrolled: 1-line block ×18, first 2 shown]
	ds_read2_b64 v[8:11], v68 offset0:48 offset1:56
	ds_read2_b64 v[12:15], v58 offset1:32
	v_pk_add_f16 v2, v2, v66
	v_pk_add_f16 v16, v16, v75
	;; [unrolled: 1-line block ×4, first 2 shown]
	s_waitcnt lgkmcnt(1)
	v_pk_max_f16 v10, v10, v10
	s_waitcnt lgkmcnt(0)
	v_pk_max_f16 v12, v12, v12
	v_pk_add_f16 v18, v18, v74
	v_pk_add_f16 v35, v83, v41
	;; [unrolled: 1-line block ×11, first 2 shown]
	ds_read2_b64 v[2:5], v58 offset0:64 offset1:96
	v_pk_min_f16 v16, v10, v12
	v_pk_add_f16 v37, v84, v60
	v_pk_add_f16 v60, v19, v18
	;; [unrolled: 1-line block ×4, first 2 shown]
	ds_read2_b64 v[16:19], v68 offset1:8
	v_pk_max_f16 v14, v14, v14
	s_waitcnt lgkmcnt(1)
	v_pk_max_f16 v2, v2, v2
	v_pk_min_f16 v56, v10, v14
	v_pk_add_f16 v44, v87, v65
	v_pk_add_f16 v56, v56, v20
	v_pk_min_f16 v20, v10, v2
	s_waitcnt lgkmcnt(0)
	v_pk_max_f16 v16, v16, v16
	v_pk_add_f16 v64, v20, v21
	v_pk_min_f16 v20, v16, v12
	v_pk_max_f16 v18, v18, v18
	v_pk_add_f16 v59, v20, v59
	v_pk_min_f16 v20, v16, v14
	v_pk_add_f16 v54, v96, v69
	v_pk_add_f16 v65, v20, v22
	v_pk_min_f16 v20, v16, v2
	v_pk_add_f16 v33, v102, v33
	;; [unrolled: 3-line block ×3, first 2 shown]
	v_pk_add_f16 v60, v20, v60
	v_pk_min_f16 v20, v18, v14
	v_pk_max_f16 v4, v4, v4
	v_pk_add_f16 v70, v20, v33
	ds_read2_b64 v[20:23], v68 offset0:16 offset1:24
	v_pk_min_f16 v16, v16, v4
	v_pk_add_f16 v34, v103, v34
	v_pk_add_f16 v16, v16, v32
	v_pk_min_f16 v32, v18, v2
	s_waitcnt lgkmcnt(0)
	v_pk_max_f16 v20, v20, v20
	v_pk_add_f16 v71, v32, v34
	v_pk_min_f16 v32, v20, v12
	v_pk_add_f16 v37, v105, v37
	v_pk_add_f16 v61, v32, v61
	v_pk_min_f16 v32, v20, v14
	v_pk_add_f16 v41, v106, v41
	v_pk_add_f16 v37, v32, v37
	v_pk_min_f16 v32, v20, v2
	v_pk_max_f16 v22, v22, v22
	v_pk_add_f16 v73, v32, v41
	v_pk_min_f16 v32, v22, v12
	v_pk_add_f16 v35, v104, v35
	v_pk_add_f16 v44, v108, v44
	v_pk_min_f16 v18, v18, v4
	v_pk_add_f16 v81, v32, v62
	v_pk_min_f16 v32, v22, v14
	v_pk_add_f16 v18, v18, v35
	v_pk_add_f16 v82, v32, v44
	ds_read2_b64 v[32:35], v68 offset0:32 offset1:40
	v_pk_add_f16 v40, v86, v40
	v_pk_min_f16 v20, v20, v4
	v_pk_add_f16 v40, v107, v40
	v_pk_add_f16 v46, v109, v46
	;; [unrolled: 1-line block ×3, first 2 shown]
	v_pk_min_f16 v40, v22, v2
	s_waitcnt lgkmcnt(0)
	v_pk_max_f16 v32, v32, v32
	v_pk_add_f16 v83, v40, v46
	v_pk_min_f16 v40, v32, v12
	v_pk_add_f16 v51, v112, v51
	v_pk_add_f16 v63, v40, v63
	v_pk_min_f16 v40, v32, v14
	v_pk_add_f16 v52, v113, v52
	v_pk_add_f16 v84, v40, v51
	v_pk_min_f16 v40, v32, v2
	v_pk_max_f16 v34, v34, v34
	v_pk_add_f16 v6, v115, v6
	v_pk_add_f16 v85, v40, v52
	v_pk_min_f16 v40, v34, v12
	v_pk_add_f16 v53, v116, v53
	v_pk_add_f16 v6, v40, v6
	v_pk_min_f16 v40, v34, v14
	v_pk_max_f16 v8, v8, v8
	v_pk_min_f16 v22, v22, v4
	v_pk_min_f16 v32, v32, v4
	v_pk_add_f16 v86, v40, v53
	v_pk_min_f16 v40, v34, v2
	v_pk_min_f16 v34, v34, v4
	;; [unrolled: 1-line block ×7, first 2 shown]
	v_pk_max_f16 v10, v13, v13
	v_pk_add_f16 v4, v4, v7
	v_pk_max_f16 v7, v11, v11
	v_pk_max_f16 v3, v3, v3
	v_pk_min_f16 v11, v7, v10
	v_pk_max_f16 v5, v5, v5
	v_pk_add_f16 v66, v11, v38
	v_pk_max_f16 v11, v15, v15
	v_pk_add_f16 v54, v119, v54
	v_pk_min_f16 v13, v7, v11
	v_pk_add_f16 v12, v12, v54
	v_pk_add_f16 v56, v13, v56
	v_pk_min_f16 v13, v7, v3
	v_pk_add_f16 v50, v94, v50
	v_pk_add_f16 v46, v13, v64
	v_pk_max_f16 v13, v17, v17
	v_pk_add_f16 v50, v117, v50
	v_pk_min_f16 v15, v13, v10
	v_pk_add_f16 v50, v40, v50
	v_pk_add_f16 v75, v15, v59
	v_pk_min_f16 v15, v13, v11
	v_pk_add_f16 v45, v89, v45
	v_pk_add_f16 v64, v15, v65
	v_pk_min_f16 v15, v13, v3
	v_pk_min_f16 v13, v13, v5
	v_pk_add_f16 v54, v15, v69
	v_pk_add_f16 v44, v13, v16
	v_pk_max_f16 v13, v19, v19
	v_pk_add_f16 v45, v110, v45
	v_pk_min_f16 v15, v13, v10
	v_pk_add_f16 v22, v22, v45
	v_pk_add_f16 v74, v15, v60
	v_pk_min_f16 v15, v13, v11
	v_pk_add_f16 v55, v120, v55
	v_pk_add_f16 v62, v15, v70
	v_pk_min_f16 v15, v13, v3
	;; [unrolled: 12-line block ×5, first 2 shown]
	v_pk_min_f16 v13, v13, v5
	v_pk_add_f16 v53, v15, v85
	v_pk_add_f16 v42, v13, v32
	v_pk_max_f16 v13, v35, v35
	v_pk_add_f16 v2, v2, v49
	v_pk_min_f16 v15, v13, v10
	v_pk_add_f16 v8, v8, v43
	v_pk_add_f16 v70, v15, v6
	v_pk_min_f16 v6, v13, v11
	s_add_i32 s11, s11, 8
	v_pk_add_f16 v61, v6, v86
	v_pk_min_f16 v6, v13, v3
	v_lshl_add_u64 v[28:29], v[28:29], 0, 16
	v_pk_add_f16 v50, v6, v50
	v_pk_min_f16 v6, v13, v5
	v_lshl_add_u64 v[30:31], v[30:31], 0, 16
	v_pk_add_f16 v39, v6, v34
	v_pk_max_f16 v6, v9, v9
	s_cmp_ge_i32 s11, s10
	v_pk_min_f16 v3, v6, v3
	v_pk_min_f16 v9, v6, v10
	v_pk_add_f16 v49, v3, v2
	v_pk_min_f16 v2, v6, v5
	v_pk_add_f16 v69, v9, v12
	;; [unrolled: 2-line block ×4, first 2 shown]
	v_pk_add_f16 v38, v2, v4
	v_lshl_add_u64 v[26:27], v[26:27], 0, 16
	ds_write_b16 v77, v36
	ds_write_b16 v78, v0
	ds_write_b16 v78, v1 offset:512
	s_waitcnt lgkmcnt(0)
	s_barrier
	s_cbranch_scc1 .LBB239_33
.LBB239_23:                             ; =>This Inner Loop Header: Depth=1
	s_and_b64 vcc, exec, s[4:5]
	v_lshl_add_u64 v[36:37], v[26:27], 0, v[24:25]
	v_mov_b32_e32 v81, 0
	s_cbranch_vccnz .LBB239_25
; %bb.24:                               ;   in Loop: Header=BB239_23 Depth=1
	flat_load_ushort v0, v[36:37] offset:16
	s_waitcnt vmcnt(0) lgkmcnt(0)
	v_mul_f16_e32 v81, s13, v0
.LBB239_25:                             ;   in Loop: Header=BB239_23 Depth=1
	s_and_b64 vcc, exec, s[4:5]
	v_lshl_add_u64 v[32:33], v[30:31], 0, v[24:25]
	v_lshl_add_u64 v[34:35], v[28:29], 0, v[24:25]
	s_cbranch_vccnz .LBB239_27
; %bb.26:                               ;   in Loop: Header=BB239_23 Depth=1
	flat_load_ushort v0, v[32:33] offset:16
	flat_load_ushort v1, v[34:35] offset:16
	s_waitcnt vmcnt(0) lgkmcnt(0)
	v_mul_f16_e32 v82, s13, v0
	v_mul_f16_e32 v83, s13, v1
	s_branch .LBB239_28
.LBB239_27:                             ;   in Loop: Header=BB239_23 Depth=1
	v_mov_b32_e32 v82, 0
	v_mov_b32_e32 v83, 0
.LBB239_28:                             ;   in Loop: Header=BB239_23 Depth=1
	ds_read2_b64 v[0:3], v79 offset0:48 offset1:56
	ds_read2_b64 v[12:15], v80 offset0:64 offset1:96
	ds_read2_b64 v[20:23], v80 offset1:32
	ds_read2_b64 v[16:19], v79 offset1:8
	ds_read2_b64 v[8:11], v79 offset0:16 offset1:24
	ds_read2_b64 v[4:7], v79 offset0:32 offset1:40
	s_and_b64 vcc, exec, s[4:5]
	ds_write_b16 v76, v81
	ds_write_b16 v67, v82
	ds_write_b16 v67, v83 offset:512
	s_waitcnt lgkmcnt(0)
	s_barrier
	s_cbranch_vccnz .LBB239_30
; %bb.29:                               ;   in Loop: Header=BB239_23 Depth=1
	flat_load_ushort v36, v[36:37] offset:24
	s_waitcnt vmcnt(0) lgkmcnt(0)
	v_mul_f16_e32 v36, s13, v36
	s_branch .LBB239_31
.LBB239_30:                             ;   in Loop: Header=BB239_23 Depth=1
	v_mov_b32_e32 v36, 0
.LBB239_31:                             ;   in Loop: Header=BB239_23 Depth=1
	v_pk_max_f16 v100, v2, v2
	v_pk_max_f16 v96, v20, v20
	;; [unrolled: 1-line block ×17, first 2 shown]
	v_pk_min_f16 v2, v100, v96
	v_pk_min_f16 v20, v100, v97
	;; [unrolled: 1-line block ×26, first 2 shown]
	v_pk_max_f16 v0, v3, v3
	v_pk_max_f16 v102, v17, v17
	;; [unrolled: 1-line block ×5, first 2 shown]
	v_pk_min_f16 v111, v5, v119
	v_pk_min_f16 v112, v5, v120
	;; [unrolled: 1-line block ×4, first 2 shown]
	v_pk_max_f16 v5, v7, v7
	v_pk_max_f16 v1, v1, v1
	v_pk_min_f16 v83, v83, v101
	v_pk_min_f16 v86, v86, v101
	;; [unrolled: 1-line block ×33, first 2 shown]
	s_and_b64 vcc, exec, s[4:5]
	v_pk_min_f16 v7, v0, v122
	s_cbranch_vccz .LBB239_21
; %bb.32:                               ;   in Loop: Header=BB239_23 Depth=1
	v_mov_b32_e32 v0, 0
	v_mov_b32_e32 v1, 0
	s_branch .LBB239_22
.LBB239_33:
	s_load_dword s10, s[0:1], 0x50
	ds_read_b64 v[20:21], v58 offset:1024
	ds_read_b64 v[26:27], v57 offset:2560
	v_add_u32_e32 v28, s19, v48
	v_cmp_neq_f16_e64 s[4:5], s22, 0
	v_add_u32_e32 v16, s18, v47
	s_waitcnt lgkmcnt(0)
	v_mad_i64_i32 v[0:1], s[12:13], v28, s10, 0
	v_ashrrev_i32_e32 v17, 31, v16
	v_lshl_add_u64 v[22:23], v[0:1], 1, s[8:9]
	s_and_b64 vcc, exec, s[4:5]
	v_mov_b32_e32 v33, 0
	v_mov_b32_e32 v31, 0
	s_cbranch_vccz .LBB239_35
; %bb.34:
	v_lshl_add_u64 v[0:1], v[16:17], 1, v[22:23]
	flat_load_ushort v0, v[0:1]
	s_waitcnt vmcnt(0) lgkmcnt(0)
	v_mul_f16_e32 v31, s22, v0
.LBB239_35:
	ds_read_b64 v[24:25], v57 offset:3008
	ds_read_b64 v[18:19], v58 offset:1792
	ds_read2_b64 v[0:3], v58 offset0:160 offset1:192
	s_load_dword s11, s[0:1], 0x68
	s_load_dwordx2 s[12:13], s[0:1], 0x70
	v_pk_max_f16 v68, v20, v20
	v_pk_max_f16 v29, v26, v26
	v_add_u32_e32 v4, 0x800, v57
	v_pk_min_f16 v20, v29, v68
	ds_read2_b64 v[12:15], v4 offset0:72 offset1:80
	ds_read2_b64 v[8:11], v4 offset0:88 offset1:96
	;; [unrolled: 1-line block ×3, first 2 shown]
	v_pk_add_f16 v20, v20, v75
	v_pk_max_f16 v75, v21, v21
	v_pk_max_f16 v30, v27, v27
	s_waitcnt lgkmcnt(0)
	s_lshl_b64 s[0:1], s[12:13], 1
	v_pk_min_f16 v21, v30, v75
	s_add_u32 s2, s2, s0
	v_pk_add_f16 v32, v21, v20
	s_addc_u32 s3, s3, s1
	v_mad_i64_i32 v[26:27], s[0:1], v28, s11, 0
	v_add_f16_sdwa v32, v32, v32 dst_sel:DWORD dst_unused:UNUSED_PAD src0_sel:DWORD src1_sel:WORD_1
	v_add_u32_e32 v20, 8, v16
	v_lshl_add_u64 v[26:27], v[26:27], 1, s[2:3]
	v_add_f16_e32 v31, v32, v31
	v_cndmask_b32_e64 v32, 0, 1, s[4:5]
	v_ashrrev_i32_e32 v21, 31, v20
	v_lshl_add_u64 v[34:35], v[16:17], 1, v[26:27]
	v_cmp_ne_u32_e64 s[0:1], 1, v32
	s_andn2_b64 vcc, exec, s[4:5]
	global_store_short v[34:35], v31, off
	s_cbranch_vccnz .LBB239_37
; %bb.36:
	v_lshl_add_u64 v[32:33], v[20:21], 1, v[22:23]
	flat_load_ushort v31, v[32:33]
	s_waitcnt vmcnt(0) lgkmcnt(0)
	v_mul_f16_e32 v33, s22, v31
.LBB239_37:
	v_pk_max_f16 v31, v12, v12
	v_pk_max_f16 v32, v13, v13
	v_pk_min_f16 v12, v31, v68
	v_pk_min_f16 v13, v32, v75
	v_pk_add_f16 v12, v12, v74
	s_and_b64 vcc, exec, s[0:1]
	v_pk_add_f16 v12, v13, v12
	v_mov_b32_e32 v37, 0
	v_add_f16_sdwa v34, v12, v12 dst_sel:DWORD dst_unused:UNUSED_PAD src0_sel:DWORD src1_sel:WORD_1
	v_add_u32_e32 v12, 16, v16
	v_add_f16_e32 v33, v34, v33
	v_lshl_add_u64 v[34:35], v[20:21], 1, v[26:27]
	v_ashrrev_i32_e32 v13, 31, v12
	global_store_short v[34:35], v33, off
	v_mov_b32_e32 v35, 0
	s_cbranch_vccnz .LBB239_39
; %bb.38:
	v_lshl_add_u64 v[34:35], v[12:13], 1, v[22:23]
	flat_load_ushort v33, v[34:35]
	s_waitcnt vmcnt(0) lgkmcnt(0)
	v_mul_f16_e32 v35, s22, v33
.LBB239_39:
	v_pk_max_f16 v33, v14, v14
	v_pk_max_f16 v34, v15, v15
	v_pk_min_f16 v14, v33, v68
	v_pk_min_f16 v15, v34, v75
	v_pk_add_f16 v14, v14, v72
	v_lshl_add_u64 v[76:77], v[12:13], 1, v[26:27]
	v_pk_add_f16 v14, v15, v14
	s_and_b64 vcc, exec, s[0:1]
	v_add_f16_sdwa v36, v14, v14 dst_sel:DWORD dst_unused:UNUSED_PAD src0_sel:DWORD src1_sel:WORD_1
	v_add_u32_e32 v14, 24, v16
	v_ashrrev_i32_e32 v15, 31, v14
	v_add_f16_e32 v35, v36, v35
	global_store_short v[76:77], v35, off
	s_cbranch_vccnz .LBB239_41
; %bb.40:
	v_lshl_add_u64 v[36:37], v[14:15], 1, v[22:23]
	flat_load_ushort v35, v[36:37]
	s_waitcnt vmcnt(0) lgkmcnt(0)
	v_mul_f16_e32 v37, s22, v35
.LBB239_41:
	v_pk_max_f16 v35, v8, v8
	v_pk_max_f16 v36, v9, v9
	v_pk_min_f16 v8, v35, v68
	v_pk_min_f16 v9, v36, v75
	v_pk_add_f16 v8, v8, v73
	v_lshl_add_u64 v[72:73], v[14:15], 1, v[26:27]
	v_pk_add_f16 v8, v9, v8
	s_and_b64 vcc, exec, s[0:1]
	v_add_f16_sdwa v47, v8, v8 dst_sel:DWORD dst_unused:UNUSED_PAD src0_sel:DWORD src1_sel:WORD_1
	v_add_u32_e32 v8, 32, v16
	v_ashrrev_i32_e32 v9, 31, v8
	v_add_f16_e32 v37, v47, v37
	v_mov_b32_e32 v58, 0
	v_mov_b32_e32 v48, 0
	global_store_short v[72:73], v37, off
	s_cbranch_vccnz .LBB239_43
; %bb.42:
	v_lshl_add_u64 v[72:73], v[8:9], 1, v[22:23]
	flat_load_ushort v37, v[72:73]
	s_waitcnt vmcnt(0) lgkmcnt(0)
	v_mul_f16_e32 v48, s22, v37
.LBB239_43:
	v_pk_max_f16 v37, v10, v10
	v_pk_max_f16 v47, v11, v11
	v_pk_min_f16 v10, v37, v68
	v_pk_min_f16 v11, v47, v75
	v_pk_add_f16 v10, v10, v71
	v_lshl_add_u64 v[72:73], v[8:9], 1, v[26:27]
	v_pk_add_f16 v10, v11, v10
	s_and_b64 vcc, exec, s[0:1]
	v_add_f16_sdwa v57, v10, v10 dst_sel:DWORD dst_unused:UNUSED_PAD src0_sel:DWORD src1_sel:WORD_1
	v_add_u32_e32 v10, 40, v16
	v_ashrrev_i32_e32 v11, 31, v10
	v_add_f16_e32 v48, v57, v48
	global_store_short v[72:73], v48, off
	s_cbranch_vccnz .LBB239_45
; %bb.44:
	v_lshl_add_u64 v[72:73], v[10:11], 1, v[22:23]
	flat_load_ushort v48, v[72:73]
	s_waitcnt vmcnt(0) lgkmcnt(0)
	v_mul_f16_e32 v58, s22, v48
.LBB239_45:
	v_pk_max_f16 v48, v4, v4
	v_pk_max_f16 v57, v5, v5
	v_pk_min_f16 v4, v48, v68
	v_pk_min_f16 v5, v57, v75
	v_pk_add_f16 v4, v4, v70
	v_lshl_add_u64 v[70:71], v[10:11], 1, v[26:27]
	v_pk_add_f16 v4, v5, v4
	s_and_b64 vcc, exec, s[0:1]
	v_add_f16_sdwa v67, v4, v4 dst_sel:DWORD dst_unused:UNUSED_PAD src0_sel:DWORD src1_sel:WORD_1
	v_add_u32_e32 v4, 48, v16
	v_add_f16_e32 v58, v67, v58
	v_ashrrev_i32_e32 v5, 31, v4
	global_store_short v[70:71], v58, off
	v_mov_b32_e32 v70, 0
	v_mov_b32_e32 v71, 0
	s_cbranch_vccnz .LBB239_47
; %bb.46:
	v_lshl_add_u64 v[72:73], v[4:5], 1, v[22:23]
	flat_load_ushort v58, v[72:73]
	s_waitcnt vmcnt(0) lgkmcnt(0)
	v_mul_f16_e32 v71, s22, v58
.LBB239_47:
	v_pk_max_f16 v58, v6, v6
	v_pk_max_f16 v67, v7, v7
	v_pk_min_f16 v6, v58, v68
	v_pk_min_f16 v7, v67, v75
	v_pk_add_f16 v6, v6, v69
	v_lshl_add_u64 v[72:73], v[4:5], 1, v[26:27]
	v_pk_add_f16 v6, v7, v6
	s_and_b64 vcc, exec, s[0:1]
	v_add_f16_sdwa v69, v6, v6 dst_sel:DWORD dst_unused:UNUSED_PAD src0_sel:DWORD src1_sel:WORD_1
	v_add_u32_e32 v6, 56, v16
	v_ashrrev_i32_e32 v7, 31, v6
	v_add_f16_e32 v69, v69, v71
	global_store_short v[72:73], v69, off
	s_cbranch_vccnz .LBB239_49
; %bb.48:
	v_lshl_add_u64 v[22:23], v[6:7], 1, v[22:23]
	flat_load_ushort v22, v[22:23]
	s_waitcnt vmcnt(0) lgkmcnt(0)
	v_mul_f16_e32 v70, s22, v22
.LBB239_49:
	v_pk_max_f16 v24, v24, v24
	v_pk_max_f16 v25, v25, v25
	v_pk_min_f16 v22, v24, v68
	v_pk_min_f16 v23, v25, v75
	v_pk_add_f16 v22, v22, v66
	v_add_u32_e32 v68, 32, v28
	v_pk_add_f16 v22, v23, v22
	s_and_b64 vcc, exec, s[0:1]
	v_add_f16_sdwa v22, v22, v22 dst_sel:DWORD dst_unused:UNUSED_PAD src0_sel:DWORD src1_sel:WORD_1
	v_add_f16_e32 v66, v22, v70
	v_lshl_add_u64 v[22:23], v[6:7], 1, v[26:27]
	global_store_short v[22:23], v66, off
	v_mad_i64_i32 v[22:23], s[4:5], v68, s10, 0
	v_lshl_add_u64 v[22:23], v[22:23], 1, s[8:9]
	v_mov_b32_e32 v66, 0
	v_mov_b32_e32 v69, 0
	s_cbranch_vccnz .LBB239_51
; %bb.50:
	v_lshl_add_u64 v[26:27], v[16:17], 1, v[22:23]
	flat_load_ushort v26, v[26:27]
	s_waitcnt vmcnt(0) lgkmcnt(0)
	v_mul_f16_e32 v69, s22, v26
.LBB239_51:
	v_pk_max_f16 v26, v0, v0
	v_pk_max_f16 v27, v1, v1
	v_pk_min_f16 v0, v29, v26
	v_pk_min_f16 v1, v30, v27
	v_pk_add_f16 v0, v0, v64
	s_and_b64 vcc, exec, s[0:1]
	v_pk_add_f16 v64, v1, v0
	v_mad_i64_i32 v[0:1], s[4:5], v68, s11, 0
	v_lshl_add_u64 v[0:1], v[0:1], 1, s[2:3]
	v_add_f16_sdwa v64, v64, v64 dst_sel:DWORD dst_unused:UNUSED_PAD src0_sel:DWORD src1_sel:WORD_1
	v_add_f16_e32 v64, v64, v69
	v_lshl_add_u64 v[68:69], v[16:17], 1, v[0:1]
	global_store_short v[68:69], v64, off
	s_cbranch_vccnz .LBB239_53
; %bb.52:
	v_lshl_add_u64 v[68:69], v[20:21], 1, v[22:23]
	flat_load_ushort v64, v[68:69]
	s_waitcnt vmcnt(0) lgkmcnt(0)
	v_mul_f16_e32 v66, s22, v64
.LBB239_53:
	v_pk_min_f16 v64, v31, v26
	v_lshl_add_u64 v[68:69], v[20:21], 1, v[0:1]
	v_pk_add_f16 v62, v64, v62
	v_pk_min_f16 v64, v32, v27
	s_and_b64 vcc, exec, s[0:1]
	v_pk_add_f16 v62, v64, v62
	v_mov_b32_e32 v64, 0
	v_add_f16_sdwa v62, v62, v62 dst_sel:DWORD dst_unused:UNUSED_PAD src0_sel:DWORD src1_sel:WORD_1
	v_add_f16_e32 v62, v62, v66
	global_store_short v[68:69], v62, off
	v_mov_b32_e32 v62, 0
	s_cbranch_vccnz .LBB239_55
; %bb.54:
	v_lshl_add_u64 v[68:69], v[12:13], 1, v[22:23]
	flat_load_ushort v64, v[68:69]
	s_waitcnt vmcnt(0) lgkmcnt(0)
	v_mul_f16_e32 v64, s22, v64
.LBB239_55:
	v_pk_min_f16 v66, v33, v26
	v_lshl_add_u64 v[68:69], v[12:13], 1, v[0:1]
	v_pk_add_f16 v60, v66, v60
	v_pk_min_f16 v66, v34, v27
	s_and_b64 vcc, exec, s[0:1]
	v_pk_add_f16 v60, v66, v60
	s_nop 0
	v_add_f16_sdwa v60, v60, v60 dst_sel:DWORD dst_unused:UNUSED_PAD src0_sel:DWORD src1_sel:WORD_1
	v_add_f16_e32 v60, v60, v64
	global_store_short v[68:69], v60, off
	s_cbranch_vccnz .LBB239_57
; %bb.56:
	v_lshl_add_u64 v[68:69], v[14:15], 1, v[22:23]
	flat_load_ushort v60, v[68:69]
	s_waitcnt vmcnt(0) lgkmcnt(0)
	v_mul_f16_e32 v62, s22, v60
.LBB239_57:
	v_pk_min_f16 v60, v35, v26
	v_pk_min_f16 v64, v36, v27
	v_pk_add_f16 v60, v60, v65
	s_and_b64 vcc, exec, s[0:1]
	v_pk_add_f16 v60, v64, v60
	v_lshl_add_u64 v[64:65], v[14:15], 1, v[0:1]
	v_add_f16_sdwa v60, v60, v60 dst_sel:DWORD dst_unused:UNUSED_PAD src0_sel:DWORD src1_sel:WORD_1
	v_add_f16_e32 v60, v60, v62
	global_store_short v[64:65], v60, off
	v_mov_b32_e32 v60, 0
	v_mov_b32_e32 v62, 0
	s_cbranch_vccnz .LBB239_59
; %bb.58:
	v_lshl_add_u64 v[64:65], v[8:9], 1, v[22:23]
	flat_load_ushort v62, v[64:65]
	s_waitcnt vmcnt(0) lgkmcnt(0)
	v_mul_f16_e32 v62, s22, v62
.LBB239_59:
	v_pk_min_f16 v64, v37, v26
	s_and_b64 vcc, exec, s[0:1]
	v_pk_add_f16 v63, v64, v63
	v_pk_min_f16 v64, v47, v27
	s_nop 0
	v_pk_add_f16 v63, v64, v63
	s_nop 0
	v_add_f16_sdwa v63, v63, v63 dst_sel:DWORD dst_unused:UNUSED_PAD src0_sel:DWORD src1_sel:WORD_1
	v_add_f16_e32 v64, v63, v62
	v_lshl_add_u64 v[62:63], v[8:9], 1, v[0:1]
	global_store_short v[62:63], v64, off
	s_cbranch_vccnz .LBB239_61
; %bb.60:
	v_lshl_add_u64 v[62:63], v[10:11], 1, v[22:23]
	flat_load_ushort v60, v[62:63]
	s_waitcnt vmcnt(0) lgkmcnt(0)
	v_mul_f16_e32 v60, s22, v60
.LBB239_61:
	v_pk_min_f16 v62, v48, v26
	s_and_b64 vcc, exec, s[0:1]
	v_pk_add_f16 v61, v62, v61
	v_pk_min_f16 v62, v57, v27
	s_nop 0
	v_pk_add_f16 v61, v62, v61
	s_nop 0
	v_add_f16_sdwa v61, v61, v61 dst_sel:DWORD dst_unused:UNUSED_PAD src0_sel:DWORD src1_sel:WORD_1
	v_add_f16_e32 v62, v61, v60
	v_lshl_add_u64 v[60:61], v[10:11], 1, v[0:1]
	global_store_short v[60:61], v62, off
	v_mov_b32_e32 v60, 0
	v_mov_b32_e32 v61, 0
	s_cbranch_vccnz .LBB239_63
; %bb.62:
	v_lshl_add_u64 v[62:63], v[4:5], 1, v[22:23]
	flat_load_ushort v61, v[62:63]
	s_waitcnt vmcnt(0) lgkmcnt(0)
	v_mul_f16_e32 v61, s22, v61
.LBB239_63:
	v_pk_min_f16 v62, v58, v26
	s_and_b64 vcc, exec, s[0:1]
	v_pk_add_f16 v59, v62, v59
	v_pk_min_f16 v62, v67, v27
	s_nop 0
	v_pk_add_f16 v59, v62, v59
	v_lshl_add_u64 v[62:63], v[4:5], 1, v[0:1]
	v_add_f16_sdwa v59, v59, v59 dst_sel:DWORD dst_unused:UNUSED_PAD src0_sel:DWORD src1_sel:WORD_1
	v_add_f16_e32 v59, v59, v61
	global_store_short v[62:63], v59, off
	s_cbranch_vccnz .LBB239_65
; %bb.64:
	v_lshl_add_u64 v[22:23], v[6:7], 1, v[22:23]
	flat_load_ushort v22, v[22:23]
	s_waitcnt vmcnt(0) lgkmcnt(0)
	v_mul_f16_e32 v60, s22, v22
.LBB239_65:
	v_pk_min_f16 v22, v24, v26
	v_pk_min_f16 v23, v25, v27
	v_pk_add_f16 v22, v22, v56
	v_lshl_add_u64 v[0:1], v[6:7], 1, v[0:1]
	v_pk_add_f16 v22, v23, v22
	v_add_u32_e32 v27, 64, v28
	v_add_f16_sdwa v22, v22, v22 dst_sel:DWORD dst_unused:UNUSED_PAD src0_sel:DWORD src1_sel:WORD_1
	v_add_f16_e32 v22, v22, v60
	global_store_short v[0:1], v22, off
	v_mad_i64_i32 v[0:1], s[4:5], v27, s10, 0
	v_lshl_add_u64 v[0:1], v[0:1], 1, s[8:9]
	s_and_b64 vcc, exec, s[0:1]
	v_mov_b32_e32 v26, 0
	v_mov_b32_e32 v56, 0
	s_cbranch_vccnz .LBB239_67
; %bb.66:
	v_lshl_add_u64 v[22:23], v[16:17], 1, v[0:1]
	flat_load_ushort v22, v[22:23]
	s_waitcnt vmcnt(0) lgkmcnt(0)
	v_mul_f16_e32 v56, s22, v22
.LBB239_67:
	v_pk_max_f16 v22, v2, v2
	v_pk_max_f16 v23, v3, v3
	v_pk_min_f16 v2, v29, v22
	v_pk_min_f16 v3, v30, v23
	v_pk_add_f16 v2, v2, v54
	s_and_b64 vcc, exec, s[0:1]
	v_pk_add_f16 v54, v3, v2
	v_mad_i64_i32 v[2:3], s[4:5], v27, s11, 0
	v_lshl_add_u64 v[2:3], v[2:3], 1, s[2:3]
	v_add_f16_sdwa v27, v54, v54 dst_sel:DWORD dst_unused:UNUSED_PAD src0_sel:DWORD src1_sel:WORD_1
	v_add_f16_e32 v27, v27, v56
	v_lshl_add_u64 v[60:61], v[16:17], 1, v[2:3]
	global_store_short v[60:61], v27, off
	s_cbranch_vccnz .LBB239_69
; %bb.68:
	v_lshl_add_u64 v[26:27], v[20:21], 1, v[0:1]
	flat_load_ushort v26, v[26:27]
	s_waitcnt vmcnt(0) lgkmcnt(0)
	v_mul_f16_e32 v26, s22, v26
.LBB239_69:
	v_pk_min_f16 v27, v31, v22
	s_and_b64 vcc, exec, s[0:1]
	v_pk_add_f16 v27, v27, v52
	v_pk_min_f16 v52, v32, v23
	s_nop 0
	v_pk_add_f16 v27, v52, v27
	s_nop 0
	v_add_f16_sdwa v27, v27, v27 dst_sel:DWORD dst_unused:UNUSED_PAD src0_sel:DWORD src1_sel:WORD_1
	v_add_f16_e32 v52, v27, v26
	v_lshl_add_u64 v[26:27], v[20:21], 1, v[2:3]
	global_store_short v[26:27], v52, off
	v_mov_b32_e32 v26, 0
	v_mov_b32_e32 v27, 0
	s_cbranch_vccnz .LBB239_71
; %bb.70:
	v_lshl_add_u64 v[60:61], v[12:13], 1, v[0:1]
	flat_load_ushort v27, v[60:61]
	s_waitcnt vmcnt(0) lgkmcnt(0)
	v_mul_f16_e32 v27, s22, v27
.LBB239_71:
	v_pk_min_f16 v52, v33, v22
	v_lshl_add_u64 v[60:61], v[12:13], 1, v[2:3]
	v_pk_add_f16 v51, v52, v51
	v_pk_min_f16 v52, v34, v23
	s_and_b64 vcc, exec, s[0:1]
	v_pk_add_f16 v51, v52, v51
	s_nop 0
	v_add_f16_sdwa v51, v51, v51 dst_sel:DWORD dst_unused:UNUSED_PAD src0_sel:DWORD src1_sel:WORD_1
	v_add_f16_e32 v27, v51, v27
	global_store_short v[60:61], v27, off
	s_cbranch_vccnz .LBB239_73
; %bb.72:
	v_lshl_add_u64 v[26:27], v[14:15], 1, v[0:1]
	flat_load_ushort v26, v[26:27]
	s_waitcnt vmcnt(0) lgkmcnt(0)
	v_mul_f16_e32 v26, s22, v26
.LBB239_73:
	v_pk_min_f16 v27, v35, v22
	v_pk_min_f16 v51, v36, v23
	v_pk_add_f16 v27, v27, v55
	s_and_b64 vcc, exec, s[0:1]
	v_pk_add_f16 v27, v51, v27
	s_nop 0
	v_add_f16_sdwa v27, v27, v27 dst_sel:DWORD dst_unused:UNUSED_PAD src0_sel:DWORD src1_sel:WORD_1
	v_add_f16_e32 v51, v27, v26
	v_lshl_add_u64 v[26:27], v[14:15], 1, v[2:3]
	global_store_short v[26:27], v51, off
	v_mov_b32_e32 v26, 0
	v_mov_b32_e32 v27, 0
	s_cbranch_vccnz .LBB239_75
; %bb.74:
	v_lshl_add_u64 v[54:55], v[8:9], 1, v[0:1]
	flat_load_ushort v27, v[54:55]
	s_waitcnt vmcnt(0) lgkmcnt(0)
	v_mul_f16_e32 v27, s22, v27
.LBB239_75:
	v_pk_min_f16 v51, v37, v22
	v_pk_min_f16 v52, v47, v23
	v_pk_add_f16 v51, v51, v53
	s_and_b64 vcc, exec, s[0:1]
	v_pk_add_f16 v51, v52, v51
	v_lshl_add_u64 v[52:53], v[8:9], 1, v[2:3]
	v_add_f16_sdwa v51, v51, v51 dst_sel:DWORD dst_unused:UNUSED_PAD src0_sel:DWORD src1_sel:WORD_1
	v_add_f16_e32 v27, v51, v27
	global_store_short v[52:53], v27, off
	s_cbranch_vccnz .LBB239_77
; %bb.76:
	v_lshl_add_u64 v[26:27], v[10:11], 1, v[0:1]
	flat_load_ushort v26, v[26:27]
	s_waitcnt vmcnt(0) lgkmcnt(0)
	v_mul_f16_e32 v26, s22, v26
.LBB239_77:
	v_pk_min_f16 v27, v48, v22
	s_and_b64 vcc, exec, s[0:1]
	v_pk_add_f16 v27, v27, v50
	v_pk_min_f16 v50, v57, v23
	s_nop 0
	v_pk_add_f16 v27, v50, v27
	s_nop 0
	v_add_f16_sdwa v27, v27, v27 dst_sel:DWORD dst_unused:UNUSED_PAD src0_sel:DWORD src1_sel:WORD_1
	v_add_f16_e32 v50, v27, v26
	v_lshl_add_u64 v[26:27], v[10:11], 1, v[2:3]
	global_store_short v[26:27], v50, off
	v_mov_b32_e32 v26, 0
	v_mov_b32_e32 v27, 0
	s_cbranch_vccnz .LBB239_79
; %bb.78:
	v_lshl_add_u64 v[50:51], v[4:5], 1, v[0:1]
	flat_load_ushort v27, v[50:51]
	s_waitcnt vmcnt(0) lgkmcnt(0)
	v_mul_f16_e32 v27, s22, v27
.LBB239_79:
	v_pk_min_f16 v50, v58, v22
	s_and_b64 vcc, exec, s[0:1]
	v_pk_add_f16 v49, v50, v49
	v_pk_min_f16 v50, v67, v23
	s_nop 0
	v_pk_add_f16 v49, v50, v49
	v_lshl_add_u64 v[50:51], v[4:5], 1, v[2:3]
	v_add_f16_sdwa v49, v49, v49 dst_sel:DWORD dst_unused:UNUSED_PAD src0_sel:DWORD src1_sel:WORD_1
	v_add_f16_e32 v27, v49, v27
	global_store_short v[50:51], v27, off
	s_cbranch_vccnz .LBB239_81
; %bb.80:
	v_lshl_add_u64 v[0:1], v[6:7], 1, v[0:1]
	flat_load_ushort v0, v[0:1]
	s_waitcnt vmcnt(0) lgkmcnt(0)
	v_mul_f16_e32 v26, s22, v0
.LBB239_81:
	v_pk_min_f16 v0, v24, v22
	v_pk_min_f16 v1, v25, v23
	v_pk_add_f16 v0, v0, v46
	s_and_b64 vcc, exec, s[0:1]
	v_pk_add_f16 v0, v1, v0
	v_mov_b32_e32 v23, 0
	v_add_f16_sdwa v0, v0, v0 dst_sel:DWORD dst_unused:UNUSED_PAD src0_sel:DWORD src1_sel:WORD_1
	v_add_f16_e32 v22, v0, v26
	v_lshl_add_u64 v[0:1], v[6:7], 1, v[2:3]
	v_add_u32_e32 v2, 0x60, v28
	global_store_short v[0:1], v22, off
	v_mad_i64_i32 v[0:1], s[4:5], v2, s10, 0
	v_lshl_add_u64 v[0:1], v[0:1], 1, s[8:9]
	v_mov_b32_e32 v22, 0
	s_cbranch_vccnz .LBB239_83
; %bb.82:
	v_lshl_add_u64 v[26:27], v[16:17], 1, v[0:1]
	flat_load_ushort v3, v[26:27]
	s_waitcnt vmcnt(0) lgkmcnt(0)
	v_mul_f16_e32 v23, s22, v3
.LBB239_83:
	v_pk_max_f16 v18, v18, v18
	v_pk_max_f16 v19, v19, v19
	v_pk_min_f16 v3, v29, v18
	v_pk_min_f16 v26, v30, v19
	v_pk_add_f16 v3, v3, v44
	s_and_b64 vcc, exec, s[0:1]
	v_pk_add_f16 v26, v26, v3
	v_mad_i64_i32 v[2:3], s[4:5], v2, s11, 0
	v_lshl_add_u64 v[2:3], v[2:3], 1, s[2:3]
	v_add_f16_sdwa v26, v26, v26 dst_sel:DWORD dst_unused:UNUSED_PAD src0_sel:DWORD src1_sel:WORD_1
	v_add_f16_e32 v23, v26, v23
	v_lshl_add_u64 v[16:17], v[16:17], 1, v[2:3]
	global_store_short v[16:17], v23, off
	s_cbranch_vccnz .LBB239_85
; %bb.84:
	v_lshl_add_u64 v[16:17], v[20:21], 1, v[0:1]
	flat_load_ushort v16, v[16:17]
	s_waitcnt vmcnt(0) lgkmcnt(0)
	v_mul_f16_e32 v22, s22, v16
.LBB239_85:
	v_pk_min_f16 v16, v31, v18
	v_pk_min_f16 v17, v32, v19
	v_pk_add_f16 v16, v16, v41
	s_and_b64 vcc, exec, s[0:1]
	v_pk_add_f16 v16, v17, v16
	s_nop 0
	v_add_f16_sdwa v16, v16, v16 dst_sel:DWORD dst_unused:UNUSED_PAD src0_sel:DWORD src1_sel:WORD_1
	v_add_f16_e32 v22, v16, v22
	v_lshl_add_u64 v[16:17], v[20:21], 1, v[2:3]
	global_store_short v[16:17], v22, off
	v_mov_b32_e32 v16, 0
	v_mov_b32_e32 v17, 0
	s_cbranch_vccnz .LBB239_87
; %bb.86:
	v_lshl_add_u64 v[20:21], v[12:13], 1, v[0:1]
	flat_load_ushort v17, v[20:21]
	s_waitcnt vmcnt(0) lgkmcnt(0)
	v_mul_f16_e32 v17, s22, v17
.LBB239_87:
	v_pk_min_f16 v20, v33, v18
	v_pk_min_f16 v21, v34, v19
	v_pk_add_f16 v20, v20, v40
	v_lshl_add_u64 v[12:13], v[12:13], 1, v[2:3]
	v_pk_add_f16 v20, v21, v20
	s_and_b64 vcc, exec, s[0:1]
	v_add_f16_sdwa v20, v20, v20 dst_sel:DWORD dst_unused:UNUSED_PAD src0_sel:DWORD src1_sel:WORD_1
	v_add_f16_e32 v17, v20, v17
	global_store_short v[12:13], v17, off
	s_cbranch_vccnz .LBB239_89
; %bb.88:
	v_lshl_add_u64 v[12:13], v[14:15], 1, v[0:1]
	flat_load_ushort v12, v[12:13]
	s_waitcnt vmcnt(0) lgkmcnt(0)
	v_mul_f16_e32 v16, s22, v12
.LBB239_89:
	v_pk_min_f16 v12, v35, v18
	v_pk_min_f16 v13, v36, v19
	v_pk_add_f16 v12, v12, v45
	s_and_b64 vcc, exec, s[0:1]
	v_pk_add_f16 v12, v13, v12
	s_nop 0
	v_add_f16_sdwa v12, v12, v12 dst_sel:DWORD dst_unused:UNUSED_PAD src0_sel:DWORD src1_sel:WORD_1
	v_add_f16_e32 v16, v12, v16
	v_lshl_add_u64 v[12:13], v[14:15], 1, v[2:3]
	global_store_short v[12:13], v16, off
	v_mov_b32_e32 v12, 0
	v_mov_b32_e32 v13, 0
	s_cbranch_vccnz .LBB239_91
; %bb.90:
	v_lshl_add_u64 v[14:15], v[8:9], 1, v[0:1]
	flat_load_ushort v13, v[14:15]
	s_waitcnt vmcnt(0) lgkmcnt(0)
	v_mul_f16_e32 v13, s22, v13
.LBB239_91:
	v_pk_min_f16 v14, v37, v18
	v_pk_min_f16 v15, v47, v19
	v_pk_add_f16 v14, v14, v42
	v_lshl_add_u64 v[8:9], v[8:9], 1, v[2:3]
	v_pk_add_f16 v14, v15, v14
	s_and_b64 vcc, exec, s[0:1]
	v_add_f16_sdwa v14, v14, v14 dst_sel:DWORD dst_unused:UNUSED_PAD src0_sel:DWORD src1_sel:WORD_1
	v_add_f16_e32 v13, v14, v13
	global_store_short v[8:9], v13, off
	s_cbranch_vccnz .LBB239_93
; %bb.92:
	v_lshl_add_u64 v[8:9], v[10:11], 1, v[0:1]
	flat_load_ushort v8, v[8:9]
	s_waitcnt vmcnt(0) lgkmcnt(0)
	v_mul_f16_e32 v12, s22, v8
.LBB239_93:
	v_pk_min_f16 v8, v48, v18
	v_pk_min_f16 v9, v57, v19
	v_pk_add_f16 v8, v8, v39
	v_pk_min_f16 v13, v67, v19
	v_pk_add_f16 v8, v9, v8
	v_pk_min_f16 v9, v58, v18
	v_add_f16_sdwa v8, v8, v8 dst_sel:DWORD dst_unused:UNUSED_PAD src0_sel:DWORD src1_sel:WORD_1
	v_pk_add_f16 v9, v9, v43
	v_add_f16_e32 v12, v8, v12
	v_pk_add_f16 v13, v13, v9
	v_lshl_add_u64 v[8:9], v[10:11], 1, v[2:3]
	global_store_short v[8:9], v12, off
	v_add_f16_sdwa v8, v13, v13 dst_sel:DWORD dst_unused:UNUSED_PAD src0_sel:DWORD src1_sel:WORD_1
	s_mov_b64 vcc, s[6:7]
	s_cbranch_vccz .LBB239_96
; %bb.94:
	v_add_f16_e32 v9, 0, v8
	v_lshl_add_u64 v[10:11], v[4:5], 1, v[2:3]
	s_mov_b32 s2, 0
	global_store_short v[10:11], v9, off
	s_cbranch_execz .LBB239_97
; %bb.95:
	v_mov_b32_e32 v0, s2
	s_branch .LBB239_98
.LBB239_96:
                                        ; implicit-def: $sgpr2
.LBB239_97:
	v_lshlrev_b64 v[4:5], 1, v[4:5]
	v_lshl_add_u64 v[10:11], v[0:1], 0, v[4:5]
	flat_load_ushort v9, v[10:11]
	v_lshl_add_u64 v[4:5], v[2:3], 0, v[4:5]
	v_lshl_add_u64 v[0:1], v[6:7], 1, v[0:1]
	s_waitcnt vmcnt(0) lgkmcnt(0)
	v_fma_f16 v8, v9, s22, v8
	global_store_short v[4:5], v8, off
	flat_load_ushort v0, v[0:1]
	s_waitcnt vmcnt(0) lgkmcnt(0)
	v_mul_f16_e32 v0, s22, v0
.LBB239_98:
	v_pk_min_f16 v4, v24, v18
	v_pk_min_f16 v1, v25, v19
	v_pk_add_f16 v4, v4, v38
	s_nop 0
	v_pk_add_f16 v1, v1, v4
	s_nop 0
	v_add_f16_sdwa v1, v1, v1 dst_sel:DWORD dst_unused:UNUSED_PAD src0_sel:DWORD src1_sel:WORD_1
	v_add_f16_e32 v4, v1, v0
	v_lshl_add_u64 v[0:1], v[6:7], 1, v[2:3]
	global_store_short v[0:1], v4, off
	s_endpgm
	.section	.rodata,"a",@progbits
	.p2align	6, 0x0
	.amdhsa_kernel _ZN12_GLOBAL__N_120geam_min_plus_kernelIDF16_Dv2_DF16_S1_Li8ELi32ELi64ELi128ELi4ELi4ELi64ELi4ELi64ELc84ELc78ELb0ELb0ELb0EDF16_KPKDF16_KPDF16_EEviiiT16_PT17_ilS9_ilS7_S9_ilPT18_ili26rocblas_geam_ex_operation_
		.amdhsa_group_segment_fixed_size 3072
		.amdhsa_private_segment_fixed_size 0
		.amdhsa_kernarg_size 128
		.amdhsa_user_sgpr_count 2
		.amdhsa_user_sgpr_dispatch_ptr 0
		.amdhsa_user_sgpr_queue_ptr 0
		.amdhsa_user_sgpr_kernarg_segment_ptr 1
		.amdhsa_user_sgpr_dispatch_id 0
		.amdhsa_user_sgpr_kernarg_preload_length 0
		.amdhsa_user_sgpr_kernarg_preload_offset 0
		.amdhsa_user_sgpr_private_segment_size 0
		.amdhsa_uses_dynamic_stack 0
		.amdhsa_enable_private_segment 0
		.amdhsa_system_sgpr_workgroup_id_x 1
		.amdhsa_system_sgpr_workgroup_id_y 0
		.amdhsa_system_sgpr_workgroup_id_z 1
		.amdhsa_system_sgpr_workgroup_info 0
		.amdhsa_system_vgpr_workitem_id 1
		.amdhsa_next_free_vgpr 123
		.amdhsa_next_free_sgpr 26
		.amdhsa_accum_offset 124
		.amdhsa_reserve_vcc 1
		.amdhsa_float_round_mode_32 0
		.amdhsa_float_round_mode_16_64 0
		.amdhsa_float_denorm_mode_32 3
		.amdhsa_float_denorm_mode_16_64 3
		.amdhsa_dx10_clamp 1
		.amdhsa_ieee_mode 1
		.amdhsa_fp16_overflow 0
		.amdhsa_tg_split 0
		.amdhsa_exception_fp_ieee_invalid_op 0
		.amdhsa_exception_fp_denorm_src 0
		.amdhsa_exception_fp_ieee_div_zero 0
		.amdhsa_exception_fp_ieee_overflow 0
		.amdhsa_exception_fp_ieee_underflow 0
		.amdhsa_exception_fp_ieee_inexact 0
		.amdhsa_exception_int_div_zero 0
	.end_amdhsa_kernel
	.section	.text._ZN12_GLOBAL__N_120geam_min_plus_kernelIDF16_Dv2_DF16_S1_Li8ELi32ELi64ELi128ELi4ELi4ELi64ELi4ELi64ELc84ELc78ELb0ELb0ELb0EDF16_KPKDF16_KPDF16_EEviiiT16_PT17_ilS9_ilS7_S9_ilPT18_ili26rocblas_geam_ex_operation_,"axG",@progbits,_ZN12_GLOBAL__N_120geam_min_plus_kernelIDF16_Dv2_DF16_S1_Li8ELi32ELi64ELi128ELi4ELi4ELi64ELi4ELi64ELc84ELc78ELb0ELb0ELb0EDF16_KPKDF16_KPDF16_EEviiiT16_PT17_ilS9_ilS7_S9_ilPT18_ili26rocblas_geam_ex_operation_,comdat
.Lfunc_end239:
	.size	_ZN12_GLOBAL__N_120geam_min_plus_kernelIDF16_Dv2_DF16_S1_Li8ELi32ELi64ELi128ELi4ELi4ELi64ELi4ELi64ELc84ELc78ELb0ELb0ELb0EDF16_KPKDF16_KPDF16_EEviiiT16_PT17_ilS9_ilS7_S9_ilPT18_ili26rocblas_geam_ex_operation_, .Lfunc_end239-_ZN12_GLOBAL__N_120geam_min_plus_kernelIDF16_Dv2_DF16_S1_Li8ELi32ELi64ELi128ELi4ELi4ELi64ELi4ELi64ELc84ELc78ELb0ELb0ELb0EDF16_KPKDF16_KPDF16_EEviiiT16_PT17_ilS9_ilS7_S9_ilPT18_ili26rocblas_geam_ex_operation_
                                        ; -- End function
	.section	.AMDGPU.csdata,"",@progbits
; Kernel info:
; codeLenInByte = 8880
; NumSgprs: 32
; NumVgprs: 123
; NumAgprs: 0
; TotalNumVgprs: 123
; ScratchSize: 0
; MemoryBound: 0
; FloatMode: 240
; IeeeMode: 1
; LDSByteSize: 3072 bytes/workgroup (compile time only)
; SGPRBlocks: 3
; VGPRBlocks: 15
; NumSGPRsForWavesPerEU: 32
; NumVGPRsForWavesPerEU: 123
; AccumOffset: 124
; Occupancy: 4
; WaveLimiterHint : 1
; COMPUTE_PGM_RSRC2:SCRATCH_EN: 0
; COMPUTE_PGM_RSRC2:USER_SGPR: 2
; COMPUTE_PGM_RSRC2:TRAP_HANDLER: 0
; COMPUTE_PGM_RSRC2:TGID_X_EN: 1
; COMPUTE_PGM_RSRC2:TGID_Y_EN: 0
; COMPUTE_PGM_RSRC2:TGID_Z_EN: 1
; COMPUTE_PGM_RSRC2:TIDIG_COMP_CNT: 1
; COMPUTE_PGM_RSRC3_GFX90A:ACCUM_OFFSET: 30
; COMPUTE_PGM_RSRC3_GFX90A:TG_SPLIT: 0
	.section	.text._ZN12_GLOBAL__N_120geam_min_plus_kernelIDF16_Dv2_DF16_S1_Li8ELi32ELi64ELi128ELi4ELi4ELi64ELi4ELi64ELc84ELc78ELb0ELb1ELb0EPKDF16_KS3_KPDF16_EEviiiT16_PT17_ilS9_ilS7_S9_ilPT18_ili26rocblas_geam_ex_operation_,"axG",@progbits,_ZN12_GLOBAL__N_120geam_min_plus_kernelIDF16_Dv2_DF16_S1_Li8ELi32ELi64ELi128ELi4ELi4ELi64ELi4ELi64ELc84ELc78ELb0ELb1ELb0EPKDF16_KS3_KPDF16_EEviiiT16_PT17_ilS9_ilS7_S9_ilPT18_ili26rocblas_geam_ex_operation_,comdat
	.globl	_ZN12_GLOBAL__N_120geam_min_plus_kernelIDF16_Dv2_DF16_S1_Li8ELi32ELi64ELi128ELi4ELi4ELi64ELi4ELi64ELc84ELc78ELb0ELb1ELb0EPKDF16_KS3_KPDF16_EEviiiT16_PT17_ilS9_ilS7_S9_ilPT18_ili26rocblas_geam_ex_operation_ ; -- Begin function _ZN12_GLOBAL__N_120geam_min_plus_kernelIDF16_Dv2_DF16_S1_Li8ELi32ELi64ELi128ELi4ELi4ELi64ELi4ELi64ELc84ELc78ELb0ELb1ELb0EPKDF16_KS3_KPDF16_EEviiiT16_PT17_ilS9_ilS7_S9_ilPT18_ili26rocblas_geam_ex_operation_
	.p2align	8
	.type	_ZN12_GLOBAL__N_120geam_min_plus_kernelIDF16_Dv2_DF16_S1_Li8ELi32ELi64ELi128ELi4ELi4ELi64ELi4ELi64ELc84ELc78ELb0ELb1ELb0EPKDF16_KS3_KPDF16_EEviiiT16_PT17_ilS9_ilS7_S9_ilPT18_ili26rocblas_geam_ex_operation_,@function
_ZN12_GLOBAL__N_120geam_min_plus_kernelIDF16_Dv2_DF16_S1_Li8ELi32ELi64ELi128ELi4ELi4ELi64ELi4ELi64ELc84ELc78ELb0ELb1ELb0EPKDF16_KS3_KPDF16_EEviiiT16_PT17_ilS9_ilS7_S9_ilPT18_ili26rocblas_geam_ex_operation_: ; @_ZN12_GLOBAL__N_120geam_min_plus_kernelIDF16_Dv2_DF16_S1_Li8ELi32ELi64ELi128ELi4ELi4ELi64ELi4ELi64ELc84ELc78ELb0ELb1ELb0EPKDF16_KS3_KPDF16_EEviiiT16_PT17_ilS9_ilS7_S9_ilPT18_ili26rocblas_geam_ex_operation_
; %bb.0:
	s_load_dwordx4 s[4:7], s[0:1], 0x10
	s_load_dwordx4 s[8:11], s[0:1], 0x28
	;; [unrolled: 1-line block ×3, first 2 shown]
	s_load_dwordx2 s[20:21], s[0:1], 0x50
	s_mov_b32 s26, s3
	s_mov_b32 s27, 0
	s_lshl_b64 s[16:17], s[26:27], 1
	s_waitcnt lgkmcnt(0)
	s_add_u32 s4, s4, s16
	s_addc_u32 s5, s5, s17
	v_mov_b32_e32 v1, 0
	global_load_ushort v34, v1, s[4:5]
	s_add_u32 s4, s14, s16
	s_addc_u32 s5, s15, s17
	global_load_ushort v44, v1, s[4:5]
	s_mov_b64 s[16:17], 0
	s_mov_b64 s[18:19], 0
	s_waitcnt vmcnt(1)
	v_cmp_eq_f16_e32 vcc, 0, v34
	v_cmp_neq_f16_e64 s[4:5], 0, v34
	s_cbranch_vccnz .LBB240_2
; %bb.1:
	s_lshl_b64 s[14:15], s[26:27], 3
	s_add_u32 s6, s6, s14
	s_addc_u32 s7, s7, s15
	s_load_dwordx2 s[6:7], s[6:7], 0x0
	s_lshl_b64 s[8:9], s[8:9], 1
	s_waitcnt lgkmcnt(0)
	s_add_u32 s18, s6, s8
	s_addc_u32 s19, s7, s9
.LBB240_2:
	s_andn2_b64 vcc, exec, s[4:5]
	s_cbranch_vccnz .LBB240_4
; %bb.3:
	s_lshl_b64 s[6:7], s[26:27], 3
	s_add_u32 s6, s10, s6
	s_addc_u32 s7, s11, s7
	s_load_dwordx2 s[6:7], s[6:7], 0x0
	s_lshl_b64 s[8:9], s[12:13], 1
	s_waitcnt lgkmcnt(0)
	s_add_u32 s16, s6, s8
	s_addc_u32 s17, s7, s9
.LBB240_4:
	s_load_dwordx4 s[12:15], s[0:1], 0x60
	s_waitcnt vmcnt(0)
	v_cmp_eq_f16_e32 vcc, 0, v44
	v_cmp_neq_f16_e64 s[8:9], 0, v44
	s_cbranch_vccnz .LBB240_6
; %bb.5:
	s_lshl_b64 s[6:7], s[26:27], 3
	s_add_u32 s6, s20, s6
	s_addc_u32 s7, s21, s7
	s_load_dwordx2 s[6:7], s[6:7], 0x0
	s_waitcnt lgkmcnt(0)
	s_lshl_b64 s[10:11], s[12:13], 1
	s_add_u32 s24, s6, s10
	s_addc_u32 s25, s7, s11
	s_branch .LBB240_7
.LBB240_6:
	s_mov_b64 s[24:25], 0
.LBB240_7:
	s_load_dwordx4 s[20:23], s[0:1], 0x0
	s_load_dword s3, s[0:1], 0x20
	s_lshl_b64 s[6:7], s[26:27], 3
	s_waitcnt lgkmcnt(0)
	s_add_u32 s6, s14, s6
	s_addc_u32 s7, s15, s7
	s_add_i32 s10, s20, -1
	s_ashr_i32 s11, s10, 31
	s_lshr_b32 s11, s11, 26
	s_add_i32 s10, s10, s11
	s_ashr_i32 s10, s10, 6
	s_add_i32 s11, s10, 1
	v_cvt_f32_u32_e32 v1, s11
	s_load_dwordx2 s[12:13], s[6:7], 0x0
	s_not_b32 s6, s10
	v_and_b32_e32 v32, 0x3ff, v0
	v_rcp_iflag_f32_e32 v1, v1
	v_bfe_u32 v33, v0, 10, 10
	v_lshl_add_u32 v0, v33, 3, v32
	v_lshrrev_b32_e32 v4, 2, v0
	v_mul_f32_e32 v1, 0x4f7ffffe, v1
	v_cvt_u32_f32_e32 v1, v1
	v_and_b32_e32 v35, 3, v32
	v_mov_b32_e32 v9, 0
	v_lshlrev_b32_e32 v0, 1, v35
	v_readfirstlane_b32 s7, v1
	s_mul_i32 s6, s6, s7
	s_mul_hi_u32 s6, s7, s6
	s_add_i32 s7, s7, s6
	s_mul_hi_u32 s6, s2, s7
	s_mul_i32 s7, s6, s11
	s_sub_i32 s7, s2, s7
	s_add_i32 s10, s6, 1
	s_sub_i32 s14, s7, s11
	s_cmp_ge_u32 s7, s11
	s_cselect_b32 s6, s10, s6
	s_cselect_b32 s7, s14, s7
	s_add_i32 s10, s6, 1
	s_cmp_ge_u32 s7, s11
	s_cselect_b32 s10, s10, s6
	s_mul_i32 s30, s10, s11
	s_sub_i32 s6, s2, s30
	s_lshl_b32 s28, s6, 6
	v_add_u32_e32 v7, s28, v4
	v_cmp_gt_i32_e64 s[6:7], s22, v35
	v_cmp_gt_i32_e32 vcc, s20, v7
	s_and_b64 s[6:7], s[6:7], vcc
	s_and_b64 s[14:15], s[4:5], s[6:7]
	v_mov_b32_e32 v10, 0
	s_and_saveexec_b64 s[6:7], s[14:15]
	s_cbranch_execz .LBB240_9
; %bb.8:
	v_mad_i64_i32 v[2:3], s[14:15], v7, s3, 0
	v_lshl_add_u64 v[2:3], v[2:3], 1, s[18:19]
	v_mov_b32_e32 v1, 0
	v_lshl_add_u64 v[2:3], v[2:3], 0, v[0:1]
	flat_load_ushort v1, v[2:3]
	s_waitcnt vmcnt(0) lgkmcnt(0)
	v_mul_f16_e32 v10, v34, v1
.LBB240_9:
	s_or_b64 exec, exec, s[6:7]
	s_lshl_b32 s29, s10, 7
	s_load_dword s31, s[0:1], 0x38
	v_add_u32_e32 v5, s29, v4
	s_add_i32 s23, s22, -1
	v_cmp_le_i32_e64 s[10:11], s21, v5
	s_xor_b64 s[26:27], s[4:5], -1
	v_cmp_le_i32_e64 s[6:7], s22, v35
	v_min_i32_e32 v2, s23, v35
	s_or_b64 s[14:15], s[10:11], s[26:27]
	v_ashrrev_i32_e32 v3, 31, v2
	s_or_b64 s[10:11], s[6:7], s[14:15]
	v_lshl_add_u64 v[2:3], v[2:3], 1, s[16:17]
	s_xor_b64 s[34:35], s[10:11], -1
	s_and_saveexec_b64 s[10:11], s[34:35]
	s_cbranch_execz .LBB240_11
; %bb.10:
	s_waitcnt lgkmcnt(0)
	v_mad_i64_i32 v[8:9], s[34:35], v5, s31, 0
	v_lshl_add_u64 v[8:9], v[8:9], 1, v[2:3]
	flat_load_ushort v1, v[8:9]
	s_waitcnt vmcnt(0) lgkmcnt(0)
	v_mul_f16_e32 v9, v34, v1
.LBB240_11:
	s_or_b64 exec, exec, s[10:11]
	v_add_u32_e32 v6, 64, v5
	v_cmp_le_i32_e64 s[10:11], s21, v6
	s_or_b64 s[10:11], s[10:11], s[26:27]
	s_or_b64 s[6:7], s[6:7], s[10:11]
	s_xor_b64 s[26:27], s[6:7], -1
	v_mov_b32_e32 v1, 0
	v_mov_b32_e32 v11, 0
	s_and_saveexec_b64 s[6:7], s[26:27]
	s_cbranch_execz .LBB240_13
; %bb.12:
	s_waitcnt lgkmcnt(0)
	v_mad_i64_i32 v[12:13], s[26:27], v6, s31, 0
	v_lshl_add_u64 v[2:3], v[12:13], 1, v[2:3]
	flat_load_ushort v2, v[2:3]
	s_waitcnt vmcnt(0) lgkmcnt(0)
	v_mul_f16_e32 v11, v34, v2
.LBB240_13:
	s_or_b64 exec, exec, s[6:7]
	v_or_b32_e32 v2, 4, v35
	v_cmp_gt_i32_e64 s[6:7], s22, v2
	s_and_b64 s[6:7], s[6:7], vcc
	s_and_b64 s[26:27], s[4:5], s[6:7]
	s_and_saveexec_b64 s[6:7], s[26:27]
	s_cbranch_execz .LBB240_15
; %bb.14:
	v_mad_i64_i32 v[12:13], s[26:27], v7, s3, 0
	v_lshl_add_u64 v[12:13], v[12:13], 1, s[18:19]
	v_mov_b32_e32 v1, 0
	v_lshl_add_u64 v[12:13], v[12:13], 0, v[0:1]
	flat_load_ushort v1, v[12:13] offset:8
	s_waitcnt vmcnt(0) lgkmcnt(0)
	v_mul_f16_e32 v1, v34, v1
.LBB240_15:
	s_or_b64 exec, exec, s[6:7]
	v_cmp_le_i32_e64 s[6:7], s22, v2
	v_min_i32_e32 v2, s23, v2
	v_ashrrev_i32_e32 v3, 31, v2
	s_or_b64 s[26:27], s[6:7], s[14:15]
	v_lshl_add_u64 v[2:3], v[2:3], 1, s[16:17]
	s_xor_b64 s[34:35], s[26:27], -1
	v_mov_b32_e32 v7, 0
	v_mov_b32_e32 v8, 0
	s_and_saveexec_b64 s[26:27], s[34:35]
	s_cbranch_execz .LBB240_17
; %bb.16:
	s_waitcnt lgkmcnt(0)
	v_mad_i64_i32 v[12:13], s[34:35], v5, s31, 0
	v_lshl_add_u64 v[12:13], v[12:13], 1, v[2:3]
	flat_load_ushort v8, v[12:13]
	s_waitcnt vmcnt(0) lgkmcnt(0)
	v_mul_f16_e32 v8, v34, v8
.LBB240_17:
	s_or_b64 exec, exec, s[26:27]
	s_or_b64 s[6:7], s[6:7], s[10:11]
	s_xor_b64 s[26:27], s[6:7], -1
	s_and_saveexec_b64 s[6:7], s[26:27]
	s_cbranch_execz .LBB240_19
; %bb.18:
	s_waitcnt lgkmcnt(0)
	v_mad_i64_i32 v[12:13], s[26:27], v6, s31, 0
	v_lshl_add_u64 v[2:3], v[12:13], 1, v[2:3]
	flat_load_ushort v2, v[2:3]
	s_waitcnt vmcnt(0) lgkmcnt(0)
	v_mul_f16_e32 v7, v34, v2
.LBB240_19:
	s_or_b64 exec, exec, s[6:7]
	v_lshlrev_b32_e32 v37, 3, v32
	v_lshl_or_b32 v38, v4, 3, v0
	v_lshlrev_b32_e32 v36, 3, v33
	v_add_u32_e32 v39, 0x800, v37
	ds_write_b16 v38, v10 offset:2048
	ds_write_b16 v38, v9
	ds_write_b16 v38, v11 offset:512
	s_waitcnt lgkmcnt(0)
	s_barrier
	ds_read2_b64 v[10:13], v36 offset1:32
	ds_read2_b64 v[14:17], v39 offset0:48 offset1:56
	ds_read2_b64 v[18:21], v36 offset0:64 offset1:96
	ds_read2_b64 v[22:25], v39 offset1:8
	ds_read2_b64 v[26:29], v39 offset0:16 offset1:24
	ds_read2_b64 v[40:43], v39 offset0:32 offset1:40
	s_waitcnt lgkmcnt(5)
	v_pk_max_f16 v2, v10, v10
	s_waitcnt lgkmcnt(4)
	v_pk_max_f16 v3, v16, v16
	v_pk_max_f16 v10, v12, v12
	v_pk_min_f16 v9, v3, v2
	s_waitcnt lgkmcnt(3)
	v_pk_max_f16 v16, v18, v18
	s_waitcnt lgkmcnt(2)
	v_pk_max_f16 v18, v22, v22
	v_pk_max_f16 v20, v20, v20
	v_pk_max_f16 v24, v24, v24
	s_waitcnt lgkmcnt(1)
	v_pk_max_f16 v26, v26, v26
	v_pk_max_f16 v28, v28, v28
	;; [unrolled: 4-line block ×3, first 2 shown]
	v_pk_max_f16 v14, v14, v14
	v_pk_max_f16 v17, v17, v17
	v_pk_min_f16 v12, v3, v10
	v_pk_min_f16 v22, v18, v2
	;; [unrolled: 1-line block ×17, first 2 shown]
	v_pk_max_f16 v13, v13, v13
	v_pk_min_f16 v56, v40, v2
	v_pk_min_f16 v57, v40, v10
	;; [unrolled: 1-line block ×14, first 2 shown]
	v_pk_add_f16 v9, v9, 0
	v_pk_min_f16 v20, v17, v11
	v_pk_max_f16 v19, v19, v19
	v_pk_add_f16 v69, v9, v20
	v_pk_add_f16 v9, v12, 0
	v_pk_min_f16 v12, v17, v13
	v_pk_max_f16 v23, v23, v23
	v_pk_add_f16 v61, v9, v12
	;; [unrolled: 4-line block ×5, first 2 shown]
	v_pk_add_f16 v9, v31, 0
	v_pk_min_f16 v12, v23, v19
	v_pk_add_f16 v20, v50, 0
	v_pk_add_f16 v60, v9, v12
	v_pk_add_f16 v9, v18, 0
	v_pk_min_f16 v12, v23, v21
	v_pk_add_f16 v23, v51, 0
	v_pk_add_f16 v52, v9, v12
	;; [unrolled: 4-line block ×3, first 2 shown]
	v_pk_add_f16 v9, v46, 0
	v_pk_min_f16 v12, v25, v13
	v_pk_max_f16 v29, v29, v29
	v_pk_add_f16 v67, v9, v12
	v_pk_add_f16 v9, v47, 0
	v_pk_min_f16 v12, v25, v19
	v_pk_min_f16 v25, v25, v21
	v_pk_add_f16 v59, v9, v12
	v_pk_add_f16 v9, v24, 0
	;; [unrolled: 1-line block ×4, first 2 shown]
	v_pk_min_f16 v9, v27, v11
	v_pk_add_f16 v22, v26, 0
	v_pk_add_f16 v75, v12, v9
	v_pk_min_f16 v9, v27, v13
	v_pk_add_f16 v45, v58, 0
	v_pk_add_f16 v66, v18, v9
	;; [unrolled: 3-line block ×8, first 2 shown]
	v_pk_max_f16 v9, v41, v41
	v_pk_add_f16 v54, v64, 0
	v_pk_min_f16 v12, v9, v11
	v_pk_add_f16 v46, v62, 0
	v_pk_add_f16 v73, v30, v12
	v_pk_min_f16 v12, v9, v13
	v_pk_add_f16 v47, v63, 0
	v_pk_add_f16 v64, v31, v12
	v_pk_min_f16 v12, v9, v19
	v_pk_min_f16 v9, v9, v21
	v_pk_add_f16 v56, v45, v12
	v_pk_add_f16 v48, v40, v9
	v_pk_max_f16 v9, v43, v43
	v_pk_add_f16 v42, v42, 0
	v_pk_min_f16 v12, v9, v11
	v_pk_add_f16 v2, v2, 0
	v_pk_add_f16 v72, v46, v12
	v_pk_min_f16 v12, v9, v13
	v_pk_add_f16 v10, v10, 0
	v_pk_add_f16 v63, v47, v12
	v_pk_min_f16 v12, v9, v19
	v_pk_min_f16 v9, v9, v21
	v_pk_add_f16 v16, v16, 0
	v_pk_add_f16 v47, v42, v9
	v_pk_max_f16 v9, v15, v15
	v_pk_add_f16 v14, v14, 0
	v_pk_min_f16 v11, v9, v11
	v_pk_add_f16 v55, v54, v12
	v_pk_add_f16 v71, v2, v11
	v_pk_min_f16 v2, v9, v13
	v_pk_add_f16 v3, v3, 0
	v_pk_add_f16 v62, v10, v2
	v_pk_min_f16 v2, v9, v19
	s_mov_b32 s26, 0
	v_pk_add_f16 v54, v16, v2
	v_pk_min_f16 v2, v9, v21
	s_cmp_lt_i32 s22, 9
	v_pk_add_f16 v46, v14, v2
	v_pk_min_f16 v2, v17, v21
	ds_write_b16 v38, v1 offset:2560
	ds_write_b16 v38, v8 offset:1024
	ds_write_b16 v38, v7 offset:1536
	v_pk_add_f16 v45, v3, v2
	s_waitcnt lgkmcnt(0)
	s_barrier
	s_cbranch_scc1 .LBB240_34
; %bb.20:
	v_mov_b32_e32 v1, 0xa00
	v_lshl_add_u32 v43, v32, 3, v1
	v_mov_b32_e32 v1, 0x400
	v_lshl_add_u32 v70, v33, 3, v1
	v_lshl_add_u32 v1, s2, 6, v4
	s_lshl_b32 s2, s30, 6
	v_subrev_u32_e32 v1, s2, v1
	v_mad_i64_i32 v[2:3], s[2:3], s3, v1, 0
	v_mov_b32_e32 v1, 0
	v_lshl_add_u64 v[0:1], v[2:3], 1, v[0:1]
	v_lshl_add_u64 v[0:1], v[0:1], 0, s[18:19]
	v_add_u32_e32 v40, 0x800, v38
	v_add_u32_e32 v41, 0xa00, v38
	;; [unrolled: 1-line block ×3, first 2 shown]
	s_add_i32 s27, s22, -8
	v_mad_i64_i32 v[24:25], s[6:7], v5, s31, 0
	v_mad_i64_i32 v[26:27], s[6:7], v6, s31, 0
	v_lshl_add_u64 v[28:29], v[0:1], 0, 24
	s_branch .LBB240_22
.LBB240_21:                             ;   in Loop: Header=BB240_22 Depth=1
	s_or_b64 exec, exec, s[2:3]
	v_pk_add_f16 v20, v61, v20
	v_pk_add_f16 v12, v53, v12
	;; [unrolled: 1-line block ×19, first 2 shown]
	ds_read2_b64 v[6:9], v39 offset0:48 offset1:56
	ds_read2_b64 v[10:13], v36 offset1:32
	v_pk_add_f16 v2, v69, v2
	v_pk_add_f16 v30, v60, v80
	;; [unrolled: 1-line block ×4, first 2 shown]
	s_waitcnt lgkmcnt(1)
	v_pk_max_f16 v8, v8, v8
	s_waitcnt lgkmcnt(0)
	v_pk_max_f16 v10, v10, v10
	v_pk_add_f16 v16, v77, v16
	v_pk_add_f16 v60, v64, v90
	v_pk_add_f16 v46, v46, v99
	v_pk_add_f16 v64, v2, v3
	v_pk_add_f16 v22, v22, v23
	v_pk_add_f16 v23, v30, v101
	v_pk_add_f16 v30, v14, v15
	v_pk_add_f16 v67, v4, v111
	v_pk_add_f16 v45, v45, v5
	ds_read2_b64 v[2:5], v36 offset0:64 offset1:96
	v_pk_min_f16 v14, v8, v10
	v_pk_add_f16 v59, v65, v87
	v_pk_add_f16 v65, v16, v17
	;; [unrolled: 1-line block ×4, first 2 shown]
	ds_read2_b64 v[14:17], v39 offset1:8
	v_pk_max_f16 v12, v12, v12
	s_waitcnt lgkmcnt(1)
	v_pk_max_f16 v2, v2, v2
	v_pk_min_f16 v64, v8, v12
	v_pk_add_f16 v61, v63, v93
	v_pk_add_f16 v64, v20, v64
	v_pk_min_f16 v20, v8, v2
	s_waitcnt lgkmcnt(0)
	v_pk_max_f16 v14, v14, v14
	v_pk_add_f16 v63, v71, v96
	v_pk_add_f16 v71, v21, v20
	v_pk_min_f16 v20, v14, v10
	v_pk_max_f16 v4, v4, v4
	v_pk_add_f16 v65, v65, v20
	v_pk_min_f16 v20, v14, v12
	v_pk_max_f16 v16, v16, v16
	v_pk_add_f16 v22, v22, v20
	v_pk_min_f16 v20, v14, v2
	v_pk_min_f16 v14, v14, v4
	v_pk_add_f16 v23, v23, v20
	v_pk_min_f16 v20, v16, v10
	v_pk_add_f16 v14, v30, v14
	v_pk_add_f16 v30, v18, v20
	v_pk_min_f16 v18, v16, v12
	v_pk_add_f16 v51, v51, v83
	v_pk_add_f16 v72, v19, v18
	ds_read2_b64 v[18:21], v39 offset0:16 offset1:24
	v_pk_add_f16 v51, v51, v104
	v_pk_min_f16 v69, v16, v2
	v_pk_min_f16 v16, v16, v4
	v_pk_add_f16 v50, v50, v86
	s_waitcnt lgkmcnt(0)
	v_pk_max_f16 v18, v18, v18
	v_pk_add_f16 v16, v51, v16
	v_pk_min_f16 v51, v18, v10
	v_pk_add_f16 v53, v53, v105
	v_pk_add_f16 v73, v52, v51
	v_pk_min_f16 v51, v18, v12
	ds_read2_b64 v[80:83], v39 offset0:32 offset1:40
	v_pk_add_f16 v50, v50, v107
	v_pk_add_f16 v74, v53, v51
	v_pk_min_f16 v51, v18, v2
	v_pk_min_f16 v18, v18, v4
	v_pk_max_f16 v20, v20, v20
	v_pk_add_f16 v18, v50, v18
	v_pk_min_f16 v50, v20, v10
	v_pk_add_f16 v49, v49, v89
	v_pk_add_f16 v59, v59, v108
	;; [unrolled: 1-line block ×3, first 2 shown]
	v_pk_min_f16 v50, v20, v12
	v_pk_add_f16 v58, v58, v85
	v_pk_add_f16 v57, v57, v88
	;; [unrolled: 1-line block ×4, first 2 shown]
	v_pk_min_f16 v50, v20, v2
	v_pk_min_f16 v20, v20, v4
	v_pk_add_f16 v57, v57, v109
	v_pk_add_f16 v20, v49, v20
	s_waitcnt lgkmcnt(0)
	v_pk_max_f16 v49, v80, v80
	v_pk_add_f16 v57, v57, v50
	v_pk_min_f16 v50, v49, v10
	v_pk_add_f16 v48, v48, v92
	v_pk_add_f16 v60, v60, v112
	;; [unrolled: 1-line block ×3, first 2 shown]
	v_pk_min_f16 v50, v49, v12
	v_pk_add_f16 v56, v56, v91
	v_pk_add_f16 v48, v48, v114
	;; [unrolled: 1-line block ×3, first 2 shown]
	v_pk_min_f16 v50, v49, v2
	v_pk_min_f16 v49, v49, v4
	v_pk_add_f16 v56, v56, v113
	v_pk_add_f16 v48, v48, v49
	v_pk_max_f16 v49, v82, v82
	v_pk_add_f16 v56, v56, v50
	v_pk_min_f16 v50, v49, v10
	v_pk_add_f16 v61, v61, v115
	v_pk_add_f16 v82, v68, v50
	v_pk_min_f16 v50, v49, v12
	v_pk_max_f16 v6, v6, v6
	v_pk_add_f16 v87, v61, v50
	v_pk_min_f16 v50, v49, v2
	v_pk_min_f16 v10, v6, v10
	;; [unrolled: 1-line block ×6, first 2 shown]
	v_pk_add_f16 v1, v1, v6
	v_pk_min_f16 v4, v8, v4
	v_pk_max_f16 v6, v9, v9
	v_pk_max_f16 v8, v11, v11
	v_pk_add_f16 v31, v31, v69
	v_pk_min_f16 v9, v6, v8
	v_pk_max_f16 v3, v3, v3
	v_pk_add_f16 v69, v46, v9
	v_pk_max_f16 v9, v13, v13
	v_pk_max_f16 v5, v5, v5
	v_pk_min_f16 v11, v6, v9
	v_pk_add_f16 v58, v58, v106
	v_pk_add_f16 v61, v64, v11
	v_pk_min_f16 v11, v6, v3
	v_pk_add_f16 v58, v58, v51
	v_pk_add_f16 v53, v71, v11
	v_pk_max_f16 v11, v15, v15
	v_pk_add_f16 v55, v55, v94
	v_pk_min_f16 v13, v11, v8
	v_pk_add_f16 v55, v55, v116
	v_pk_add_f16 v77, v65, v13
	v_pk_min_f16 v13, v11, v9
	v_pk_add_f16 v55, v55, v50
	v_pk_add_f16 v68, v22, v13
	v_pk_min_f16 v13, v11, v3
	v_pk_min_f16 v11, v11, v5
	v_pk_add_f16 v60, v23, v13
	v_pk_add_f16 v52, v14, v11
	v_pk_max_f16 v11, v17, v17
	v_pk_add_f16 v47, v47, v95
	v_pk_min_f16 v13, v11, v8
	v_pk_add_f16 v47, v47, v117
	v_pk_add_f16 v76, v30, v13
	v_pk_min_f16 v13, v11, v9
	v_pk_add_f16 v47, v47, v49
	v_pk_add_f16 v67, v72, v13
	v_pk_min_f16 v13, v11, v3
	;; [unrolled: 12-line block ×3, first 2 shown]
	v_pk_min_f16 v11, v11, v5
	v_pk_add_f16 v58, v58, v13
	v_pk_add_f16 v50, v18, v11
	v_pk_max_f16 v11, v21, v21
	v_pk_max_f16 v7, v7, v7
	v_pk_min_f16 v13, v11, v8
	v_pk_add_f16 v62, v62, v97
	v_pk_add_f16 v74, v84, v13
	v_pk_min_f16 v13, v11, v9
	v_pk_add_f16 v10, v63, v10
	v_pk_add_f16 v65, v85, v13
	v_pk_min_f16 v13, v11, v3
	v_pk_min_f16 v11, v11, v5
	v_pk_add_f16 v57, v57, v13
	v_pk_add_f16 v49, v20, v11
	v_pk_max_f16 v11, v81, v81
	v_pk_add_f16 v2, v54, v2
	v_pk_min_f16 v13, v11, v8
	v_pk_add_f16 v62, v62, v119
	v_pk_add_f16 v73, v80, v13
	v_pk_min_f16 v13, v11, v9
	v_pk_add_f16 v12, v62, v12
	v_pk_add_f16 v64, v86, v13
	v_pk_min_f16 v13, v11, v3
	v_pk_min_f16 v11, v11, v5
	v_pk_add_f16 v56, v56, v13
	v_pk_add_f16 v48, v48, v11
	v_pk_max_f16 v11, v83, v83
	v_pk_add_f16 v4, v45, v4
	v_pk_min_f16 v13, v11, v8
	v_pk_min_f16 v8, v7, v8
	v_pk_add_f16 v72, v82, v13
	v_pk_min_f16 v13, v11, v9
	v_pk_add_f16 v71, v10, v8
	v_pk_add_f16 v63, v87, v13
	v_pk_min_f16 v13, v11, v3
	v_pk_min_f16 v3, v7, v3
	;; [unrolled: 1-line block ×3, first 2 shown]
	v_pk_add_f16 v54, v2, v3
	v_pk_min_f16 v2, v7, v5
	v_pk_min_f16 v8, v7, v9
	v_pk_add_f16 v46, v1, v2
	v_pk_min_f16 v1, v6, v5
	s_add_i32 s26, s26, 8
	v_pk_add_f16 v55, v55, v13
	v_pk_add_f16 v47, v47, v11
	;; [unrolled: 1-line block ×4, first 2 shown]
	s_cmp_ge_i32 s26, s27
	v_lshl_add_u64 v[28:29], v[28:29], 0, 16
	ds_write_b16 v41, v79
	ds_write_b16 v42, v78
	ds_write_b16 v42, v0 offset:512
	s_waitcnt lgkmcnt(0)
	s_barrier
	s_cbranch_scc1 .LBB240_34
.LBB240_22:                             ; =>This Inner Loop Header: Depth=1
	v_add_u32_e32 v30, s26, v35
	v_add_u32_e32 v0, 8, v30
	v_cmp_gt_i32_e64 s[2:3], s22, v0
	s_and_b64 s[2:3], s[2:3], vcc
	s_and_b64 s[2:3], s[4:5], s[2:3]
	v_mov_b32_e32 v31, 0
	s_and_saveexec_b64 s[6:7], s[2:3]
	s_cbranch_execz .LBB240_24
; %bb.23:                               ;   in Loop: Header=BB240_22 Depth=1
	v_add_co_u32_e64 v2, s[2:3], -8, v28
	s_nop 1
	v_addc_co_u32_e64 v3, s[2:3], -1, v29, s[2:3]
	flat_load_ushort v1, v[2:3]
	s_waitcnt vmcnt(0) lgkmcnt(0)
	v_mul_f16_e32 v31, v34, v1
.LBB240_24:                             ;   in Loop: Header=BB240_22 Depth=1
	s_or_b64 exec, exec, s[6:7]
	v_cmp_le_i32_e64 s[6:7], s22, v0
	v_min_i32_e32 v0, s23, v0
	v_ashrrev_i32_e32 v1, 31, v0
	s_or_b64 s[2:3], s[14:15], s[6:7]
	v_lshl_add_u64 v[0:1], v[0:1], 1, s[16:17]
	s_xor_b64 s[18:19], s[2:3], -1
	v_mov_b32_e32 v78, 0
	v_mov_b32_e32 v79, 0
	s_and_saveexec_b64 s[2:3], s[18:19]
	s_cbranch_execz .LBB240_26
; %bb.25:                               ;   in Loop: Header=BB240_22 Depth=1
	v_lshl_add_u64 v[2:3], v[24:25], 1, v[0:1]
	flat_load_ushort v2, v[2:3]
	s_waitcnt vmcnt(0) lgkmcnt(0)
	v_mul_f16_e32 v79, v34, v2
.LBB240_26:                             ;   in Loop: Header=BB240_22 Depth=1
	s_or_b64 exec, exec, s[2:3]
	s_or_b64 s[2:3], s[10:11], s[6:7]
	s_xor_b64 s[6:7], s[2:3], -1
	s_and_saveexec_b64 s[2:3], s[6:7]
	s_cbranch_execz .LBB240_28
; %bb.27:                               ;   in Loop: Header=BB240_22 Depth=1
	v_lshl_add_u64 v[0:1], v[26:27], 1, v[0:1]
	flat_load_ushort v0, v[0:1]
	s_waitcnt vmcnt(0) lgkmcnt(0)
	v_mul_f16_e32 v78, v34, v0
.LBB240_28:                             ;   in Loop: Header=BB240_22 Depth=1
	s_or_b64 exec, exec, s[2:3]
	ds_read2_b64 v[0:3], v43 offset0:48 offset1:56
	ds_read2_b64 v[12:15], v70 offset0:64 offset1:96
	ds_read2_b64 v[20:23], v70 offset1:32
	ds_read2_b64 v[16:19], v43 offset1:8
	ds_read2_b64 v[8:11], v43 offset0:16 offset1:24
	ds_read2_b64 v[4:7], v43 offset0:32 offset1:40
	v_add_u32_e32 v30, 12, v30
	v_cmp_gt_i32_e64 s[2:3], s22, v30
	s_and_b64 s[2:3], s[2:3], vcc
	ds_write_b16 v40, v31
	ds_write_b16 v38, v79
	ds_write_b16 v38, v78 offset:512
	s_and_b64 s[6:7], s[4:5], s[2:3]
	v_mov_b32_e32 v78, 0
	v_mov_b32_e32 v79, 0
	s_waitcnt lgkmcnt(0)
	s_barrier
	s_and_saveexec_b64 s[2:3], s[6:7]
	s_cbranch_execz .LBB240_30
; %bb.29:                               ;   in Loop: Header=BB240_22 Depth=1
	flat_load_ushort v31, v[28:29]
	s_waitcnt vmcnt(0) lgkmcnt(0)
	v_mul_f16_e32 v79, v34, v31
.LBB240_30:                             ;   in Loop: Header=BB240_22 Depth=1
	s_or_b64 exec, exec, s[2:3]
	v_cmp_le_i32_e64 s[6:7], s22, v30
	v_min_i32_e32 v30, s23, v30
	v_ashrrev_i32_e32 v31, 31, v30
	s_or_b64 s[2:3], s[14:15], s[6:7]
	v_lshl_add_u64 v[30:31], v[30:31], 1, s[16:17]
	s_xor_b64 s[18:19], s[2:3], -1
	s_and_saveexec_b64 s[2:3], s[18:19]
	s_cbranch_execz .LBB240_32
; %bb.31:                               ;   in Loop: Header=BB240_22 Depth=1
	v_lshl_add_u64 v[80:81], v[24:25], 1, v[30:31]
	flat_load_ushort v78, v[80:81]
	s_waitcnt vmcnt(0) lgkmcnt(0)
	v_mul_f16_e32 v78, v34, v78
.LBB240_32:                             ;   in Loop: Header=BB240_22 Depth=1
	s_or_b64 exec, exec, s[2:3]
	v_pk_max_f16 v100, v2, v2
	v_pk_max_f16 v96, v20, v20
	;; [unrolled: 1-line block ×17, first 2 shown]
	v_pk_min_f16 v2, v100, v96
	v_pk_min_f16 v20, v100, v97
	;; [unrolled: 1-line block ×26, first 2 shown]
	v_pk_max_f16 v0, v3, v3
	v_pk_max_f16 v102, v17, v17
	;; [unrolled: 1-line block ×5, first 2 shown]
	v_pk_min_f16 v111, v5, v118
	v_pk_min_f16 v112, v5, v119
	;; [unrolled: 1-line block ×4, first 2 shown]
	v_pk_max_f16 v5, v7, v7
	v_pk_max_f16 v1, v1, v1
	s_or_b64 s[2:3], s[10:11], s[6:7]
	v_pk_min_f16 v83, v83, v101
	v_pk_min_f16 v86, v86, v101
	;; [unrolled: 1-line block ×34, first 2 shown]
	s_xor_b64 s[6:7], s[2:3], -1
	v_mov_b32_e32 v0, 0
	s_and_saveexec_b64 s[2:3], s[6:7]
	s_cbranch_execz .LBB240_21
; %bb.33:                               ;   in Loop: Header=BB240_22 Depth=1
	v_lshl_add_u64 v[30:31], v[26:27], 1, v[30:31]
	flat_load_ushort v0, v[30:31]
	s_waitcnt vmcnt(0) lgkmcnt(0)
	v_mul_f16_e32 v0, v34, v0
	s_branch .LBB240_21
.LBB240_34:
	s_load_dwordx2 s[2:3], s[0:1], 0x78
	s_load_dword s31, s[0:1], 0x58
	s_load_dword s30, s[0:1], 0x70
	v_add_u32_e32 v8, 0x800, v37
	ds_read2_b64 v[0:3], v8 offset0:112 offset1:120
	ds_read2_b64 v[4:7], v36 offset0:192 offset1:224
	;; [unrolled: 1-line block ×6, first 2 shown]
	s_waitcnt lgkmcnt(0)
	s_lshl_b64 s[0:1], s[2:3], 1
	s_add_u32 s22, s12, s0
	v_add_u32_e32 v70, s29, v33
	s_addc_u32 s23, s13, s1
	v_mad_i64_i32 v[26:27], s[0:1], v70, s31, 0
	v_add_u32_e32 v24, s28, v32
	v_lshl_add_u64 v[42:43], v[26:27], 1, s[24:25]
	v_mad_i64_i32 v[26:27], s[0:1], v70, s30, 0
	v_cmp_gt_i32_e64 s[18:19], s21, v70
	v_lshl_add_u64 v[40:41], v[26:27], 1, s[22:23]
	v_cmp_gt_i32_e64 s[4:5], s20, v24
	v_cndmask_b32_e64 v26, 0, 1, s[8:9]
	s_and_b64 s[6:7], s[4:5], s[18:19]
	v_ashrrev_i32_e32 v25, 31, v24
	v_cmp_ne_u32_e64 s[0:1], 1, v26
	s_and_saveexec_b64 s[2:3], s[6:7]
	s_cbranch_execz .LBB240_39
; %bb.35:
	s_and_b64 vcc, exec, s[0:1]
	s_cbranch_vccnz .LBB240_37
; %bb.36:
	v_lshl_add_u64 v[26:27], v[24:25], 1, v[42:43]
	flat_load_ushort v26, v[26:27]
	s_waitcnt vmcnt(0) lgkmcnt(0)
	v_mul_f16_e32 v26, v44, v26
	s_branch .LBB240_38
.LBB240_37:
	v_mov_b32_e32 v26, 0
.LBB240_38:
	v_pk_max_f16 v27, v20, v20
	v_pk_max_f16 v28, v16, v16
	v_pk_max_f16 v29, v17, v17
	v_pk_min_f16 v27, v28, v27
	v_pk_max_f16 v28, v21, v21
	v_pk_add_f16 v27, v77, v27
	v_pk_min_f16 v28, v29, v28
	s_nop 0
	v_pk_add_f16 v27, v27, v28
	s_nop 0
	v_add_f16_sdwa v27, v27, v27 dst_sel:DWORD dst_unused:UNUSED_PAD src0_sel:DWORD src1_sel:WORD_1
	v_add_f16_e32 v28, v27, v26
	v_lshl_add_u64 v[26:27], v[24:25], 1, v[40:41]
	global_store_short v[26:27], v28, off
.LBB240_39:
	s_or_b64 exec, exec, s[2:3]
	v_add_u32_e32 v26, 8, v24
	v_cmp_gt_i32_e64 s[2:3], s20, v26
	s_and_b64 s[8:9], s[2:3], s[18:19]
	v_ashrrev_i32_e32 v27, 31, v26
	s_and_saveexec_b64 s[6:7], s[8:9]
	s_cbranch_execz .LBB240_44
; %bb.40:
	s_and_b64 vcc, exec, s[0:1]
	s_cbranch_vccnz .LBB240_42
; %bb.41:
	v_lshl_add_u64 v[28:29], v[26:27], 1, v[42:43]
	flat_load_ushort v28, v[28:29]
	s_waitcnt vmcnt(0) lgkmcnt(0)
	v_mul_f16_e32 v28, v44, v28
	s_branch .LBB240_43
.LBB240_42:
	v_mov_b32_e32 v28, 0
.LBB240_43:
	v_pk_max_f16 v29, v20, v20
	v_pk_max_f16 v30, v18, v18
	v_pk_max_f16 v31, v19, v19
	v_pk_min_f16 v29, v30, v29
	v_pk_max_f16 v30, v21, v21
	v_pk_add_f16 v29, v76, v29
	v_pk_min_f16 v30, v31, v30
	s_nop 0
	v_pk_add_f16 v29, v29, v30
	s_nop 0
	v_add_f16_sdwa v29, v29, v29 dst_sel:DWORD dst_unused:UNUSED_PAD src0_sel:DWORD src1_sel:WORD_1
	v_add_f16_e32 v30, v29, v28
	v_lshl_add_u64 v[28:29], v[26:27], 1, v[40:41]
	global_store_short v[28:29], v30, off
.LBB240_44:
	s_or_b64 exec, exec, s[6:7]
	v_add_u32_e32 v28, 16, v24
	v_cmp_gt_i32_e64 s[6:7], s20, v28
	s_and_b64 s[10:11], s[6:7], s[18:19]
	v_ashrrev_i32_e32 v29, 31, v28
	s_and_saveexec_b64 s[8:9], s[10:11]
	s_cbranch_execz .LBB240_49
; %bb.45:
	s_and_b64 vcc, exec, s[0:1]
	s_cbranch_vccnz .LBB240_47
; %bb.46:
	v_lshl_add_u64 v[30:31], v[28:29], 1, v[42:43]
	flat_load_ushort v30, v[30:31]
	s_waitcnt vmcnt(0) lgkmcnt(0)
	v_mul_f16_e32 v30, v44, v30
	s_branch .LBB240_48
.LBB240_47:
	v_mov_b32_e32 v30, 0
.LBB240_48:
	v_pk_max_f16 v31, v20, v20
	v_pk_max_f16 v32, v12, v12
	v_pk_max_f16 v33, v13, v13
	v_pk_min_f16 v31, v32, v31
	v_pk_max_f16 v32, v21, v21
	v_pk_add_f16 v31, v75, v31
	v_pk_min_f16 v32, v33, v32
	s_nop 0
	v_pk_add_f16 v31, v31, v32
	s_nop 0
	v_add_f16_sdwa v31, v31, v31 dst_sel:DWORD dst_unused:UNUSED_PAD src0_sel:DWORD src1_sel:WORD_1
	v_add_f16_e32 v32, v31, v30
	v_lshl_add_u64 v[30:31], v[28:29], 1, v[40:41]
	global_store_short v[30:31], v32, off
.LBB240_49:
	s_or_b64 exec, exec, s[8:9]
	v_add_u32_e32 v30, 24, v24
	v_cmp_gt_i32_e64 s[8:9], s20, v30
	s_and_b64 s[12:13], s[8:9], s[18:19]
	v_ashrrev_i32_e32 v31, 31, v30
	s_and_saveexec_b64 s[10:11], s[12:13]
	s_cbranch_execz .LBB240_54
; %bb.50:
	s_and_b64 vcc, exec, s[0:1]
	s_cbranch_vccnz .LBB240_52
; %bb.51:
	v_lshl_add_u64 v[32:33], v[30:31], 1, v[42:43]
	flat_load_ushort v32, v[32:33]
	s_waitcnt vmcnt(0) lgkmcnt(0)
	v_mul_f16_e32 v32, v44, v32
	s_branch .LBB240_53
.LBB240_52:
	v_mov_b32_e32 v32, 0
.LBB240_53:
	v_pk_max_f16 v33, v20, v20
	v_pk_max_f16 v34, v14, v14
	v_pk_max_f16 v35, v15, v15
	v_pk_min_f16 v33, v34, v33
	v_pk_max_f16 v34, v21, v21
	v_pk_add_f16 v33, v74, v33
	v_pk_min_f16 v34, v35, v34
	s_nop 0
	v_pk_add_f16 v33, v33, v34
	s_nop 0
	v_add_f16_sdwa v33, v33, v33 dst_sel:DWORD dst_unused:UNUSED_PAD src0_sel:DWORD src1_sel:WORD_1
	v_add_f16_e32 v34, v33, v32
	v_lshl_add_u64 v[32:33], v[30:31], 1, v[40:41]
	global_store_short v[32:33], v34, off
.LBB240_54:
	s_or_b64 exec, exec, s[10:11]
	v_add_u32_e32 v32, 32, v24
	v_cmp_gt_i32_e64 s[10:11], s20, v32
	s_and_b64 s[14:15], s[10:11], s[18:19]
	v_ashrrev_i32_e32 v33, 31, v32
	s_and_saveexec_b64 s[12:13], s[14:15]
	s_cbranch_execz .LBB240_59
; %bb.55:
	s_and_b64 vcc, exec, s[0:1]
	s_cbranch_vccnz .LBB240_57
; %bb.56:
	v_lshl_add_u64 v[34:35], v[32:33], 1, v[42:43]
	flat_load_ushort v34, v[34:35]
	s_waitcnt vmcnt(0) lgkmcnt(0)
	v_mul_f16_e32 v34, v44, v34
	s_branch .LBB240_58
.LBB240_57:
	v_mov_b32_e32 v34, 0
.LBB240_58:
	v_pk_max_f16 v35, v20, v20
	v_pk_max_f16 v36, v8, v8
	v_pk_max_f16 v37, v9, v9
	v_pk_min_f16 v35, v36, v35
	v_pk_max_f16 v36, v21, v21
	v_pk_add_f16 v35, v73, v35
	v_pk_min_f16 v36, v37, v36
	s_nop 0
	v_pk_add_f16 v35, v35, v36
	s_nop 0
	v_add_f16_sdwa v35, v35, v35 dst_sel:DWORD dst_unused:UNUSED_PAD src0_sel:DWORD src1_sel:WORD_1
	v_add_f16_e32 v36, v35, v34
	v_lshl_add_u64 v[34:35], v[32:33], 1, v[40:41]
	global_store_short v[34:35], v36, off
.LBB240_59:
	s_or_b64 exec, exec, s[12:13]
	v_add_u32_e32 v34, 40, v24
	v_cmp_gt_i32_e64 s[12:13], s20, v34
	s_and_b64 s[16:17], s[12:13], s[18:19]
	v_ashrrev_i32_e32 v35, 31, v34
	s_and_saveexec_b64 s[14:15], s[16:17]
	s_cbranch_execz .LBB240_64
; %bb.60:
	s_and_b64 vcc, exec, s[0:1]
	s_cbranch_vccnz .LBB240_62
; %bb.61:
	v_lshl_add_u64 v[36:37], v[34:35], 1, v[42:43]
	flat_load_ushort v36, v[36:37]
	s_waitcnt vmcnt(0) lgkmcnt(0)
	v_mul_f16_e32 v36, v44, v36
	s_branch .LBB240_63
.LBB240_62:
	v_mov_b32_e32 v36, 0
.LBB240_63:
	v_pk_max_f16 v37, v20, v20
	v_pk_max_f16 v38, v10, v10
	v_pk_max_f16 v39, v11, v11
	v_pk_min_f16 v37, v38, v37
	v_pk_max_f16 v38, v21, v21
	v_pk_add_f16 v37, v72, v37
	v_pk_min_f16 v38, v39, v38
	s_nop 0
	v_pk_add_f16 v37, v37, v38
	s_nop 0
	v_add_f16_sdwa v37, v37, v37 dst_sel:DWORD dst_unused:UNUSED_PAD src0_sel:DWORD src1_sel:WORD_1
	v_add_f16_e32 v38, v37, v36
	v_lshl_add_u64 v[36:37], v[34:35], 1, v[40:41]
	global_store_short v[36:37], v38, off
.LBB240_64:
	s_or_b64 exec, exec, s[14:15]
	v_add_u32_e32 v36, 48, v24
	v_cmp_gt_i32_e64 s[14:15], s20, v36
	s_and_b64 s[26:27], s[14:15], s[18:19]
	v_ashrrev_i32_e32 v37, 31, v36
	s_and_saveexec_b64 s[16:17], s[26:27]
	s_cbranch_execz .LBB240_69
; %bb.65:
	s_and_b64 vcc, exec, s[0:1]
	s_cbranch_vccnz .LBB240_67
; %bb.66:
	v_lshl_add_u64 v[38:39], v[36:37], 1, v[42:43]
	flat_load_ushort v38, v[38:39]
	s_waitcnt vmcnt(0) lgkmcnt(0)
	v_mul_f16_e32 v38, v44, v38
	s_branch .LBB240_68
.LBB240_67:
	v_mov_b32_e32 v38, 0
.LBB240_68:
	v_pk_max_f16 v39, v20, v20
	v_pk_max_f16 v72, v0, v0
	s_nop 0
	v_pk_min_f16 v39, v72, v39
	v_pk_max_f16 v72, v1, v1
	v_pk_add_f16 v39, v71, v39
	v_pk_max_f16 v71, v21, v21
	s_nop 0
	v_pk_min_f16 v71, v72, v71
	s_nop 0
	v_pk_add_f16 v39, v39, v71
	s_nop 0
	v_add_f16_sdwa v39, v39, v39 dst_sel:DWORD dst_unused:UNUSED_PAD src0_sel:DWORD src1_sel:WORD_1
	v_add_f16_e32 v71, v39, v38
	v_lshl_add_u64 v[38:39], v[36:37], 1, v[40:41]
	global_store_short v[38:39], v71, off
.LBB240_69:
	s_or_b64 exec, exec, s[16:17]
	v_add_u32_e32 v38, 56, v24
	v_cmp_gt_i32_e64 s[16:17], s20, v38
	s_and_b64 s[26:27], s[16:17], s[18:19]
	v_ashrrev_i32_e32 v39, 31, v38
	s_and_saveexec_b64 s[18:19], s[26:27]
	s_cbranch_execz .LBB240_74
; %bb.70:
	s_and_b64 vcc, exec, s[0:1]
	s_cbranch_vccnz .LBB240_72
; %bb.71:
	v_lshl_add_u64 v[42:43], v[38:39], 1, v[42:43]
	flat_load_ushort v42, v[42:43]
	s_waitcnt vmcnt(0) lgkmcnt(0)
	v_mul_f16_e32 v42, v44, v42
	s_branch .LBB240_73
.LBB240_72:
	v_mov_b32_e32 v42, 0
.LBB240_73:
	v_pk_max_f16 v20, v20, v20
	v_pk_max_f16 v43, v2, v2
	;; [unrolled: 1-line block ×3, first 2 shown]
	v_pk_min_f16 v20, v43, v20
	v_pk_max_f16 v43, v3, v3
	v_pk_add_f16 v20, v69, v20
	v_pk_min_f16 v21, v43, v21
	s_nop 0
	v_pk_add_f16 v20, v20, v21
	s_nop 0
	v_add_f16_sdwa v20, v20, v20 dst_sel:DWORD dst_unused:UNUSED_PAD src0_sel:DWORD src1_sel:WORD_1
	v_add_f16_e32 v42, v20, v42
	v_lshl_add_u64 v[20:21], v[38:39], 1, v[40:41]
	global_store_short v[20:21], v42, off
.LBB240_74:
	s_or_b64 exec, exec, s[18:19]
	v_add_u32_e32 v42, 32, v70
	v_mad_i64_i32 v[20:21], s[26:27], v42, s31, 0
	v_cmp_gt_i32_e64 s[18:19], s21, v42
	v_lshl_add_u64 v[40:41], v[20:21], 1, s[24:25]
	v_mad_i64_i32 v[20:21], s[26:27], v42, s30, 0
	v_lshl_add_u64 v[20:21], v[20:21], 1, s[22:23]
	s_and_b64 s[28:29], s[4:5], s[18:19]
	s_and_saveexec_b64 s[26:27], s[28:29]
	s_cbranch_execnz .LBB240_82
; %bb.75:
	s_or_b64 exec, exec, s[26:27]
	s_and_b64 s[28:29], s[2:3], s[18:19]
	s_and_saveexec_b64 s[26:27], s[28:29]
	s_cbranch_execnz .LBB240_86
.LBB240_76:
	s_or_b64 exec, exec, s[26:27]
	s_and_b64 s[28:29], s[6:7], s[18:19]
	s_and_saveexec_b64 s[26:27], s[28:29]
	s_cbranch_execnz .LBB240_90
.LBB240_77:
	s_or_b64 exec, exec, s[26:27]
	s_and_b64 s[28:29], s[8:9], s[18:19]
	s_and_saveexec_b64 s[26:27], s[28:29]
	s_cbranch_execnz .LBB240_94
.LBB240_78:
	s_or_b64 exec, exec, s[26:27]
	s_and_b64 s[28:29], s[10:11], s[18:19]
	s_and_saveexec_b64 s[26:27], s[28:29]
	s_cbranch_execnz .LBB240_98
.LBB240_79:
	s_or_b64 exec, exec, s[26:27]
	s_and_b64 s[28:29], s[12:13], s[18:19]
	s_and_saveexec_b64 s[26:27], s[28:29]
	s_cbranch_execnz .LBB240_102
.LBB240_80:
	s_or_b64 exec, exec, s[26:27]
	s_and_b64 s[28:29], s[14:15], s[18:19]
	s_and_saveexec_b64 s[26:27], s[28:29]
	s_cbranch_execnz .LBB240_106
.LBB240_81:
	s_or_b64 exec, exec, s[26:27]
	s_and_b64 s[26:27], s[16:17], s[18:19]
	s_and_saveexec_b64 s[18:19], s[26:27]
	s_cbranch_execnz .LBB240_110
	s_branch .LBB240_114
.LBB240_82:
	s_and_b64 vcc, exec, s[0:1]
	s_cbranch_vccnz .LBB240_84
; %bb.83:
	v_lshl_add_u64 v[42:43], v[24:25], 1, v[40:41]
	flat_load_ushort v42, v[42:43]
	s_waitcnt vmcnt(0) lgkmcnt(0)
	v_mul_f16_e32 v42, v44, v42
	s_branch .LBB240_85
.LBB240_84:
	v_mov_b32_e32 v42, 0
.LBB240_85:
	v_pk_max_f16 v43, v22, v22
	v_pk_max_f16 v69, v16, v16
	s_nop 0
	v_pk_min_f16 v43, v69, v43
	v_pk_max_f16 v69, v17, v17
	v_pk_add_f16 v43, v68, v43
	v_pk_max_f16 v68, v23, v23
	s_nop 0
	v_pk_min_f16 v68, v69, v68
	s_nop 0
	v_pk_add_f16 v43, v43, v68
	s_nop 0
	v_add_f16_sdwa v43, v43, v43 dst_sel:DWORD dst_unused:UNUSED_PAD src0_sel:DWORD src1_sel:WORD_1
	v_add_f16_e32 v68, v43, v42
	v_lshl_add_u64 v[42:43], v[24:25], 1, v[20:21]
	global_store_short v[42:43], v68, off
	s_or_b64 exec, exec, s[26:27]
	s_and_b64 s[28:29], s[2:3], s[18:19]
	s_and_saveexec_b64 s[26:27], s[28:29]
	s_cbranch_execz .LBB240_76
.LBB240_86:
	s_and_b64 vcc, exec, s[0:1]
	s_cbranch_vccnz .LBB240_88
; %bb.87:
	v_lshl_add_u64 v[42:43], v[26:27], 1, v[40:41]
	flat_load_ushort v42, v[42:43]
	s_waitcnt vmcnt(0) lgkmcnt(0)
	v_mul_f16_e32 v42, v44, v42
	s_branch .LBB240_89
.LBB240_88:
	v_mov_b32_e32 v42, 0
.LBB240_89:
	v_pk_max_f16 v43, v22, v22
	v_pk_max_f16 v68, v18, v18
	s_nop 0
	v_pk_min_f16 v43, v68, v43
	v_pk_max_f16 v68, v19, v19
	v_pk_add_f16 v43, v67, v43
	v_pk_max_f16 v67, v23, v23
	s_nop 0
	v_pk_min_f16 v67, v68, v67
	s_nop 0
	v_pk_add_f16 v43, v43, v67
	s_nop 0
	v_add_f16_sdwa v43, v43, v43 dst_sel:DWORD dst_unused:UNUSED_PAD src0_sel:DWORD src1_sel:WORD_1
	v_add_f16_e32 v67, v43, v42
	v_lshl_add_u64 v[42:43], v[26:27], 1, v[20:21]
	global_store_short v[42:43], v67, off
	s_or_b64 exec, exec, s[26:27]
	s_and_b64 s[28:29], s[6:7], s[18:19]
	s_and_saveexec_b64 s[26:27], s[28:29]
	s_cbranch_execz .LBB240_77
.LBB240_90:
	s_and_b64 vcc, exec, s[0:1]
	s_cbranch_vccnz .LBB240_92
; %bb.91:
	v_lshl_add_u64 v[42:43], v[28:29], 1, v[40:41]
	flat_load_ushort v42, v[42:43]
	s_waitcnt vmcnt(0) lgkmcnt(0)
	v_mul_f16_e32 v42, v44, v42
	s_branch .LBB240_93
.LBB240_92:
	v_mov_b32_e32 v42, 0
.LBB240_93:
	v_pk_max_f16 v43, v22, v22
	v_pk_max_f16 v67, v12, v12
	s_nop 0
	v_pk_min_f16 v43, v67, v43
	v_pk_max_f16 v67, v13, v13
	v_pk_add_f16 v43, v66, v43
	v_pk_max_f16 v66, v23, v23
	s_nop 0
	v_pk_min_f16 v66, v67, v66
	s_nop 0
	v_pk_add_f16 v43, v43, v66
	s_nop 0
	v_add_f16_sdwa v43, v43, v43 dst_sel:DWORD dst_unused:UNUSED_PAD src0_sel:DWORD src1_sel:WORD_1
	v_add_f16_e32 v66, v43, v42
	v_lshl_add_u64 v[42:43], v[28:29], 1, v[20:21]
	global_store_short v[42:43], v66, off
	s_or_b64 exec, exec, s[26:27]
	s_and_b64 s[28:29], s[8:9], s[18:19]
	s_and_saveexec_b64 s[26:27], s[28:29]
	s_cbranch_execz .LBB240_78
.LBB240_94:
	s_and_b64 vcc, exec, s[0:1]
	s_cbranch_vccnz .LBB240_96
; %bb.95:
	v_lshl_add_u64 v[42:43], v[30:31], 1, v[40:41]
	flat_load_ushort v42, v[42:43]
	s_waitcnt vmcnt(0) lgkmcnt(0)
	v_mul_f16_e32 v42, v44, v42
	s_branch .LBB240_97
.LBB240_96:
	v_mov_b32_e32 v42, 0
.LBB240_97:
	v_pk_max_f16 v43, v22, v22
	v_pk_max_f16 v66, v14, v14
	s_nop 0
	v_pk_min_f16 v43, v66, v43
	v_pk_max_f16 v66, v15, v15
	v_pk_add_f16 v43, v65, v43
	v_pk_max_f16 v65, v23, v23
	s_nop 0
	v_pk_min_f16 v65, v66, v65
	s_nop 0
	v_pk_add_f16 v43, v43, v65
	s_nop 0
	v_add_f16_sdwa v43, v43, v43 dst_sel:DWORD dst_unused:UNUSED_PAD src0_sel:DWORD src1_sel:WORD_1
	v_add_f16_e32 v65, v43, v42
	v_lshl_add_u64 v[42:43], v[30:31], 1, v[20:21]
	global_store_short v[42:43], v65, off
	s_or_b64 exec, exec, s[26:27]
	s_and_b64 s[28:29], s[10:11], s[18:19]
	s_and_saveexec_b64 s[26:27], s[28:29]
	s_cbranch_execz .LBB240_79
.LBB240_98:
	s_and_b64 vcc, exec, s[0:1]
	s_cbranch_vccnz .LBB240_100
; %bb.99:
	v_lshl_add_u64 v[42:43], v[32:33], 1, v[40:41]
	flat_load_ushort v42, v[42:43]
	s_waitcnt vmcnt(0) lgkmcnt(0)
	v_mul_f16_e32 v42, v44, v42
	s_branch .LBB240_101
.LBB240_100:
	v_mov_b32_e32 v42, 0
.LBB240_101:
	v_pk_max_f16 v43, v22, v22
	v_pk_max_f16 v65, v8, v8
	s_nop 0
	v_pk_min_f16 v43, v65, v43
	v_pk_max_f16 v65, v9, v9
	v_pk_add_f16 v43, v64, v43
	v_pk_max_f16 v64, v23, v23
	s_nop 0
	v_pk_min_f16 v64, v65, v64
	s_nop 0
	v_pk_add_f16 v43, v43, v64
	s_nop 0
	v_add_f16_sdwa v43, v43, v43 dst_sel:DWORD dst_unused:UNUSED_PAD src0_sel:DWORD src1_sel:WORD_1
	v_add_f16_e32 v64, v43, v42
	v_lshl_add_u64 v[42:43], v[32:33], 1, v[20:21]
	global_store_short v[42:43], v64, off
	s_or_b64 exec, exec, s[26:27]
	s_and_b64 s[28:29], s[12:13], s[18:19]
	s_and_saveexec_b64 s[26:27], s[28:29]
	s_cbranch_execz .LBB240_80
.LBB240_102:
	s_and_b64 vcc, exec, s[0:1]
	s_cbranch_vccnz .LBB240_104
; %bb.103:
	v_lshl_add_u64 v[42:43], v[34:35], 1, v[40:41]
	flat_load_ushort v42, v[42:43]
	s_waitcnt vmcnt(0) lgkmcnt(0)
	v_mul_f16_e32 v42, v44, v42
	s_branch .LBB240_105
.LBB240_104:
	v_mov_b32_e32 v42, 0
.LBB240_105:
	v_pk_max_f16 v43, v22, v22
	v_pk_max_f16 v64, v10, v10
	s_nop 0
	v_pk_min_f16 v43, v64, v43
	v_pk_max_f16 v64, v11, v11
	v_pk_add_f16 v43, v63, v43
	v_pk_max_f16 v63, v23, v23
	s_nop 0
	v_pk_min_f16 v63, v64, v63
	s_nop 0
	v_pk_add_f16 v43, v43, v63
	s_nop 0
	v_add_f16_sdwa v43, v43, v43 dst_sel:DWORD dst_unused:UNUSED_PAD src0_sel:DWORD src1_sel:WORD_1
	v_add_f16_e32 v63, v43, v42
	v_lshl_add_u64 v[42:43], v[34:35], 1, v[20:21]
	global_store_short v[42:43], v63, off
	s_or_b64 exec, exec, s[26:27]
	s_and_b64 s[28:29], s[14:15], s[18:19]
	s_and_saveexec_b64 s[26:27], s[28:29]
	s_cbranch_execz .LBB240_81
.LBB240_106:
	s_and_b64 vcc, exec, s[0:1]
	s_cbranch_vccnz .LBB240_108
; %bb.107:
	v_lshl_add_u64 v[42:43], v[36:37], 1, v[40:41]
	flat_load_ushort v42, v[42:43]
	s_waitcnt vmcnt(0) lgkmcnt(0)
	v_mul_f16_e32 v42, v44, v42
	s_branch .LBB240_109
.LBB240_108:
	v_mov_b32_e32 v42, 0
.LBB240_109:
	v_pk_max_f16 v43, v22, v22
	v_pk_max_f16 v63, v0, v0
	s_nop 0
	v_pk_min_f16 v43, v63, v43
	v_pk_max_f16 v63, v1, v1
	v_pk_add_f16 v43, v62, v43
	v_pk_max_f16 v62, v23, v23
	s_nop 0
	v_pk_min_f16 v62, v63, v62
	s_nop 0
	v_pk_add_f16 v43, v43, v62
	s_nop 0
	v_add_f16_sdwa v43, v43, v43 dst_sel:DWORD dst_unused:UNUSED_PAD src0_sel:DWORD src1_sel:WORD_1
	v_add_f16_e32 v62, v43, v42
	v_lshl_add_u64 v[42:43], v[36:37], 1, v[20:21]
	global_store_short v[42:43], v62, off
	s_or_b64 exec, exec, s[26:27]
	s_and_b64 s[26:27], s[16:17], s[18:19]
	s_and_saveexec_b64 s[18:19], s[26:27]
	s_cbranch_execz .LBB240_114
.LBB240_110:
	s_and_b64 vcc, exec, s[0:1]
	s_cbranch_vccnz .LBB240_112
; %bb.111:
	v_lshl_add_u64 v[40:41], v[38:39], 1, v[40:41]
	flat_load_ushort v40, v[40:41]
	s_waitcnt vmcnt(0) lgkmcnt(0)
	v_mul_f16_e32 v40, v44, v40
	s_branch .LBB240_113
.LBB240_112:
	v_mov_b32_e32 v40, 0
.LBB240_113:
	v_pk_max_f16 v22, v22, v22
	v_pk_max_f16 v41, v2, v2
	;; [unrolled: 1-line block ×3, first 2 shown]
	v_pk_min_f16 v22, v41, v22
	v_pk_max_f16 v41, v3, v3
	v_pk_add_f16 v22, v61, v22
	v_pk_min_f16 v23, v41, v23
	v_lshl_add_u64 v[20:21], v[38:39], 1, v[20:21]
	v_pk_add_f16 v22, v22, v23
	s_nop 0
	v_add_f16_sdwa v22, v22, v22 dst_sel:DWORD dst_unused:UNUSED_PAD src0_sel:DWORD src1_sel:WORD_1
	v_add_f16_e32 v22, v22, v40
	global_store_short v[20:21], v22, off
.LBB240_114:
	s_or_b64 exec, exec, s[18:19]
	v_add_u32_e32 v40, 64, v70
	v_mad_i64_i32 v[20:21], s[26:27], v40, s31, 0
	v_cmp_gt_i32_e64 s[18:19], s21, v40
	v_lshl_add_u64 v[22:23], v[20:21], 1, s[24:25]
	v_mad_i64_i32 v[20:21], s[26:27], v40, s30, 0
	v_lshl_add_u64 v[20:21], v[20:21], 1, s[22:23]
	s_and_b64 s[28:29], s[4:5], s[18:19]
	s_and_saveexec_b64 s[26:27], s[28:29]
	s_cbranch_execnz .LBB240_122
; %bb.115:
	s_or_b64 exec, exec, s[26:27]
	s_and_b64 s[28:29], s[2:3], s[18:19]
	s_and_saveexec_b64 s[26:27], s[28:29]
	s_cbranch_execnz .LBB240_126
.LBB240_116:
	s_or_b64 exec, exec, s[26:27]
	s_and_b64 s[28:29], s[6:7], s[18:19]
	s_and_saveexec_b64 s[26:27], s[28:29]
	s_cbranch_execnz .LBB240_130
.LBB240_117:
	s_or_b64 exec, exec, s[26:27]
	s_and_b64 s[28:29], s[8:9], s[18:19]
	s_and_saveexec_b64 s[26:27], s[28:29]
	s_cbranch_execnz .LBB240_134
.LBB240_118:
	s_or_b64 exec, exec, s[26:27]
	s_and_b64 s[28:29], s[10:11], s[18:19]
	s_and_saveexec_b64 s[26:27], s[28:29]
	s_cbranch_execnz .LBB240_138
.LBB240_119:
	s_or_b64 exec, exec, s[26:27]
	s_and_b64 s[28:29], s[12:13], s[18:19]
	s_and_saveexec_b64 s[26:27], s[28:29]
	s_cbranch_execnz .LBB240_142
.LBB240_120:
	s_or_b64 exec, exec, s[26:27]
	s_and_b64 s[28:29], s[14:15], s[18:19]
	s_and_saveexec_b64 s[26:27], s[28:29]
	s_cbranch_execnz .LBB240_146
.LBB240_121:
	s_or_b64 exec, exec, s[26:27]
	s_and_b64 s[26:27], s[16:17], s[18:19]
	s_and_saveexec_b64 s[18:19], s[26:27]
	s_cbranch_execnz .LBB240_150
	s_branch .LBB240_154
.LBB240_122:
	s_and_b64 vcc, exec, s[0:1]
	s_cbranch_vccnz .LBB240_124
; %bb.123:
	v_lshl_add_u64 v[40:41], v[24:25], 1, v[22:23]
	flat_load_ushort v40, v[40:41]
	s_waitcnt vmcnt(0) lgkmcnt(0)
	v_mul_f16_e32 v40, v44, v40
	s_branch .LBB240_125
.LBB240_124:
	v_mov_b32_e32 v40, 0
.LBB240_125:
	v_pk_max_f16 v41, v4, v4
	v_pk_max_f16 v42, v16, v16
	;; [unrolled: 1-line block ×3, first 2 shown]
	v_pk_min_f16 v41, v42, v41
	v_pk_max_f16 v42, v5, v5
	v_pk_add_f16 v41, v60, v41
	v_pk_min_f16 v42, v43, v42
	s_nop 0
	v_pk_add_f16 v41, v41, v42
	s_nop 0
	v_add_f16_sdwa v41, v41, v41 dst_sel:DWORD dst_unused:UNUSED_PAD src0_sel:DWORD src1_sel:WORD_1
	v_add_f16_e32 v42, v41, v40
	v_lshl_add_u64 v[40:41], v[24:25], 1, v[20:21]
	global_store_short v[40:41], v42, off
	s_or_b64 exec, exec, s[26:27]
	s_and_b64 s[28:29], s[2:3], s[18:19]
	s_and_saveexec_b64 s[26:27], s[28:29]
	s_cbranch_execz .LBB240_116
.LBB240_126:
	s_and_b64 vcc, exec, s[0:1]
	s_cbranch_vccnz .LBB240_128
; %bb.127:
	v_lshl_add_u64 v[40:41], v[26:27], 1, v[22:23]
	flat_load_ushort v40, v[40:41]
	s_waitcnt vmcnt(0) lgkmcnt(0)
	v_mul_f16_e32 v40, v44, v40
	s_branch .LBB240_129
.LBB240_128:
	v_mov_b32_e32 v40, 0
.LBB240_129:
	v_pk_max_f16 v41, v4, v4
	v_pk_max_f16 v42, v18, v18
	;; [unrolled: 1-line block ×3, first 2 shown]
	v_pk_min_f16 v41, v42, v41
	v_pk_max_f16 v42, v5, v5
	v_pk_add_f16 v41, v59, v41
	v_pk_min_f16 v42, v43, v42
	s_nop 0
	v_pk_add_f16 v41, v41, v42
	s_nop 0
	v_add_f16_sdwa v41, v41, v41 dst_sel:DWORD dst_unused:UNUSED_PAD src0_sel:DWORD src1_sel:WORD_1
	v_add_f16_e32 v42, v41, v40
	v_lshl_add_u64 v[40:41], v[26:27], 1, v[20:21]
	global_store_short v[40:41], v42, off
	s_or_b64 exec, exec, s[26:27]
	s_and_b64 s[28:29], s[6:7], s[18:19]
	s_and_saveexec_b64 s[26:27], s[28:29]
	s_cbranch_execz .LBB240_117
.LBB240_130:
	s_and_b64 vcc, exec, s[0:1]
	s_cbranch_vccnz .LBB240_132
; %bb.131:
	v_lshl_add_u64 v[40:41], v[28:29], 1, v[22:23]
	flat_load_ushort v40, v[40:41]
	s_waitcnt vmcnt(0) lgkmcnt(0)
	v_mul_f16_e32 v40, v44, v40
	s_branch .LBB240_133
.LBB240_132:
	v_mov_b32_e32 v40, 0
.LBB240_133:
	v_pk_max_f16 v41, v4, v4
	v_pk_max_f16 v42, v12, v12
	v_pk_max_f16 v43, v13, v13
	v_pk_min_f16 v41, v42, v41
	v_pk_max_f16 v42, v5, v5
	v_pk_add_f16 v41, v58, v41
	v_pk_min_f16 v42, v43, v42
	s_nop 0
	v_pk_add_f16 v41, v41, v42
	s_nop 0
	v_add_f16_sdwa v41, v41, v41 dst_sel:DWORD dst_unused:UNUSED_PAD src0_sel:DWORD src1_sel:WORD_1
	v_add_f16_e32 v42, v41, v40
	v_lshl_add_u64 v[40:41], v[28:29], 1, v[20:21]
	global_store_short v[40:41], v42, off
	s_or_b64 exec, exec, s[26:27]
	s_and_b64 s[28:29], s[8:9], s[18:19]
	s_and_saveexec_b64 s[26:27], s[28:29]
	s_cbranch_execz .LBB240_118
.LBB240_134:
	s_and_b64 vcc, exec, s[0:1]
	s_cbranch_vccnz .LBB240_136
; %bb.135:
	v_lshl_add_u64 v[40:41], v[30:31], 1, v[22:23]
	flat_load_ushort v40, v[40:41]
	s_waitcnt vmcnt(0) lgkmcnt(0)
	v_mul_f16_e32 v40, v44, v40
	s_branch .LBB240_137
.LBB240_136:
	v_mov_b32_e32 v40, 0
.LBB240_137:
	v_pk_max_f16 v41, v4, v4
	v_pk_max_f16 v42, v14, v14
	;; [unrolled: 1-line block ×3, first 2 shown]
	v_pk_min_f16 v41, v42, v41
	v_pk_max_f16 v42, v5, v5
	v_pk_add_f16 v41, v57, v41
	v_pk_min_f16 v42, v43, v42
	s_nop 0
	v_pk_add_f16 v41, v41, v42
	s_nop 0
	v_add_f16_sdwa v41, v41, v41 dst_sel:DWORD dst_unused:UNUSED_PAD src0_sel:DWORD src1_sel:WORD_1
	v_add_f16_e32 v42, v41, v40
	v_lshl_add_u64 v[40:41], v[30:31], 1, v[20:21]
	global_store_short v[40:41], v42, off
	s_or_b64 exec, exec, s[26:27]
	s_and_b64 s[28:29], s[10:11], s[18:19]
	s_and_saveexec_b64 s[26:27], s[28:29]
	s_cbranch_execz .LBB240_119
.LBB240_138:
	s_and_b64 vcc, exec, s[0:1]
	s_cbranch_vccnz .LBB240_140
; %bb.139:
	v_lshl_add_u64 v[40:41], v[32:33], 1, v[22:23]
	flat_load_ushort v40, v[40:41]
	s_waitcnt vmcnt(0) lgkmcnt(0)
	v_mul_f16_e32 v40, v44, v40
	s_branch .LBB240_141
.LBB240_140:
	v_mov_b32_e32 v40, 0
.LBB240_141:
	v_pk_max_f16 v41, v4, v4
	v_pk_max_f16 v42, v8, v8
	;; [unrolled: 1-line block ×3, first 2 shown]
	v_pk_min_f16 v41, v42, v41
	v_pk_max_f16 v42, v5, v5
	v_pk_add_f16 v41, v56, v41
	v_pk_min_f16 v42, v43, v42
	s_nop 0
	v_pk_add_f16 v41, v41, v42
	s_nop 0
	v_add_f16_sdwa v41, v41, v41 dst_sel:DWORD dst_unused:UNUSED_PAD src0_sel:DWORD src1_sel:WORD_1
	v_add_f16_e32 v42, v41, v40
	v_lshl_add_u64 v[40:41], v[32:33], 1, v[20:21]
	global_store_short v[40:41], v42, off
	s_or_b64 exec, exec, s[26:27]
	s_and_b64 s[28:29], s[12:13], s[18:19]
	s_and_saveexec_b64 s[26:27], s[28:29]
	s_cbranch_execz .LBB240_120
.LBB240_142:
	s_and_b64 vcc, exec, s[0:1]
	s_cbranch_vccnz .LBB240_144
; %bb.143:
	v_lshl_add_u64 v[40:41], v[34:35], 1, v[22:23]
	flat_load_ushort v40, v[40:41]
	s_waitcnt vmcnt(0) lgkmcnt(0)
	v_mul_f16_e32 v40, v44, v40
	s_branch .LBB240_145
.LBB240_144:
	v_mov_b32_e32 v40, 0
.LBB240_145:
	v_pk_max_f16 v41, v4, v4
	v_pk_max_f16 v42, v10, v10
	;; [unrolled: 1-line block ×3, first 2 shown]
	v_pk_min_f16 v41, v42, v41
	v_pk_max_f16 v42, v5, v5
	v_pk_add_f16 v41, v55, v41
	v_pk_min_f16 v42, v43, v42
	s_nop 0
	v_pk_add_f16 v41, v41, v42
	s_nop 0
	v_add_f16_sdwa v41, v41, v41 dst_sel:DWORD dst_unused:UNUSED_PAD src0_sel:DWORD src1_sel:WORD_1
	v_add_f16_e32 v42, v41, v40
	v_lshl_add_u64 v[40:41], v[34:35], 1, v[20:21]
	global_store_short v[40:41], v42, off
	s_or_b64 exec, exec, s[26:27]
	s_and_b64 s[28:29], s[14:15], s[18:19]
	s_and_saveexec_b64 s[26:27], s[28:29]
	s_cbranch_execz .LBB240_121
.LBB240_146:
	s_and_b64 vcc, exec, s[0:1]
	s_cbranch_vccnz .LBB240_148
; %bb.147:
	v_lshl_add_u64 v[40:41], v[36:37], 1, v[22:23]
	flat_load_ushort v40, v[40:41]
	s_waitcnt vmcnt(0) lgkmcnt(0)
	v_mul_f16_e32 v40, v44, v40
	s_branch .LBB240_149
.LBB240_148:
	v_mov_b32_e32 v40, 0
.LBB240_149:
	v_pk_max_f16 v41, v4, v4
	v_pk_max_f16 v42, v0, v0
	;; [unrolled: 1-line block ×3, first 2 shown]
	v_pk_min_f16 v41, v42, v41
	v_pk_max_f16 v42, v5, v5
	v_pk_add_f16 v41, v54, v41
	v_pk_min_f16 v42, v43, v42
	s_nop 0
	v_pk_add_f16 v41, v41, v42
	s_nop 0
	v_add_f16_sdwa v41, v41, v41 dst_sel:DWORD dst_unused:UNUSED_PAD src0_sel:DWORD src1_sel:WORD_1
	v_add_f16_e32 v42, v41, v40
	v_lshl_add_u64 v[40:41], v[36:37], 1, v[20:21]
	global_store_short v[40:41], v42, off
	s_or_b64 exec, exec, s[26:27]
	s_and_b64 s[26:27], s[16:17], s[18:19]
	s_and_saveexec_b64 s[18:19], s[26:27]
	s_cbranch_execz .LBB240_154
.LBB240_150:
	s_and_b64 vcc, exec, s[0:1]
	s_cbranch_vccnz .LBB240_152
; %bb.151:
	v_lshl_add_u64 v[22:23], v[38:39], 1, v[22:23]
	flat_load_ushort v22, v[22:23]
	s_waitcnt vmcnt(0) lgkmcnt(0)
	v_mul_f16_e32 v22, v44, v22
	s_branch .LBB240_153
.LBB240_152:
	v_mov_b32_e32 v22, 0
.LBB240_153:
	v_pk_max_f16 v4, v4, v4
	v_pk_max_f16 v23, v2, v2
	;; [unrolled: 1-line block ×3, first 2 shown]
	v_pk_min_f16 v4, v23, v4
	v_pk_max_f16 v23, v3, v3
	v_pk_add_f16 v4, v53, v4
	v_pk_min_f16 v5, v23, v5
	s_nop 0
	v_pk_add_f16 v4, v4, v5
	s_nop 0
	v_add_f16_sdwa v4, v4, v4 dst_sel:DWORD dst_unused:UNUSED_PAD src0_sel:DWORD src1_sel:WORD_1
	v_add_f16_e32 v22, v4, v22
	v_lshl_add_u64 v[4:5], v[38:39], 1, v[20:21]
	global_store_short v[4:5], v22, off
.LBB240_154:
	s_or_b64 exec, exec, s[18:19]
	v_add_u32_e32 v22, 0x60, v70
	v_cmp_gt_i32_e64 s[18:19], s21, v22
	v_mad_i64_i32 v[4:5], s[20:21], v22, s31, 0
	v_lshl_add_u64 v[20:21], v[4:5], 1, s[24:25]
	v_mad_i64_i32 v[4:5], s[20:21], v22, s30, 0
	v_lshl_add_u64 v[4:5], v[4:5], 1, s[22:23]
	s_and_b64 s[20:21], s[4:5], s[18:19]
	s_and_saveexec_b64 s[4:5], s[20:21]
	s_cbranch_execnz .LBB240_163
; %bb.155:
	s_or_b64 exec, exec, s[4:5]
	s_and_b64 s[4:5], s[2:3], s[18:19]
	s_and_saveexec_b64 s[2:3], s[4:5]
	s_cbranch_execnz .LBB240_167
.LBB240_156:
	s_or_b64 exec, exec, s[2:3]
	s_and_b64 s[4:5], s[6:7], s[18:19]
	s_and_saveexec_b64 s[2:3], s[4:5]
	s_cbranch_execnz .LBB240_171
.LBB240_157:
	s_or_b64 exec, exec, s[2:3]
	s_and_b64 s[4:5], s[8:9], s[18:19]
	s_and_saveexec_b64 s[2:3], s[4:5]
	s_cbranch_execnz .LBB240_175
.LBB240_158:
	s_or_b64 exec, exec, s[2:3]
	s_and_b64 s[4:5], s[10:11], s[18:19]
	s_and_saveexec_b64 s[2:3], s[4:5]
	s_cbranch_execnz .LBB240_179
.LBB240_159:
	s_or_b64 exec, exec, s[2:3]
	s_and_b64 s[4:5], s[12:13], s[18:19]
	s_and_saveexec_b64 s[2:3], s[4:5]
	s_cbranch_execnz .LBB240_183
.LBB240_160:
	s_or_b64 exec, exec, s[2:3]
	s_and_b64 s[4:5], s[14:15], s[18:19]
	s_and_saveexec_b64 s[2:3], s[4:5]
	s_cbranch_execnz .LBB240_187
.LBB240_161:
	s_or_b64 exec, exec, s[2:3]
	s_and_b64 s[2:3], s[16:17], s[18:19]
	s_and_saveexec_b64 s[4:5], s[2:3]
	s_cbranch_execnz .LBB240_191
.LBB240_162:
	s_endpgm
.LBB240_163:
	s_and_b64 vcc, exec, s[0:1]
	s_cbranch_vccnz .LBB240_165
; %bb.164:
	v_lshl_add_u64 v[22:23], v[24:25], 1, v[20:21]
	flat_load_ushort v22, v[22:23]
	s_waitcnt vmcnt(0) lgkmcnt(0)
	v_mul_f16_e32 v22, v44, v22
	s_branch .LBB240_166
.LBB240_165:
	v_mov_b32_e32 v22, 0
.LBB240_166:
	v_pk_max_f16 v23, v6, v6
	v_pk_max_f16 v16, v16, v16
	;; [unrolled: 1-line block ×3, first 2 shown]
	v_pk_min_f16 v16, v16, v23
	v_pk_max_f16 v23, v7, v7
	v_pk_add_f16 v16, v52, v16
	v_pk_min_f16 v17, v17, v23
	s_nop 0
	v_pk_add_f16 v16, v16, v17
	s_nop 0
	v_add_f16_sdwa v16, v16, v16 dst_sel:DWORD dst_unused:UNUSED_PAD src0_sel:DWORD src1_sel:WORD_1
	v_add_f16_e32 v22, v16, v22
	v_lshl_add_u64 v[16:17], v[24:25], 1, v[4:5]
	global_store_short v[16:17], v22, off
	s_or_b64 exec, exec, s[4:5]
	s_and_b64 s[4:5], s[2:3], s[18:19]
	s_and_saveexec_b64 s[2:3], s[4:5]
	s_cbranch_execz .LBB240_156
.LBB240_167:
	s_and_b64 vcc, exec, s[0:1]
	s_cbranch_vccnz .LBB240_169
; %bb.168:
	v_lshl_add_u64 v[16:17], v[26:27], 1, v[20:21]
	flat_load_ushort v16, v[16:17]
	s_waitcnt vmcnt(0) lgkmcnt(0)
	v_mul_f16_e32 v16, v44, v16
	s_branch .LBB240_170
.LBB240_169:
	v_mov_b32_e32 v16, 0
.LBB240_170:
	v_pk_max_f16 v17, v6, v6
	v_pk_max_f16 v18, v18, v18
	;; [unrolled: 1-line block ×3, first 2 shown]
	v_pk_min_f16 v17, v18, v17
	v_pk_max_f16 v18, v7, v7
	v_pk_add_f16 v17, v51, v17
	v_pk_min_f16 v18, v19, v18
	s_nop 0
	v_pk_add_f16 v17, v17, v18
	s_nop 0
	v_add_f16_sdwa v17, v17, v17 dst_sel:DWORD dst_unused:UNUSED_PAD src0_sel:DWORD src1_sel:WORD_1
	v_add_f16_e32 v18, v17, v16
	v_lshl_add_u64 v[16:17], v[26:27], 1, v[4:5]
	global_store_short v[16:17], v18, off
	s_or_b64 exec, exec, s[2:3]
	s_and_b64 s[4:5], s[6:7], s[18:19]
	s_and_saveexec_b64 s[2:3], s[4:5]
	s_cbranch_execz .LBB240_157
.LBB240_171:
	s_and_b64 vcc, exec, s[0:1]
	s_cbranch_vccnz .LBB240_173
; %bb.172:
	v_lshl_add_u64 v[16:17], v[28:29], 1, v[20:21]
	flat_load_ushort v16, v[16:17]
	s_waitcnt vmcnt(0) lgkmcnt(0)
	v_mul_f16_e32 v16, v44, v16
	s_branch .LBB240_174
.LBB240_173:
	v_mov_b32_e32 v16, 0
.LBB240_174:
	v_pk_max_f16 v17, v6, v6
	v_pk_max_f16 v12, v12, v12
	;; [unrolled: 1-line block ×3, first 2 shown]
	v_pk_min_f16 v12, v12, v17
	v_pk_max_f16 v17, v7, v7
	v_pk_add_f16 v12, v50, v12
	v_pk_min_f16 v13, v13, v17
	s_nop 0
	v_pk_add_f16 v12, v12, v13
	s_nop 0
	v_add_f16_sdwa v12, v12, v12 dst_sel:DWORD dst_unused:UNUSED_PAD src0_sel:DWORD src1_sel:WORD_1
	v_add_f16_e32 v16, v12, v16
	v_lshl_add_u64 v[12:13], v[28:29], 1, v[4:5]
	global_store_short v[12:13], v16, off
	s_or_b64 exec, exec, s[2:3]
	s_and_b64 s[4:5], s[8:9], s[18:19]
	s_and_saveexec_b64 s[2:3], s[4:5]
	s_cbranch_execz .LBB240_158
.LBB240_175:
	s_and_b64 vcc, exec, s[0:1]
	s_cbranch_vccnz .LBB240_177
; %bb.176:
	v_lshl_add_u64 v[12:13], v[30:31], 1, v[20:21]
	flat_load_ushort v12, v[12:13]
	s_waitcnt vmcnt(0) lgkmcnt(0)
	v_mul_f16_e32 v12, v44, v12
	s_branch .LBB240_178
.LBB240_177:
	v_mov_b32_e32 v12, 0
.LBB240_178:
	v_pk_max_f16 v13, v6, v6
	v_pk_max_f16 v14, v14, v14
	;; [unrolled: 1-line block ×3, first 2 shown]
	v_pk_min_f16 v13, v14, v13
	v_pk_max_f16 v14, v7, v7
	v_pk_add_f16 v13, v49, v13
	v_pk_min_f16 v14, v15, v14
	s_nop 0
	v_pk_add_f16 v13, v13, v14
	s_nop 0
	v_add_f16_sdwa v13, v13, v13 dst_sel:DWORD dst_unused:UNUSED_PAD src0_sel:DWORD src1_sel:WORD_1
	v_add_f16_e32 v14, v13, v12
	v_lshl_add_u64 v[12:13], v[30:31], 1, v[4:5]
	global_store_short v[12:13], v14, off
	s_or_b64 exec, exec, s[2:3]
	s_and_b64 s[4:5], s[10:11], s[18:19]
	s_and_saveexec_b64 s[2:3], s[4:5]
	s_cbranch_execz .LBB240_159
.LBB240_179:
	s_and_b64 vcc, exec, s[0:1]
	s_cbranch_vccnz .LBB240_181
; %bb.180:
	v_lshl_add_u64 v[12:13], v[32:33], 1, v[20:21]
	flat_load_ushort v12, v[12:13]
	s_waitcnt vmcnt(0) lgkmcnt(0)
	v_mul_f16_e32 v12, v44, v12
	s_branch .LBB240_182
.LBB240_181:
	v_mov_b32_e32 v12, 0
.LBB240_182:
	v_pk_max_f16 v13, v6, v6
	v_pk_max_f16 v8, v8, v8
	;; [unrolled: 1-line block ×3, first 2 shown]
	v_pk_min_f16 v8, v8, v13
	v_pk_max_f16 v13, v7, v7
	v_pk_add_f16 v8, v48, v8
	v_pk_min_f16 v9, v9, v13
	s_nop 0
	v_pk_add_f16 v8, v8, v9
	s_nop 0
	v_add_f16_sdwa v8, v8, v8 dst_sel:DWORD dst_unused:UNUSED_PAD src0_sel:DWORD src1_sel:WORD_1
	v_add_f16_e32 v12, v8, v12
	v_lshl_add_u64 v[8:9], v[32:33], 1, v[4:5]
	global_store_short v[8:9], v12, off
	s_or_b64 exec, exec, s[2:3]
	s_and_b64 s[4:5], s[12:13], s[18:19]
	s_and_saveexec_b64 s[2:3], s[4:5]
	s_cbranch_execz .LBB240_160
.LBB240_183:
	s_and_b64 vcc, exec, s[0:1]
	s_cbranch_vccnz .LBB240_185
; %bb.184:
	v_lshl_add_u64 v[8:9], v[34:35], 1, v[20:21]
	flat_load_ushort v8, v[8:9]
	s_waitcnt vmcnt(0) lgkmcnt(0)
	v_mul_f16_e32 v8, v44, v8
	s_branch .LBB240_186
.LBB240_185:
	v_mov_b32_e32 v8, 0
.LBB240_186:
	v_pk_max_f16 v9, v6, v6
	v_pk_max_f16 v10, v10, v10
	;; [unrolled: 1-line block ×3, first 2 shown]
	v_pk_min_f16 v9, v10, v9
	v_pk_max_f16 v10, v7, v7
	v_pk_add_f16 v9, v47, v9
	v_pk_min_f16 v10, v11, v10
	s_nop 0
	v_pk_add_f16 v9, v9, v10
	s_nop 0
	v_add_f16_sdwa v9, v9, v9 dst_sel:DWORD dst_unused:UNUSED_PAD src0_sel:DWORD src1_sel:WORD_1
	v_add_f16_e32 v10, v9, v8
	v_lshl_add_u64 v[8:9], v[34:35], 1, v[4:5]
	global_store_short v[8:9], v10, off
	s_or_b64 exec, exec, s[2:3]
	s_and_b64 s[4:5], s[14:15], s[18:19]
	s_and_saveexec_b64 s[2:3], s[4:5]
	s_cbranch_execz .LBB240_161
.LBB240_187:
	s_and_b64 vcc, exec, s[0:1]
	s_cbranch_vccnz .LBB240_189
; %bb.188:
	v_lshl_add_u64 v[8:9], v[36:37], 1, v[20:21]
	flat_load_ushort v8, v[8:9]
	s_waitcnt vmcnt(0) lgkmcnt(0)
	v_mul_f16_e32 v8, v44, v8
	s_branch .LBB240_190
.LBB240_189:
	v_mov_b32_e32 v8, 0
.LBB240_190:
	v_pk_max_f16 v9, v6, v6
	v_pk_max_f16 v0, v0, v0
	;; [unrolled: 1-line block ×3, first 2 shown]
	v_pk_min_f16 v0, v0, v9
	v_pk_max_f16 v9, v7, v7
	v_pk_add_f16 v0, v46, v0
	v_pk_min_f16 v1, v1, v9
	s_nop 0
	v_pk_add_f16 v0, v0, v1
	s_nop 0
	v_add_f16_sdwa v0, v0, v0 dst_sel:DWORD dst_unused:UNUSED_PAD src0_sel:DWORD src1_sel:WORD_1
	v_add_f16_e32 v8, v0, v8
	v_lshl_add_u64 v[0:1], v[36:37], 1, v[4:5]
	global_store_short v[0:1], v8, off
	s_or_b64 exec, exec, s[2:3]
	s_and_b64 s[2:3], s[16:17], s[18:19]
	s_and_saveexec_b64 s[4:5], s[2:3]
	s_cbranch_execz .LBB240_162
.LBB240_191:
	s_and_b64 vcc, exec, s[0:1]
	s_cbranch_vccnz .LBB240_193
; %bb.192:
	v_lshl_add_u64 v[0:1], v[38:39], 1, v[20:21]
	flat_load_ushort v0, v[0:1]
	s_waitcnt vmcnt(0) lgkmcnt(0)
	v_mul_f16_e32 v0, v44, v0
	s_branch .LBB240_194
.LBB240_193:
	v_mov_b32_e32 v0, 0
.LBB240_194:
	v_pk_max_f16 v1, v6, v6
	v_pk_max_f16 v2, v2, v2
	;; [unrolled: 1-line block ×3, first 2 shown]
	v_pk_min_f16 v1, v2, v1
	v_pk_max_f16 v2, v7, v7
	v_pk_add_f16 v1, v45, v1
	v_pk_min_f16 v2, v3, v2
	s_nop 0
	v_pk_add_f16 v1, v1, v2
	s_nop 0
	v_add_f16_sdwa v1, v1, v1 dst_sel:DWORD dst_unused:UNUSED_PAD src0_sel:DWORD src1_sel:WORD_1
	v_add_f16_e32 v2, v1, v0
	v_lshl_add_u64 v[0:1], v[38:39], 1, v[4:5]
	global_store_short v[0:1], v2, off
	s_endpgm
	.section	.rodata,"a",@progbits
	.p2align	6, 0x0
	.amdhsa_kernel _ZN12_GLOBAL__N_120geam_min_plus_kernelIDF16_Dv2_DF16_S1_Li8ELi32ELi64ELi128ELi4ELi4ELi64ELi4ELi64ELc84ELc78ELb0ELb1ELb0EPKDF16_KS3_KPDF16_EEviiiT16_PT17_ilS9_ilS7_S9_ilPT18_ili26rocblas_geam_ex_operation_
		.amdhsa_group_segment_fixed_size 3072
		.amdhsa_private_segment_fixed_size 0
		.amdhsa_kernarg_size 136
		.amdhsa_user_sgpr_count 2
		.amdhsa_user_sgpr_dispatch_ptr 0
		.amdhsa_user_sgpr_queue_ptr 0
		.amdhsa_user_sgpr_kernarg_segment_ptr 1
		.amdhsa_user_sgpr_dispatch_id 0
		.amdhsa_user_sgpr_kernarg_preload_length 0
		.amdhsa_user_sgpr_kernarg_preload_offset 0
		.amdhsa_user_sgpr_private_segment_size 0
		.amdhsa_uses_dynamic_stack 0
		.amdhsa_enable_private_segment 0
		.amdhsa_system_sgpr_workgroup_id_x 1
		.amdhsa_system_sgpr_workgroup_id_y 0
		.amdhsa_system_sgpr_workgroup_id_z 1
		.amdhsa_system_sgpr_workgroup_info 0
		.amdhsa_system_vgpr_workitem_id 1
		.amdhsa_next_free_vgpr 122
		.amdhsa_next_free_sgpr 36
		.amdhsa_accum_offset 124
		.amdhsa_reserve_vcc 1
		.amdhsa_float_round_mode_32 0
		.amdhsa_float_round_mode_16_64 0
		.amdhsa_float_denorm_mode_32 3
		.amdhsa_float_denorm_mode_16_64 3
		.amdhsa_dx10_clamp 1
		.amdhsa_ieee_mode 1
		.amdhsa_fp16_overflow 0
		.amdhsa_tg_split 0
		.amdhsa_exception_fp_ieee_invalid_op 0
		.amdhsa_exception_fp_denorm_src 0
		.amdhsa_exception_fp_ieee_div_zero 0
		.amdhsa_exception_fp_ieee_overflow 0
		.amdhsa_exception_fp_ieee_underflow 0
		.amdhsa_exception_fp_ieee_inexact 0
		.amdhsa_exception_int_div_zero 0
	.end_amdhsa_kernel
	.section	.text._ZN12_GLOBAL__N_120geam_min_plus_kernelIDF16_Dv2_DF16_S1_Li8ELi32ELi64ELi128ELi4ELi4ELi64ELi4ELi64ELc84ELc78ELb0ELb1ELb0EPKDF16_KS3_KPDF16_EEviiiT16_PT17_ilS9_ilS7_S9_ilPT18_ili26rocblas_geam_ex_operation_,"axG",@progbits,_ZN12_GLOBAL__N_120geam_min_plus_kernelIDF16_Dv2_DF16_S1_Li8ELi32ELi64ELi128ELi4ELi4ELi64ELi4ELi64ELc84ELc78ELb0ELb1ELb0EPKDF16_KS3_KPDF16_EEviiiT16_PT17_ilS9_ilS7_S9_ilPT18_ili26rocblas_geam_ex_operation_,comdat
.Lfunc_end240:
	.size	_ZN12_GLOBAL__N_120geam_min_plus_kernelIDF16_Dv2_DF16_S1_Li8ELi32ELi64ELi128ELi4ELi4ELi64ELi4ELi64ELc84ELc78ELb0ELb1ELb0EPKDF16_KS3_KPDF16_EEviiiT16_PT17_ilS9_ilS7_S9_ilPT18_ili26rocblas_geam_ex_operation_, .Lfunc_end240-_ZN12_GLOBAL__N_120geam_min_plus_kernelIDF16_Dv2_DF16_S1_Li8ELi32ELi64ELi128ELi4ELi4ELi64ELi4ELi64ELc84ELc78ELb0ELb1ELb0EPKDF16_KS3_KPDF16_EEviiiT16_PT17_ilS9_ilS7_S9_ilPT18_ili26rocblas_geam_ex_operation_
                                        ; -- End function
	.section	.AMDGPU.csdata,"",@progbits
; Kernel info:
; codeLenInByte = 11312
; NumSgprs: 42
; NumVgprs: 122
; NumAgprs: 0
; TotalNumVgprs: 122
; ScratchSize: 0
; MemoryBound: 0
; FloatMode: 240
; IeeeMode: 1
; LDSByteSize: 3072 bytes/workgroup (compile time only)
; SGPRBlocks: 5
; VGPRBlocks: 15
; NumSGPRsForWavesPerEU: 42
; NumVGPRsForWavesPerEU: 122
; AccumOffset: 124
; Occupancy: 4
; WaveLimiterHint : 1
; COMPUTE_PGM_RSRC2:SCRATCH_EN: 0
; COMPUTE_PGM_RSRC2:USER_SGPR: 2
; COMPUTE_PGM_RSRC2:TRAP_HANDLER: 0
; COMPUTE_PGM_RSRC2:TGID_X_EN: 1
; COMPUTE_PGM_RSRC2:TGID_Y_EN: 0
; COMPUTE_PGM_RSRC2:TGID_Z_EN: 1
; COMPUTE_PGM_RSRC2:TIDIG_COMP_CNT: 1
; COMPUTE_PGM_RSRC3_GFX90A:ACCUM_OFFSET: 30
; COMPUTE_PGM_RSRC3_GFX90A:TG_SPLIT: 0
	.section	.text._ZN12_GLOBAL__N_120geam_min_plus_kernelIDF16_Dv2_DF16_S1_Li8ELi32ELi64ELi128ELi4ELi4ELi64ELi4ELi64ELc84ELc78ELb1ELb1ELb0EDF16_KPKDF16_KPDF16_EEviiiT16_PT17_ilS9_ilS7_S9_ilPT18_ili26rocblas_geam_ex_operation_,"axG",@progbits,_ZN12_GLOBAL__N_120geam_min_plus_kernelIDF16_Dv2_DF16_S1_Li8ELi32ELi64ELi128ELi4ELi4ELi64ELi4ELi64ELc84ELc78ELb1ELb1ELb0EDF16_KPKDF16_KPDF16_EEviiiT16_PT17_ilS9_ilS7_S9_ilPT18_ili26rocblas_geam_ex_operation_,comdat
	.globl	_ZN12_GLOBAL__N_120geam_min_plus_kernelIDF16_Dv2_DF16_S1_Li8ELi32ELi64ELi128ELi4ELi4ELi64ELi4ELi64ELc84ELc78ELb1ELb1ELb0EDF16_KPKDF16_KPDF16_EEviiiT16_PT17_ilS9_ilS7_S9_ilPT18_ili26rocblas_geam_ex_operation_ ; -- Begin function _ZN12_GLOBAL__N_120geam_min_plus_kernelIDF16_Dv2_DF16_S1_Li8ELi32ELi64ELi128ELi4ELi4ELi64ELi4ELi64ELc84ELc78ELb1ELb1ELb0EDF16_KPKDF16_KPDF16_EEviiiT16_PT17_ilS9_ilS7_S9_ilPT18_ili26rocblas_geam_ex_operation_
	.p2align	8
	.type	_ZN12_GLOBAL__N_120geam_min_plus_kernelIDF16_Dv2_DF16_S1_Li8ELi32ELi64ELi128ELi4ELi4ELi64ELi4ELi64ELc84ELc78ELb1ELb1ELb0EDF16_KPKDF16_KPDF16_EEviiiT16_PT17_ilS9_ilS7_S9_ilPT18_ili26rocblas_geam_ex_operation_,@function
_ZN12_GLOBAL__N_120geam_min_plus_kernelIDF16_Dv2_DF16_S1_Li8ELi32ELi64ELi128ELi4ELi4ELi64ELi4ELi64ELc84ELc78ELb1ELb1ELb0EDF16_KPKDF16_KPDF16_EEviiiT16_PT17_ilS9_ilS7_S9_ilPT18_ili26rocblas_geam_ex_operation_: ; @_ZN12_GLOBAL__N_120geam_min_plus_kernelIDF16_Dv2_DF16_S1_Li8ELi32ELi64ELi128ELi4ELi4ELi64ELi4ELi64ELc84ELc78ELb1ELb1ELb0EDF16_KPKDF16_KPDF16_EEviiiT16_PT17_ilS9_ilS7_S9_ilPT18_ili26rocblas_geam_ex_operation_
; %bb.0:
	s_load_dwordx4 s[20:23], s[0:1], 0x0
	s_load_dwordx4 s[4:7], s[0:1], 0x20
	s_mov_b32 s8, s3
	s_mov_b32 s9, 0
	s_waitcnt lgkmcnt(0)
	v_cmp_eq_f16_e64 s[10:11], s23, 0
	s_and_b64 vcc, exec, s[10:11]
	s_cbranch_vccnz .LBB241_3
; %bb.1:
	s_load_dwordx2 s[12:13], s[0:1], 0x10
	s_lshl_b64 s[14:15], s[8:9], 3
	s_waitcnt lgkmcnt(0)
	s_add_u32 s12, s12, s14
	s_addc_u32 s13, s13, s15
	s_load_dwordx2 s[12:13], s[12:13], 0x0
	s_lshl_b64 s[4:5], s[4:5], 1
	s_waitcnt lgkmcnt(0)
	s_add_u32 s14, s12, s4
	s_addc_u32 s15, s13, s5
	s_andn2_b64 vcc, exec, s[10:11]
	s_cbranch_vccnz .LBB241_4
.LBB241_2:
	s_mov_b64 s[16:17], 0
	s_cbranch_execz .LBB241_5
	s_branch .LBB241_6
.LBB241_3:
	s_mov_b64 s[14:15], 0
	s_andn2_b64 vcc, exec, s[10:11]
	s_cbranch_vccz .LBB241_2
.LBB241_4:
                                        ; implicit-def: $sgpr16_sgpr17
.LBB241_5:
	s_lshl_b64 s[10:11], s[8:9], 3
	s_add_u32 s6, s6, s10
	s_load_dwordx2 s[4:5], s[0:1], 0x38
	s_addc_u32 s7, s7, s11
	s_load_dwordx2 s[6:7], s[6:7], 0x0
	s_waitcnt lgkmcnt(0)
	s_lshl_b64 s[4:5], s[4:5], 1
	s_add_u32 s16, s6, s4
	s_addc_u32 s17, s7, s5
.LBB241_6:
	s_load_dword s28, s[0:1], 0x40
	s_load_dwordx4 s[4:7], s[0:1], 0x58
	s_waitcnt lgkmcnt(0)
	v_cmp_eq_f16_e64 s[12:13], s28, 0
	v_cmp_neq_f16_e64 s[10:11], s28, 0
	s_and_b64 vcc, exec, s[12:13]
	s_cbranch_vccnz .LBB241_8
; %bb.7:
	s_load_dwordx2 s[12:13], s[0:1], 0x48
	s_lshl_b64 s[18:19], s[8:9], 3
	s_waitcnt lgkmcnt(0)
	s_add_u32 s12, s12, s18
	s_addc_u32 s13, s13, s19
	s_load_dwordx2 s[12:13], s[12:13], 0x0
	s_lshl_b64 s[4:5], s[4:5], 1
	s_waitcnt lgkmcnt(0)
	s_add_u32 s24, s12, s4
	s_addc_u32 s25, s13, s5
	s_branch .LBB241_9
.LBB241_8:
	s_mov_b64 s[24:25], 0
.LBB241_9:
	s_lshl_b64 s[4:5], s[8:9], 3
	s_add_u32 s4, s6, s4
	s_addc_u32 s5, s7, s5
	s_add_i32 s3, s20, -1
	s_ashr_i32 s6, s3, 31
	s_lshr_b32 s6, s6, 26
	s_add_i32 s3, s3, s6
	s_ashr_i32 s6, s3, 6
	s_add_i32 s7, s6, 1
	v_cvt_f32_u32_e32 v1, s7
	v_and_b32_e32 v40, 0x3ff, v0
	v_bfe_u32 v41, v0, 10, 10
	s_load_dwordx2 s[12:13], s[4:5], 0x0
	v_rcp_iflag_f32_e32 v1, v1
	s_not_b32 s4, s6
	s_load_dword s3, s[0:1], 0x18
	v_and_b32_e32 v24, 3, v40
	v_mul_f32_e32 v0, 0x4f7ffffe, v1
	v_cvt_u32_f32_e32 v0, v0
	v_lshl_add_u32 v1, v41, 3, v40
	v_lshrrev_b32_e32 v2, 2, v1
	v_lshlrev_b32_e32 v26, 1, v24
	v_readfirstlane_b32 s5, v0
	s_mul_i32 s4, s4, s5
	s_mul_hi_u32 s4, s5, s4
	s_add_i32 s5, s5, s4
	s_mul_hi_u32 s4, s2, s5
	s_mul_i32 s5, s4, s7
	s_sub_i32 s5, s2, s5
	s_add_i32 s6, s4, 1
	s_sub_i32 s8, s5, s7
	s_cmp_ge_u32 s5, s7
	s_cselect_b32 s4, s6, s4
	s_cselect_b32 s5, s8, s5
	s_add_i32 s6, s4, 1
	s_cmp_ge_u32 s5, s7
	s_cselect_b32 s8, s6, s4
	s_mul_i32 s23, s8, s7
	s_sub_i32 s4, s2, s23
	s_lshl_b32 s26, s4, 6
	v_add_u32_e32 v6, s26, v2
	v_cmp_le_i32_e64 s[6:7], s22, v24
	v_cmp_le_i32_e32 vcc, s20, v6
	s_or_b64 s[4:5], s[6:7], vcc
	s_xor_b64 s[4:5], s[4:5], -1
                                        ; implicit-def: $vgpr0_vgpr1
	s_and_saveexec_b64 s[18:19], s[4:5]
	s_xor_b64 s[4:5], exec, s[18:19]
	s_cbranch_execz .LBB241_11
; %bb.10:
	s_waitcnt lgkmcnt(0)
	v_mad_i64_i32 v[4:5], s[18:19], v6, s3, 0
	v_mov_b32_e32 v25, 0
	v_lshl_add_u64 v[4:5], v[4:5], 1, s[14:15]
	v_mov_b32_e32 v27, v25
	v_lshl_add_u64 v[4:5], v[4:5], 0, v[26:27]
	v_mov_b64_e32 v[0:1], v[24:25]
	flat_load_ushort v25, v[4:5]
.LBB241_11:
	s_andn2_saveexec_b64 s[4:5], s[4:5]
	s_cbranch_execz .LBB241_13
; %bb.12:
	s_waitcnt vmcnt(0) lgkmcnt(0)
	v_mov_b32_e32 v25, 0
	v_mov_b64_e32 v[0:1], v[24:25]
.LBB241_13:
	s_or_b64 exec, exec, s[4:5]
	s_load_dword s29, s[0:1], 0x30
	s_lshl_b32 s27, s8, 7
	v_add_u32_e32 v3, s27, v2
	v_cmp_le_i32_e64 s[8:9], s21, v3
	s_or_b64 s[4:5], s[6:7], s[8:9]
	v_lshl_add_u64 v[0:1], v[0:1], 1, s[16:17]
	s_xor_b64 s[18:19], s[4:5], -1
	v_mov_b32_e32 v8, 0
	v_mov_b32_e32 v9, 0
	s_and_saveexec_b64 s[4:5], s[18:19]
	s_cbranch_execz .LBB241_15
; %bb.14:
	s_waitcnt lgkmcnt(0)
	v_mad_i64_i32 v[4:5], s[18:19], v3, s29, 0
	v_lshl_add_u64 v[4:5], v[4:5], 1, v[0:1]
	flat_load_ushort v9, v[4:5]
.LBB241_15:
	s_or_b64 exec, exec, s[4:5]
	v_add_u32_e32 v4, 64, v3
	v_cmp_le_i32_e64 s[4:5], s21, v4
	s_or_b64 s[6:7], s[6:7], s[4:5]
	s_xor_b64 s[18:19], s[6:7], -1
	s_and_saveexec_b64 s[6:7], s[18:19]
	s_cbranch_execz .LBB241_17
; %bb.16:
	s_waitcnt lgkmcnt(0)
	v_mad_i64_i32 v[10:11], s[18:19], v4, s29, 0
	v_lshl_add_u64 v[0:1], v[10:11], 1, v[0:1]
	flat_load_ushort v8, v[0:1]
.LBB241_17:
	s_or_b64 exec, exec, s[6:7]
	v_or_b32_e32 v0, 4, v24
	v_cmp_le_i32_e64 s[6:7], s22, v0
	s_or_b64 s[18:19], s[6:7], vcc
	s_xor_b64 s[18:19], s[18:19], -1
                                        ; implicit-def: $vgpr5
	s_and_saveexec_b64 s[30:31], s[18:19]
	s_xor_b64 s[18:19], exec, s[30:31]
	s_cbranch_execz .LBB241_19
; %bb.18:
	s_waitcnt lgkmcnt(0)
	v_mad_i64_i32 v[6:7], s[30:31], v6, s3, 0
	v_mov_b32_e32 v1, 0
	v_lshl_add_u64 v[6:7], v[6:7], 1, s[14:15]
	v_mov_b32_e32 v27, v1
	v_lshl_add_u64 v[6:7], v[6:7], 0, v[26:27]
	flat_load_ushort v5, v[6:7] offset:8
.LBB241_19:
	s_andn2_saveexec_b64 s[18:19], s[18:19]
	s_cbranch_execz .LBB241_21
; %bb.20:
	v_mov_b32_e32 v1, 0
	s_waitcnt vmcnt(0) lgkmcnt(0)
	v_mov_b32_e32 v5, v1
.LBB241_21:
	s_or_b64 exec, exec, s[18:19]
	s_or_b64 s[18:19], s[6:7], s[8:9]
	v_lshl_add_u64 v[0:1], v[0:1], 1, s[16:17]
	s_xor_b64 s[30:31], s[18:19], -1
	v_mov_b32_e32 v6, 0
	v_mov_b32_e32 v7, 0
	s_and_saveexec_b64 s[18:19], s[30:31]
	s_cbranch_execz .LBB241_23
; %bb.22:
	s_waitcnt lgkmcnt(0)
	v_mad_i64_i32 v[10:11], s[30:31], v3, s29, 0
	v_lshl_add_u64 v[10:11], v[10:11], 1, v[0:1]
	flat_load_ushort v7, v[10:11]
.LBB241_23:
	s_or_b64 exec, exec, s[18:19]
	s_or_b64 s[6:7], s[6:7], s[4:5]
	s_xor_b64 s[18:19], s[6:7], -1
	s_and_saveexec_b64 s[6:7], s[18:19]
	s_cbranch_execz .LBB241_25
; %bb.24:
	s_waitcnt lgkmcnt(0)
	v_mad_i64_i32 v[10:11], s[18:19], v4, s29, 0
	v_lshl_add_u64 v[0:1], v[10:11], 1, v[0:1]
	flat_load_ushort v6, v[0:1]
.LBB241_25:
	s_or_b64 exec, exec, s[6:7]
	v_lshl_or_b32 v43, v2, 3, v26
	s_waitcnt vmcnt(0) lgkmcnt(0)
	ds_write_b16 v43, v25 offset:2048
	ds_write_b16 v43, v9
	ds_write_b16 v43, v8 offset:512
	v_lshlrev_b32_e32 v42, 3, v40
	v_lshlrev_b32_e32 v25, 3, v41
	s_waitcnt lgkmcnt(0)
	s_barrier
	ds_read2_b64 v[8:11], v25 offset1:32
	v_add_u32_e32 v69, 0x800, v42
	ds_read2_b64 v[12:15], v69 offset0:48 offset1:56
	ds_read2_b64 v[16:19], v25 offset0:64 offset1:96
	ds_read2_b64 v[20:23], v69 offset1:8
	ds_read2_b64 v[28:31], v69 offset0:16 offset1:24
	ds_read2_b64 v[32:35], v69 offset0:32 offset1:40
	s_waitcnt lgkmcnt(5)
	v_pk_max_f16 v0, v8, v8
	s_waitcnt lgkmcnt(4)
	v_pk_max_f16 v1, v14, v14
	v_pk_max_f16 v10, v10, v10
	v_pk_min_f16 v8, v1, v0
	s_waitcnt lgkmcnt(3)
	v_pk_max_f16 v14, v16, v16
	s_waitcnt lgkmcnt(2)
	v_pk_max_f16 v16, v20, v20
	v_pk_max_f16 v18, v18, v18
	v_pk_max_f16 v22, v22, v22
	s_waitcnt lgkmcnt(1)
	v_pk_max_f16 v28, v28, v28
	v_pk_max_f16 v30, v30, v30
	v_pk_max_f16 v9, v9, v9
	s_waitcnt lgkmcnt(0)
	v_pk_max_f16 v32, v32, v32
	v_pk_max_f16 v34, v34, v34
	v_pk_max_f16 v12, v12, v12
	v_pk_max_f16 v15, v15, v15
	v_pk_min_f16 v20, v16, v0
	v_pk_min_f16 v27, v16, v10
	;; [unrolled: 1-line block ×16, first 2 shown]
	v_pk_max_f16 v11, v11, v11
	v_pk_min_f16 v53, v32, v0
	v_pk_min_f16 v54, v32, v10
	;; [unrolled: 1-line block ×15, first 2 shown]
	v_pk_add_f16 v8, v8, 0
	v_pk_min_f16 v18, v15, v9
	v_pk_max_f16 v17, v17, v17
	v_pk_add_f16 v68, v8, v18
	v_pk_add_f16 v8, v50, 0
	v_pk_min_f16 v18, v15, v11
	v_pk_max_f16 v21, v21, v21
	v_pk_add_f16 v60, v8, v18
	;; [unrolled: 4-line block ×6, first 2 shown]
	v_pk_add_f16 v8, v16, 0
	v_pk_min_f16 v16, v21, v19
	v_pk_add_f16 v20, v49, 0
	v_pk_add_f16 v51, v8, v16
	v_pk_add_f16 v8, v37, 0
	v_pk_min_f16 v16, v23, v9
	v_pk_add_f16 v18, v48, 0
	v_pk_add_f16 v75, v8, v16
	;; [unrolled: 4-line block ×7, first 2 shown]
	v_pk_add_f16 v8, v46, 0
	v_pk_min_f16 v16, v29, v17
	v_pk_min_f16 v29, v29, v19
	v_pk_add_f16 v57, v8, v16
	v_pk_add_f16 v8, v28, 0
	;; [unrolled: 1-line block ×4, first 2 shown]
	v_pk_min_f16 v8, v31, v9
	v_pk_add_f16 v28, v32, 0
	v_pk_add_f16 v73, v16, v8
	v_pk_min_f16 v8, v31, v11
	v_pk_add_f16 v32, v61, 0
	v_pk_add_f16 v64, v18, v8
	;; [unrolled: 3-line block ×4, first 2 shown]
	v_pk_max_f16 v8, v33, v33
	v_pk_add_f16 v0, v0, 0
	v_pk_min_f16 v16, v8, v9
	v_pk_add_f16 v10, v10, 0
	v_pk_add_f16 v72, v22, v16
	v_pk_min_f16 v16, v8, v11
	v_pk_add_f16 v14, v14, 0
	v_pk_add_f16 v63, v23, v16
	v_pk_min_f16 v16, v8, v17
	v_pk_min_f16 v8, v8, v19
	v_pk_add_f16 v55, v27, v16
	v_pk_add_f16 v47, v28, v8
	v_pk_max_f16 v8, v35, v35
	v_pk_add_f16 v12, v12, 0
	v_pk_min_f16 v16, v8, v9
	v_pk_add_f16 v1, v1, 0
	v_pk_add_f16 v71, v30, v16
	v_pk_min_f16 v16, v8, v11
	s_mov_b32 s18, 0
	v_pk_add_f16 v62, v32, v16
	v_pk_min_f16 v16, v8, v17
	v_pk_min_f16 v8, v8, v19
	v_pk_add_f16 v54, v36, v16
	v_pk_add_f16 v46, v34, v8
	v_pk_max_f16 v8, v13, v13
	s_cmp_lt_i32 s22, 9
	v_pk_min_f16 v9, v8, v9
	ds_write_b16 v43, v5 offset:2560
	ds_write_b16 v43, v7 offset:1024
	;; [unrolled: 1-line block ×3, first 2 shown]
	v_pk_add_f16 v70, v0, v9
	v_pk_min_f16 v0, v8, v11
	s_waitcnt lgkmcnt(0)
	v_pk_add_f16 v61, v10, v0
	v_pk_min_f16 v0, v8, v17
	s_barrier
	v_pk_add_f16 v53, v14, v0
	v_pk_min_f16 v0, v8, v19
	s_nop 0
	v_pk_add_f16 v45, v12, v0
	v_pk_min_f16 v0, v15, v19
	s_nop 0
	v_pk_add_f16 v44, v1, v0
	s_cbranch_scc1 .LBB241_40
; %bb.26:
	v_mov_b32_e32 v0, 0xa00
	v_lshl_add_u32 v80, v40, 3, v0
	v_mov_b32_e32 v0, 0x400
	v_lshl_add_u32 v81, v41, 3, v0
	v_lshl_add_u32 v0, s2, 6, v2
	s_lshl_b32 s2, s23, 6
	v_subrev_u32_e32 v0, s2, v0
	v_mad_i64_i32 v[0:1], s[2:3], s3, v0, 0
	v_lshl_add_u64 v[28:29], v[0:1], 1, s[14:15]
	v_mad_i64_i32 v[0:1], s[2:3], s29, v3, 0
	v_lshl_add_u64 v[30:31], v[0:1], 1, s[16:17]
	v_mad_i64_i32 v[0:1], s[2:3], s29, v4, 0
	v_add_u32_e32 v77, 0x800, v43
	v_add_u32_e32 v78, 0xa00, v43
	;; [unrolled: 1-line block ×3, first 2 shown]
	s_add_i32 s19, s22, -8
	v_mov_b32_e32 v27, 0
	v_lshl_add_u64 v[32:33], v[0:1], 1, s[16:17]
	s_branch .LBB241_28
.LBB241_27:                             ;   in Loop: Header=BB241_28 Depth=1
	s_or_b64 exec, exec, s[2:3]
	v_pk_add_f16 v20, v60, v20
	v_pk_add_f16 v12, v52, v12
	;; [unrolled: 1-line block ×21, first 2 shown]
	ds_read2_b64 v[6:9], v69 offset0:48 offset1:56
	ds_read2_b64 v[10:13], v25 offset1:32
	v_pk_add_f16 v2, v68, v2
	v_pk_add_f16 v22, v67, v22
	;; [unrolled: 1-line block ×5, first 2 shown]
	s_waitcnt lgkmcnt(0)
	v_pk_max_f16 v8, v8, v8
	v_pk_max_f16 v10, v10, v10
	v_pk_add_f16 v16, v76, v16
	v_pk_add_f16 v51, v56, v88
	;; [unrolled: 1-line block ×10, first 2 shown]
	ds_read2_b64 v[2:5], v25 offset0:64 offset1:96
	v_pk_min_f16 v14, v8, v10
	v_pk_add_f16 v60, v16, v17
	v_pk_add_f16 v1, v45, v1
	;; [unrolled: 1-line block ×3, first 2 shown]
	ds_read2_b64 v[14:17], v69 offset1:8
	v_pk_max_f16 v12, v12, v12
	s_waitcnt lgkmcnt(0)
	v_pk_max_f16 v2, v2, v2
	v_pk_min_f16 v59, v8, v12
	v_pk_add_f16 v50, v64, v87
	v_pk_add_f16 v59, v20, v59
	v_pk_min_f16 v20, v8, v2
	v_pk_max_f16 v14, v14, v14
	v_pk_add_f16 v64, v21, v20
	v_pk_min_f16 v20, v14, v10
	v_pk_add_f16 v38, v65, v84
	v_pk_add_f16 v65, v60, v20
	v_pk_min_f16 v20, v14, v12
	v_pk_max_f16 v16, v16, v16
	v_pk_add_f16 v22, v22, v20
	v_pk_min_f16 v20, v14, v2
	v_pk_add_f16 v39, v57, v85
	v_pk_add_f16 v23, v23, v20
	v_pk_min_f16 v20, v16, v10
	v_pk_add_f16 v57, v70, v96
	v_pk_add_f16 v66, v18, v20
	v_pk_min_f16 v18, v16, v12
	v_pk_max_f16 v4, v4, v4
	v_pk_add_f16 v70, v19, v18
	ds_read2_b64 v[18:21], v69 offset0:16 offset1:24
	v_pk_min_f16 v14, v14, v4
	v_pk_add_f16 v38, v38, v105
	v_pk_add_f16 v14, v34, v14
	v_pk_min_f16 v34, v16, v2
	s_waitcnt lgkmcnt(0)
	v_pk_max_f16 v18, v18, v18
	v_pk_add_f16 v71, v35, v34
	v_pk_min_f16 v34, v18, v10
	v_pk_add_f16 v39, v39, v106
	v_pk_add_f16 v72, v37, v34
	v_pk_min_f16 v34, v18, v12
	v_pk_max_f16 v20, v20, v20
	v_pk_add_f16 v38, v38, v34
	v_pk_min_f16 v34, v18, v2
	v_pk_add_f16 v50, v50, v108
	v_pk_add_f16 v39, v39, v34
	v_pk_min_f16 v34, v20, v10
	v_pk_min_f16 v16, v16, v4
	v_pk_add_f16 v61, v61, v34
	v_pk_min_f16 v34, v20, v12
	v_pk_add_f16 v16, v36, v16
	v_pk_add_f16 v84, v50, v34
	ds_read2_b64 v[34:37], v69 offset0:32 offset1:40
	v_pk_add_f16 v49, v49, v86
	v_pk_add_f16 v48, v48, v89
	;; [unrolled: 1-line block ×3, first 2 shown]
	v_pk_min_f16 v18, v18, v4
	v_pk_add_f16 v48, v48, v110
	v_pk_add_f16 v18, v49, v18
	v_pk_min_f16 v49, v20, v2
	v_pk_min_f16 v20, v20, v4
	s_waitcnt lgkmcnt(0)
	v_pk_max_f16 v34, v34, v34
	v_pk_add_f16 v20, v48, v20
	v_pk_min_f16 v48, v34, v10
	v_pk_add_f16 v47, v47, v92
	v_pk_add_f16 v52, v52, v112
	;; [unrolled: 1-line block ×3, first 2 shown]
	v_pk_min_f16 v48, v34, v12
	v_pk_add_f16 v47, v47, v114
	v_pk_add_f16 v86, v52, v48
	v_pk_min_f16 v48, v34, v2
	v_pk_min_f16 v34, v34, v4
	v_pk_max_f16 v36, v36, v36
	v_pk_add_f16 v34, v47, v34
	v_pk_min_f16 v47, v36, v10
	v_pk_add_f16 v56, v56, v115
	v_pk_add_f16 v87, v63, v47
	v_pk_min_f16 v47, v36, v12
	v_pk_max_f16 v6, v6, v6
	v_pk_add_f16 v88, v56, v47
	v_pk_min_f16 v47, v36, v2
	v_pk_min_f16 v10, v6, v10
	;; [unrolled: 1-line block ×6, first 2 shown]
	v_pk_add_f16 v1, v1, v6
	v_pk_min_f16 v4, v8, v4
	v_pk_max_f16 v6, v9, v9
	v_pk_max_f16 v8, v11, v11
	;; [unrolled: 1-line block ×3, first 2 shown]
	v_pk_min_f16 v9, v6, v8
	v_pk_max_f16 v5, v5, v5
	v_pk_add_f16 v68, v45, v9
	v_pk_max_f16 v9, v13, v13
	v_pk_add_f16 v51, v51, v109
	v_pk_min_f16 v11, v6, v9
	v_pk_add_f16 v85, v51, v49
	v_pk_add_f16 v60, v59, v11
	v_pk_min_f16 v11, v6, v3
	v_pk_add_f16 v58, v58, v119
	v_pk_add_f16 v52, v64, v11
	v_pk_max_f16 v11, v15, v15
	v_pk_add_f16 v12, v58, v12
	v_pk_min_f16 v13, v11, v8
	v_pk_add_f16 v57, v57, v118
	v_pk_add_f16 v76, v65, v13
	v_pk_min_f16 v13, v11, v9
	v_pk_add_f16 v10, v57, v10
	v_pk_add_f16 v67, v22, v13
	v_pk_min_f16 v13, v11, v3
	v_pk_min_f16 v11, v11, v5
	v_pk_add_f16 v59, v23, v13
	v_pk_add_f16 v51, v14, v11
	v_pk_max_f16 v11, v17, v17
	v_pk_add_f16 v55, v55, v91
	v_pk_min_f16 v13, v11, v8
	v_pk_add_f16 v55, v55, v113
	v_pk_add_f16 v75, v66, v13
	v_pk_min_f16 v13, v11, v9
	v_pk_add_f16 v55, v55, v48
	v_pk_add_f16 v66, v70, v13
	v_pk_min_f16 v13, v11, v3
	v_pk_min_f16 v11, v11, v5
	v_pk_add_f16 v58, v71, v13
	v_pk_add_f16 v50, v16, v11
	v_pk_max_f16 v11, v19, v19
	v_pk_add_f16 v54, v54, v94
	v_pk_min_f16 v13, v11, v8
	v_pk_add_f16 v54, v54, v116
	v_pk_add_f16 v74, v72, v13
	v_pk_min_f16 v13, v11, v9
	v_pk_add_f16 v54, v54, v47
	v_pk_add_f16 v65, v38, v13
	v_pk_min_f16 v13, v11, v3
	v_pk_min_f16 v11, v11, v5
	v_pk_add_f16 v57, v39, v13
	v_pk_add_f16 v49, v18, v11
	v_pk_max_f16 v11, v21, v21
	v_pk_add_f16 v53, v53, v98
	v_pk_min_f16 v13, v11, v8
	v_pk_add_f16 v53, v53, v120
	v_pk_add_f16 v73, v61, v13
	v_pk_min_f16 v13, v11, v9
	v_pk_max_f16 v7, v7, v7
	v_pk_add_f16 v64, v84, v13
	v_pk_min_f16 v13, v11, v3
	v_pk_min_f16 v11, v11, v5
	v_pk_add_f16 v56, v85, v13
	v_pk_add_f16 v48, v20, v11
	v_pk_max_f16 v11, v35, v35
	v_pk_add_f16 v46, v46, v95
	v_pk_min_f16 v13, v11, v8
	v_pk_add_f16 v2, v53, v2
	v_pk_add_f16 v72, v62, v13
	v_pk_min_f16 v13, v11, v9
	v_pk_add_f16 v46, v46, v117
	v_pk_add_f16 v63, v86, v13
	v_pk_min_f16 v13, v11, v3
	v_pk_min_f16 v11, v11, v5
	v_pk_add_f16 v55, v55, v13
	v_pk_add_f16 v47, v34, v11
	v_pk_max_f16 v11, v37, v37
	v_pk_add_f16 v36, v46, v36
	v_pk_min_f16 v13, v11, v8
	v_pk_min_f16 v8, v7, v8
	v_pk_add_f16 v71, v87, v13
	v_pk_min_f16 v13, v11, v9
	v_pk_add_f16 v4, v44, v4
	v_pk_add_f16 v62, v88, v13
	v_pk_min_f16 v13, v11, v3
	v_pk_min_f16 v3, v7, v3
	;; [unrolled: 1-line block ×3, first 2 shown]
	v_pk_add_f16 v53, v2, v3
	v_pk_min_f16 v2, v7, v5
	v_pk_add_f16 v70, v10, v8
	v_pk_min_f16 v8, v7, v9
	v_pk_add_f16 v45, v1, v2
	v_pk_min_f16 v1, v6, v5
	s_add_i32 s18, s18, 8
	v_pk_add_f16 v54, v54, v13
	v_pk_add_f16 v46, v36, v11
	;; [unrolled: 1-line block ×4, first 2 shown]
	v_lshl_add_u64 v[28:29], v[28:29], 0, 16
	v_lshl_add_u64 v[30:31], v[30:31], 0, 16
	s_cmp_ge_i32 s18, s19
	v_lshl_add_u64 v[32:33], v[32:33], 0, 16
	s_waitcnt vmcnt(0)
	ds_write_b16 v78, v83
	ds_write_b16 v79, v82
	ds_write_b16 v79, v0 offset:512
	s_waitcnt lgkmcnt(0)
	s_barrier
	s_cbranch_scc1 .LBB241_40
.LBB241_28:                             ; =>This Inner Loop Header: Depth=1
	v_add_u32_e32 v82, s18, v24
	v_add_u32_e32 v0, 8, v82
	v_cmp_le_i32_e64 s[6:7], s22, v0
	s_or_b64 s[2:3], s[6:7], vcc
	s_xor_b64 s[14:15], s[2:3], -1
	v_lshl_add_u64 v[36:37], v[28:29], 0, v[26:27]
	v_mov_b32_e32 v83, 0
	s_and_saveexec_b64 s[2:3], s[14:15]
	s_cbranch_execz .LBB241_30
; %bb.29:                               ;   in Loop: Header=BB241_28 Depth=1
	flat_load_ushort v83, v[36:37] offset:16
.LBB241_30:                             ;   in Loop: Header=BB241_28 Depth=1
	s_or_b64 exec, exec, s[2:3]
	s_or_b64 s[2:3], s[8:9], s[6:7]
	s_xor_b64 s[14:15], s[2:3], -1
	v_mov_b32_e32 v84, 0
	v_lshl_add_u64 v[38:39], v[30:31], 0, v[26:27]
	v_mov_b32_e32 v85, 0
	s_and_saveexec_b64 s[2:3], s[14:15]
	s_cbranch_execz .LBB241_32
; %bb.31:                               ;   in Loop: Header=BB241_28 Depth=1
	flat_load_ushort v85, v[38:39] offset:16
.LBB241_32:                             ;   in Loop: Header=BB241_28 Depth=1
	s_or_b64 exec, exec, s[2:3]
	s_or_b64 s[2:3], s[4:5], s[6:7]
	s_xor_b64 s[6:7], s[2:3], -1
	v_lshl_add_u64 v[34:35], v[32:33], 0, v[26:27]
	s_and_saveexec_b64 s[2:3], s[6:7]
	s_cbranch_execz .LBB241_34
; %bb.33:                               ;   in Loop: Header=BB241_28 Depth=1
	flat_load_ushort v84, v[34:35] offset:16
.LBB241_34:                             ;   in Loop: Header=BB241_28 Depth=1
	s_or_b64 exec, exec, s[2:3]
	ds_read2_b64 v[0:3], v80 offset0:48 offset1:56
	ds_read2_b64 v[12:15], v81 offset0:64 offset1:96
	ds_read2_b64 v[20:23], v81 offset1:32
	ds_read2_b64 v[16:19], v80 offset1:8
	ds_read2_b64 v[8:11], v80 offset0:16 offset1:24
	ds_read2_b64 v[4:7], v80 offset0:32 offset1:40
	v_add_u32_e32 v82, 12, v82
	v_cmp_le_i32_e64 s[6:7], s22, v82
	s_or_b64 s[2:3], s[6:7], vcc
	s_waitcnt vmcnt(0) lgkmcnt(0)
	ds_write_b16 v77, v83
	ds_write_b16 v43, v85
	ds_write_b16 v43, v84 offset:512
	s_xor_b64 s[14:15], s[2:3], -1
	v_mov_b32_e32 v82, 0
	v_mov_b32_e32 v83, 0
	s_waitcnt lgkmcnt(0)
	s_barrier
	s_and_saveexec_b64 s[2:3], s[14:15]
	s_cbranch_execz .LBB241_36
; %bb.35:                               ;   in Loop: Header=BB241_28 Depth=1
	flat_load_ushort v83, v[36:37] offset:24
.LBB241_36:                             ;   in Loop: Header=BB241_28 Depth=1
	s_or_b64 exec, exec, s[2:3]
	s_or_b64 s[2:3], s[8:9], s[6:7]
	s_xor_b64 s[14:15], s[2:3], -1
	s_and_saveexec_b64 s[2:3], s[14:15]
	s_cbranch_execz .LBB241_38
; %bb.37:                               ;   in Loop: Header=BB241_28 Depth=1
	flat_load_ushort v82, v[38:39] offset:24
.LBB241_38:                             ;   in Loop: Header=BB241_28 Depth=1
	s_or_b64 exec, exec, s[2:3]
	v_pk_max_f16 v100, v2, v2
	v_pk_max_f16 v96, v20, v20
	;; [unrolled: 1-line block ×17, first 2 shown]
	v_pk_min_f16 v2, v100, v96
	v_pk_min_f16 v20, v100, v97
	;; [unrolled: 1-line block ×26, first 2 shown]
	v_pk_max_f16 v0, v3, v3
	v_pk_max_f16 v102, v17, v17
	;; [unrolled: 1-line block ×5, first 2 shown]
	v_pk_min_f16 v111, v5, v118
	v_pk_min_f16 v112, v5, v119
	;; [unrolled: 1-line block ×4, first 2 shown]
	v_pk_max_f16 v5, v7, v7
	v_pk_max_f16 v1, v1, v1
	s_or_b64 s[2:3], s[4:5], s[6:7]
	v_pk_min_f16 v39, v39, v101
	v_pk_min_f16 v86, v86, v101
	;; [unrolled: 1-line block ×34, first 2 shown]
	s_xor_b64 s[6:7], s[2:3], -1
	v_mov_b32_e32 v0, 0
	s_and_saveexec_b64 s[2:3], s[6:7]
	s_cbranch_execz .LBB241_27
; %bb.39:                               ;   in Loop: Header=BB241_28 Depth=1
	flat_load_ushort v0, v[34:35] offset:24
	s_branch .LBB241_27
.LBB241_40:
	s_load_dwordx2 s[2:3], s[0:1], 0x70
	s_load_dword s30, s[0:1], 0x50
	s_load_dword s29, s[0:1], 0x68
	v_add_u32_e32 v8, 0x800, v42
	ds_read2_b64 v[0:3], v8 offset0:112 offset1:120
	ds_read2_b64 v[4:7], v25 offset0:192 offset1:224
	;; [unrolled: 1-line block ×6, first 2 shown]
	s_waitcnt lgkmcnt(0)
	s_lshl_b64 s[0:1], s[2:3], 1
	s_add_u32 s22, s12, s0
	v_add_u32_e32 v69, s27, v41
	s_addc_u32 s23, s13, s1
	v_mad_i64_i32 v[26:27], s[0:1], v69, s30, 0
	v_add_u32_e32 v24, s26, v40
	v_lshl_add_u64 v[42:43], v[26:27], 1, s[24:25]
	v_mad_i64_i32 v[26:27], s[0:1], v69, s29, 0
	v_cmp_gt_i32_e64 s[18:19], s21, v69
	v_lshl_add_u64 v[40:41], v[26:27], 1, s[22:23]
	v_cmp_gt_i32_e64 s[2:3], s20, v24
	v_cndmask_b32_e64 v26, 0, 1, s[10:11]
	s_and_b64 s[6:7], s[2:3], s[18:19]
	v_ashrrev_i32_e32 v25, 31, v24
	v_cmp_ne_u32_e64 s[0:1], 1, v26
	s_and_saveexec_b64 s[4:5], s[6:7]
	s_cbranch_execz .LBB241_45
; %bb.41:
	s_and_b64 vcc, exec, s[0:1]
	s_cbranch_vccnz .LBB241_43
; %bb.42:
	v_lshl_add_u64 v[26:27], v[24:25], 1, v[42:43]
	flat_load_ushort v26, v[26:27]
	s_waitcnt vmcnt(0) lgkmcnt(0)
	v_mul_f16_e32 v26, s28, v26
	s_branch .LBB241_44
.LBB241_43:
	v_mov_b32_e32 v26, 0
.LBB241_44:
	v_pk_max_f16 v27, v20, v20
	v_pk_max_f16 v28, v16, v16
	v_pk_max_f16 v29, v17, v17
	v_pk_min_f16 v27, v28, v27
	v_pk_max_f16 v28, v21, v21
	v_pk_add_f16 v27, v76, v27
	v_pk_min_f16 v28, v29, v28
	s_nop 0
	v_pk_add_f16 v27, v27, v28
	s_nop 0
	v_add_f16_sdwa v27, v27, v27 dst_sel:DWORD dst_unused:UNUSED_PAD src0_sel:DWORD src1_sel:WORD_1
	v_add_f16_e32 v28, v27, v26
	v_lshl_add_u64 v[26:27], v[24:25], 1, v[40:41]
	global_store_short v[26:27], v28, off
.LBB241_45:
	s_or_b64 exec, exec, s[4:5]
	v_add_u32_e32 v26, 8, v24
	v_cmp_gt_i32_e64 s[4:5], s20, v26
	s_and_b64 s[8:9], s[4:5], s[18:19]
	v_ashrrev_i32_e32 v27, 31, v26
	s_and_saveexec_b64 s[6:7], s[8:9]
	s_cbranch_execz .LBB241_50
; %bb.46:
	s_and_b64 vcc, exec, s[0:1]
	s_cbranch_vccnz .LBB241_48
; %bb.47:
	v_lshl_add_u64 v[28:29], v[26:27], 1, v[42:43]
	flat_load_ushort v28, v[28:29]
	s_waitcnt vmcnt(0) lgkmcnt(0)
	v_mul_f16_e32 v28, s28, v28
	s_branch .LBB241_49
.LBB241_48:
	v_mov_b32_e32 v28, 0
.LBB241_49:
	v_pk_max_f16 v29, v20, v20
	v_pk_max_f16 v30, v18, v18
	v_pk_max_f16 v31, v19, v19
	v_pk_min_f16 v29, v30, v29
	v_pk_max_f16 v30, v21, v21
	v_pk_add_f16 v29, v75, v29
	v_pk_min_f16 v30, v31, v30
	s_nop 0
	v_pk_add_f16 v29, v29, v30
	s_nop 0
	v_add_f16_sdwa v29, v29, v29 dst_sel:DWORD dst_unused:UNUSED_PAD src0_sel:DWORD src1_sel:WORD_1
	v_add_f16_e32 v30, v29, v28
	v_lshl_add_u64 v[28:29], v[26:27], 1, v[40:41]
	global_store_short v[28:29], v30, off
.LBB241_50:
	s_or_b64 exec, exec, s[6:7]
	v_add_u32_e32 v28, 16, v24
	v_cmp_gt_i32_e64 s[6:7], s20, v28
	s_and_b64 s[10:11], s[6:7], s[18:19]
	v_ashrrev_i32_e32 v29, 31, v28
	;; [unrolled: 34-line block ×6, first 2 shown]
	s_and_saveexec_b64 s[16:17], s[26:27]
	s_cbranch_execz .LBB241_75
; %bb.71:
	s_and_b64 vcc, exec, s[0:1]
	s_cbranch_vccnz .LBB241_73
; %bb.72:
	v_lshl_add_u64 v[38:39], v[36:37], 1, v[42:43]
	flat_load_ushort v38, v[38:39]
	s_waitcnt vmcnt(0) lgkmcnt(0)
	v_mul_f16_e32 v38, s28, v38
	s_branch .LBB241_74
.LBB241_73:
	v_mov_b32_e32 v38, 0
.LBB241_74:
	v_pk_max_f16 v39, v20, v20
	v_pk_max_f16 v71, v0, v0
	s_nop 0
	v_pk_min_f16 v39, v71, v39
	v_pk_max_f16 v71, v1, v1
	v_pk_add_f16 v39, v70, v39
	v_pk_max_f16 v70, v21, v21
	s_nop 0
	v_pk_min_f16 v70, v71, v70
	s_nop 0
	v_pk_add_f16 v39, v39, v70
	s_nop 0
	v_add_f16_sdwa v39, v39, v39 dst_sel:DWORD dst_unused:UNUSED_PAD src0_sel:DWORD src1_sel:WORD_1
	v_add_f16_e32 v70, v39, v38
	v_lshl_add_u64 v[38:39], v[36:37], 1, v[40:41]
	global_store_short v[38:39], v70, off
.LBB241_75:
	s_or_b64 exec, exec, s[16:17]
	v_add_u32_e32 v38, 56, v24
	v_cmp_gt_i32_e64 s[16:17], s20, v38
	s_and_b64 s[26:27], s[16:17], s[18:19]
	v_ashrrev_i32_e32 v39, 31, v38
	s_and_saveexec_b64 s[18:19], s[26:27]
	s_cbranch_execz .LBB241_80
; %bb.76:
	s_and_b64 vcc, exec, s[0:1]
	s_cbranch_vccnz .LBB241_78
; %bb.77:
	v_lshl_add_u64 v[42:43], v[38:39], 1, v[42:43]
	flat_load_ushort v42, v[42:43]
	s_waitcnt vmcnt(0) lgkmcnt(0)
	v_mul_f16_e32 v42, s28, v42
	s_branch .LBB241_79
.LBB241_78:
	v_mov_b32_e32 v42, 0
.LBB241_79:
	v_pk_max_f16 v20, v20, v20
	v_pk_max_f16 v43, v2, v2
	;; [unrolled: 1-line block ×3, first 2 shown]
	v_pk_min_f16 v20, v43, v20
	v_pk_max_f16 v43, v3, v3
	v_pk_add_f16 v20, v68, v20
	v_pk_min_f16 v21, v43, v21
	s_nop 0
	v_pk_add_f16 v20, v20, v21
	s_nop 0
	v_add_f16_sdwa v20, v20, v20 dst_sel:DWORD dst_unused:UNUSED_PAD src0_sel:DWORD src1_sel:WORD_1
	v_add_f16_e32 v42, v20, v42
	v_lshl_add_u64 v[20:21], v[38:39], 1, v[40:41]
	global_store_short v[20:21], v42, off
.LBB241_80:
	s_or_b64 exec, exec, s[18:19]
	v_add_u32_e32 v42, 32, v69
	v_mad_i64_i32 v[20:21], s[26:27], v42, s30, 0
	v_cmp_gt_i32_e64 s[18:19], s21, v42
	v_lshl_add_u64 v[40:41], v[20:21], 1, s[24:25]
	v_mad_i64_i32 v[20:21], s[26:27], v42, s29, 0
	v_lshl_add_u64 v[20:21], v[20:21], 1, s[22:23]
	s_and_b64 s[34:35], s[2:3], s[18:19]
	s_and_saveexec_b64 s[26:27], s[34:35]
	s_cbranch_execnz .LBB241_88
; %bb.81:
	s_or_b64 exec, exec, s[26:27]
	s_and_b64 s[34:35], s[4:5], s[18:19]
	s_and_saveexec_b64 s[26:27], s[34:35]
	s_cbranch_execnz .LBB241_92
.LBB241_82:
	s_or_b64 exec, exec, s[26:27]
	s_and_b64 s[34:35], s[6:7], s[18:19]
	s_and_saveexec_b64 s[26:27], s[34:35]
	s_cbranch_execnz .LBB241_96
.LBB241_83:
	s_or_b64 exec, exec, s[26:27]
	s_and_b64 s[34:35], s[8:9], s[18:19]
	s_and_saveexec_b64 s[26:27], s[34:35]
	s_cbranch_execnz .LBB241_100
.LBB241_84:
	s_or_b64 exec, exec, s[26:27]
	s_and_b64 s[34:35], s[10:11], s[18:19]
	s_and_saveexec_b64 s[26:27], s[34:35]
	s_cbranch_execnz .LBB241_104
.LBB241_85:
	s_or_b64 exec, exec, s[26:27]
	s_and_b64 s[34:35], s[12:13], s[18:19]
	s_and_saveexec_b64 s[26:27], s[34:35]
	s_cbranch_execnz .LBB241_108
.LBB241_86:
	s_or_b64 exec, exec, s[26:27]
	s_and_b64 s[34:35], s[14:15], s[18:19]
	s_and_saveexec_b64 s[26:27], s[34:35]
	s_cbranch_execnz .LBB241_112
.LBB241_87:
	s_or_b64 exec, exec, s[26:27]
	s_and_b64 s[26:27], s[16:17], s[18:19]
	s_and_saveexec_b64 s[18:19], s[26:27]
	s_cbranch_execnz .LBB241_116
	s_branch .LBB241_120
.LBB241_88:
	s_and_b64 vcc, exec, s[0:1]
	s_cbranch_vccnz .LBB241_90
; %bb.89:
	v_lshl_add_u64 v[42:43], v[24:25], 1, v[40:41]
	flat_load_ushort v42, v[42:43]
	s_waitcnt vmcnt(0) lgkmcnt(0)
	v_mul_f16_e32 v42, s28, v42
	s_branch .LBB241_91
.LBB241_90:
	v_mov_b32_e32 v42, 0
.LBB241_91:
	v_pk_max_f16 v43, v22, v22
	v_pk_max_f16 v68, v16, v16
	s_nop 0
	v_pk_min_f16 v43, v68, v43
	v_pk_max_f16 v68, v17, v17
	v_pk_add_f16 v43, v67, v43
	v_pk_max_f16 v67, v23, v23
	s_nop 0
	v_pk_min_f16 v67, v68, v67
	s_nop 0
	v_pk_add_f16 v43, v43, v67
	s_nop 0
	v_add_f16_sdwa v43, v43, v43 dst_sel:DWORD dst_unused:UNUSED_PAD src0_sel:DWORD src1_sel:WORD_1
	v_add_f16_e32 v67, v43, v42
	v_lshl_add_u64 v[42:43], v[24:25], 1, v[20:21]
	global_store_short v[42:43], v67, off
	s_or_b64 exec, exec, s[26:27]
	s_and_b64 s[34:35], s[4:5], s[18:19]
	s_and_saveexec_b64 s[26:27], s[34:35]
	s_cbranch_execz .LBB241_82
.LBB241_92:
	s_and_b64 vcc, exec, s[0:1]
	s_cbranch_vccnz .LBB241_94
; %bb.93:
	v_lshl_add_u64 v[42:43], v[26:27], 1, v[40:41]
	flat_load_ushort v42, v[42:43]
	s_waitcnt vmcnt(0) lgkmcnt(0)
	v_mul_f16_e32 v42, s28, v42
	s_branch .LBB241_95
.LBB241_94:
	v_mov_b32_e32 v42, 0
.LBB241_95:
	v_pk_max_f16 v43, v22, v22
	v_pk_max_f16 v67, v18, v18
	s_nop 0
	v_pk_min_f16 v43, v67, v43
	v_pk_max_f16 v67, v19, v19
	v_pk_add_f16 v43, v66, v43
	v_pk_max_f16 v66, v23, v23
	s_nop 0
	v_pk_min_f16 v66, v67, v66
	s_nop 0
	v_pk_add_f16 v43, v43, v66
	s_nop 0
	v_add_f16_sdwa v43, v43, v43 dst_sel:DWORD dst_unused:UNUSED_PAD src0_sel:DWORD src1_sel:WORD_1
	v_add_f16_e32 v66, v43, v42
	v_lshl_add_u64 v[42:43], v[26:27], 1, v[20:21]
	global_store_short v[42:43], v66, off
	s_or_b64 exec, exec, s[26:27]
	s_and_b64 s[34:35], s[6:7], s[18:19]
	s_and_saveexec_b64 s[26:27], s[34:35]
	s_cbranch_execz .LBB241_83
.LBB241_96:
	s_and_b64 vcc, exec, s[0:1]
	s_cbranch_vccnz .LBB241_98
; %bb.97:
	v_lshl_add_u64 v[42:43], v[28:29], 1, v[40:41]
	flat_load_ushort v42, v[42:43]
	s_waitcnt vmcnt(0) lgkmcnt(0)
	v_mul_f16_e32 v42, s28, v42
	s_branch .LBB241_99
.LBB241_98:
	v_mov_b32_e32 v42, 0
.LBB241_99:
	v_pk_max_f16 v43, v22, v22
	v_pk_max_f16 v66, v12, v12
	s_nop 0
	v_pk_min_f16 v43, v66, v43
	v_pk_max_f16 v66, v13, v13
	v_pk_add_f16 v43, v65, v43
	v_pk_max_f16 v65, v23, v23
	s_nop 0
	v_pk_min_f16 v65, v66, v65
	s_nop 0
	v_pk_add_f16 v43, v43, v65
	s_nop 0
	v_add_f16_sdwa v43, v43, v43 dst_sel:DWORD dst_unused:UNUSED_PAD src0_sel:DWORD src1_sel:WORD_1
	v_add_f16_e32 v65, v43, v42
	v_lshl_add_u64 v[42:43], v[28:29], 1, v[20:21]
	global_store_short v[42:43], v65, off
	s_or_b64 exec, exec, s[26:27]
	s_and_b64 s[34:35], s[8:9], s[18:19]
	s_and_saveexec_b64 s[26:27], s[34:35]
	s_cbranch_execz .LBB241_84
.LBB241_100:
	s_and_b64 vcc, exec, s[0:1]
	s_cbranch_vccnz .LBB241_102
; %bb.101:
	v_lshl_add_u64 v[42:43], v[30:31], 1, v[40:41]
	flat_load_ushort v42, v[42:43]
	s_waitcnt vmcnt(0) lgkmcnt(0)
	v_mul_f16_e32 v42, s28, v42
	s_branch .LBB241_103
.LBB241_102:
	v_mov_b32_e32 v42, 0
.LBB241_103:
	v_pk_max_f16 v43, v22, v22
	v_pk_max_f16 v65, v14, v14
	s_nop 0
	v_pk_min_f16 v43, v65, v43
	v_pk_max_f16 v65, v15, v15
	v_pk_add_f16 v43, v64, v43
	v_pk_max_f16 v64, v23, v23
	s_nop 0
	v_pk_min_f16 v64, v65, v64
	s_nop 0
	v_pk_add_f16 v43, v43, v64
	s_nop 0
	v_add_f16_sdwa v43, v43, v43 dst_sel:DWORD dst_unused:UNUSED_PAD src0_sel:DWORD src1_sel:WORD_1
	v_add_f16_e32 v64, v43, v42
	v_lshl_add_u64 v[42:43], v[30:31], 1, v[20:21]
	global_store_short v[42:43], v64, off
	s_or_b64 exec, exec, s[26:27]
	s_and_b64 s[34:35], s[10:11], s[18:19]
	s_and_saveexec_b64 s[26:27], s[34:35]
	s_cbranch_execz .LBB241_85
.LBB241_104:
	s_and_b64 vcc, exec, s[0:1]
	s_cbranch_vccnz .LBB241_106
; %bb.105:
	v_lshl_add_u64 v[42:43], v[32:33], 1, v[40:41]
	flat_load_ushort v42, v[42:43]
	s_waitcnt vmcnt(0) lgkmcnt(0)
	v_mul_f16_e32 v42, s28, v42
	s_branch .LBB241_107
.LBB241_106:
	v_mov_b32_e32 v42, 0
.LBB241_107:
	v_pk_max_f16 v43, v22, v22
	v_pk_max_f16 v64, v8, v8
	s_nop 0
	v_pk_min_f16 v43, v64, v43
	v_pk_max_f16 v64, v9, v9
	v_pk_add_f16 v43, v63, v43
	v_pk_max_f16 v63, v23, v23
	s_nop 0
	v_pk_min_f16 v63, v64, v63
	s_nop 0
	v_pk_add_f16 v43, v43, v63
	s_nop 0
	v_add_f16_sdwa v43, v43, v43 dst_sel:DWORD dst_unused:UNUSED_PAD src0_sel:DWORD src1_sel:WORD_1
	v_add_f16_e32 v63, v43, v42
	v_lshl_add_u64 v[42:43], v[32:33], 1, v[20:21]
	global_store_short v[42:43], v63, off
	s_or_b64 exec, exec, s[26:27]
	s_and_b64 s[34:35], s[12:13], s[18:19]
	s_and_saveexec_b64 s[26:27], s[34:35]
	s_cbranch_execz .LBB241_86
.LBB241_108:
	s_and_b64 vcc, exec, s[0:1]
	s_cbranch_vccnz .LBB241_110
; %bb.109:
	v_lshl_add_u64 v[42:43], v[34:35], 1, v[40:41]
	flat_load_ushort v42, v[42:43]
	s_waitcnt vmcnt(0) lgkmcnt(0)
	v_mul_f16_e32 v42, s28, v42
	s_branch .LBB241_111
.LBB241_110:
	v_mov_b32_e32 v42, 0
.LBB241_111:
	v_pk_max_f16 v43, v22, v22
	v_pk_max_f16 v63, v10, v10
	s_nop 0
	v_pk_min_f16 v43, v63, v43
	v_pk_max_f16 v63, v11, v11
	v_pk_add_f16 v43, v62, v43
	v_pk_max_f16 v62, v23, v23
	s_nop 0
	v_pk_min_f16 v62, v63, v62
	s_nop 0
	v_pk_add_f16 v43, v43, v62
	s_nop 0
	v_add_f16_sdwa v43, v43, v43 dst_sel:DWORD dst_unused:UNUSED_PAD src0_sel:DWORD src1_sel:WORD_1
	v_add_f16_e32 v62, v43, v42
	v_lshl_add_u64 v[42:43], v[34:35], 1, v[20:21]
	global_store_short v[42:43], v62, off
	s_or_b64 exec, exec, s[26:27]
	s_and_b64 s[34:35], s[14:15], s[18:19]
	s_and_saveexec_b64 s[26:27], s[34:35]
	s_cbranch_execz .LBB241_87
.LBB241_112:
	s_and_b64 vcc, exec, s[0:1]
	s_cbranch_vccnz .LBB241_114
; %bb.113:
	v_lshl_add_u64 v[42:43], v[36:37], 1, v[40:41]
	flat_load_ushort v42, v[42:43]
	s_waitcnt vmcnt(0) lgkmcnt(0)
	v_mul_f16_e32 v42, s28, v42
	s_branch .LBB241_115
.LBB241_114:
	v_mov_b32_e32 v42, 0
.LBB241_115:
	v_pk_max_f16 v43, v22, v22
	v_pk_max_f16 v62, v0, v0
	s_nop 0
	v_pk_min_f16 v43, v62, v43
	v_pk_max_f16 v62, v1, v1
	v_pk_add_f16 v43, v61, v43
	v_pk_max_f16 v61, v23, v23
	s_nop 0
	v_pk_min_f16 v61, v62, v61
	s_nop 0
	v_pk_add_f16 v43, v43, v61
	s_nop 0
	v_add_f16_sdwa v43, v43, v43 dst_sel:DWORD dst_unused:UNUSED_PAD src0_sel:DWORD src1_sel:WORD_1
	v_add_f16_e32 v61, v43, v42
	v_lshl_add_u64 v[42:43], v[36:37], 1, v[20:21]
	global_store_short v[42:43], v61, off
	s_or_b64 exec, exec, s[26:27]
	s_and_b64 s[26:27], s[16:17], s[18:19]
	s_and_saveexec_b64 s[18:19], s[26:27]
	s_cbranch_execz .LBB241_120
.LBB241_116:
	s_and_b64 vcc, exec, s[0:1]
	s_cbranch_vccnz .LBB241_118
; %bb.117:
	v_lshl_add_u64 v[40:41], v[38:39], 1, v[40:41]
	flat_load_ushort v40, v[40:41]
	s_waitcnt vmcnt(0) lgkmcnt(0)
	v_mul_f16_e32 v40, s28, v40
	s_branch .LBB241_119
.LBB241_118:
	v_mov_b32_e32 v40, 0
.LBB241_119:
	v_pk_max_f16 v22, v22, v22
	v_pk_max_f16 v41, v2, v2
	;; [unrolled: 1-line block ×3, first 2 shown]
	v_pk_min_f16 v22, v41, v22
	v_pk_max_f16 v41, v3, v3
	v_pk_add_f16 v22, v60, v22
	v_pk_min_f16 v23, v41, v23
	v_lshl_add_u64 v[20:21], v[38:39], 1, v[20:21]
	v_pk_add_f16 v22, v22, v23
	s_nop 0
	v_add_f16_sdwa v22, v22, v22 dst_sel:DWORD dst_unused:UNUSED_PAD src0_sel:DWORD src1_sel:WORD_1
	v_add_f16_e32 v22, v22, v40
	global_store_short v[20:21], v22, off
.LBB241_120:
	s_or_b64 exec, exec, s[18:19]
	v_add_u32_e32 v40, 64, v69
	v_mad_i64_i32 v[20:21], s[26:27], v40, s30, 0
	v_cmp_gt_i32_e64 s[18:19], s21, v40
	v_lshl_add_u64 v[22:23], v[20:21], 1, s[24:25]
	v_mad_i64_i32 v[20:21], s[26:27], v40, s29, 0
	v_lshl_add_u64 v[20:21], v[20:21], 1, s[22:23]
	s_and_b64 s[34:35], s[2:3], s[18:19]
	s_and_saveexec_b64 s[26:27], s[34:35]
	s_cbranch_execnz .LBB241_128
; %bb.121:
	s_or_b64 exec, exec, s[26:27]
	s_and_b64 s[34:35], s[4:5], s[18:19]
	s_and_saveexec_b64 s[26:27], s[34:35]
	s_cbranch_execnz .LBB241_132
.LBB241_122:
	s_or_b64 exec, exec, s[26:27]
	s_and_b64 s[34:35], s[6:7], s[18:19]
	s_and_saveexec_b64 s[26:27], s[34:35]
	s_cbranch_execnz .LBB241_136
.LBB241_123:
	s_or_b64 exec, exec, s[26:27]
	s_and_b64 s[34:35], s[8:9], s[18:19]
	s_and_saveexec_b64 s[26:27], s[34:35]
	s_cbranch_execnz .LBB241_140
.LBB241_124:
	s_or_b64 exec, exec, s[26:27]
	s_and_b64 s[34:35], s[10:11], s[18:19]
	s_and_saveexec_b64 s[26:27], s[34:35]
	s_cbranch_execnz .LBB241_144
.LBB241_125:
	s_or_b64 exec, exec, s[26:27]
	s_and_b64 s[34:35], s[12:13], s[18:19]
	s_and_saveexec_b64 s[26:27], s[34:35]
	s_cbranch_execnz .LBB241_148
.LBB241_126:
	s_or_b64 exec, exec, s[26:27]
	s_and_b64 s[34:35], s[14:15], s[18:19]
	s_and_saveexec_b64 s[26:27], s[34:35]
	s_cbranch_execnz .LBB241_152
.LBB241_127:
	s_or_b64 exec, exec, s[26:27]
	s_and_b64 s[26:27], s[16:17], s[18:19]
	s_and_saveexec_b64 s[18:19], s[26:27]
	s_cbranch_execnz .LBB241_156
	s_branch .LBB241_160
.LBB241_128:
	s_and_b64 vcc, exec, s[0:1]
	s_cbranch_vccnz .LBB241_130
; %bb.129:
	v_lshl_add_u64 v[40:41], v[24:25], 1, v[22:23]
	flat_load_ushort v40, v[40:41]
	s_waitcnt vmcnt(0) lgkmcnt(0)
	v_mul_f16_e32 v40, s28, v40
	s_branch .LBB241_131
.LBB241_130:
	v_mov_b32_e32 v40, 0
.LBB241_131:
	v_pk_max_f16 v41, v4, v4
	v_pk_max_f16 v42, v16, v16
	;; [unrolled: 1-line block ×3, first 2 shown]
	v_pk_min_f16 v41, v42, v41
	v_pk_max_f16 v42, v5, v5
	v_pk_add_f16 v41, v59, v41
	v_pk_min_f16 v42, v43, v42
	s_nop 0
	v_pk_add_f16 v41, v41, v42
	s_nop 0
	v_add_f16_sdwa v41, v41, v41 dst_sel:DWORD dst_unused:UNUSED_PAD src0_sel:DWORD src1_sel:WORD_1
	v_add_f16_e32 v42, v41, v40
	v_lshl_add_u64 v[40:41], v[24:25], 1, v[20:21]
	global_store_short v[40:41], v42, off
	s_or_b64 exec, exec, s[26:27]
	s_and_b64 s[34:35], s[4:5], s[18:19]
	s_and_saveexec_b64 s[26:27], s[34:35]
	s_cbranch_execz .LBB241_122
.LBB241_132:
	s_and_b64 vcc, exec, s[0:1]
	s_cbranch_vccnz .LBB241_134
; %bb.133:
	v_lshl_add_u64 v[40:41], v[26:27], 1, v[22:23]
	flat_load_ushort v40, v[40:41]
	s_waitcnt vmcnt(0) lgkmcnt(0)
	v_mul_f16_e32 v40, s28, v40
	s_branch .LBB241_135
.LBB241_134:
	v_mov_b32_e32 v40, 0
.LBB241_135:
	v_pk_max_f16 v41, v4, v4
	v_pk_max_f16 v42, v18, v18
	v_pk_max_f16 v43, v19, v19
	v_pk_min_f16 v41, v42, v41
	v_pk_max_f16 v42, v5, v5
	v_pk_add_f16 v41, v58, v41
	v_pk_min_f16 v42, v43, v42
	s_nop 0
	v_pk_add_f16 v41, v41, v42
	s_nop 0
	v_add_f16_sdwa v41, v41, v41 dst_sel:DWORD dst_unused:UNUSED_PAD src0_sel:DWORD src1_sel:WORD_1
	v_add_f16_e32 v42, v41, v40
	v_lshl_add_u64 v[40:41], v[26:27], 1, v[20:21]
	global_store_short v[40:41], v42, off
	s_or_b64 exec, exec, s[26:27]
	s_and_b64 s[34:35], s[6:7], s[18:19]
	s_and_saveexec_b64 s[26:27], s[34:35]
	s_cbranch_execz .LBB241_123
.LBB241_136:
	s_and_b64 vcc, exec, s[0:1]
	s_cbranch_vccnz .LBB241_138
; %bb.137:
	v_lshl_add_u64 v[40:41], v[28:29], 1, v[22:23]
	flat_load_ushort v40, v[40:41]
	s_waitcnt vmcnt(0) lgkmcnt(0)
	v_mul_f16_e32 v40, s28, v40
	s_branch .LBB241_139
.LBB241_138:
	v_mov_b32_e32 v40, 0
.LBB241_139:
	v_pk_max_f16 v41, v4, v4
	v_pk_max_f16 v42, v12, v12
	;; [unrolled: 1-line block ×3, first 2 shown]
	v_pk_min_f16 v41, v42, v41
	v_pk_max_f16 v42, v5, v5
	v_pk_add_f16 v41, v57, v41
	v_pk_min_f16 v42, v43, v42
	s_nop 0
	v_pk_add_f16 v41, v41, v42
	s_nop 0
	v_add_f16_sdwa v41, v41, v41 dst_sel:DWORD dst_unused:UNUSED_PAD src0_sel:DWORD src1_sel:WORD_1
	v_add_f16_e32 v42, v41, v40
	v_lshl_add_u64 v[40:41], v[28:29], 1, v[20:21]
	global_store_short v[40:41], v42, off
	s_or_b64 exec, exec, s[26:27]
	s_and_b64 s[34:35], s[8:9], s[18:19]
	s_and_saveexec_b64 s[26:27], s[34:35]
	s_cbranch_execz .LBB241_124
.LBB241_140:
	s_and_b64 vcc, exec, s[0:1]
	s_cbranch_vccnz .LBB241_142
; %bb.141:
	v_lshl_add_u64 v[40:41], v[30:31], 1, v[22:23]
	flat_load_ushort v40, v[40:41]
	s_waitcnt vmcnt(0) lgkmcnt(0)
	v_mul_f16_e32 v40, s28, v40
	s_branch .LBB241_143
.LBB241_142:
	v_mov_b32_e32 v40, 0
.LBB241_143:
	v_pk_max_f16 v41, v4, v4
	v_pk_max_f16 v42, v14, v14
	v_pk_max_f16 v43, v15, v15
	v_pk_min_f16 v41, v42, v41
	v_pk_max_f16 v42, v5, v5
	v_pk_add_f16 v41, v56, v41
	v_pk_min_f16 v42, v43, v42
	s_nop 0
	v_pk_add_f16 v41, v41, v42
	s_nop 0
	v_add_f16_sdwa v41, v41, v41 dst_sel:DWORD dst_unused:UNUSED_PAD src0_sel:DWORD src1_sel:WORD_1
	v_add_f16_e32 v42, v41, v40
	v_lshl_add_u64 v[40:41], v[30:31], 1, v[20:21]
	global_store_short v[40:41], v42, off
	s_or_b64 exec, exec, s[26:27]
	s_and_b64 s[34:35], s[10:11], s[18:19]
	s_and_saveexec_b64 s[26:27], s[34:35]
	s_cbranch_execz .LBB241_125
.LBB241_144:
	s_and_b64 vcc, exec, s[0:1]
	s_cbranch_vccnz .LBB241_146
; %bb.145:
	v_lshl_add_u64 v[40:41], v[32:33], 1, v[22:23]
	flat_load_ushort v40, v[40:41]
	s_waitcnt vmcnt(0) lgkmcnt(0)
	v_mul_f16_e32 v40, s28, v40
	s_branch .LBB241_147
.LBB241_146:
	v_mov_b32_e32 v40, 0
.LBB241_147:
	v_pk_max_f16 v41, v4, v4
	v_pk_max_f16 v42, v8, v8
	;; [unrolled: 1-line block ×3, first 2 shown]
	v_pk_min_f16 v41, v42, v41
	v_pk_max_f16 v42, v5, v5
	v_pk_add_f16 v41, v55, v41
	v_pk_min_f16 v42, v43, v42
	s_nop 0
	v_pk_add_f16 v41, v41, v42
	s_nop 0
	v_add_f16_sdwa v41, v41, v41 dst_sel:DWORD dst_unused:UNUSED_PAD src0_sel:DWORD src1_sel:WORD_1
	v_add_f16_e32 v42, v41, v40
	v_lshl_add_u64 v[40:41], v[32:33], 1, v[20:21]
	global_store_short v[40:41], v42, off
	s_or_b64 exec, exec, s[26:27]
	s_and_b64 s[34:35], s[12:13], s[18:19]
	s_and_saveexec_b64 s[26:27], s[34:35]
	s_cbranch_execz .LBB241_126
.LBB241_148:
	s_and_b64 vcc, exec, s[0:1]
	s_cbranch_vccnz .LBB241_150
; %bb.149:
	v_lshl_add_u64 v[40:41], v[34:35], 1, v[22:23]
	flat_load_ushort v40, v[40:41]
	s_waitcnt vmcnt(0) lgkmcnt(0)
	v_mul_f16_e32 v40, s28, v40
	s_branch .LBB241_151
.LBB241_150:
	v_mov_b32_e32 v40, 0
.LBB241_151:
	v_pk_max_f16 v41, v4, v4
	v_pk_max_f16 v42, v10, v10
	;; [unrolled: 1-line block ×3, first 2 shown]
	v_pk_min_f16 v41, v42, v41
	v_pk_max_f16 v42, v5, v5
	v_pk_add_f16 v41, v54, v41
	v_pk_min_f16 v42, v43, v42
	s_nop 0
	v_pk_add_f16 v41, v41, v42
	s_nop 0
	v_add_f16_sdwa v41, v41, v41 dst_sel:DWORD dst_unused:UNUSED_PAD src0_sel:DWORD src1_sel:WORD_1
	v_add_f16_e32 v42, v41, v40
	v_lshl_add_u64 v[40:41], v[34:35], 1, v[20:21]
	global_store_short v[40:41], v42, off
	s_or_b64 exec, exec, s[26:27]
	s_and_b64 s[34:35], s[14:15], s[18:19]
	s_and_saveexec_b64 s[26:27], s[34:35]
	s_cbranch_execz .LBB241_127
.LBB241_152:
	s_and_b64 vcc, exec, s[0:1]
	s_cbranch_vccnz .LBB241_154
; %bb.153:
	v_lshl_add_u64 v[40:41], v[36:37], 1, v[22:23]
	flat_load_ushort v40, v[40:41]
	s_waitcnt vmcnt(0) lgkmcnt(0)
	v_mul_f16_e32 v40, s28, v40
	s_branch .LBB241_155
.LBB241_154:
	v_mov_b32_e32 v40, 0
.LBB241_155:
	v_pk_max_f16 v41, v4, v4
	v_pk_max_f16 v42, v0, v0
	;; [unrolled: 1-line block ×3, first 2 shown]
	v_pk_min_f16 v41, v42, v41
	v_pk_max_f16 v42, v5, v5
	v_pk_add_f16 v41, v53, v41
	v_pk_min_f16 v42, v43, v42
	s_nop 0
	v_pk_add_f16 v41, v41, v42
	s_nop 0
	v_add_f16_sdwa v41, v41, v41 dst_sel:DWORD dst_unused:UNUSED_PAD src0_sel:DWORD src1_sel:WORD_1
	v_add_f16_e32 v42, v41, v40
	v_lshl_add_u64 v[40:41], v[36:37], 1, v[20:21]
	global_store_short v[40:41], v42, off
	s_or_b64 exec, exec, s[26:27]
	s_and_b64 s[26:27], s[16:17], s[18:19]
	s_and_saveexec_b64 s[18:19], s[26:27]
	s_cbranch_execz .LBB241_160
.LBB241_156:
	s_and_b64 vcc, exec, s[0:1]
	s_cbranch_vccnz .LBB241_158
; %bb.157:
	v_lshl_add_u64 v[22:23], v[38:39], 1, v[22:23]
	flat_load_ushort v22, v[22:23]
	s_waitcnt vmcnt(0) lgkmcnt(0)
	v_mul_f16_e32 v22, s28, v22
	s_branch .LBB241_159
.LBB241_158:
	v_mov_b32_e32 v22, 0
.LBB241_159:
	v_pk_max_f16 v4, v4, v4
	v_pk_max_f16 v23, v2, v2
	;; [unrolled: 1-line block ×3, first 2 shown]
	v_pk_min_f16 v4, v23, v4
	v_pk_max_f16 v23, v3, v3
	v_pk_add_f16 v4, v52, v4
	v_pk_min_f16 v5, v23, v5
	s_nop 0
	v_pk_add_f16 v4, v4, v5
	s_nop 0
	v_add_f16_sdwa v4, v4, v4 dst_sel:DWORD dst_unused:UNUSED_PAD src0_sel:DWORD src1_sel:WORD_1
	v_add_f16_e32 v22, v4, v22
	v_lshl_add_u64 v[4:5], v[38:39], 1, v[20:21]
	global_store_short v[4:5], v22, off
.LBB241_160:
	s_or_b64 exec, exec, s[18:19]
	v_add_u32_e32 v22, 0x60, v69
	v_cmp_gt_i32_e64 s[18:19], s21, v22
	v_mad_i64_i32 v[4:5], s[20:21], v22, s30, 0
	v_lshl_add_u64 v[20:21], v[4:5], 1, s[24:25]
	v_mad_i64_i32 v[4:5], s[20:21], v22, s29, 0
	v_lshl_add_u64 v[4:5], v[4:5], 1, s[22:23]
	s_and_b64 s[20:21], s[2:3], s[18:19]
	s_and_saveexec_b64 s[2:3], s[20:21]
	s_cbranch_execnz .LBB241_169
; %bb.161:
	s_or_b64 exec, exec, s[2:3]
	s_and_b64 s[4:5], s[4:5], s[18:19]
	s_and_saveexec_b64 s[2:3], s[4:5]
	s_cbranch_execnz .LBB241_173
.LBB241_162:
	s_or_b64 exec, exec, s[2:3]
	s_and_b64 s[4:5], s[6:7], s[18:19]
	s_and_saveexec_b64 s[2:3], s[4:5]
	s_cbranch_execnz .LBB241_177
.LBB241_163:
	s_or_b64 exec, exec, s[2:3]
	s_and_b64 s[4:5], s[8:9], s[18:19]
	s_and_saveexec_b64 s[2:3], s[4:5]
	s_cbranch_execnz .LBB241_181
.LBB241_164:
	s_or_b64 exec, exec, s[2:3]
	s_and_b64 s[4:5], s[10:11], s[18:19]
	s_and_saveexec_b64 s[2:3], s[4:5]
	s_cbranch_execnz .LBB241_185
.LBB241_165:
	s_or_b64 exec, exec, s[2:3]
	s_and_b64 s[4:5], s[12:13], s[18:19]
	s_and_saveexec_b64 s[2:3], s[4:5]
	s_cbranch_execnz .LBB241_189
.LBB241_166:
	s_or_b64 exec, exec, s[2:3]
	s_and_b64 s[4:5], s[14:15], s[18:19]
	s_and_saveexec_b64 s[2:3], s[4:5]
	s_cbranch_execnz .LBB241_193
.LBB241_167:
	s_or_b64 exec, exec, s[2:3]
	s_and_b64 s[2:3], s[16:17], s[18:19]
	s_and_saveexec_b64 s[4:5], s[2:3]
	s_cbranch_execnz .LBB241_197
.LBB241_168:
	s_endpgm
.LBB241_169:
	s_and_b64 vcc, exec, s[0:1]
	s_cbranch_vccnz .LBB241_171
; %bb.170:
	v_lshl_add_u64 v[22:23], v[24:25], 1, v[20:21]
	flat_load_ushort v22, v[22:23]
	s_waitcnt vmcnt(0) lgkmcnt(0)
	v_mul_f16_e32 v22, s28, v22
	s_branch .LBB241_172
.LBB241_171:
	v_mov_b32_e32 v22, 0
.LBB241_172:
	v_pk_max_f16 v23, v6, v6
	v_pk_max_f16 v16, v16, v16
	v_pk_max_f16 v17, v17, v17
	v_pk_min_f16 v16, v16, v23
	v_pk_max_f16 v23, v7, v7
	v_pk_add_f16 v16, v51, v16
	v_pk_min_f16 v17, v17, v23
	s_nop 0
	v_pk_add_f16 v16, v16, v17
	s_nop 0
	v_add_f16_sdwa v16, v16, v16 dst_sel:DWORD dst_unused:UNUSED_PAD src0_sel:DWORD src1_sel:WORD_1
	v_add_f16_e32 v22, v16, v22
	v_lshl_add_u64 v[16:17], v[24:25], 1, v[4:5]
	global_store_short v[16:17], v22, off
	s_or_b64 exec, exec, s[2:3]
	s_and_b64 s[4:5], s[4:5], s[18:19]
	s_and_saveexec_b64 s[2:3], s[4:5]
	s_cbranch_execz .LBB241_162
.LBB241_173:
	s_and_b64 vcc, exec, s[0:1]
	s_cbranch_vccnz .LBB241_175
; %bb.174:
	v_lshl_add_u64 v[16:17], v[26:27], 1, v[20:21]
	flat_load_ushort v16, v[16:17]
	s_waitcnt vmcnt(0) lgkmcnt(0)
	v_mul_f16_e32 v16, s28, v16
	s_branch .LBB241_176
.LBB241_175:
	v_mov_b32_e32 v16, 0
.LBB241_176:
	v_pk_max_f16 v17, v6, v6
	v_pk_max_f16 v18, v18, v18
	;; [unrolled: 1-line block ×3, first 2 shown]
	v_pk_min_f16 v17, v18, v17
	v_pk_max_f16 v18, v7, v7
	v_pk_add_f16 v17, v50, v17
	v_pk_min_f16 v18, v19, v18
	s_nop 0
	v_pk_add_f16 v17, v17, v18
	s_nop 0
	v_add_f16_sdwa v17, v17, v17 dst_sel:DWORD dst_unused:UNUSED_PAD src0_sel:DWORD src1_sel:WORD_1
	v_add_f16_e32 v18, v17, v16
	v_lshl_add_u64 v[16:17], v[26:27], 1, v[4:5]
	global_store_short v[16:17], v18, off
	s_or_b64 exec, exec, s[2:3]
	s_and_b64 s[4:5], s[6:7], s[18:19]
	s_and_saveexec_b64 s[2:3], s[4:5]
	s_cbranch_execz .LBB241_163
.LBB241_177:
	s_and_b64 vcc, exec, s[0:1]
	s_cbranch_vccnz .LBB241_179
; %bb.178:
	v_lshl_add_u64 v[16:17], v[28:29], 1, v[20:21]
	flat_load_ushort v16, v[16:17]
	s_waitcnt vmcnt(0) lgkmcnt(0)
	v_mul_f16_e32 v16, s28, v16
	s_branch .LBB241_180
.LBB241_179:
	v_mov_b32_e32 v16, 0
.LBB241_180:
	v_pk_max_f16 v17, v6, v6
	v_pk_max_f16 v12, v12, v12
	;; [unrolled: 1-line block ×3, first 2 shown]
	v_pk_min_f16 v12, v12, v17
	v_pk_max_f16 v17, v7, v7
	v_pk_add_f16 v12, v49, v12
	v_pk_min_f16 v13, v13, v17
	s_nop 0
	v_pk_add_f16 v12, v12, v13
	s_nop 0
	v_add_f16_sdwa v12, v12, v12 dst_sel:DWORD dst_unused:UNUSED_PAD src0_sel:DWORD src1_sel:WORD_1
	v_add_f16_e32 v16, v12, v16
	v_lshl_add_u64 v[12:13], v[28:29], 1, v[4:5]
	global_store_short v[12:13], v16, off
	s_or_b64 exec, exec, s[2:3]
	s_and_b64 s[4:5], s[8:9], s[18:19]
	s_and_saveexec_b64 s[2:3], s[4:5]
	s_cbranch_execz .LBB241_164
.LBB241_181:
	s_and_b64 vcc, exec, s[0:1]
	s_cbranch_vccnz .LBB241_183
; %bb.182:
	v_lshl_add_u64 v[12:13], v[30:31], 1, v[20:21]
	flat_load_ushort v12, v[12:13]
	s_waitcnt vmcnt(0) lgkmcnt(0)
	v_mul_f16_e32 v12, s28, v12
	s_branch .LBB241_184
.LBB241_183:
	v_mov_b32_e32 v12, 0
.LBB241_184:
	v_pk_max_f16 v13, v6, v6
	v_pk_max_f16 v14, v14, v14
	;; [unrolled: 1-line block ×3, first 2 shown]
	v_pk_min_f16 v13, v14, v13
	v_pk_max_f16 v14, v7, v7
	v_pk_add_f16 v13, v48, v13
	v_pk_min_f16 v14, v15, v14
	s_nop 0
	v_pk_add_f16 v13, v13, v14
	s_nop 0
	v_add_f16_sdwa v13, v13, v13 dst_sel:DWORD dst_unused:UNUSED_PAD src0_sel:DWORD src1_sel:WORD_1
	v_add_f16_e32 v14, v13, v12
	v_lshl_add_u64 v[12:13], v[30:31], 1, v[4:5]
	global_store_short v[12:13], v14, off
	s_or_b64 exec, exec, s[2:3]
	s_and_b64 s[4:5], s[10:11], s[18:19]
	s_and_saveexec_b64 s[2:3], s[4:5]
	s_cbranch_execz .LBB241_165
.LBB241_185:
	s_and_b64 vcc, exec, s[0:1]
	s_cbranch_vccnz .LBB241_187
; %bb.186:
	v_lshl_add_u64 v[12:13], v[32:33], 1, v[20:21]
	flat_load_ushort v12, v[12:13]
	s_waitcnt vmcnt(0) lgkmcnt(0)
	v_mul_f16_e32 v12, s28, v12
	s_branch .LBB241_188
.LBB241_187:
	v_mov_b32_e32 v12, 0
.LBB241_188:
	v_pk_max_f16 v13, v6, v6
	v_pk_max_f16 v8, v8, v8
	;; [unrolled: 1-line block ×3, first 2 shown]
	v_pk_min_f16 v8, v8, v13
	v_pk_max_f16 v13, v7, v7
	v_pk_add_f16 v8, v47, v8
	v_pk_min_f16 v9, v9, v13
	s_nop 0
	v_pk_add_f16 v8, v8, v9
	s_nop 0
	v_add_f16_sdwa v8, v8, v8 dst_sel:DWORD dst_unused:UNUSED_PAD src0_sel:DWORD src1_sel:WORD_1
	v_add_f16_e32 v12, v8, v12
	v_lshl_add_u64 v[8:9], v[32:33], 1, v[4:5]
	global_store_short v[8:9], v12, off
	s_or_b64 exec, exec, s[2:3]
	s_and_b64 s[4:5], s[12:13], s[18:19]
	s_and_saveexec_b64 s[2:3], s[4:5]
	s_cbranch_execz .LBB241_166
.LBB241_189:
	s_and_b64 vcc, exec, s[0:1]
	s_cbranch_vccnz .LBB241_191
; %bb.190:
	v_lshl_add_u64 v[8:9], v[34:35], 1, v[20:21]
	flat_load_ushort v8, v[8:9]
	s_waitcnt vmcnt(0) lgkmcnt(0)
	v_mul_f16_e32 v8, s28, v8
	s_branch .LBB241_192
.LBB241_191:
	v_mov_b32_e32 v8, 0
.LBB241_192:
	v_pk_max_f16 v9, v6, v6
	v_pk_max_f16 v10, v10, v10
	;; [unrolled: 1-line block ×3, first 2 shown]
	v_pk_min_f16 v9, v10, v9
	v_pk_max_f16 v10, v7, v7
	v_pk_add_f16 v9, v46, v9
	v_pk_min_f16 v10, v11, v10
	s_nop 0
	v_pk_add_f16 v9, v9, v10
	s_nop 0
	v_add_f16_sdwa v9, v9, v9 dst_sel:DWORD dst_unused:UNUSED_PAD src0_sel:DWORD src1_sel:WORD_1
	v_add_f16_e32 v10, v9, v8
	v_lshl_add_u64 v[8:9], v[34:35], 1, v[4:5]
	global_store_short v[8:9], v10, off
	s_or_b64 exec, exec, s[2:3]
	s_and_b64 s[4:5], s[14:15], s[18:19]
	s_and_saveexec_b64 s[2:3], s[4:5]
	s_cbranch_execz .LBB241_167
.LBB241_193:
	s_and_b64 vcc, exec, s[0:1]
	s_cbranch_vccnz .LBB241_195
; %bb.194:
	v_lshl_add_u64 v[8:9], v[36:37], 1, v[20:21]
	flat_load_ushort v8, v[8:9]
	s_waitcnt vmcnt(0) lgkmcnt(0)
	v_mul_f16_e32 v8, s28, v8
	s_branch .LBB241_196
.LBB241_195:
	v_mov_b32_e32 v8, 0
.LBB241_196:
	v_pk_max_f16 v9, v6, v6
	v_pk_max_f16 v0, v0, v0
	;; [unrolled: 1-line block ×3, first 2 shown]
	v_pk_min_f16 v0, v0, v9
	v_pk_max_f16 v9, v7, v7
	v_pk_add_f16 v0, v45, v0
	v_pk_min_f16 v1, v1, v9
	s_nop 0
	v_pk_add_f16 v0, v0, v1
	s_nop 0
	v_add_f16_sdwa v0, v0, v0 dst_sel:DWORD dst_unused:UNUSED_PAD src0_sel:DWORD src1_sel:WORD_1
	v_add_f16_e32 v8, v0, v8
	v_lshl_add_u64 v[0:1], v[36:37], 1, v[4:5]
	global_store_short v[0:1], v8, off
	s_or_b64 exec, exec, s[2:3]
	s_and_b64 s[2:3], s[16:17], s[18:19]
	s_and_saveexec_b64 s[4:5], s[2:3]
	s_cbranch_execz .LBB241_168
.LBB241_197:
	s_and_b64 vcc, exec, s[0:1]
	s_cbranch_vccnz .LBB241_199
; %bb.198:
	v_lshl_add_u64 v[0:1], v[38:39], 1, v[20:21]
	flat_load_ushort v0, v[0:1]
	s_waitcnt vmcnt(0) lgkmcnt(0)
	v_mul_f16_e32 v0, s28, v0
	s_branch .LBB241_200
.LBB241_199:
	v_mov_b32_e32 v0, 0
.LBB241_200:
	v_pk_max_f16 v1, v6, v6
	v_pk_max_f16 v2, v2, v2
	;; [unrolled: 1-line block ×3, first 2 shown]
	v_pk_min_f16 v1, v2, v1
	v_pk_max_f16 v2, v7, v7
	v_pk_add_f16 v1, v44, v1
	v_pk_min_f16 v2, v3, v2
	s_nop 0
	v_pk_add_f16 v1, v1, v2
	s_nop 0
	v_add_f16_sdwa v1, v1, v1 dst_sel:DWORD dst_unused:UNUSED_PAD src0_sel:DWORD src1_sel:WORD_1
	v_add_f16_e32 v2, v1, v0
	v_lshl_add_u64 v[0:1], v[38:39], 1, v[4:5]
	global_store_short v[0:1], v2, off
	s_endpgm
	.section	.rodata,"a",@progbits
	.p2align	6, 0x0
	.amdhsa_kernel _ZN12_GLOBAL__N_120geam_min_plus_kernelIDF16_Dv2_DF16_S1_Li8ELi32ELi64ELi128ELi4ELi4ELi64ELi4ELi64ELc84ELc78ELb1ELb1ELb0EDF16_KPKDF16_KPDF16_EEviiiT16_PT17_ilS9_ilS7_S9_ilPT18_ili26rocblas_geam_ex_operation_
		.amdhsa_group_segment_fixed_size 3072
		.amdhsa_private_segment_fixed_size 0
		.amdhsa_kernarg_size 128
		.amdhsa_user_sgpr_count 2
		.amdhsa_user_sgpr_dispatch_ptr 0
		.amdhsa_user_sgpr_queue_ptr 0
		.amdhsa_user_sgpr_kernarg_segment_ptr 1
		.amdhsa_user_sgpr_dispatch_id 0
		.amdhsa_user_sgpr_kernarg_preload_length 0
		.amdhsa_user_sgpr_kernarg_preload_offset 0
		.amdhsa_user_sgpr_private_segment_size 0
		.amdhsa_uses_dynamic_stack 0
		.amdhsa_enable_private_segment 0
		.amdhsa_system_sgpr_workgroup_id_x 1
		.amdhsa_system_sgpr_workgroup_id_y 0
		.amdhsa_system_sgpr_workgroup_id_z 1
		.amdhsa_system_sgpr_workgroup_info 0
		.amdhsa_system_vgpr_workitem_id 1
		.amdhsa_next_free_vgpr 122
		.amdhsa_next_free_sgpr 36
		.amdhsa_accum_offset 124
		.amdhsa_reserve_vcc 1
		.amdhsa_float_round_mode_32 0
		.amdhsa_float_round_mode_16_64 0
		.amdhsa_float_denorm_mode_32 3
		.amdhsa_float_denorm_mode_16_64 3
		.amdhsa_dx10_clamp 1
		.amdhsa_ieee_mode 1
		.amdhsa_fp16_overflow 0
		.amdhsa_tg_split 0
		.amdhsa_exception_fp_ieee_invalid_op 0
		.amdhsa_exception_fp_denorm_src 0
		.amdhsa_exception_fp_ieee_div_zero 0
		.amdhsa_exception_fp_ieee_overflow 0
		.amdhsa_exception_fp_ieee_underflow 0
		.amdhsa_exception_fp_ieee_inexact 0
		.amdhsa_exception_int_div_zero 0
	.end_amdhsa_kernel
	.section	.text._ZN12_GLOBAL__N_120geam_min_plus_kernelIDF16_Dv2_DF16_S1_Li8ELi32ELi64ELi128ELi4ELi4ELi64ELi4ELi64ELc84ELc78ELb1ELb1ELb0EDF16_KPKDF16_KPDF16_EEviiiT16_PT17_ilS9_ilS7_S9_ilPT18_ili26rocblas_geam_ex_operation_,"axG",@progbits,_ZN12_GLOBAL__N_120geam_min_plus_kernelIDF16_Dv2_DF16_S1_Li8ELi32ELi64ELi128ELi4ELi4ELi64ELi4ELi64ELc84ELc78ELb1ELb1ELb0EDF16_KPKDF16_KPDF16_EEviiiT16_PT17_ilS9_ilS7_S9_ilPT18_ili26rocblas_geam_ex_operation_,comdat
.Lfunc_end241:
	.size	_ZN12_GLOBAL__N_120geam_min_plus_kernelIDF16_Dv2_DF16_S1_Li8ELi32ELi64ELi128ELi4ELi4ELi64ELi4ELi64ELc84ELc78ELb1ELb1ELb0EDF16_KPKDF16_KPDF16_EEviiiT16_PT17_ilS9_ilS7_S9_ilPT18_ili26rocblas_geam_ex_operation_, .Lfunc_end241-_ZN12_GLOBAL__N_120geam_min_plus_kernelIDF16_Dv2_DF16_S1_Li8ELi32ELi64ELi128ELi4ELi4ELi64ELi4ELi64ELc84ELc78ELb1ELb1ELb0EDF16_KPKDF16_KPDF16_EEviiiT16_PT17_ilS9_ilS7_S9_ilPT18_ili26rocblas_geam_ex_operation_
                                        ; -- End function
	.section	.AMDGPU.csdata,"",@progbits
; Kernel info:
; codeLenInByte = 11172
; NumSgprs: 42
; NumVgprs: 122
; NumAgprs: 0
; TotalNumVgprs: 122
; ScratchSize: 0
; MemoryBound: 0
; FloatMode: 240
; IeeeMode: 1
; LDSByteSize: 3072 bytes/workgroup (compile time only)
; SGPRBlocks: 5
; VGPRBlocks: 15
; NumSGPRsForWavesPerEU: 42
; NumVGPRsForWavesPerEU: 122
; AccumOffset: 124
; Occupancy: 4
; WaveLimiterHint : 1
; COMPUTE_PGM_RSRC2:SCRATCH_EN: 0
; COMPUTE_PGM_RSRC2:USER_SGPR: 2
; COMPUTE_PGM_RSRC2:TRAP_HANDLER: 0
; COMPUTE_PGM_RSRC2:TGID_X_EN: 1
; COMPUTE_PGM_RSRC2:TGID_Y_EN: 0
; COMPUTE_PGM_RSRC2:TGID_Z_EN: 1
; COMPUTE_PGM_RSRC2:TIDIG_COMP_CNT: 1
; COMPUTE_PGM_RSRC3_GFX90A:ACCUM_OFFSET: 30
; COMPUTE_PGM_RSRC3_GFX90A:TG_SPLIT: 0
	.section	.text._ZN12_GLOBAL__N_120geam_min_plus_kernelIDF16_Dv2_DF16_S1_Li8ELi32ELi64ELi128ELi4ELi4ELi64ELi4ELi64ELc84ELc78ELb0ELb1ELb0EDF16_KPKDF16_KPDF16_EEviiiT16_PT17_ilS9_ilS7_S9_ilPT18_ili26rocblas_geam_ex_operation_,"axG",@progbits,_ZN12_GLOBAL__N_120geam_min_plus_kernelIDF16_Dv2_DF16_S1_Li8ELi32ELi64ELi128ELi4ELi4ELi64ELi4ELi64ELc84ELc78ELb0ELb1ELb0EDF16_KPKDF16_KPDF16_EEviiiT16_PT17_ilS9_ilS7_S9_ilPT18_ili26rocblas_geam_ex_operation_,comdat
	.globl	_ZN12_GLOBAL__N_120geam_min_plus_kernelIDF16_Dv2_DF16_S1_Li8ELi32ELi64ELi128ELi4ELi4ELi64ELi4ELi64ELc84ELc78ELb0ELb1ELb0EDF16_KPKDF16_KPDF16_EEviiiT16_PT17_ilS9_ilS7_S9_ilPT18_ili26rocblas_geam_ex_operation_ ; -- Begin function _ZN12_GLOBAL__N_120geam_min_plus_kernelIDF16_Dv2_DF16_S1_Li8ELi32ELi64ELi128ELi4ELi4ELi64ELi4ELi64ELc84ELc78ELb0ELb1ELb0EDF16_KPKDF16_KPDF16_EEviiiT16_PT17_ilS9_ilS7_S9_ilPT18_ili26rocblas_geam_ex_operation_
	.p2align	8
	.type	_ZN12_GLOBAL__N_120geam_min_plus_kernelIDF16_Dv2_DF16_S1_Li8ELi32ELi64ELi128ELi4ELi4ELi64ELi4ELi64ELc84ELc78ELb0ELb1ELb0EDF16_KPKDF16_KPDF16_EEviiiT16_PT17_ilS9_ilS7_S9_ilPT18_ili26rocblas_geam_ex_operation_,@function
_ZN12_GLOBAL__N_120geam_min_plus_kernelIDF16_Dv2_DF16_S1_Li8ELi32ELi64ELi128ELi4ELi4ELi64ELi4ELi64ELc84ELc78ELb0ELb1ELb0EDF16_KPKDF16_KPDF16_EEviiiT16_PT17_ilS9_ilS7_S9_ilPT18_ili26rocblas_geam_ex_operation_: ; @_ZN12_GLOBAL__N_120geam_min_plus_kernelIDF16_Dv2_DF16_S1_Li8ELi32ELi64ELi128ELi4ELi4ELi64ELi4ELi64ELc84ELc78ELb0ELb1ELb0EDF16_KPKDF16_KPDF16_EEviiiT16_PT17_ilS9_ilS7_S9_ilPT18_ili26rocblas_geam_ex_operation_
; %bb.0:
	s_load_dwordx4 s[20:23], s[0:1], 0x0
	s_load_dwordx4 s[4:7], s[0:1], 0x20
	s_mov_b32 s12, s3
	s_mov_b32 s13, 0
	s_waitcnt lgkmcnt(0)
	v_cmp_eq_f16_e64 s[8:9], s23, 0
	v_cmp_neq_f16_e64 s[10:11], s23, 0
	s_and_b64 vcc, exec, s[8:9]
	s_cbranch_vccnz .LBB242_3
; %bb.1:
	s_load_dwordx2 s[14:15], s[0:1], 0x10
	s_lshl_b64 s[16:17], s[12:13], 3
	s_waitcnt lgkmcnt(0)
	s_add_u32 s14, s14, s16
	s_addc_u32 s15, s15, s17
	s_load_dwordx2 s[14:15], s[14:15], 0x0
	s_lshl_b64 s[4:5], s[4:5], 1
	s_waitcnt lgkmcnt(0)
	s_add_u32 s18, s14, s4
	s_addc_u32 s19, s15, s5
	s_andn2_b64 vcc, exec, s[8:9]
	s_cbranch_vccnz .LBB242_4
.LBB242_2:
	s_mov_b64 s[14:15], 0
	s_cbranch_execz .LBB242_5
	s_branch .LBB242_6
.LBB242_3:
	s_mov_b64 s[18:19], 0
	s_andn2_b64 vcc, exec, s[8:9]
	s_cbranch_vccz .LBB242_2
.LBB242_4:
                                        ; implicit-def: $sgpr14_sgpr15
.LBB242_5:
	s_lshl_b64 s[8:9], s[12:13], 3
	s_add_u32 s6, s6, s8
	s_load_dwordx2 s[4:5], s[0:1], 0x38
	s_addc_u32 s7, s7, s9
	s_load_dwordx2 s[6:7], s[6:7], 0x0
	s_waitcnt lgkmcnt(0)
	s_lshl_b64 s[4:5], s[4:5], 1
	s_add_u32 s14, s6, s4
	s_addc_u32 s15, s7, s5
.LBB242_6:
	s_load_dword s28, s[0:1], 0x40
	s_load_dwordx4 s[4:7], s[0:1], 0x58
	s_waitcnt lgkmcnt(0)
	v_cmp_eq_f16_e64 s[16:17], s28, 0
	v_cmp_neq_f16_e64 s[8:9], s28, 0
	s_and_b64 vcc, exec, s[16:17]
	s_cbranch_vccnz .LBB242_8
; %bb.7:
	s_load_dwordx2 s[16:17], s[0:1], 0x48
	s_lshl_b64 s[24:25], s[12:13], 3
	s_waitcnt lgkmcnt(0)
	s_add_u32 s16, s16, s24
	s_addc_u32 s17, s17, s25
	s_load_dwordx2 s[16:17], s[16:17], 0x0
	s_lshl_b64 s[4:5], s[4:5], 1
	s_waitcnt lgkmcnt(0)
	s_add_u32 s24, s16, s4
	s_addc_u32 s25, s17, s5
	s_branch .LBB242_9
.LBB242_8:
	s_mov_b64 s[24:25], 0
.LBB242_9:
	s_lshl_b64 s[4:5], s[12:13], 3
	s_add_u32 s4, s6, s4
	s_addc_u32 s5, s7, s5
	s_add_i32 s3, s20, -1
	s_ashr_i32 s6, s3, 31
	s_lshr_b32 s6, s6, 26
	s_add_i32 s3, s3, s6
	s_ashr_i32 s6, s3, 6
	s_add_i32 s7, s6, 1
	v_cvt_f32_u32_e32 v1, s7
	v_and_b32_e32 v32, 0x3ff, v0
	v_bfe_u32 v33, v0, 10, 10
	s_load_dwordx2 s[12:13], s[4:5], 0x0
	v_rcp_iflag_f32_e32 v1, v1
	s_not_b32 s4, s6
	s_load_dword s3, s[0:1], 0x18
	v_and_b32_e32 v34, 3, v32
	v_mul_f32_e32 v0, 0x4f7ffffe, v1
	v_cvt_u32_f32_e32 v0, v0
	v_lshl_add_u32 v1, v33, 3, v32
	v_lshrrev_b32_e32 v4, 2, v1
	v_mov_b32_e32 v9, 0
	v_readfirstlane_b32 s5, v0
	s_mul_i32 s4, s4, s5
	s_mul_hi_u32 s4, s5, s4
	s_add_i32 s5, s5, s4
	s_mul_hi_u32 s4, s2, s5
	s_mul_i32 s5, s4, s7
	s_sub_i32 s5, s2, s5
	s_add_i32 s6, s4, 1
	s_sub_i32 s16, s5, s7
	s_cmp_ge_u32 s5, s7
	s_cselect_b32 s4, s6, s4
	s_cselect_b32 s5, s16, s5
	s_add_i32 s6, s4, 1
	s_cmp_ge_u32 s5, s7
	s_cselect_b32 s6, s6, s4
	s_mul_i32 s33, s6, s7
	s_sub_i32 s4, s2, s33
	s_lshl_b32 s29, s4, 6
	v_add_u32_e32 v7, s29, v4
	v_cmp_gt_i32_e64 s[4:5], s22, v34
	v_cmp_gt_i32_e32 vcc, s20, v7
	s_and_b64 s[4:5], s[4:5], vcc
	s_and_b64 s[16:17], s[10:11], s[4:5]
	v_lshlrev_b32_e32 v0, 1, v34
	v_mov_b32_e32 v10, 0
	s_and_saveexec_b64 s[4:5], s[16:17]
	s_cbranch_execz .LBB242_11
; %bb.10:
	s_waitcnt lgkmcnt(0)
	v_mad_i64_i32 v[2:3], s[16:17], v7, s3, 0
	v_lshl_add_u64 v[2:3], v[2:3], 1, s[18:19]
	v_mov_b32_e32 v1, 0
	v_lshl_add_u64 v[2:3], v[2:3], 0, v[0:1]
	flat_load_ushort v1, v[2:3]
	s_waitcnt vmcnt(0) lgkmcnt(0)
	v_mul_f16_e32 v10, s23, v1
.LBB242_11:
	s_or_b64 exec, exec, s[4:5]
	s_lshl_b32 s30, s6, 7
	s_load_dword s34, s[0:1], 0x30
	v_add_u32_e32 v5, s30, v4
	s_add_i32 s31, s22, -1
	v_cmp_le_i32_e64 s[6:7], s21, v5
	s_xor_b64 s[26:27], s[10:11], -1
	v_cmp_le_i32_e64 s[4:5], s22, v34
	v_min_i32_e32 v2, s31, v34
	s_or_b64 s[16:17], s[6:7], s[26:27]
	v_ashrrev_i32_e32 v3, 31, v2
	s_or_b64 s[6:7], s[4:5], s[16:17]
	v_lshl_add_u64 v[2:3], v[2:3], 1, s[14:15]
	s_xor_b64 s[36:37], s[6:7], -1
	s_and_saveexec_b64 s[6:7], s[36:37]
	s_cbranch_execz .LBB242_13
; %bb.12:
	s_waitcnt lgkmcnt(0)
	v_mad_i64_i32 v[8:9], s[36:37], v5, s34, 0
	v_lshl_add_u64 v[8:9], v[8:9], 1, v[2:3]
	flat_load_ushort v1, v[8:9]
	s_waitcnt vmcnt(0) lgkmcnt(0)
	v_mul_f16_e32 v9, s23, v1
.LBB242_13:
	s_or_b64 exec, exec, s[6:7]
	v_add_u32_e32 v6, 64, v5
	v_cmp_le_i32_e64 s[6:7], s21, v6
	s_or_b64 s[6:7], s[6:7], s[26:27]
	s_or_b64 s[4:5], s[4:5], s[6:7]
	s_xor_b64 s[26:27], s[4:5], -1
	v_mov_b32_e32 v1, 0
	v_mov_b32_e32 v11, 0
	s_and_saveexec_b64 s[4:5], s[26:27]
	s_cbranch_execz .LBB242_15
; %bb.14:
	s_waitcnt lgkmcnt(0)
	v_mad_i64_i32 v[12:13], s[26:27], v6, s34, 0
	v_lshl_add_u64 v[2:3], v[12:13], 1, v[2:3]
	flat_load_ushort v2, v[2:3]
	s_waitcnt vmcnt(0) lgkmcnt(0)
	v_mul_f16_e32 v11, s23, v2
.LBB242_15:
	s_or_b64 exec, exec, s[4:5]
	v_or_b32_e32 v2, 4, v34
	v_cmp_gt_i32_e64 s[4:5], s22, v2
	s_and_b64 s[4:5], s[4:5], vcc
	s_and_b64 s[26:27], s[10:11], s[4:5]
	s_and_saveexec_b64 s[4:5], s[26:27]
	s_cbranch_execz .LBB242_17
; %bb.16:
	s_waitcnt lgkmcnt(0)
	v_mad_i64_i32 v[12:13], s[26:27], v7, s3, 0
	v_lshl_add_u64 v[12:13], v[12:13], 1, s[18:19]
	v_mov_b32_e32 v1, 0
	v_lshl_add_u64 v[12:13], v[12:13], 0, v[0:1]
	flat_load_ushort v1, v[12:13] offset:8
	s_waitcnt vmcnt(0) lgkmcnt(0)
	v_mul_f16_e32 v1, s23, v1
.LBB242_17:
	s_or_b64 exec, exec, s[4:5]
	v_cmp_le_i32_e64 s[4:5], s22, v2
	v_min_i32_e32 v2, s31, v2
	v_ashrrev_i32_e32 v3, 31, v2
	s_or_b64 s[26:27], s[4:5], s[16:17]
	v_lshl_add_u64 v[2:3], v[2:3], 1, s[14:15]
	s_xor_b64 s[36:37], s[26:27], -1
	v_mov_b32_e32 v7, 0
	v_mov_b32_e32 v8, 0
	s_and_saveexec_b64 s[26:27], s[36:37]
	s_cbranch_execz .LBB242_19
; %bb.18:
	s_waitcnt lgkmcnt(0)
	v_mad_i64_i32 v[12:13], s[36:37], v5, s34, 0
	v_lshl_add_u64 v[12:13], v[12:13], 1, v[2:3]
	flat_load_ushort v8, v[12:13]
	s_waitcnt vmcnt(0) lgkmcnt(0)
	v_mul_f16_e32 v8, s23, v8
.LBB242_19:
	s_or_b64 exec, exec, s[26:27]
	s_or_b64 s[4:5], s[4:5], s[6:7]
	s_xor_b64 s[26:27], s[4:5], -1
	s_and_saveexec_b64 s[4:5], s[26:27]
	s_cbranch_execz .LBB242_21
; %bb.20:
	s_waitcnt lgkmcnt(0)
	v_mad_i64_i32 v[12:13], s[26:27], v6, s34, 0
	v_lshl_add_u64 v[2:3], v[12:13], 1, v[2:3]
	flat_load_ushort v2, v[2:3]
	s_waitcnt vmcnt(0) lgkmcnt(0)
	v_mul_f16_e32 v7, s23, v2
.LBB242_21:
	s_or_b64 exec, exec, s[4:5]
	v_lshlrev_b32_e32 v36, 3, v32
	v_lshl_or_b32 v37, v4, 3, v0
	v_lshlrev_b32_e32 v35, 3, v33
	v_add_u32_e32 v38, 0x800, v36
	ds_write_b16 v37, v10 offset:2048
	ds_write_b16 v37, v9
	ds_write_b16 v37, v11 offset:512
	s_waitcnt lgkmcnt(0)
	s_barrier
	ds_read2_b64 v[10:13], v35 offset1:32
	ds_read2_b64 v[14:17], v38 offset0:48 offset1:56
	ds_read2_b64 v[18:21], v35 offset0:64 offset1:96
	ds_read2_b64 v[22:25], v38 offset1:8
	ds_read2_b64 v[26:29], v38 offset0:16 offset1:24
	ds_read2_b64 v[40:43], v38 offset0:32 offset1:40
	s_waitcnt lgkmcnt(5)
	v_pk_max_f16 v2, v10, v10
	s_waitcnt lgkmcnt(4)
	v_pk_max_f16 v3, v16, v16
	v_pk_max_f16 v10, v12, v12
	v_pk_min_f16 v9, v3, v2
	s_waitcnt lgkmcnt(3)
	v_pk_max_f16 v16, v18, v18
	s_waitcnt lgkmcnt(2)
	v_pk_max_f16 v18, v22, v22
	v_pk_max_f16 v20, v20, v20
	v_pk_max_f16 v24, v24, v24
	s_waitcnt lgkmcnt(1)
	v_pk_max_f16 v26, v26, v26
	v_pk_max_f16 v28, v28, v28
	;; [unrolled: 4-line block ×3, first 2 shown]
	v_pk_max_f16 v14, v14, v14
	v_pk_max_f16 v17, v17, v17
	v_pk_min_f16 v12, v3, v10
	v_pk_min_f16 v22, v18, v2
	;; [unrolled: 1-line block ×17, first 2 shown]
	v_pk_max_f16 v13, v13, v13
	v_pk_min_f16 v54, v40, v2
	v_pk_min_f16 v55, v40, v10
	;; [unrolled: 1-line block ×14, first 2 shown]
	v_pk_add_f16 v9, v9, 0
	v_pk_min_f16 v20, v17, v11
	v_pk_max_f16 v19, v19, v19
	v_pk_add_f16 v68, v9, v20
	v_pk_add_f16 v9, v12, 0
	v_pk_min_f16 v12, v17, v13
	v_pk_max_f16 v23, v23, v23
	v_pk_add_f16 v60, v9, v12
	;; [unrolled: 4-line block ×5, first 2 shown]
	v_pk_add_f16 v9, v31, 0
	v_pk_min_f16 v12, v23, v19
	v_pk_add_f16 v20, v48, 0
	v_pk_add_f16 v59, v9, v12
	;; [unrolled: 1-line block ×3, first 2 shown]
	v_pk_min_f16 v12, v23, v21
	v_pk_add_f16 v18, v47, 0
	v_pk_add_f16 v51, v9, v12
	;; [unrolled: 1-line block ×3, first 2 shown]
	v_pk_min_f16 v12, v25, v11
	v_pk_max_f16 v29, v29, v29
	v_pk_add_f16 v74, v9, v12
	v_pk_add_f16 v9, v44, 0
	v_pk_min_f16 v12, v25, v13
	v_pk_add_f16 v22, v26, 0
	v_pk_add_f16 v66, v9, v12
	;; [unrolled: 1-line block ×3, first 2 shown]
	v_pk_min_f16 v12, v25, v19
	v_pk_min_f16 v25, v25, v21
	v_pk_add_f16 v58, v9, v12
	v_pk_add_f16 v9, v24, 0
	;; [unrolled: 1-line block ×5, first 2 shown]
	v_pk_min_f16 v9, v27, v11
	v_pk_add_f16 v44, v57, 0
	v_pk_add_f16 v73, v12, v9
	v_pk_min_f16 v9, v27, v13
	v_pk_add_f16 v23, v49, 0
	v_pk_add_f16 v65, v18, v9
	;; [unrolled: 3-line block ×8, first 2 shown]
	v_pk_max_f16 v9, v41, v41
	v_pk_add_f16 v45, v61, 0
	v_pk_min_f16 v12, v9, v11
	v_pk_add_f16 v46, v62, 0
	v_pk_add_f16 v71, v30, v12
	v_pk_min_f16 v12, v9, v13
	v_pk_add_f16 v42, v42, 0
	v_pk_add_f16 v63, v31, v12
	v_pk_min_f16 v12, v9, v19
	v_pk_min_f16 v9, v9, v21
	v_pk_add_f16 v55, v39, v12
	v_pk_add_f16 v47, v40, v9
	v_pk_max_f16 v9, v43, v43
	v_pk_add_f16 v2, v2, 0
	v_pk_min_f16 v12, v9, v11
	v_pk_add_f16 v10, v10, 0
	v_pk_add_f16 v70, v44, v12
	v_pk_min_f16 v12, v9, v13
	v_pk_add_f16 v16, v16, 0
	v_pk_add_f16 v62, v45, v12
	v_pk_min_f16 v12, v9, v19
	v_pk_min_f16 v9, v9, v21
	v_pk_add_f16 v54, v46, v12
	v_pk_add_f16 v46, v42, v9
	v_pk_max_f16 v9, v15, v15
	v_pk_add_f16 v14, v14, 0
	v_pk_min_f16 v11, v9, v11
	v_pk_add_f16 v3, v3, 0
	v_pk_add_f16 v39, v2, v11
	v_pk_min_f16 v2, v9, v13
	s_mov_b32 s26, 0
	v_pk_add_f16 v61, v10, v2
	v_pk_min_f16 v2, v9, v19
	s_cmp_lt_i32 s22, 9
	v_pk_add_f16 v53, v16, v2
	v_pk_min_f16 v2, v9, v21
	ds_write_b16 v37, v1 offset:2560
	ds_write_b16 v37, v8 offset:1024
	;; [unrolled: 1-line block ×3, first 2 shown]
	v_pk_add_f16 v45, v14, v2
	v_pk_min_f16 v2, v17, v21
	s_waitcnt lgkmcnt(0)
	v_pk_add_f16 v44, v3, v2
	s_barrier
	s_cbranch_scc1 .LBB242_36
; %bb.22:
	v_mov_b32_e32 v1, 0xa00
	v_lshl_add_u32 v43, v32, 3, v1
	v_mov_b32_e32 v1, 0x400
	v_lshl_add_u32 v69, v33, 3, v1
	v_lshl_add_u32 v1, s2, 6, v4
	s_lshl_b32 s2, s33, 6
	v_subrev_u32_e32 v1, s2, v1
	v_mad_i64_i32 v[2:3], s[2:3], s3, v1, 0
	v_mov_b32_e32 v1, 0
	v_lshl_add_u64 v[0:1], v[2:3], 1, v[0:1]
	v_lshl_add_u64 v[0:1], v[0:1], 0, s[18:19]
	v_add_u32_e32 v40, 0x800, v37
	v_add_u32_e32 v41, 0xa00, v37
	;; [unrolled: 1-line block ×3, first 2 shown]
	s_add_i32 s27, s22, -8
	v_mad_i64_i32 v[24:25], s[4:5], v5, s34, 0
	v_mad_i64_i32 v[26:27], s[4:5], v6, s34, 0
	v_lshl_add_u64 v[28:29], v[0:1], 0, 24
	s_branch .LBB242_24
.LBB242_23:                             ;   in Loop: Header=BB242_24 Depth=1
	s_or_b64 exec, exec, s[2:3]
	v_pk_add_f16 v20, v60, v20
	v_pk_add_f16 v12, v52, v12
	;; [unrolled: 1-line block ×18, first 2 shown]
	ds_read2_b64 v[6:9], v38 offset0:48 offset1:56
	ds_read2_b64 v[10:13], v35 offset1:32
	v_pk_add_f16 v2, v68, v2
	v_pk_add_f16 v22, v67, v22
	;; [unrolled: 1-line block ×5, first 2 shown]
	s_waitcnt lgkmcnt(1)
	v_pk_max_f16 v8, v8, v8
	s_waitcnt lgkmcnt(0)
	v_pk_max_f16 v10, v10, v10
	v_pk_add_f16 v16, v75, v16
	v_pk_add_f16 v52, v65, v82
	;; [unrolled: 1-line block ×10, first 2 shown]
	ds_read2_b64 v[2:5], v35 offset0:64 offset1:96
	v_pk_min_f16 v14, v8, v10
	v_pk_add_f16 v59, v63, v88
	v_pk_add_f16 v63, v16, v17
	;; [unrolled: 1-line block ×4, first 2 shown]
	ds_read2_b64 v[14:17], v38 offset1:8
	v_pk_max_f16 v12, v12, v12
	s_waitcnt lgkmcnt(1)
	v_pk_max_f16 v2, v2, v2
	v_pk_min_f16 v62, v8, v12
	v_pk_max_f16 v4, v4, v4
	v_pk_add_f16 v62, v20, v62
	v_pk_min_f16 v20, v8, v2
	s_waitcnt lgkmcnt(0)
	v_pk_max_f16 v14, v14, v14
	v_pk_add_f16 v67, v21, v20
	v_pk_min_f16 v20, v14, v10
	v_pk_max_f16 v16, v16, v16
	v_pk_add_f16 v63, v63, v20
	v_pk_min_f16 v20, v14, v12
	v_pk_add_f16 v50, v50, v81
	v_pk_add_f16 v22, v22, v20
	v_pk_min_f16 v20, v14, v2
	v_pk_min_f16 v14, v14, v4
	v_pk_add_f16 v23, v23, v20
	v_pk_min_f16 v20, v16, v10
	v_pk_add_f16 v14, v30, v14
	v_pk_add_f16 v30, v18, v20
	v_pk_min_f16 v18, v16, v12
	v_pk_add_f16 v50, v50, v102
	v_pk_add_f16 v70, v19, v18
	ds_read2_b64 v[18:21], v38 offset0:16 offset1:24
	v_pk_min_f16 v68, v16, v2
	v_pk_min_f16 v16, v16, v4
	v_pk_add_f16 v49, v49, v84
	v_pk_add_f16 v16, v50, v16
	s_waitcnt lgkmcnt(0)
	v_pk_max_f16 v18, v18, v18
	v_pk_add_f16 v52, v52, v103
	v_pk_min_f16 v50, v18, v10
	ds_read2_b64 v[78:81], v38 offset0:32 offset1:40
	v_pk_add_f16 v71, v51, v50
	v_pk_min_f16 v50, v18, v12
	v_pk_add_f16 v49, v49, v105
	v_pk_add_f16 v72, v52, v50
	v_pk_min_f16 v50, v18, v2
	v_pk_min_f16 v18, v18, v4
	v_pk_max_f16 v20, v20, v20
	v_pk_add_f16 v18, v49, v18
	v_pk_min_f16 v49, v20, v10
	v_pk_add_f16 v48, v48, v87
	v_pk_add_f16 v58, v58, v106
	v_pk_add_f16 v64, v64, v49
	v_pk_min_f16 v49, v20, v12
	v_pk_add_f16 v56, v56, v86
	v_pk_add_f16 v48, v48, v108
	;; [unrolled: 1-line block ×3, first 2 shown]
	v_pk_min_f16 v49, v20, v2
	v_pk_min_f16 v20, v20, v4
	v_pk_add_f16 v56, v56, v107
	v_pk_add_f16 v20, v48, v20
	s_waitcnt lgkmcnt(0)
	v_pk_max_f16 v48, v78, v78
	v_pk_add_f16 v56, v56, v49
	v_pk_min_f16 v49, v48, v10
	v_pk_add_f16 v47, v47, v90
	v_pk_add_f16 v59, v59, v110
	;; [unrolled: 1-line block ×3, first 2 shown]
	v_pk_min_f16 v49, v48, v12
	v_pk_add_f16 v57, v57, v83
	v_pk_add_f16 v55, v55, v89
	;; [unrolled: 1-line block ×4, first 2 shown]
	v_pk_min_f16 v49, v48, v2
	v_pk_min_f16 v48, v48, v4
	v_pk_add_f16 v55, v55, v111
	v_pk_add_f16 v47, v47, v48
	v_pk_max_f16 v48, v80, v80
	v_pk_add_f16 v55, v55, v49
	v_pk_min_f16 v49, v48, v10
	v_pk_add_f16 v60, v60, v113
	v_pk_add_f16 v80, v66, v49
	v_pk_min_f16 v49, v48, v12
	v_pk_max_f16 v6, v6, v6
	v_pk_add_f16 v84, v60, v49
	v_pk_min_f16 v49, v48, v2
	v_pk_min_f16 v10, v6, v10
	;; [unrolled: 1-line block ×6, first 2 shown]
	v_pk_add_f16 v1, v1, v6
	v_pk_min_f16 v4, v8, v4
	v_pk_max_f16 v6, v9, v9
	v_pk_max_f16 v8, v11, v11
	v_pk_add_f16 v31, v31, v68
	v_pk_min_f16 v9, v6, v8
	v_pk_max_f16 v3, v3, v3
	v_pk_add_f16 v68, v45, v9
	v_pk_max_f16 v9, v13, v13
	v_pk_max_f16 v5, v5, v5
	v_pk_min_f16 v11, v6, v9
	v_pk_add_f16 v57, v57, v104
	v_pk_add_f16 v60, v62, v11
	v_pk_min_f16 v11, v6, v3
	v_pk_add_f16 v57, v57, v50
	v_pk_add_f16 v52, v67, v11
	v_pk_max_f16 v11, v15, v15
	v_pk_add_f16 v54, v54, v92
	v_pk_min_f16 v13, v11, v8
	v_pk_add_f16 v54, v54, v114
	v_pk_add_f16 v75, v63, v13
	v_pk_min_f16 v13, v11, v9
	v_pk_add_f16 v54, v54, v49
	v_pk_add_f16 v67, v22, v13
	v_pk_min_f16 v13, v11, v3
	v_pk_min_f16 v11, v11, v5
	v_pk_add_f16 v59, v23, v13
	v_pk_add_f16 v51, v14, v11
	v_pk_max_f16 v11, v17, v17
	v_pk_add_f16 v46, v46, v93
	v_pk_min_f16 v13, v11, v8
	v_pk_add_f16 v46, v46, v115
	v_pk_add_f16 v74, v30, v13
	v_pk_min_f16 v13, v11, v9
	v_pk_add_f16 v46, v46, v48
	v_pk_add_f16 v66, v70, v13
	v_pk_min_f16 v13, v11, v3
	v_pk_min_f16 v11, v11, v5
	v_pk_add_f16 v58, v31, v13
	v_pk_add_f16 v50, v16, v11
	v_pk_max_f16 v11, v19, v19
	v_pk_add_f16 v53, v53, v96
	v_pk_min_f16 v13, v11, v8
	v_pk_add_f16 v39, v39, v94
	v_pk_add_f16 v73, v71, v13
	v_pk_min_f16 v13, v11, v9
	v_pk_add_f16 v53, v53, v118
	v_pk_add_f16 v65, v72, v13
	v_pk_min_f16 v13, v11, v3
	v_pk_min_f16 v11, v11, v5
	v_pk_add_f16 v57, v57, v13
	v_pk_add_f16 v49, v18, v11
	v_pk_max_f16 v11, v21, v21
	v_pk_max_f16 v7, v7, v7
	v_pk_min_f16 v13, v11, v8
	v_pk_add_f16 v61, v61, v95
	v_pk_add_f16 v72, v64, v13
	v_pk_min_f16 v13, v11, v9
	v_pk_add_f16 v39, v39, v116
	v_pk_add_f16 v64, v82, v13
	v_pk_min_f16 v13, v11, v3
	v_pk_min_f16 v11, v11, v5
	v_pk_add_f16 v56, v56, v13
	v_pk_add_f16 v48, v20, v11
	v_pk_max_f16 v11, v79, v79
	v_pk_add_f16 v2, v53, v2
	v_pk_min_f16 v13, v11, v8
	v_pk_add_f16 v61, v61, v117
	v_pk_add_f16 v71, v78, v13
	v_pk_min_f16 v13, v11, v9
	v_pk_add_f16 v10, v39, v10
	v_pk_add_f16 v63, v83, v13
	v_pk_min_f16 v13, v11, v3
	v_pk_min_f16 v11, v11, v5
	v_pk_add_f16 v55, v55, v13
	v_pk_add_f16 v47, v47, v11
	v_pk_max_f16 v11, v81, v81
	v_pk_add_f16 v12, v61, v12
	v_pk_min_f16 v13, v11, v8
	v_pk_min_f16 v8, v7, v8
	v_pk_add_f16 v70, v80, v13
	v_pk_min_f16 v13, v11, v9
	v_pk_add_f16 v4, v44, v4
	v_pk_add_f16 v62, v84, v13
	v_pk_min_f16 v13, v11, v3
	v_pk_min_f16 v3, v7, v3
	;; [unrolled: 1-line block ×3, first 2 shown]
	v_pk_add_f16 v53, v2, v3
	v_pk_min_f16 v2, v7, v5
	v_pk_add_f16 v39, v10, v8
	v_pk_min_f16 v8, v7, v9
	;; [unrolled: 2-line block ×3, first 2 shown]
	s_add_i32 s26, s26, 8
	v_pk_add_f16 v54, v54, v13
	v_pk_add_f16 v46, v46, v11
	;; [unrolled: 1-line block ×4, first 2 shown]
	s_cmp_ge_i32 s26, s27
	v_lshl_add_u64 v[28:29], v[28:29], 0, 16
	ds_write_b16 v41, v77
	ds_write_b16 v42, v76
	ds_write_b16 v42, v0 offset:512
	s_waitcnt lgkmcnt(0)
	s_barrier
	s_cbranch_scc1 .LBB242_36
.LBB242_24:                             ; =>This Inner Loop Header: Depth=1
	v_add_u32_e32 v30, s26, v34
	v_add_u32_e32 v0, 8, v30
	v_cmp_gt_i32_e64 s[2:3], s22, v0
	s_and_b64 s[2:3], s[2:3], vcc
	s_and_b64 s[2:3], s[10:11], s[2:3]
	v_mov_b32_e32 v31, 0
	s_and_saveexec_b64 s[4:5], s[2:3]
	s_cbranch_execz .LBB242_26
; %bb.25:                               ;   in Loop: Header=BB242_24 Depth=1
	v_add_co_u32_e64 v2, s[2:3], -8, v28
	s_nop 1
	v_addc_co_u32_e64 v3, s[2:3], -1, v29, s[2:3]
	flat_load_ushort v1, v[2:3]
	s_waitcnt vmcnt(0) lgkmcnt(0)
	v_mul_f16_e32 v31, s23, v1
.LBB242_26:                             ;   in Loop: Header=BB242_24 Depth=1
	s_or_b64 exec, exec, s[4:5]
	v_cmp_le_i32_e64 s[2:3], s22, v0
	v_min_i32_e32 v0, s31, v0
	v_ashrrev_i32_e32 v1, 31, v0
	s_or_b64 s[4:5], s[16:17], s[2:3]
	v_lshl_add_u64 v[0:1], v[0:1], 1, s[14:15]
	s_xor_b64 s[18:19], s[4:5], -1
	v_mov_b32_e32 v76, 0
	v_mov_b32_e32 v77, 0
	s_and_saveexec_b64 s[4:5], s[18:19]
	s_cbranch_execz .LBB242_28
; %bb.27:                               ;   in Loop: Header=BB242_24 Depth=1
	v_lshl_add_u64 v[2:3], v[24:25], 1, v[0:1]
	flat_load_ushort v2, v[2:3]
	s_waitcnt vmcnt(0) lgkmcnt(0)
	v_mul_f16_e32 v77, s23, v2
.LBB242_28:                             ;   in Loop: Header=BB242_24 Depth=1
	s_or_b64 exec, exec, s[4:5]
	s_or_b64 s[2:3], s[6:7], s[2:3]
	s_xor_b64 s[4:5], s[2:3], -1
	s_and_saveexec_b64 s[2:3], s[4:5]
	s_cbranch_execz .LBB242_30
; %bb.29:                               ;   in Loop: Header=BB242_24 Depth=1
	v_lshl_add_u64 v[0:1], v[26:27], 1, v[0:1]
	flat_load_ushort v0, v[0:1]
	s_waitcnt vmcnt(0) lgkmcnt(0)
	v_mul_f16_e32 v76, s23, v0
.LBB242_30:                             ;   in Loop: Header=BB242_24 Depth=1
	s_or_b64 exec, exec, s[2:3]
	ds_read2_b64 v[0:3], v43 offset0:48 offset1:56
	ds_read2_b64 v[12:15], v69 offset0:64 offset1:96
	ds_read2_b64 v[20:23], v69 offset1:32
	ds_read2_b64 v[16:19], v43 offset1:8
	ds_read2_b64 v[8:11], v43 offset0:16 offset1:24
	ds_read2_b64 v[4:7], v43 offset0:32 offset1:40
	v_add_u32_e32 v30, 12, v30
	v_cmp_gt_i32_e64 s[2:3], s22, v30
	s_and_b64 s[2:3], s[2:3], vcc
	ds_write_b16 v40, v31
	ds_write_b16 v37, v77
	ds_write_b16 v37, v76 offset:512
	s_and_b64 s[4:5], s[10:11], s[2:3]
	v_mov_b32_e32 v76, 0
	v_mov_b32_e32 v77, 0
	s_waitcnt lgkmcnt(0)
	s_barrier
	s_and_saveexec_b64 s[2:3], s[4:5]
	s_cbranch_execz .LBB242_32
; %bb.31:                               ;   in Loop: Header=BB242_24 Depth=1
	flat_load_ushort v31, v[28:29]
	s_waitcnt vmcnt(0) lgkmcnt(0)
	v_mul_f16_e32 v77, s23, v31
.LBB242_32:                             ;   in Loop: Header=BB242_24 Depth=1
	s_or_b64 exec, exec, s[2:3]
	v_cmp_le_i32_e64 s[2:3], s22, v30
	v_min_i32_e32 v30, s31, v30
	v_ashrrev_i32_e32 v31, 31, v30
	s_or_b64 s[4:5], s[16:17], s[2:3]
	v_lshl_add_u64 v[30:31], v[30:31], 1, s[14:15]
	s_xor_b64 s[18:19], s[4:5], -1
	s_and_saveexec_b64 s[4:5], s[18:19]
	s_cbranch_execz .LBB242_34
; %bb.33:                               ;   in Loop: Header=BB242_24 Depth=1
	v_lshl_add_u64 v[78:79], v[24:25], 1, v[30:31]
	flat_load_ushort v76, v[78:79]
	s_waitcnt vmcnt(0) lgkmcnt(0)
	v_mul_f16_e32 v76, s23, v76
.LBB242_34:                             ;   in Loop: Header=BB242_24 Depth=1
	s_or_b64 exec, exec, s[4:5]
	v_pk_max_f16 v98, v2, v2
	v_pk_max_f16 v94, v20, v20
	;; [unrolled: 1-line block ×17, first 2 shown]
	v_pk_min_f16 v2, v98, v94
	v_pk_min_f16 v20, v98, v95
	v_pk_min_f16 v12, v98, v96
	v_pk_min_f16 v16, v79, v94
	v_pk_min_f16 v22, v79, v95
	v_pk_min_f16 v78, v79, v96
	v_pk_min_f16 v14, v79, v99
	v_pk_min_f16 v18, v81, v94
	v_pk_min_f16 v79, v81, v95
	v_pk_min_f16 v80, v81, v96
	v_pk_min_f16 v8, v84, v94
	v_pk_min_f16 v82, v84, v95
	v_pk_min_f16 v83, v84, v96
	v_pk_min_f16 v10, v87, v94
	v_pk_min_f16 v85, v87, v95
	v_pk_min_f16 v86, v87, v96
	v_pk_min_f16 v4, v90, v94
	v_pk_min_f16 v88, v90, v95
	v_pk_min_f16 v89, v90, v96
	v_pk_min_f16 v6, v93, v94
	v_pk_min_f16 v91, v93, v95
	v_pk_min_f16 v92, v93, v96
	v_pk_min_f16 v94, v0, v94
	v_pk_min_f16 v95, v0, v95
	v_pk_min_f16 v96, v0, v96
	v_pk_min_f16 v97, v0, v99
	v_pk_max_f16 v0, v3, v3
	v_pk_max_f16 v100, v17, v17
	;; [unrolled: 1-line block ×5, first 2 shown]
	v_pk_min_f16 v109, v5, v116
	v_pk_min_f16 v110, v5, v117
	;; [unrolled: 1-line block ×4, first 2 shown]
	v_pk_max_f16 v5, v7, v7
	v_pk_max_f16 v1, v1, v1
	s_or_b64 s[2:3], s[6:7], s[2:3]
	v_pk_min_f16 v81, v81, v99
	v_pk_min_f16 v84, v84, v99
	v_pk_min_f16 v87, v87, v99
	v_pk_min_f16 v90, v90, v99
	v_pk_min_f16 v93, v93, v99
	v_pk_min_f16 v98, v98, v99
	v_pk_min_f16 v3, v0, v116
	v_pk_min_f16 v21, v0, v117
	v_pk_min_f16 v13, v0, v118
	v_pk_min_f16 v17, v100, v116
	v_pk_min_f16 v23, v100, v117
	v_pk_min_f16 v99, v100, v118
	v_pk_min_f16 v15, v100, v119
	v_pk_min_f16 v19, v102, v116
	v_pk_min_f16 v100, v102, v117
	v_pk_min_f16 v101, v102, v118
	v_pk_min_f16 v102, v102, v119
	v_pk_min_f16 v9, v105, v116
	v_pk_min_f16 v103, v105, v117
	v_pk_min_f16 v104, v105, v118
	v_pk_min_f16 v105, v105, v119
	v_pk_min_f16 v11, v108, v116
	v_pk_min_f16 v106, v108, v117
	v_pk_min_f16 v107, v108, v118
	v_pk_min_f16 v108, v108, v119
	v_pk_min_f16 v7, v5, v116
	v_pk_min_f16 v113, v5, v117
	v_pk_min_f16 v114, v5, v118
	v_pk_min_f16 v115, v5, v119
	v_pk_min_f16 v116, v1, v116
	v_pk_min_f16 v117, v1, v117
	v_pk_min_f16 v118, v1, v118
	v_pk_min_f16 v1, v1, v119
	v_pk_min_f16 v5, v0, v119
	s_xor_b64 s[4:5], s[2:3], -1
	v_mov_b32_e32 v0, 0
	s_and_saveexec_b64 s[2:3], s[4:5]
	s_cbranch_execz .LBB242_23
; %bb.35:                               ;   in Loop: Header=BB242_24 Depth=1
	v_lshl_add_u64 v[30:31], v[26:27], 1, v[30:31]
	flat_load_ushort v0, v[30:31]
	s_waitcnt vmcnt(0) lgkmcnt(0)
	v_mul_f16_e32 v0, s23, v0
	s_branch .LBB242_23
.LBB242_36:
	s_load_dwordx2 s[2:3], s[0:1], 0x70
	s_load_dword s33, s[0:1], 0x50
	s_load_dword s31, s[0:1], 0x68
	v_add_u32_e32 v8, 0x800, v36
	ds_read2_b64 v[0:3], v8 offset0:112 offset1:120
	ds_read2_b64 v[4:7], v35 offset0:192 offset1:224
	;; [unrolled: 1-line block ×6, first 2 shown]
	s_waitcnt lgkmcnt(0)
	s_lshl_b64 s[0:1], s[2:3], 1
	s_add_u32 s22, s12, s0
	v_add_u32_e32 v69, s30, v33
	s_addc_u32 s23, s13, s1
	v_mad_i64_i32 v[26:27], s[0:1], v69, s33, 0
	v_add_u32_e32 v24, s29, v32
	v_lshl_add_u64 v[42:43], v[26:27], 1, s[24:25]
	v_mad_i64_i32 v[26:27], s[0:1], v69, s31, 0
	v_cmp_gt_i32_e64 s[18:19], s21, v69
	v_lshl_add_u64 v[40:41], v[26:27], 1, s[22:23]
	v_cmp_gt_i32_e64 s[2:3], s20, v24
	v_cndmask_b32_e64 v26, 0, 1, s[8:9]
	s_and_b64 s[6:7], s[2:3], s[18:19]
	v_ashrrev_i32_e32 v25, 31, v24
	v_cmp_ne_u32_e64 s[0:1], 1, v26
	s_and_saveexec_b64 s[4:5], s[6:7]
	s_cbranch_execz .LBB242_41
; %bb.37:
	s_and_b64 vcc, exec, s[0:1]
	s_cbranch_vccnz .LBB242_39
; %bb.38:
	v_lshl_add_u64 v[26:27], v[24:25], 1, v[42:43]
	flat_load_ushort v26, v[26:27]
	s_waitcnt vmcnt(0) lgkmcnt(0)
	v_mul_f16_e32 v26, s28, v26
	s_branch .LBB242_40
.LBB242_39:
	v_mov_b32_e32 v26, 0
.LBB242_40:
	v_pk_max_f16 v27, v20, v20
	v_pk_max_f16 v28, v16, v16
	v_pk_max_f16 v29, v17, v17
	v_pk_min_f16 v27, v28, v27
	v_pk_max_f16 v28, v21, v21
	v_pk_add_f16 v27, v75, v27
	v_pk_min_f16 v28, v29, v28
	s_nop 0
	v_pk_add_f16 v27, v27, v28
	s_nop 0
	v_add_f16_sdwa v27, v27, v27 dst_sel:DWORD dst_unused:UNUSED_PAD src0_sel:DWORD src1_sel:WORD_1
	v_add_f16_e32 v28, v27, v26
	v_lshl_add_u64 v[26:27], v[24:25], 1, v[40:41]
	global_store_short v[26:27], v28, off
.LBB242_41:
	s_or_b64 exec, exec, s[4:5]
	v_add_u32_e32 v26, 8, v24
	v_cmp_gt_i32_e64 s[4:5], s20, v26
	s_and_b64 s[8:9], s[4:5], s[18:19]
	v_ashrrev_i32_e32 v27, 31, v26
	s_and_saveexec_b64 s[6:7], s[8:9]
	s_cbranch_execz .LBB242_46
; %bb.42:
	s_and_b64 vcc, exec, s[0:1]
	s_cbranch_vccnz .LBB242_44
; %bb.43:
	v_lshl_add_u64 v[28:29], v[26:27], 1, v[42:43]
	flat_load_ushort v28, v[28:29]
	s_waitcnt vmcnt(0) lgkmcnt(0)
	v_mul_f16_e32 v28, s28, v28
	s_branch .LBB242_45
.LBB242_44:
	v_mov_b32_e32 v28, 0
.LBB242_45:
	v_pk_max_f16 v29, v20, v20
	v_pk_max_f16 v30, v18, v18
	v_pk_max_f16 v31, v19, v19
	v_pk_min_f16 v29, v30, v29
	v_pk_max_f16 v30, v21, v21
	v_pk_add_f16 v29, v74, v29
	v_pk_min_f16 v30, v31, v30
	s_nop 0
	v_pk_add_f16 v29, v29, v30
	s_nop 0
	v_add_f16_sdwa v29, v29, v29 dst_sel:DWORD dst_unused:UNUSED_PAD src0_sel:DWORD src1_sel:WORD_1
	v_add_f16_e32 v30, v29, v28
	v_lshl_add_u64 v[28:29], v[26:27], 1, v[40:41]
	global_store_short v[28:29], v30, off
.LBB242_46:
	s_or_b64 exec, exec, s[6:7]
	v_add_u32_e32 v28, 16, v24
	v_cmp_gt_i32_e64 s[6:7], s20, v28
	s_and_b64 s[10:11], s[6:7], s[18:19]
	v_ashrrev_i32_e32 v29, 31, v28
	;; [unrolled: 34-line block ×5, first 2 shown]
	s_and_saveexec_b64 s[14:15], s[16:17]
	s_cbranch_execz .LBB242_66
; %bb.62:
	s_and_b64 vcc, exec, s[0:1]
	s_cbranch_vccnz .LBB242_64
; %bb.63:
	v_lshl_add_u64 v[36:37], v[34:35], 1, v[42:43]
	flat_load_ushort v36, v[36:37]
	s_waitcnt vmcnt(0) lgkmcnt(0)
	v_mul_f16_e32 v36, s28, v36
	s_branch .LBB242_65
.LBB242_64:
	v_mov_b32_e32 v36, 0
.LBB242_65:
	v_pk_max_f16 v37, v20, v20
	v_pk_max_f16 v38, v10, v10
	s_nop 0
	v_pk_min_f16 v37, v38, v37
	v_pk_max_f16 v38, v21, v21
	v_pk_add_f16 v37, v70, v37
	v_pk_max_f16 v70, v11, v11
	s_nop 0
	v_pk_min_f16 v38, v70, v38
	s_nop 0
	v_pk_add_f16 v37, v37, v38
	s_nop 0
	v_add_f16_sdwa v37, v37, v37 dst_sel:DWORD dst_unused:UNUSED_PAD src0_sel:DWORD src1_sel:WORD_1
	v_add_f16_e32 v38, v37, v36
	v_lshl_add_u64 v[36:37], v[34:35], 1, v[40:41]
	global_store_short v[36:37], v38, off
.LBB242_66:
	s_or_b64 exec, exec, s[14:15]
	v_add_u32_e32 v36, 48, v24
	v_cmp_gt_i32_e64 s[14:15], s20, v36
	s_and_b64 s[26:27], s[14:15], s[18:19]
	v_ashrrev_i32_e32 v37, 31, v36
	s_and_saveexec_b64 s[16:17], s[26:27]
	s_cbranch_execz .LBB242_71
; %bb.67:
	s_and_b64 vcc, exec, s[0:1]
	s_cbranch_vccnz .LBB242_69
; %bb.68:
	v_lshl_add_u64 v[70:71], v[36:37], 1, v[42:43]
	flat_load_ushort v38, v[70:71]
	s_waitcnt vmcnt(0) lgkmcnt(0)
	v_mul_f16_e32 v38, s28, v38
	s_branch .LBB242_70
.LBB242_69:
	v_mov_b32_e32 v38, 0
.LBB242_70:
	v_pk_max_f16 v70, v20, v20
	v_pk_max_f16 v71, v0, v0
	s_nop 0
	v_pk_min_f16 v70, v71, v70
	v_pk_max_f16 v71, v1, v1
	v_pk_add_f16 v39, v39, v70
	v_pk_max_f16 v70, v21, v21
	s_nop 0
	v_pk_min_f16 v70, v71, v70
	s_nop 0
	v_pk_add_f16 v39, v39, v70
	s_nop 0
	v_add_f16_sdwa v39, v39, v39 dst_sel:DWORD dst_unused:UNUSED_PAD src0_sel:DWORD src1_sel:WORD_1
	v_add_f16_e32 v70, v39, v38
	v_lshl_add_u64 v[38:39], v[36:37], 1, v[40:41]
	global_store_short v[38:39], v70, off
.LBB242_71:
	s_or_b64 exec, exec, s[16:17]
	v_add_u32_e32 v38, 56, v24
	v_cmp_gt_i32_e64 s[16:17], s20, v38
	s_and_b64 s[26:27], s[16:17], s[18:19]
	v_ashrrev_i32_e32 v39, 31, v38
	s_and_saveexec_b64 s[18:19], s[26:27]
	s_cbranch_execz .LBB242_76
; %bb.72:
	s_and_b64 vcc, exec, s[0:1]
	s_cbranch_vccnz .LBB242_74
; %bb.73:
	v_lshl_add_u64 v[42:43], v[38:39], 1, v[42:43]
	flat_load_ushort v42, v[42:43]
	s_waitcnt vmcnt(0) lgkmcnt(0)
	v_mul_f16_e32 v42, s28, v42
	s_branch .LBB242_75
.LBB242_74:
	v_mov_b32_e32 v42, 0
.LBB242_75:
	v_pk_max_f16 v20, v20, v20
	v_pk_max_f16 v43, v2, v2
	;; [unrolled: 1-line block ×3, first 2 shown]
	v_pk_min_f16 v20, v43, v20
	v_pk_max_f16 v43, v3, v3
	v_pk_add_f16 v20, v68, v20
	v_pk_min_f16 v21, v43, v21
	s_nop 0
	v_pk_add_f16 v20, v20, v21
	s_nop 0
	v_add_f16_sdwa v20, v20, v20 dst_sel:DWORD dst_unused:UNUSED_PAD src0_sel:DWORD src1_sel:WORD_1
	v_add_f16_e32 v42, v20, v42
	v_lshl_add_u64 v[20:21], v[38:39], 1, v[40:41]
	global_store_short v[20:21], v42, off
.LBB242_76:
	s_or_b64 exec, exec, s[18:19]
	v_add_u32_e32 v42, 32, v69
	v_mad_i64_i32 v[20:21], s[26:27], v42, s33, 0
	v_cmp_gt_i32_e64 s[18:19], s21, v42
	v_lshl_add_u64 v[40:41], v[20:21], 1, s[24:25]
	v_mad_i64_i32 v[20:21], s[26:27], v42, s31, 0
	v_lshl_add_u64 v[20:21], v[20:21], 1, s[22:23]
	s_and_b64 s[34:35], s[2:3], s[18:19]
	s_and_saveexec_b64 s[26:27], s[34:35]
	s_cbranch_execnz .LBB242_84
; %bb.77:
	s_or_b64 exec, exec, s[26:27]
	s_and_b64 s[34:35], s[4:5], s[18:19]
	s_and_saveexec_b64 s[26:27], s[34:35]
	s_cbranch_execnz .LBB242_88
.LBB242_78:
	s_or_b64 exec, exec, s[26:27]
	s_and_b64 s[34:35], s[6:7], s[18:19]
	s_and_saveexec_b64 s[26:27], s[34:35]
	s_cbranch_execnz .LBB242_92
.LBB242_79:
	s_or_b64 exec, exec, s[26:27]
	s_and_b64 s[34:35], s[8:9], s[18:19]
	s_and_saveexec_b64 s[26:27], s[34:35]
	s_cbranch_execnz .LBB242_96
.LBB242_80:
	s_or_b64 exec, exec, s[26:27]
	s_and_b64 s[34:35], s[10:11], s[18:19]
	s_and_saveexec_b64 s[26:27], s[34:35]
	s_cbranch_execnz .LBB242_100
.LBB242_81:
	s_or_b64 exec, exec, s[26:27]
	s_and_b64 s[34:35], s[12:13], s[18:19]
	s_and_saveexec_b64 s[26:27], s[34:35]
	s_cbranch_execnz .LBB242_104
.LBB242_82:
	s_or_b64 exec, exec, s[26:27]
	s_and_b64 s[34:35], s[14:15], s[18:19]
	s_and_saveexec_b64 s[26:27], s[34:35]
	s_cbranch_execnz .LBB242_108
.LBB242_83:
	s_or_b64 exec, exec, s[26:27]
	s_and_b64 s[26:27], s[16:17], s[18:19]
	s_and_saveexec_b64 s[18:19], s[26:27]
	s_cbranch_execnz .LBB242_112
	s_branch .LBB242_116
.LBB242_84:
	s_and_b64 vcc, exec, s[0:1]
	s_cbranch_vccnz .LBB242_86
; %bb.85:
	v_lshl_add_u64 v[42:43], v[24:25], 1, v[40:41]
	flat_load_ushort v42, v[42:43]
	s_waitcnt vmcnt(0) lgkmcnt(0)
	v_mul_f16_e32 v42, s28, v42
	s_branch .LBB242_87
.LBB242_86:
	v_mov_b32_e32 v42, 0
.LBB242_87:
	v_pk_max_f16 v43, v22, v22
	v_pk_max_f16 v68, v16, v16
	s_nop 0
	v_pk_min_f16 v43, v68, v43
	v_pk_max_f16 v68, v17, v17
	v_pk_add_f16 v43, v67, v43
	v_pk_max_f16 v67, v23, v23
	s_nop 0
	v_pk_min_f16 v67, v68, v67
	s_nop 0
	v_pk_add_f16 v43, v43, v67
	s_nop 0
	v_add_f16_sdwa v43, v43, v43 dst_sel:DWORD dst_unused:UNUSED_PAD src0_sel:DWORD src1_sel:WORD_1
	v_add_f16_e32 v67, v43, v42
	v_lshl_add_u64 v[42:43], v[24:25], 1, v[20:21]
	global_store_short v[42:43], v67, off
	s_or_b64 exec, exec, s[26:27]
	s_and_b64 s[34:35], s[4:5], s[18:19]
	s_and_saveexec_b64 s[26:27], s[34:35]
	s_cbranch_execz .LBB242_78
.LBB242_88:
	s_and_b64 vcc, exec, s[0:1]
	s_cbranch_vccnz .LBB242_90
; %bb.89:
	v_lshl_add_u64 v[42:43], v[26:27], 1, v[40:41]
	flat_load_ushort v42, v[42:43]
	s_waitcnt vmcnt(0) lgkmcnt(0)
	v_mul_f16_e32 v42, s28, v42
	s_branch .LBB242_91
.LBB242_90:
	v_mov_b32_e32 v42, 0
.LBB242_91:
	v_pk_max_f16 v43, v22, v22
	v_pk_max_f16 v67, v18, v18
	s_nop 0
	v_pk_min_f16 v43, v67, v43
	v_pk_max_f16 v67, v19, v19
	v_pk_add_f16 v43, v66, v43
	v_pk_max_f16 v66, v23, v23
	s_nop 0
	v_pk_min_f16 v66, v67, v66
	s_nop 0
	v_pk_add_f16 v43, v43, v66
	s_nop 0
	v_add_f16_sdwa v43, v43, v43 dst_sel:DWORD dst_unused:UNUSED_PAD src0_sel:DWORD src1_sel:WORD_1
	v_add_f16_e32 v66, v43, v42
	v_lshl_add_u64 v[42:43], v[26:27], 1, v[20:21]
	global_store_short v[42:43], v66, off
	s_or_b64 exec, exec, s[26:27]
	s_and_b64 s[34:35], s[6:7], s[18:19]
	s_and_saveexec_b64 s[26:27], s[34:35]
	s_cbranch_execz .LBB242_79
.LBB242_92:
	s_and_b64 vcc, exec, s[0:1]
	s_cbranch_vccnz .LBB242_94
; %bb.93:
	v_lshl_add_u64 v[42:43], v[28:29], 1, v[40:41]
	flat_load_ushort v42, v[42:43]
	s_waitcnt vmcnt(0) lgkmcnt(0)
	v_mul_f16_e32 v42, s28, v42
	s_branch .LBB242_95
.LBB242_94:
	v_mov_b32_e32 v42, 0
.LBB242_95:
	v_pk_max_f16 v43, v22, v22
	v_pk_max_f16 v66, v12, v12
	s_nop 0
	v_pk_min_f16 v43, v66, v43
	v_pk_max_f16 v66, v13, v13
	v_pk_add_f16 v43, v65, v43
	v_pk_max_f16 v65, v23, v23
	s_nop 0
	v_pk_min_f16 v65, v66, v65
	s_nop 0
	v_pk_add_f16 v43, v43, v65
	s_nop 0
	v_add_f16_sdwa v43, v43, v43 dst_sel:DWORD dst_unused:UNUSED_PAD src0_sel:DWORD src1_sel:WORD_1
	v_add_f16_e32 v65, v43, v42
	v_lshl_add_u64 v[42:43], v[28:29], 1, v[20:21]
	global_store_short v[42:43], v65, off
	s_or_b64 exec, exec, s[26:27]
	s_and_b64 s[34:35], s[8:9], s[18:19]
	s_and_saveexec_b64 s[26:27], s[34:35]
	s_cbranch_execz .LBB242_80
.LBB242_96:
	s_and_b64 vcc, exec, s[0:1]
	s_cbranch_vccnz .LBB242_98
; %bb.97:
	v_lshl_add_u64 v[42:43], v[30:31], 1, v[40:41]
	flat_load_ushort v42, v[42:43]
	s_waitcnt vmcnt(0) lgkmcnt(0)
	v_mul_f16_e32 v42, s28, v42
	s_branch .LBB242_99
.LBB242_98:
	v_mov_b32_e32 v42, 0
.LBB242_99:
	v_pk_max_f16 v43, v22, v22
	v_pk_max_f16 v65, v14, v14
	s_nop 0
	v_pk_min_f16 v43, v65, v43
	v_pk_max_f16 v65, v15, v15
	v_pk_add_f16 v43, v64, v43
	v_pk_max_f16 v64, v23, v23
	s_nop 0
	v_pk_min_f16 v64, v65, v64
	s_nop 0
	v_pk_add_f16 v43, v43, v64
	s_nop 0
	v_add_f16_sdwa v43, v43, v43 dst_sel:DWORD dst_unused:UNUSED_PAD src0_sel:DWORD src1_sel:WORD_1
	v_add_f16_e32 v64, v43, v42
	v_lshl_add_u64 v[42:43], v[30:31], 1, v[20:21]
	global_store_short v[42:43], v64, off
	s_or_b64 exec, exec, s[26:27]
	s_and_b64 s[34:35], s[10:11], s[18:19]
	s_and_saveexec_b64 s[26:27], s[34:35]
	s_cbranch_execz .LBB242_81
.LBB242_100:
	s_and_b64 vcc, exec, s[0:1]
	s_cbranch_vccnz .LBB242_102
; %bb.101:
	v_lshl_add_u64 v[42:43], v[32:33], 1, v[40:41]
	flat_load_ushort v42, v[42:43]
	s_waitcnt vmcnt(0) lgkmcnt(0)
	v_mul_f16_e32 v42, s28, v42
	s_branch .LBB242_103
.LBB242_102:
	v_mov_b32_e32 v42, 0
.LBB242_103:
	v_pk_max_f16 v43, v22, v22
	v_pk_max_f16 v64, v8, v8
	s_nop 0
	v_pk_min_f16 v43, v64, v43
	v_pk_max_f16 v64, v9, v9
	v_pk_add_f16 v43, v63, v43
	v_pk_max_f16 v63, v23, v23
	s_nop 0
	v_pk_min_f16 v63, v64, v63
	s_nop 0
	v_pk_add_f16 v43, v43, v63
	s_nop 0
	v_add_f16_sdwa v43, v43, v43 dst_sel:DWORD dst_unused:UNUSED_PAD src0_sel:DWORD src1_sel:WORD_1
	v_add_f16_e32 v63, v43, v42
	v_lshl_add_u64 v[42:43], v[32:33], 1, v[20:21]
	global_store_short v[42:43], v63, off
	s_or_b64 exec, exec, s[26:27]
	s_and_b64 s[34:35], s[12:13], s[18:19]
	s_and_saveexec_b64 s[26:27], s[34:35]
	s_cbranch_execz .LBB242_82
.LBB242_104:
	s_and_b64 vcc, exec, s[0:1]
	s_cbranch_vccnz .LBB242_106
; %bb.105:
	v_lshl_add_u64 v[42:43], v[34:35], 1, v[40:41]
	flat_load_ushort v42, v[42:43]
	s_waitcnt vmcnt(0) lgkmcnt(0)
	v_mul_f16_e32 v42, s28, v42
	s_branch .LBB242_107
.LBB242_106:
	v_mov_b32_e32 v42, 0
.LBB242_107:
	v_pk_max_f16 v43, v22, v22
	v_pk_max_f16 v63, v10, v10
	s_nop 0
	v_pk_min_f16 v43, v63, v43
	v_pk_max_f16 v63, v11, v11
	v_pk_add_f16 v43, v62, v43
	v_pk_max_f16 v62, v23, v23
	s_nop 0
	v_pk_min_f16 v62, v63, v62
	s_nop 0
	v_pk_add_f16 v43, v43, v62
	s_nop 0
	v_add_f16_sdwa v43, v43, v43 dst_sel:DWORD dst_unused:UNUSED_PAD src0_sel:DWORD src1_sel:WORD_1
	v_add_f16_e32 v62, v43, v42
	v_lshl_add_u64 v[42:43], v[34:35], 1, v[20:21]
	global_store_short v[42:43], v62, off
	s_or_b64 exec, exec, s[26:27]
	s_and_b64 s[34:35], s[14:15], s[18:19]
	s_and_saveexec_b64 s[26:27], s[34:35]
	s_cbranch_execz .LBB242_83
.LBB242_108:
	s_and_b64 vcc, exec, s[0:1]
	s_cbranch_vccnz .LBB242_110
; %bb.109:
	v_lshl_add_u64 v[42:43], v[36:37], 1, v[40:41]
	flat_load_ushort v42, v[42:43]
	s_waitcnt vmcnt(0) lgkmcnt(0)
	v_mul_f16_e32 v42, s28, v42
	s_branch .LBB242_111
.LBB242_110:
	v_mov_b32_e32 v42, 0
.LBB242_111:
	v_pk_max_f16 v43, v22, v22
	v_pk_max_f16 v62, v0, v0
	s_nop 0
	v_pk_min_f16 v43, v62, v43
	v_pk_max_f16 v62, v1, v1
	v_pk_add_f16 v43, v61, v43
	v_pk_max_f16 v61, v23, v23
	s_nop 0
	v_pk_min_f16 v61, v62, v61
	s_nop 0
	v_pk_add_f16 v43, v43, v61
	s_nop 0
	v_add_f16_sdwa v43, v43, v43 dst_sel:DWORD dst_unused:UNUSED_PAD src0_sel:DWORD src1_sel:WORD_1
	v_add_f16_e32 v61, v43, v42
	v_lshl_add_u64 v[42:43], v[36:37], 1, v[20:21]
	global_store_short v[42:43], v61, off
	s_or_b64 exec, exec, s[26:27]
	s_and_b64 s[26:27], s[16:17], s[18:19]
	s_and_saveexec_b64 s[18:19], s[26:27]
	s_cbranch_execz .LBB242_116
.LBB242_112:
	s_and_b64 vcc, exec, s[0:1]
	s_cbranch_vccnz .LBB242_114
; %bb.113:
	v_lshl_add_u64 v[40:41], v[38:39], 1, v[40:41]
	flat_load_ushort v40, v[40:41]
	s_waitcnt vmcnt(0) lgkmcnt(0)
	v_mul_f16_e32 v40, s28, v40
	s_branch .LBB242_115
.LBB242_114:
	v_mov_b32_e32 v40, 0
.LBB242_115:
	v_pk_max_f16 v22, v22, v22
	v_pk_max_f16 v41, v2, v2
	;; [unrolled: 1-line block ×3, first 2 shown]
	v_pk_min_f16 v22, v41, v22
	v_pk_max_f16 v41, v3, v3
	v_pk_add_f16 v22, v60, v22
	v_pk_min_f16 v23, v41, v23
	v_lshl_add_u64 v[20:21], v[38:39], 1, v[20:21]
	v_pk_add_f16 v22, v22, v23
	s_nop 0
	v_add_f16_sdwa v22, v22, v22 dst_sel:DWORD dst_unused:UNUSED_PAD src0_sel:DWORD src1_sel:WORD_1
	v_add_f16_e32 v22, v22, v40
	global_store_short v[20:21], v22, off
.LBB242_116:
	s_or_b64 exec, exec, s[18:19]
	v_add_u32_e32 v40, 64, v69
	v_mad_i64_i32 v[20:21], s[26:27], v40, s33, 0
	v_cmp_gt_i32_e64 s[18:19], s21, v40
	v_lshl_add_u64 v[22:23], v[20:21], 1, s[24:25]
	v_mad_i64_i32 v[20:21], s[26:27], v40, s31, 0
	v_lshl_add_u64 v[20:21], v[20:21], 1, s[22:23]
	s_and_b64 s[34:35], s[2:3], s[18:19]
	s_and_saveexec_b64 s[26:27], s[34:35]
	s_cbranch_execnz .LBB242_124
; %bb.117:
	s_or_b64 exec, exec, s[26:27]
	s_and_b64 s[34:35], s[4:5], s[18:19]
	s_and_saveexec_b64 s[26:27], s[34:35]
	s_cbranch_execnz .LBB242_128
.LBB242_118:
	s_or_b64 exec, exec, s[26:27]
	s_and_b64 s[34:35], s[6:7], s[18:19]
	s_and_saveexec_b64 s[26:27], s[34:35]
	s_cbranch_execnz .LBB242_132
.LBB242_119:
	s_or_b64 exec, exec, s[26:27]
	s_and_b64 s[34:35], s[8:9], s[18:19]
	s_and_saveexec_b64 s[26:27], s[34:35]
	s_cbranch_execnz .LBB242_136
.LBB242_120:
	s_or_b64 exec, exec, s[26:27]
	s_and_b64 s[34:35], s[10:11], s[18:19]
	s_and_saveexec_b64 s[26:27], s[34:35]
	s_cbranch_execnz .LBB242_140
.LBB242_121:
	s_or_b64 exec, exec, s[26:27]
	s_and_b64 s[34:35], s[12:13], s[18:19]
	s_and_saveexec_b64 s[26:27], s[34:35]
	s_cbranch_execnz .LBB242_144
.LBB242_122:
	s_or_b64 exec, exec, s[26:27]
	s_and_b64 s[34:35], s[14:15], s[18:19]
	s_and_saveexec_b64 s[26:27], s[34:35]
	s_cbranch_execnz .LBB242_148
.LBB242_123:
	s_or_b64 exec, exec, s[26:27]
	s_and_b64 s[26:27], s[16:17], s[18:19]
	s_and_saveexec_b64 s[18:19], s[26:27]
	s_cbranch_execnz .LBB242_152
	s_branch .LBB242_156
.LBB242_124:
	s_and_b64 vcc, exec, s[0:1]
	s_cbranch_vccnz .LBB242_126
; %bb.125:
	v_lshl_add_u64 v[40:41], v[24:25], 1, v[22:23]
	flat_load_ushort v40, v[40:41]
	s_waitcnt vmcnt(0) lgkmcnt(0)
	v_mul_f16_e32 v40, s28, v40
	s_branch .LBB242_127
.LBB242_126:
	v_mov_b32_e32 v40, 0
.LBB242_127:
	v_pk_max_f16 v41, v4, v4
	v_pk_max_f16 v42, v16, v16
	;; [unrolled: 1-line block ×3, first 2 shown]
	v_pk_min_f16 v41, v42, v41
	v_pk_max_f16 v42, v5, v5
	v_pk_add_f16 v41, v59, v41
	v_pk_min_f16 v42, v43, v42
	s_nop 0
	v_pk_add_f16 v41, v41, v42
	s_nop 0
	v_add_f16_sdwa v41, v41, v41 dst_sel:DWORD dst_unused:UNUSED_PAD src0_sel:DWORD src1_sel:WORD_1
	v_add_f16_e32 v42, v41, v40
	v_lshl_add_u64 v[40:41], v[24:25], 1, v[20:21]
	global_store_short v[40:41], v42, off
	s_or_b64 exec, exec, s[26:27]
	s_and_b64 s[34:35], s[4:5], s[18:19]
	s_and_saveexec_b64 s[26:27], s[34:35]
	s_cbranch_execz .LBB242_118
.LBB242_128:
	s_and_b64 vcc, exec, s[0:1]
	s_cbranch_vccnz .LBB242_130
; %bb.129:
	v_lshl_add_u64 v[40:41], v[26:27], 1, v[22:23]
	flat_load_ushort v40, v[40:41]
	s_waitcnt vmcnt(0) lgkmcnt(0)
	v_mul_f16_e32 v40, s28, v40
	s_branch .LBB242_131
.LBB242_130:
	v_mov_b32_e32 v40, 0
.LBB242_131:
	v_pk_max_f16 v41, v4, v4
	v_pk_max_f16 v42, v18, v18
	;; [unrolled: 1-line block ×3, first 2 shown]
	v_pk_min_f16 v41, v42, v41
	v_pk_max_f16 v42, v5, v5
	v_pk_add_f16 v41, v58, v41
	v_pk_min_f16 v42, v43, v42
	s_nop 0
	v_pk_add_f16 v41, v41, v42
	s_nop 0
	v_add_f16_sdwa v41, v41, v41 dst_sel:DWORD dst_unused:UNUSED_PAD src0_sel:DWORD src1_sel:WORD_1
	v_add_f16_e32 v42, v41, v40
	v_lshl_add_u64 v[40:41], v[26:27], 1, v[20:21]
	global_store_short v[40:41], v42, off
	s_or_b64 exec, exec, s[26:27]
	s_and_b64 s[34:35], s[6:7], s[18:19]
	s_and_saveexec_b64 s[26:27], s[34:35]
	s_cbranch_execz .LBB242_119
.LBB242_132:
	s_and_b64 vcc, exec, s[0:1]
	s_cbranch_vccnz .LBB242_134
; %bb.133:
	v_lshl_add_u64 v[40:41], v[28:29], 1, v[22:23]
	flat_load_ushort v40, v[40:41]
	s_waitcnt vmcnt(0) lgkmcnt(0)
	v_mul_f16_e32 v40, s28, v40
	s_branch .LBB242_135
.LBB242_134:
	v_mov_b32_e32 v40, 0
.LBB242_135:
	v_pk_max_f16 v41, v4, v4
	v_pk_max_f16 v42, v12, v12
	;; [unrolled: 1-line block ×3, first 2 shown]
	v_pk_min_f16 v41, v42, v41
	v_pk_max_f16 v42, v5, v5
	v_pk_add_f16 v41, v57, v41
	v_pk_min_f16 v42, v43, v42
	s_nop 0
	v_pk_add_f16 v41, v41, v42
	s_nop 0
	v_add_f16_sdwa v41, v41, v41 dst_sel:DWORD dst_unused:UNUSED_PAD src0_sel:DWORD src1_sel:WORD_1
	v_add_f16_e32 v42, v41, v40
	v_lshl_add_u64 v[40:41], v[28:29], 1, v[20:21]
	global_store_short v[40:41], v42, off
	s_or_b64 exec, exec, s[26:27]
	s_and_b64 s[34:35], s[8:9], s[18:19]
	s_and_saveexec_b64 s[26:27], s[34:35]
	s_cbranch_execz .LBB242_120
.LBB242_136:
	s_and_b64 vcc, exec, s[0:1]
	s_cbranch_vccnz .LBB242_138
; %bb.137:
	v_lshl_add_u64 v[40:41], v[30:31], 1, v[22:23]
	flat_load_ushort v40, v[40:41]
	s_waitcnt vmcnt(0) lgkmcnt(0)
	v_mul_f16_e32 v40, s28, v40
	s_branch .LBB242_139
.LBB242_138:
	v_mov_b32_e32 v40, 0
.LBB242_139:
	v_pk_max_f16 v41, v4, v4
	v_pk_max_f16 v42, v14, v14
	;; [unrolled: 1-line block ×3, first 2 shown]
	v_pk_min_f16 v41, v42, v41
	v_pk_max_f16 v42, v5, v5
	v_pk_add_f16 v41, v56, v41
	v_pk_min_f16 v42, v43, v42
	s_nop 0
	v_pk_add_f16 v41, v41, v42
	s_nop 0
	v_add_f16_sdwa v41, v41, v41 dst_sel:DWORD dst_unused:UNUSED_PAD src0_sel:DWORD src1_sel:WORD_1
	v_add_f16_e32 v42, v41, v40
	v_lshl_add_u64 v[40:41], v[30:31], 1, v[20:21]
	global_store_short v[40:41], v42, off
	s_or_b64 exec, exec, s[26:27]
	s_and_b64 s[34:35], s[10:11], s[18:19]
	s_and_saveexec_b64 s[26:27], s[34:35]
	s_cbranch_execz .LBB242_121
.LBB242_140:
	s_and_b64 vcc, exec, s[0:1]
	s_cbranch_vccnz .LBB242_142
; %bb.141:
	v_lshl_add_u64 v[40:41], v[32:33], 1, v[22:23]
	flat_load_ushort v40, v[40:41]
	s_waitcnt vmcnt(0) lgkmcnt(0)
	v_mul_f16_e32 v40, s28, v40
	s_branch .LBB242_143
.LBB242_142:
	v_mov_b32_e32 v40, 0
.LBB242_143:
	v_pk_max_f16 v41, v4, v4
	v_pk_max_f16 v42, v8, v8
	v_pk_max_f16 v43, v9, v9
	v_pk_min_f16 v41, v42, v41
	v_pk_max_f16 v42, v5, v5
	v_pk_add_f16 v41, v55, v41
	v_pk_min_f16 v42, v43, v42
	s_nop 0
	v_pk_add_f16 v41, v41, v42
	s_nop 0
	v_add_f16_sdwa v41, v41, v41 dst_sel:DWORD dst_unused:UNUSED_PAD src0_sel:DWORD src1_sel:WORD_1
	v_add_f16_e32 v42, v41, v40
	v_lshl_add_u64 v[40:41], v[32:33], 1, v[20:21]
	global_store_short v[40:41], v42, off
	s_or_b64 exec, exec, s[26:27]
	s_and_b64 s[34:35], s[12:13], s[18:19]
	s_and_saveexec_b64 s[26:27], s[34:35]
	s_cbranch_execz .LBB242_122
.LBB242_144:
	s_and_b64 vcc, exec, s[0:1]
	s_cbranch_vccnz .LBB242_146
; %bb.145:
	v_lshl_add_u64 v[40:41], v[34:35], 1, v[22:23]
	flat_load_ushort v40, v[40:41]
	s_waitcnt vmcnt(0) lgkmcnt(0)
	v_mul_f16_e32 v40, s28, v40
	s_branch .LBB242_147
.LBB242_146:
	v_mov_b32_e32 v40, 0
.LBB242_147:
	v_pk_max_f16 v41, v4, v4
	v_pk_max_f16 v42, v10, v10
	;; [unrolled: 1-line block ×3, first 2 shown]
	v_pk_min_f16 v41, v42, v41
	v_pk_max_f16 v42, v5, v5
	v_pk_add_f16 v41, v54, v41
	v_pk_min_f16 v42, v43, v42
	s_nop 0
	v_pk_add_f16 v41, v41, v42
	s_nop 0
	v_add_f16_sdwa v41, v41, v41 dst_sel:DWORD dst_unused:UNUSED_PAD src0_sel:DWORD src1_sel:WORD_1
	v_add_f16_e32 v42, v41, v40
	v_lshl_add_u64 v[40:41], v[34:35], 1, v[20:21]
	global_store_short v[40:41], v42, off
	s_or_b64 exec, exec, s[26:27]
	s_and_b64 s[34:35], s[14:15], s[18:19]
	s_and_saveexec_b64 s[26:27], s[34:35]
	s_cbranch_execz .LBB242_123
.LBB242_148:
	s_and_b64 vcc, exec, s[0:1]
	s_cbranch_vccnz .LBB242_150
; %bb.149:
	v_lshl_add_u64 v[40:41], v[36:37], 1, v[22:23]
	flat_load_ushort v40, v[40:41]
	s_waitcnt vmcnt(0) lgkmcnt(0)
	v_mul_f16_e32 v40, s28, v40
	s_branch .LBB242_151
.LBB242_150:
	v_mov_b32_e32 v40, 0
.LBB242_151:
	v_pk_max_f16 v41, v4, v4
	v_pk_max_f16 v42, v0, v0
	;; [unrolled: 1-line block ×3, first 2 shown]
	v_pk_min_f16 v41, v42, v41
	v_pk_max_f16 v42, v5, v5
	v_pk_add_f16 v41, v53, v41
	v_pk_min_f16 v42, v43, v42
	s_nop 0
	v_pk_add_f16 v41, v41, v42
	s_nop 0
	v_add_f16_sdwa v41, v41, v41 dst_sel:DWORD dst_unused:UNUSED_PAD src0_sel:DWORD src1_sel:WORD_1
	v_add_f16_e32 v42, v41, v40
	v_lshl_add_u64 v[40:41], v[36:37], 1, v[20:21]
	global_store_short v[40:41], v42, off
	s_or_b64 exec, exec, s[26:27]
	s_and_b64 s[26:27], s[16:17], s[18:19]
	s_and_saveexec_b64 s[18:19], s[26:27]
	s_cbranch_execz .LBB242_156
.LBB242_152:
	s_and_b64 vcc, exec, s[0:1]
	s_cbranch_vccnz .LBB242_154
; %bb.153:
	v_lshl_add_u64 v[22:23], v[38:39], 1, v[22:23]
	flat_load_ushort v22, v[22:23]
	s_waitcnt vmcnt(0) lgkmcnt(0)
	v_mul_f16_e32 v22, s28, v22
	s_branch .LBB242_155
.LBB242_154:
	v_mov_b32_e32 v22, 0
.LBB242_155:
	v_pk_max_f16 v4, v4, v4
	v_pk_max_f16 v23, v2, v2
	;; [unrolled: 1-line block ×3, first 2 shown]
	v_pk_min_f16 v4, v23, v4
	v_pk_max_f16 v23, v3, v3
	v_pk_add_f16 v4, v52, v4
	v_pk_min_f16 v5, v23, v5
	s_nop 0
	v_pk_add_f16 v4, v4, v5
	s_nop 0
	v_add_f16_sdwa v4, v4, v4 dst_sel:DWORD dst_unused:UNUSED_PAD src0_sel:DWORD src1_sel:WORD_1
	v_add_f16_e32 v22, v4, v22
	v_lshl_add_u64 v[4:5], v[38:39], 1, v[20:21]
	global_store_short v[4:5], v22, off
.LBB242_156:
	s_or_b64 exec, exec, s[18:19]
	v_add_u32_e32 v22, 0x60, v69
	v_cmp_gt_i32_e64 s[18:19], s21, v22
	v_mad_i64_i32 v[4:5], s[20:21], v22, s33, 0
	v_lshl_add_u64 v[20:21], v[4:5], 1, s[24:25]
	v_mad_i64_i32 v[4:5], s[20:21], v22, s31, 0
	v_lshl_add_u64 v[4:5], v[4:5], 1, s[22:23]
	s_and_b64 s[20:21], s[2:3], s[18:19]
	s_and_saveexec_b64 s[2:3], s[20:21]
	s_cbranch_execnz .LBB242_165
; %bb.157:
	s_or_b64 exec, exec, s[2:3]
	s_and_b64 s[4:5], s[4:5], s[18:19]
	s_and_saveexec_b64 s[2:3], s[4:5]
	s_cbranch_execnz .LBB242_169
.LBB242_158:
	s_or_b64 exec, exec, s[2:3]
	s_and_b64 s[4:5], s[6:7], s[18:19]
	s_and_saveexec_b64 s[2:3], s[4:5]
	s_cbranch_execnz .LBB242_173
.LBB242_159:
	s_or_b64 exec, exec, s[2:3]
	s_and_b64 s[4:5], s[8:9], s[18:19]
	s_and_saveexec_b64 s[2:3], s[4:5]
	s_cbranch_execnz .LBB242_177
.LBB242_160:
	s_or_b64 exec, exec, s[2:3]
	s_and_b64 s[4:5], s[10:11], s[18:19]
	s_and_saveexec_b64 s[2:3], s[4:5]
	s_cbranch_execnz .LBB242_181
.LBB242_161:
	s_or_b64 exec, exec, s[2:3]
	s_and_b64 s[4:5], s[12:13], s[18:19]
	s_and_saveexec_b64 s[2:3], s[4:5]
	s_cbranch_execnz .LBB242_185
.LBB242_162:
	s_or_b64 exec, exec, s[2:3]
	s_and_b64 s[4:5], s[14:15], s[18:19]
	s_and_saveexec_b64 s[2:3], s[4:5]
	s_cbranch_execnz .LBB242_189
.LBB242_163:
	s_or_b64 exec, exec, s[2:3]
	s_and_b64 s[2:3], s[16:17], s[18:19]
	s_and_saveexec_b64 s[4:5], s[2:3]
	s_cbranch_execnz .LBB242_193
.LBB242_164:
	s_endpgm
.LBB242_165:
	s_and_b64 vcc, exec, s[0:1]
	s_cbranch_vccnz .LBB242_167
; %bb.166:
	v_lshl_add_u64 v[22:23], v[24:25], 1, v[20:21]
	flat_load_ushort v22, v[22:23]
	s_waitcnt vmcnt(0) lgkmcnt(0)
	v_mul_f16_e32 v22, s28, v22
	s_branch .LBB242_168
.LBB242_167:
	v_mov_b32_e32 v22, 0
.LBB242_168:
	v_pk_max_f16 v23, v6, v6
	v_pk_max_f16 v16, v16, v16
	;; [unrolled: 1-line block ×3, first 2 shown]
	v_pk_min_f16 v16, v16, v23
	v_pk_max_f16 v23, v7, v7
	v_pk_add_f16 v16, v51, v16
	v_pk_min_f16 v17, v17, v23
	s_nop 0
	v_pk_add_f16 v16, v16, v17
	s_nop 0
	v_add_f16_sdwa v16, v16, v16 dst_sel:DWORD dst_unused:UNUSED_PAD src0_sel:DWORD src1_sel:WORD_1
	v_add_f16_e32 v22, v16, v22
	v_lshl_add_u64 v[16:17], v[24:25], 1, v[4:5]
	global_store_short v[16:17], v22, off
	s_or_b64 exec, exec, s[2:3]
	s_and_b64 s[4:5], s[4:5], s[18:19]
	s_and_saveexec_b64 s[2:3], s[4:5]
	s_cbranch_execz .LBB242_158
.LBB242_169:
	s_and_b64 vcc, exec, s[0:1]
	s_cbranch_vccnz .LBB242_171
; %bb.170:
	v_lshl_add_u64 v[16:17], v[26:27], 1, v[20:21]
	flat_load_ushort v16, v[16:17]
	s_waitcnt vmcnt(0) lgkmcnt(0)
	v_mul_f16_e32 v16, s28, v16
	s_branch .LBB242_172
.LBB242_171:
	v_mov_b32_e32 v16, 0
.LBB242_172:
	v_pk_max_f16 v17, v6, v6
	v_pk_max_f16 v18, v18, v18
	v_pk_max_f16 v19, v19, v19
	v_pk_min_f16 v17, v18, v17
	v_pk_max_f16 v18, v7, v7
	v_pk_add_f16 v17, v50, v17
	v_pk_min_f16 v18, v19, v18
	s_nop 0
	v_pk_add_f16 v17, v17, v18
	s_nop 0
	v_add_f16_sdwa v17, v17, v17 dst_sel:DWORD dst_unused:UNUSED_PAD src0_sel:DWORD src1_sel:WORD_1
	v_add_f16_e32 v18, v17, v16
	v_lshl_add_u64 v[16:17], v[26:27], 1, v[4:5]
	global_store_short v[16:17], v18, off
	s_or_b64 exec, exec, s[2:3]
	s_and_b64 s[4:5], s[6:7], s[18:19]
	s_and_saveexec_b64 s[2:3], s[4:5]
	s_cbranch_execz .LBB242_159
.LBB242_173:
	s_and_b64 vcc, exec, s[0:1]
	s_cbranch_vccnz .LBB242_175
; %bb.174:
	v_lshl_add_u64 v[16:17], v[28:29], 1, v[20:21]
	flat_load_ushort v16, v[16:17]
	s_waitcnt vmcnt(0) lgkmcnt(0)
	v_mul_f16_e32 v16, s28, v16
	s_branch .LBB242_176
.LBB242_175:
	v_mov_b32_e32 v16, 0
.LBB242_176:
	v_pk_max_f16 v17, v6, v6
	v_pk_max_f16 v12, v12, v12
	;; [unrolled: 1-line block ×3, first 2 shown]
	v_pk_min_f16 v12, v12, v17
	v_pk_max_f16 v17, v7, v7
	v_pk_add_f16 v12, v49, v12
	v_pk_min_f16 v13, v13, v17
	s_nop 0
	v_pk_add_f16 v12, v12, v13
	s_nop 0
	v_add_f16_sdwa v12, v12, v12 dst_sel:DWORD dst_unused:UNUSED_PAD src0_sel:DWORD src1_sel:WORD_1
	v_add_f16_e32 v16, v12, v16
	v_lshl_add_u64 v[12:13], v[28:29], 1, v[4:5]
	global_store_short v[12:13], v16, off
	s_or_b64 exec, exec, s[2:3]
	s_and_b64 s[4:5], s[8:9], s[18:19]
	s_and_saveexec_b64 s[2:3], s[4:5]
	s_cbranch_execz .LBB242_160
.LBB242_177:
	s_and_b64 vcc, exec, s[0:1]
	s_cbranch_vccnz .LBB242_179
; %bb.178:
	v_lshl_add_u64 v[12:13], v[30:31], 1, v[20:21]
	flat_load_ushort v12, v[12:13]
	s_waitcnt vmcnt(0) lgkmcnt(0)
	v_mul_f16_e32 v12, s28, v12
	s_branch .LBB242_180
.LBB242_179:
	v_mov_b32_e32 v12, 0
.LBB242_180:
	v_pk_max_f16 v13, v6, v6
	v_pk_max_f16 v14, v14, v14
	;; [unrolled: 1-line block ×3, first 2 shown]
	v_pk_min_f16 v13, v14, v13
	v_pk_max_f16 v14, v7, v7
	v_pk_add_f16 v13, v48, v13
	v_pk_min_f16 v14, v15, v14
	s_nop 0
	v_pk_add_f16 v13, v13, v14
	s_nop 0
	v_add_f16_sdwa v13, v13, v13 dst_sel:DWORD dst_unused:UNUSED_PAD src0_sel:DWORD src1_sel:WORD_1
	v_add_f16_e32 v14, v13, v12
	v_lshl_add_u64 v[12:13], v[30:31], 1, v[4:5]
	global_store_short v[12:13], v14, off
	s_or_b64 exec, exec, s[2:3]
	s_and_b64 s[4:5], s[10:11], s[18:19]
	s_and_saveexec_b64 s[2:3], s[4:5]
	s_cbranch_execz .LBB242_161
.LBB242_181:
	s_and_b64 vcc, exec, s[0:1]
	s_cbranch_vccnz .LBB242_183
; %bb.182:
	v_lshl_add_u64 v[12:13], v[32:33], 1, v[20:21]
	flat_load_ushort v12, v[12:13]
	s_waitcnt vmcnt(0) lgkmcnt(0)
	v_mul_f16_e32 v12, s28, v12
	s_branch .LBB242_184
.LBB242_183:
	v_mov_b32_e32 v12, 0
.LBB242_184:
	v_pk_max_f16 v13, v6, v6
	v_pk_max_f16 v8, v8, v8
	;; [unrolled: 1-line block ×3, first 2 shown]
	v_pk_min_f16 v8, v8, v13
	v_pk_max_f16 v13, v7, v7
	v_pk_add_f16 v8, v47, v8
	v_pk_min_f16 v9, v9, v13
	s_nop 0
	v_pk_add_f16 v8, v8, v9
	s_nop 0
	v_add_f16_sdwa v8, v8, v8 dst_sel:DWORD dst_unused:UNUSED_PAD src0_sel:DWORD src1_sel:WORD_1
	v_add_f16_e32 v12, v8, v12
	v_lshl_add_u64 v[8:9], v[32:33], 1, v[4:5]
	global_store_short v[8:9], v12, off
	s_or_b64 exec, exec, s[2:3]
	s_and_b64 s[4:5], s[12:13], s[18:19]
	s_and_saveexec_b64 s[2:3], s[4:5]
	s_cbranch_execz .LBB242_162
.LBB242_185:
	s_and_b64 vcc, exec, s[0:1]
	s_cbranch_vccnz .LBB242_187
; %bb.186:
	v_lshl_add_u64 v[8:9], v[34:35], 1, v[20:21]
	flat_load_ushort v8, v[8:9]
	s_waitcnt vmcnt(0) lgkmcnt(0)
	v_mul_f16_e32 v8, s28, v8
	s_branch .LBB242_188
.LBB242_187:
	v_mov_b32_e32 v8, 0
.LBB242_188:
	v_pk_max_f16 v9, v6, v6
	v_pk_max_f16 v10, v10, v10
	;; [unrolled: 1-line block ×3, first 2 shown]
	v_pk_min_f16 v9, v10, v9
	v_pk_max_f16 v10, v7, v7
	v_pk_add_f16 v9, v46, v9
	v_pk_min_f16 v10, v11, v10
	s_nop 0
	v_pk_add_f16 v9, v9, v10
	s_nop 0
	v_add_f16_sdwa v9, v9, v9 dst_sel:DWORD dst_unused:UNUSED_PAD src0_sel:DWORD src1_sel:WORD_1
	v_add_f16_e32 v10, v9, v8
	v_lshl_add_u64 v[8:9], v[34:35], 1, v[4:5]
	global_store_short v[8:9], v10, off
	s_or_b64 exec, exec, s[2:3]
	s_and_b64 s[4:5], s[14:15], s[18:19]
	s_and_saveexec_b64 s[2:3], s[4:5]
	s_cbranch_execz .LBB242_163
.LBB242_189:
	s_and_b64 vcc, exec, s[0:1]
	s_cbranch_vccnz .LBB242_191
; %bb.190:
	v_lshl_add_u64 v[8:9], v[36:37], 1, v[20:21]
	flat_load_ushort v8, v[8:9]
	s_waitcnt vmcnt(0) lgkmcnt(0)
	v_mul_f16_e32 v8, s28, v8
	s_branch .LBB242_192
.LBB242_191:
	v_mov_b32_e32 v8, 0
.LBB242_192:
	v_pk_max_f16 v9, v6, v6
	v_pk_max_f16 v0, v0, v0
	;; [unrolled: 1-line block ×3, first 2 shown]
	v_pk_min_f16 v0, v0, v9
	v_pk_max_f16 v9, v7, v7
	v_pk_add_f16 v0, v45, v0
	v_pk_min_f16 v1, v1, v9
	s_nop 0
	v_pk_add_f16 v0, v0, v1
	s_nop 0
	v_add_f16_sdwa v0, v0, v0 dst_sel:DWORD dst_unused:UNUSED_PAD src0_sel:DWORD src1_sel:WORD_1
	v_add_f16_e32 v8, v0, v8
	v_lshl_add_u64 v[0:1], v[36:37], 1, v[4:5]
	global_store_short v[0:1], v8, off
	s_or_b64 exec, exec, s[2:3]
	s_and_b64 s[2:3], s[16:17], s[18:19]
	s_and_saveexec_b64 s[4:5], s[2:3]
	s_cbranch_execz .LBB242_164
.LBB242_193:
	s_and_b64 vcc, exec, s[0:1]
	s_cbranch_vccnz .LBB242_195
; %bb.194:
	v_lshl_add_u64 v[0:1], v[38:39], 1, v[20:21]
	flat_load_ushort v0, v[0:1]
	s_waitcnt vmcnt(0) lgkmcnt(0)
	v_mul_f16_e32 v0, s28, v0
	s_branch .LBB242_196
.LBB242_195:
	v_mov_b32_e32 v0, 0
.LBB242_196:
	v_pk_max_f16 v1, v6, v6
	v_pk_max_f16 v2, v2, v2
	;; [unrolled: 1-line block ×3, first 2 shown]
	v_pk_min_f16 v1, v2, v1
	v_pk_max_f16 v2, v7, v7
	v_pk_add_f16 v1, v44, v1
	v_pk_min_f16 v2, v3, v2
	s_nop 0
	v_pk_add_f16 v1, v1, v2
	s_nop 0
	v_add_f16_sdwa v1, v1, v1 dst_sel:DWORD dst_unused:UNUSED_PAD src0_sel:DWORD src1_sel:WORD_1
	v_add_f16_e32 v2, v1, v0
	v_lshl_add_u64 v[0:1], v[38:39], 1, v[4:5]
	global_store_short v[0:1], v2, off
	s_endpgm
	.section	.rodata,"a",@progbits
	.p2align	6, 0x0
	.amdhsa_kernel _ZN12_GLOBAL__N_120geam_min_plus_kernelIDF16_Dv2_DF16_S1_Li8ELi32ELi64ELi128ELi4ELi4ELi64ELi4ELi64ELc84ELc78ELb0ELb1ELb0EDF16_KPKDF16_KPDF16_EEviiiT16_PT17_ilS9_ilS7_S9_ilPT18_ili26rocblas_geam_ex_operation_
		.amdhsa_group_segment_fixed_size 3072
		.amdhsa_private_segment_fixed_size 0
		.amdhsa_kernarg_size 128
		.amdhsa_user_sgpr_count 2
		.amdhsa_user_sgpr_dispatch_ptr 0
		.amdhsa_user_sgpr_queue_ptr 0
		.amdhsa_user_sgpr_kernarg_segment_ptr 1
		.amdhsa_user_sgpr_dispatch_id 0
		.amdhsa_user_sgpr_kernarg_preload_length 0
		.amdhsa_user_sgpr_kernarg_preload_offset 0
		.amdhsa_user_sgpr_private_segment_size 0
		.amdhsa_uses_dynamic_stack 0
		.amdhsa_enable_private_segment 0
		.amdhsa_system_sgpr_workgroup_id_x 1
		.amdhsa_system_sgpr_workgroup_id_y 0
		.amdhsa_system_sgpr_workgroup_id_z 1
		.amdhsa_system_sgpr_workgroup_info 0
		.amdhsa_system_vgpr_workitem_id 1
		.amdhsa_next_free_vgpr 120
		.amdhsa_next_free_sgpr 38
		.amdhsa_accum_offset 120
		.amdhsa_reserve_vcc 1
		.amdhsa_float_round_mode_32 0
		.amdhsa_float_round_mode_16_64 0
		.amdhsa_float_denorm_mode_32 3
		.amdhsa_float_denorm_mode_16_64 3
		.amdhsa_dx10_clamp 1
		.amdhsa_ieee_mode 1
		.amdhsa_fp16_overflow 0
		.amdhsa_tg_split 0
		.amdhsa_exception_fp_ieee_invalid_op 0
		.amdhsa_exception_fp_denorm_src 0
		.amdhsa_exception_fp_ieee_div_zero 0
		.amdhsa_exception_fp_ieee_overflow 0
		.amdhsa_exception_fp_ieee_underflow 0
		.amdhsa_exception_fp_ieee_inexact 0
		.amdhsa_exception_int_div_zero 0
	.end_amdhsa_kernel
	.section	.text._ZN12_GLOBAL__N_120geam_min_plus_kernelIDF16_Dv2_DF16_S1_Li8ELi32ELi64ELi128ELi4ELi4ELi64ELi4ELi64ELc84ELc78ELb0ELb1ELb0EDF16_KPKDF16_KPDF16_EEviiiT16_PT17_ilS9_ilS7_S9_ilPT18_ili26rocblas_geam_ex_operation_,"axG",@progbits,_ZN12_GLOBAL__N_120geam_min_plus_kernelIDF16_Dv2_DF16_S1_Li8ELi32ELi64ELi128ELi4ELi4ELi64ELi4ELi64ELc84ELc78ELb0ELb1ELb0EDF16_KPKDF16_KPDF16_EEviiiT16_PT17_ilS9_ilS7_S9_ilPT18_ili26rocblas_geam_ex_operation_,comdat
.Lfunc_end242:
	.size	_ZN12_GLOBAL__N_120geam_min_plus_kernelIDF16_Dv2_DF16_S1_Li8ELi32ELi64ELi128ELi4ELi4ELi64ELi4ELi64ELc84ELc78ELb0ELb1ELb0EDF16_KPKDF16_KPDF16_EEviiiT16_PT17_ilS9_ilS7_S9_ilPT18_ili26rocblas_geam_ex_operation_, .Lfunc_end242-_ZN12_GLOBAL__N_120geam_min_plus_kernelIDF16_Dv2_DF16_S1_Li8ELi32ELi64ELi128ELi4ELi4ELi64ELi4ELi64ELc84ELc78ELb0ELb1ELb0EDF16_KPKDF16_KPDF16_EEviiiT16_PT17_ilS9_ilS7_S9_ilPT18_ili26rocblas_geam_ex_operation_
                                        ; -- End function
	.section	.AMDGPU.csdata,"",@progbits
; Kernel info:
; codeLenInByte = 11328
; NumSgprs: 44
; NumVgprs: 120
; NumAgprs: 0
; TotalNumVgprs: 120
; ScratchSize: 0
; MemoryBound: 0
; FloatMode: 240
; IeeeMode: 1
; LDSByteSize: 3072 bytes/workgroup (compile time only)
; SGPRBlocks: 5
; VGPRBlocks: 14
; NumSGPRsForWavesPerEU: 44
; NumVGPRsForWavesPerEU: 120
; AccumOffset: 120
; Occupancy: 4
; WaveLimiterHint : 1
; COMPUTE_PGM_RSRC2:SCRATCH_EN: 0
; COMPUTE_PGM_RSRC2:USER_SGPR: 2
; COMPUTE_PGM_RSRC2:TRAP_HANDLER: 0
; COMPUTE_PGM_RSRC2:TGID_X_EN: 1
; COMPUTE_PGM_RSRC2:TGID_Y_EN: 0
; COMPUTE_PGM_RSRC2:TGID_Z_EN: 1
; COMPUTE_PGM_RSRC2:TIDIG_COMP_CNT: 1
; COMPUTE_PGM_RSRC3_GFX90A:ACCUM_OFFSET: 29
; COMPUTE_PGM_RSRC3_GFX90A:TG_SPLIT: 0
	.section	.text._ZN12_GLOBAL__N_120geam_min_plus_kernelIDF16_Dv2_DF16_S1_Li8ELi32ELi64ELi128ELi4ELi64ELi4ELi64ELi4ELc78ELc84ELb0ELb0ELb0EPKDF16_KS3_KPDF16_EEviiiT16_PT17_ilS9_ilS7_S9_ilPT18_ili26rocblas_geam_ex_operation_,"axG",@progbits,_ZN12_GLOBAL__N_120geam_min_plus_kernelIDF16_Dv2_DF16_S1_Li8ELi32ELi64ELi128ELi4ELi64ELi4ELi64ELi4ELc78ELc84ELb0ELb0ELb0EPKDF16_KS3_KPDF16_EEviiiT16_PT17_ilS9_ilS7_S9_ilPT18_ili26rocblas_geam_ex_operation_,comdat
	.globl	_ZN12_GLOBAL__N_120geam_min_plus_kernelIDF16_Dv2_DF16_S1_Li8ELi32ELi64ELi128ELi4ELi64ELi4ELi64ELi4ELc78ELc84ELb0ELb0ELb0EPKDF16_KS3_KPDF16_EEviiiT16_PT17_ilS9_ilS7_S9_ilPT18_ili26rocblas_geam_ex_operation_ ; -- Begin function _ZN12_GLOBAL__N_120geam_min_plus_kernelIDF16_Dv2_DF16_S1_Li8ELi32ELi64ELi128ELi4ELi64ELi4ELi64ELi4ELc78ELc84ELb0ELb0ELb0EPKDF16_KS3_KPDF16_EEviiiT16_PT17_ilS9_ilS7_S9_ilPT18_ili26rocblas_geam_ex_operation_
	.p2align	8
	.type	_ZN12_GLOBAL__N_120geam_min_plus_kernelIDF16_Dv2_DF16_S1_Li8ELi32ELi64ELi128ELi4ELi64ELi4ELi64ELi4ELc78ELc84ELb0ELb0ELb0EPKDF16_KS3_KPDF16_EEviiiT16_PT17_ilS9_ilS7_S9_ilPT18_ili26rocblas_geam_ex_operation_,@function
_ZN12_GLOBAL__N_120geam_min_plus_kernelIDF16_Dv2_DF16_S1_Li8ELi32ELi64ELi128ELi4ELi64ELi4ELi64ELi4ELc78ELc84ELb0ELb0ELb0EPKDF16_KS3_KPDF16_EEviiiT16_PT17_ilS9_ilS7_S9_ilPT18_ili26rocblas_geam_ex_operation_: ; @_ZN12_GLOBAL__N_120geam_min_plus_kernelIDF16_Dv2_DF16_S1_Li8ELi32ELi64ELi128ELi4ELi64ELi4ELi64ELi4ELc78ELc84ELb0ELb0ELb0EPKDF16_KS3_KPDF16_EEviiiT16_PT17_ilS9_ilS7_S9_ilPT18_ili26rocblas_geam_ex_operation_
; %bb.0:
	s_load_dwordx4 s[16:19], s[0:1], 0x10
	s_load_dwordx4 s[8:11], s[0:1], 0x28
	s_mov_b32 s20, s3
	s_mov_b32 s21, 0
	s_lshl_b64 s[4:5], s[20:21], 1
	s_waitcnt lgkmcnt(0)
	s_add_u32 s6, s16, s4
	s_addc_u32 s7, s17, s5
	v_mov_b32_e32 v1, 0
	global_load_ushort v46, v1, s[6:7]
	s_load_dwordx4 s[12:15], s[0:1], 0x40
	s_load_dwordx2 s[22:23], s[0:1], 0x50
	s_mov_b64 s[16:17], 0
	s_waitcnt lgkmcnt(0)
	s_add_u32 s4, s14, s4
	s_addc_u32 s5, s15, s5
	s_mov_b64 s[14:15], 0
	s_waitcnt vmcnt(0)
	v_cmp_eq_f16_e32 vcc, 0, v46
	v_cmp_neq_f16_e64 s[6:7], 0, v46
	s_cbranch_vccnz .LBB243_2
; %bb.1:
	s_lshl_b64 s[14:15], s[20:21], 3
	s_add_u32 s14, s18, s14
	s_addc_u32 s15, s19, s15
	s_load_dwordx2 s[14:15], s[14:15], 0x0
	s_lshl_b64 s[8:9], s[8:9], 1
	s_waitcnt lgkmcnt(0)
	s_add_u32 s14, s14, s8
	s_addc_u32 s15, s15, s9
.LBB243_2:
	global_load_ushort v36, v1, s[4:5]
	v_cndmask_b32_e64 v1, 0, 1, s[6:7]
	v_cmp_ne_u32_e64 s[4:5], 1, v1
	s_andn2_b64 vcc, exec, s[6:7]
	s_cbranch_vccnz .LBB243_4
; %bb.3:
	s_lshl_b64 s[6:7], s[20:21], 3
	s_add_u32 s6, s10, s6
	s_addc_u32 s7, s11, s7
	s_load_dwordx2 s[6:7], s[6:7], 0x0
	s_lshl_b64 s[8:9], s[12:13], 1
	s_waitcnt lgkmcnt(0)
	s_add_u32 s16, s6, s8
	s_addc_u32 s17, s7, s9
.LBB243_4:
	s_load_dwordx4 s[8:11], s[0:1], 0x60
	s_waitcnt vmcnt(0)
	v_cmp_eq_f16_e32 vcc, 0, v36
	s_and_b64 s[6:7], exec, vcc
	s_mov_b64 vcc, s[6:7]
	s_cbranch_vccnz .LBB243_6
; %bb.5:
	s_lshl_b64 s[12:13], s[20:21], 3
	s_add_u32 s12, s22, s12
	s_addc_u32 s13, s23, s13
	s_load_dwordx2 s[12:13], s[12:13], 0x0
	s_waitcnt lgkmcnt(0)
	s_lshl_b64 s[8:9], s[8:9], 1
	s_add_u32 s8, s12, s8
	s_addc_u32 s9, s13, s9
	s_branch .LBB243_7
.LBB243_6:
	s_waitcnt lgkmcnt(0)
	s_mov_b64 s[8:9], 0
.LBB243_7:
	s_load_dword s18, s[0:1], 0x20
	s_load_dword s3, s[0:1], 0x0
	s_lshl_b64 s[12:13], s[20:21], 3
	v_and_b32_e32 v47, 0x3ff, v0
	v_bfe_u32 v48, v0, 10, 10
	s_waitcnt lgkmcnt(0)
	s_ashr_i32 s19, s18, 31
	s_add_u32 s10, s10, s12
	s_addc_u32 s11, s11, s13
	s_add_i32 s3, s3, -1
	s_ashr_i32 s12, s3, 31
	s_lshr_b32 s12, s12, 26
	s_add_i32 s3, s3, s12
	s_ashr_i32 s3, s3, 6
	s_add_i32 s13, s3, 1
	v_cvt_f32_u32_e32 v1, s13
	s_not_b32 s3, s3
	v_lshl_add_u32 v0, v48, 3, v47
	v_and_b32_e32 v5, 63, v0
	v_rcp_iflag_f32_e32 v1, v1
	v_lshrrev_b32_e32 v4, 6, v0
	v_mul_f32_e32 v1, 0x4f7ffffe, v1
	v_cvt_u32_f32_e32 v1, v1
	s_nop 0
	v_readfirstlane_b32 s12, v1
	s_mul_i32 s3, s3, s12
	s_mul_hi_u32 s3, s12, s3
	s_add_i32 s12, s12, s3
	s_mul_hi_u32 s3, s2, s12
	s_mul_i32 s12, s3, s13
	s_sub_i32 s12, s2, s12
	s_add_i32 s20, s3, 1
	s_sub_i32 s21, s12, s13
	s_cmp_ge_u32 s12, s13
	s_cselect_b32 s3, s20, s3
	s_cselect_b32 s12, s21, s12
	s_add_i32 s20, s3, 1
	s_cmp_ge_u32 s12, s13
	s_cselect_b32 s12, s20, s3
	s_mul_i32 s3, s12, s13
	s_sub_i32 s13, s2, s3
	s_lshl_b32 s22, s13, 6
	v_or_b32_e32 v0, s22, v5
	s_and_b64 vcc, exec, s[4:5]
	v_ashrrev_i32_e32 v1, 31, v0
	s_cbranch_vccnz .LBB243_9
; %bb.8:
	v_mad_i64_i32 v[2:3], s[20:21], s18, v4, 0
	v_lshl_add_u64 v[2:3], v[2:3], 1, s[14:15]
	v_lshl_add_u64 v[2:3], v[0:1], 1, v[2:3]
	flat_load_ushort v2, v[2:3]
	s_waitcnt vmcnt(0) lgkmcnt(0)
	v_mul_f16_e32 v6, v46, v2
	s_branch .LBB243_10
.LBB243_9:
	v_mov_b32_e32 v6, 0
.LBB243_10:
	s_load_dword s20, s[0:1], 0x38
	s_lshl_b32 s23, s12, 7
	v_or_b32_e32 v2, s23, v5
	s_and_b64 vcc, exec, s[4:5]
	v_ashrrev_i32_e32 v3, 31, v2
	s_waitcnt lgkmcnt(0)
	s_ashr_i32 s21, s20, 31
	s_cbranch_vccnz .LBB243_14
; %bb.11:
	v_mad_i64_i32 v[8:9], s[12:13], s20, v4, 0
	v_lshl_add_u64 v[8:9], v[8:9], 1, s[16:17]
	v_lshl_add_u64 v[8:9], v[2:3], 1, v[8:9]
	flat_load_ushort v7, v[8:9]
	flat_load_ushort v10, v[8:9] offset:128
	s_waitcnt vmcnt(0) lgkmcnt(0)
	v_mul_f16_e32 v7, v46, v7
	v_mul_f16_e32 v8, v46, v10
	s_and_b64 vcc, exec, s[4:5]
	v_add_u32_e32 v9, 4, v4
	s_cbranch_vccnz .LBB243_15
.LBB243_12:
	v_mad_i64_i32 v[10:11], s[12:13], s18, v9, 0
	v_lshl_add_u64 v[10:11], v[10:11], 1, s[14:15]
	v_lshl_add_u64 v[0:1], v[0:1], 1, v[10:11]
	flat_load_ushort v0, v[0:1]
	s_waitcnt vmcnt(0) lgkmcnt(0)
	v_mul_f16_e32 v0, v46, v0
	s_and_b64 vcc, exec, s[4:5]
	s_cbranch_vccnz .LBB243_16
.LBB243_13:
	v_mad_i64_i32 v[10:11], s[12:13], s20, v9, 0
	v_lshl_add_u64 v[10:11], v[10:11], 1, s[16:17]
	v_lshl_add_u64 v[2:3], v[2:3], 1, v[10:11]
	flat_load_ushort v1, v[2:3]
	flat_load_ushort v9, v[2:3] offset:128
	s_waitcnt vmcnt(0) lgkmcnt(0)
	v_mul_f16_e32 v1, v46, v1
	v_mul_f16_e32 v2, v46, v9
	s_branch .LBB243_17
.LBB243_14:
	v_mov_b32_e32 v7, 0
	v_mov_b32_e32 v8, 0
	s_and_b64 vcc, exec, s[4:5]
	v_add_u32_e32 v9, 4, v4
	s_cbranch_vccz .LBB243_12
.LBB243_15:
	v_mov_b32_e32 v0, 0
	s_and_b64 vcc, exec, s[4:5]
	s_cbranch_vccz .LBB243_13
.LBB243_16:
	v_mov_b32_e32 v1, 0
	v_mov_b32_e32 v2, 0
.LBB243_17:
	v_lshlrev_b32_e32 v3, 1, v4
	v_lshl_add_u32 v67, v5, 3, v3
	v_lshlrev_b32_e32 v57, 3, v47
	v_lshlrev_b32_e32 v58, 3, v48
	s_load_dwordx2 s[10:11], s[10:11], 0x0
	ds_write_b16 v67, v6 offset:2048
	ds_write_b16 v67, v7
	ds_write_b16 v67, v8 offset:512
	s_waitcnt lgkmcnt(0)
	s_barrier
	ds_read2_b64 v[6:9], v58 offset1:32
	v_add_u32_e32 v68, 0x800, v57
	ds_read2_b64 v[10:13], v68 offset0:48 offset1:56
	ds_read2_b64 v[14:17], v58 offset0:64 offset1:96
	ds_read2_b64 v[18:21], v68 offset1:8
	ds_read2_b64 v[22:25], v68 offset0:16 offset1:24
	ds_read2_b64 v[26:29], v68 offset0:32 offset1:40
	s_waitcnt lgkmcnt(5)
	v_pk_max_f16 v3, v6, v6
	s_waitcnt lgkmcnt(4)
	v_pk_max_f16 v6, v12, v12
	v_pk_max_f16 v8, v8, v8
	v_pk_min_f16 v12, v6, v3
	s_waitcnt lgkmcnt(3)
	v_pk_max_f16 v14, v14, v14
	s_waitcnt lgkmcnt(2)
	v_pk_max_f16 v18, v18, v18
	v_pk_max_f16 v16, v16, v16
	;; [unrolled: 1-line block ×3, first 2 shown]
	s_waitcnt lgkmcnt(1)
	v_pk_max_f16 v22, v22, v22
	v_pk_max_f16 v24, v24, v24
	s_waitcnt lgkmcnt(0)
	v_pk_max_f16 v26, v26, v26
	v_pk_max_f16 v7, v7, v7
	;; [unrolled: 1-line block ×5, first 2 shown]
	v_pk_min_f16 v30, v18, v3
	v_pk_min_f16 v31, v18, v8
	;; [unrolled: 1-line block ×17, first 2 shown]
	v_pk_max_f16 v9, v9, v9
	v_pk_min_f16 v51, v26, v8
	v_pk_min_f16 v53, v26, v14
	;; [unrolled: 1-line block ×14, first 2 shown]
	v_pk_add_f16 v12, v12, 0
	v_pk_min_f16 v16, v13, v7
	v_pk_max_f16 v15, v15, v15
	v_pk_add_f16 v66, v16, v12
	v_pk_add_f16 v12, v40, 0
	v_pk_min_f16 v16, v13, v9
	v_pk_max_f16 v19, v19, v19
	v_pk_add_f16 v56, v16, v12
	;; [unrolled: 4-line block ×5, first 2 shown]
	v_pk_add_f16 v12, v32, 0
	v_pk_min_f16 v16, v19, v15
	v_pk_min_f16 v31, v25, v7
	v_pk_add_f16 v54, v16, v12
	v_pk_add_f16 v12, v18, 0
	v_pk_min_f16 v16, v19, v17
	v_pk_add_f16 v19, v24, 0
	v_pk_add_f16 v43, v16, v12
	;; [unrolled: 1-line block ×3, first 2 shown]
	v_pk_min_f16 v16, v21, v7
	v_pk_add_f16 v24, v55, 0
	v_pk_add_f16 v73, v16, v12
	;; [unrolled: 1-line block ×3, first 2 shown]
	v_pk_min_f16 v16, v21, v9
	v_pk_max_f16 v11, v11, v11
	v_pk_add_f16 v62, v16, v12
	v_pk_add_f16 v12, v35, 0
	v_pk_min_f16 v16, v21, v15
	s_load_dword s24, s[0:1], 0x8
	v_pk_add_f16 v52, v16, v12
	v_pk_add_f16 v12, v20, 0
	v_pk_min_f16 v16, v21, v17
	v_pk_add_f16 v20, v49, 0
	v_pk_add_f16 v40, v16, v12
	v_pk_max_f16 v16, v23, v23
	v_pk_add_f16 v12, v37, 0
	v_pk_min_f16 v18, v16, v7
	v_pk_add_f16 v21, v51, 0
	v_pk_add_f16 v72, v18, v12
	;; [unrolled: 1-line block ×3, first 2 shown]
	v_pk_min_f16 v18, v16, v9
	v_pk_add_f16 v23, v26, 0
	v_pk_add_f16 v60, v18, v12
	;; [unrolled: 1-line block ×3, first 2 shown]
	v_pk_min_f16 v18, v16, v15
	v_pk_min_f16 v16, v16, v17
	v_pk_add_f16 v50, v18, v12
	v_pk_add_f16 v12, v22, 0
	;; [unrolled: 1-line block ×7, first 2 shown]
	v_pk_min_f16 v12, v25, v9
	v_pk_add_f16 v22, v53, 0
	v_pk_add_f16 v65, v12, v16
	v_pk_min_f16 v12, v25, v15
	v_pk_add_f16 v3, v3, 0
	v_pk_add_f16 v55, v12, v18
	;; [unrolled: 3-line block ×3, first 2 shown]
	v_pk_max_f16 v12, v27, v27
	v_pk_add_f16 v26, v59, 0
	v_pk_min_f16 v16, v12, v7
	v_pk_add_f16 v14, v14, 0
	v_pk_add_f16 v71, v16, v20
	v_pk_min_f16 v16, v12, v9
	v_pk_add_f16 v10, v10, 0
	v_pk_add_f16 v63, v16, v21
	v_pk_min_f16 v16, v12, v15
	v_pk_min_f16 v12, v12, v17
	v_pk_add_f16 v53, v16, v22
	v_pk_add_f16 v41, v12, v23
	v_pk_max_f16 v12, v29, v29
	v_pk_add_f16 v30, v61, 0
	v_pk_min_f16 v16, v12, v7
	v_pk_min_f16 v7, v11, v7
	v_pk_add_f16 v70, v16, v24
	v_pk_add_f16 v69, v7, v3
	v_pk_min_f16 v3, v11, v9
	v_pk_min_f16 v16, v12, v9
	v_pk_add_f16 v59, v3, v8
	v_pk_min_f16 v3, v11, v15
	v_pk_add_f16 v28, v28, 0
	v_pk_add_f16 v49, v3, v14
	v_pk_min_f16 v3, v11, v17
	v_pk_add_f16 v6, v6, 0
	v_pk_add_f16 v61, v16, v26
	v_pk_min_f16 v16, v12, v15
	v_pk_min_f16 v12, v12, v17
	v_pk_add_f16 v42, v3, v10
	v_pk_min_f16 v3, v13, v17
	v_pk_add_f16 v51, v16, v30
	v_pk_add_f16 v38, v12, v28
	;; [unrolled: 1-line block ×3, first 2 shown]
	s_waitcnt lgkmcnt(0)
	s_cmp_lt_i32 s24, 9
	ds_write_b16 v67, v0 offset:2560
	ds_write_b16 v67, v1 offset:1024
	;; [unrolled: 1-line block ×3, first 2 shown]
	s_waitcnt lgkmcnt(0)
	s_barrier
	s_cbranch_scc1 .LBB243_31
; %bb.18:
	v_mov_b32_e32 v0, 0xa00
	v_lshl_add_u32 v79, v47, 3, v0
	v_mov_b32_e32 v0, 0x400
	v_add_u32_e32 v2, 12, v4
	v_lshl_add_u32 v80, v48, 3, v0
	v_mad_i64_i32 v[0:1], s[12:13], v2, s20, 0
	v_lshlrev_b64 v[24:25], 1, v[0:1]
	v_add_u32_e32 v0, s23, v5
	v_ashrrev_i32_e32 v1, 31, v0
	v_lshl_add_u64 v[26:27], v[0:1], 1, s[16:17]
	v_mad_i64_i32 v[0:1], s[16:17], v2, s18, 0
	v_lshlrev_b64 v[28:29], 1, v[0:1]
	v_lshl_or_b32 v0, s2, 6, v5
	s_lshl_b32 s2, s3, 6
	v_subrev_u32_e32 v0, s2, v0
	v_ashrrev_i32_e32 v1, 31, v0
	v_add_u32_e32 v2, 8, v4
	v_lshl_add_u64 v[30:31], v[0:1], 1, s[14:15]
	v_mad_i64_i32 v[0:1], s[14:15], v2, s20, 0
	v_lshlrev_b64 v[32:33], 1, v[0:1]
	v_mad_i64_i32 v[0:1], s[14:15], v2, s18, 0
	v_or_b32_e32 v76, 0x800, v67
	v_add_u32_e32 v77, 0xa00, v67
	v_or_b32_e32 v78, 0x400, v67
	s_add_i32 s24, s24, -8
	s_lshl_b64 s[12:13], s[20:21], 4
	s_lshl_b64 s[2:3], s[18:19], 4
	v_lshlrev_b64 v[34:35], 1, v[0:1]
	s_mov_b32 s14, 0
	s_branch .LBB243_21
.LBB243_19:                             ;   in Loop: Header=BB243_21 Depth=1
	v_lshl_add_u64 v[0:1], v[26:27], 0, v[24:25]
	flat_load_ushort v124, v[0:1]
	flat_load_ushort v125, v[0:1] offset:128
	s_waitcnt vmcnt(0) lgkmcnt(0)
	v_mul_f16_e32 v0, v46, v124
	v_mul_f16_e32 v1, v46, v125
.LBB243_20:                             ;   in Loop: Header=BB243_21 Depth=1
	v_pk_add_f16 v20, v20, v56
	v_pk_add_f16 v12, v12, v45
	;; [unrolled: 1-line block ×17, first 2 shown]
	ds_read2_b64 v[8:11], v68 offset0:48 offset1:56
	ds_read2_b64 v[12:15], v58 offset1:32
	v_pk_add_f16 v16, v16, v75
	v_pk_add_f16 v4, v4, v71
	;; [unrolled: 1-line block ×3, first 2 shown]
	s_waitcnt lgkmcnt(1)
	v_pk_max_f16 v10, v10, v10
	s_waitcnt lgkmcnt(0)
	v_pk_max_f16 v12, v12, v12
	v_pk_add_f16 v18, v18, v73
	v_pk_add_f16 v54, v86, v60
	;; [unrolled: 1-line block ×9, first 2 shown]
	ds_read2_b64 v[2:5], v58 offset0:64 offset1:96
	v_pk_min_f16 v16, v10, v12
	v_pk_add_f16 v56, v89, v65
	v_pk_add_f16 v65, v19, v18
	;; [unrolled: 1-line block ×4, first 2 shown]
	ds_read2_b64 v[16:19], v68 offset1:8
	v_pk_max_f16 v14, v14, v14
	s_waitcnt lgkmcnt(1)
	v_pk_max_f16 v2, v2, v2
	v_pk_min_f16 v63, v10, v14
	v_pk_add_f16 v43, v104, v43
	v_pk_add_f16 v63, v63, v20
	v_pk_min_f16 v20, v10, v2
	s_waitcnt lgkmcnt(0)
	v_pk_max_f16 v16, v16, v16
	v_pk_add_f16 v71, v20, v21
	v_pk_min_f16 v20, v16, v12
	v_pk_max_f16 v18, v18, v18
	v_pk_add_f16 v64, v20, v64
	v_pk_min_f16 v20, v16, v14
	v_pk_add_f16 v40, v85, v40
	v_pk_add_f16 v72, v20, v22
	v_pk_min_f16 v20, v16, v2
	v_pk_max_f16 v4, v4, v4
	v_pk_add_f16 v73, v20, v23
	v_pk_min_f16 v20, v18, v12
	v_pk_add_f16 v40, v106, v40
	v_pk_add_f16 v65, v20, v65
	v_pk_min_f16 v20, v18, v14
	v_pk_add_f16 v52, v84, v52
	v_pk_add_f16 v74, v20, v43
	ds_read2_b64 v[20:23], v68 offset0:16 offset1:24
	v_pk_min_f16 v43, v18, v2
	v_pk_min_f16 v18, v18, v4
	v_pk_add_f16 v39, v88, v39
	v_pk_add_f16 v18, v18, v40
	s_waitcnt lgkmcnt(0)
	v_pk_max_f16 v20, v20, v20
	v_pk_add_f16 v54, v107, v54
	v_pk_min_f16 v40, v20, v12
	ds_read2_b64 v[82:85], v68 offset0:32 offset1:40
	v_pk_add_f16 v86, v40, v66
	v_pk_min_f16 v40, v20, v14
	v_pk_add_f16 v50, v87, v50
	v_pk_add_f16 v39, v109, v39
	;; [unrolled: 1-line block ×3, first 2 shown]
	v_pk_min_f16 v40, v20, v2
	v_pk_min_f16 v20, v20, v4
	v_pk_max_f16 v22, v22, v22
	v_pk_add_f16 v20, v20, v39
	v_pk_min_f16 v39, v22, v12
	v_pk_add_f16 v55, v90, v55
	v_pk_add_f16 v56, v110, v56
	;; [unrolled: 1-line block ×3, first 2 shown]
	v_pk_min_f16 v39, v22, v14
	v_pk_add_f16 v55, v111, v55
	v_pk_add_f16 v88, v39, v56
	v_pk_min_f16 v39, v22, v2
	v_pk_add_f16 v50, v108, v50
	v_pk_add_f16 v55, v39, v55
	s_waitcnt lgkmcnt(0)
	v_pk_max_f16 v39, v82, v82
	v_pk_add_f16 v50, v40, v50
	v_pk_min_f16 v40, v39, v12
	v_pk_add_f16 v41, v94, v41
	v_pk_add_f16 v60, v114, v60
	;; [unrolled: 1-line block ×3, first 2 shown]
	v_pk_min_f16 v40, v39, v14
	v_pk_add_f16 v53, v93, v53
	v_pk_add_f16 v41, v116, v41
	;; [unrolled: 1-line block ×3, first 2 shown]
	v_pk_min_f16 v40, v39, v2
	v_pk_min_f16 v39, v39, v4
	v_pk_add_f16 v53, v115, v53
	v_pk_add_f16 v41, v39, v41
	v_pk_max_f16 v39, v84, v84
	v_pk_add_f16 v61, v95, v61
	v_pk_add_f16 v6, v117, v6
	;; [unrolled: 1-line block ×3, first 2 shown]
	v_pk_min_f16 v40, v39, v12
	v_pk_add_f16 v61, v118, v61
	v_pk_add_f16 v6, v40, v6
	v_pk_min_f16 v40, v39, v14
	v_pk_max_f16 v8, v8, v8
	v_pk_min_f16 v16, v16, v4
	v_pk_min_f16 v22, v22, v4
	v_pk_add_f16 v61, v40, v61
	v_pk_min_f16 v40, v39, v2
	v_pk_min_f16 v39, v39, v4
	;; [unrolled: 1-line block ×7, first 2 shown]
	v_pk_max_f16 v10, v13, v13
	v_pk_add_f16 v4, v4, v7
	v_pk_max_f16 v7, v11, v11
	v_pk_max_f16 v3, v3, v3
	v_pk_min_f16 v11, v7, v10
	v_pk_add_f16 v16, v16, v45
	v_pk_add_f16 v66, v11, v37
	v_pk_max_f16 v11, v15, v15
	v_pk_max_f16 v5, v5, v5
	v_pk_min_f16 v13, v7, v11
	v_pk_add_f16 v52, v105, v52
	v_pk_add_f16 v56, v13, v63
	v_pk_min_f16 v13, v7, v3
	v_pk_add_f16 v52, v43, v52
	v_pk_add_f16 v45, v13, v71
	v_pk_max_f16 v13, v17, v17
	v_pk_add_f16 v51, v96, v51
	v_pk_min_f16 v15, v13, v10
	v_pk_add_f16 v62, v121, v62
	v_pk_add_f16 v75, v15, v64
	v_pk_min_f16 v15, v13, v11
	v_pk_add_f16 v51, v119, v51
	v_pk_add_f16 v64, v15, v72
	v_pk_min_f16 v15, v13, v3
	v_pk_min_f16 v13, v13, v5
	v_pk_add_f16 v54, v15, v73
	v_pk_add_f16 v43, v13, v16
	v_pk_max_f16 v13, v19, v19
	v_pk_add_f16 v12, v12, v62
	v_pk_min_f16 v15, v13, v10
	v_pk_add_f16 v51, v40, v51
	v_pk_add_f16 v73, v15, v65
	v_pk_min_f16 v15, v13, v11
	v_pk_add_f16 v38, v97, v38
	v_pk_add_f16 v62, v15, v74
	v_pk_min_f16 v15, v13, v3
	;; [unrolled: 12-line block ×6, first 2 shown]
	s_add_i32 s14, s14, 8
	v_pk_add_f16 v51, v6, v51
	v_pk_min_f16 v6, v13, v5
	v_lshl_add_u64 v[26:27], v[26:27], 0, s[12:13]
	v_pk_add_f16 v38, v6, v38
	v_pk_max_f16 v6, v9, v9
	s_cmp_ge_i32 s14, s24
	v_pk_min_f16 v3, v6, v3
	v_pk_min_f16 v9, v6, v10
	v_pk_add_f16 v49, v3, v2
	v_pk_min_f16 v2, v6, v5
	v_pk_add_f16 v69, v9, v12
	v_pk_min_f16 v9, v6, v11
	v_pk_add_f16 v42, v2, v8
	v_pk_min_f16 v2, v7, v5
	v_pk_add_f16 v59, v9, v14
	v_pk_add_f16 v37, v2, v4
	v_lshl_add_u64 v[30:31], v[30:31], 0, s[2:3]
	ds_write_b16 v77, v81
	ds_write_b16 v78, v0
	ds_write_b16 v78, v1 offset:512
	s_waitcnt lgkmcnt(0)
	s_barrier
	s_cbranch_scc1 .LBB243_31
.LBB243_21:                             ; =>This Inner Loop Header: Depth=1
	s_and_b64 vcc, exec, s[4:5]
	s_cbranch_vccnz .LBB243_24
; %bb.22:                               ;   in Loop: Header=BB243_21 Depth=1
	v_lshl_add_u64 v[0:1], v[30:31], 0, v[34:35]
	flat_load_ushort v0, v[0:1]
	s_waitcnt vmcnt(0) lgkmcnt(0)
	v_mul_f16_e32 v81, v46, v0
	s_and_b64 vcc, exec, s[4:5]
	s_cbranch_vccnz .LBB243_25
.LBB243_23:                             ;   in Loop: Header=BB243_21 Depth=1
	v_lshl_add_u64 v[0:1], v[26:27], 0, v[32:33]
	flat_load_ushort v2, v[0:1]
	flat_load_ushort v3, v[0:1] offset:128
	s_waitcnt vmcnt(0) lgkmcnt(0)
	v_mul_f16_e32 v82, v46, v2
	v_mul_f16_e32 v83, v46, v3
	s_branch .LBB243_26
.LBB243_24:                             ;   in Loop: Header=BB243_21 Depth=1
	v_mov_b32_e32 v81, 0
	s_and_b64 vcc, exec, s[4:5]
	s_cbranch_vccz .LBB243_23
.LBB243_25:                             ;   in Loop: Header=BB243_21 Depth=1
	v_mov_b32_e32 v82, 0
	v_mov_b32_e32 v83, 0
.LBB243_26:                             ;   in Loop: Header=BB243_21 Depth=1
	ds_read2_b64 v[0:3], v79 offset0:48 offset1:56
	ds_read2_b64 v[12:15], v80 offset0:64 offset1:96
	ds_read2_b64 v[20:23], v80 offset1:32
	ds_read2_b64 v[16:19], v79 offset1:8
	ds_read2_b64 v[8:11], v79 offset0:16 offset1:24
	ds_read2_b64 v[4:7], v79 offset0:32 offset1:40
	s_and_b64 vcc, exec, s[4:5]
	ds_write_b16 v76, v81
	ds_write_b16 v67, v82
	ds_write_b16 v67, v83 offset:512
	s_waitcnt lgkmcnt(0)
	s_barrier
	s_cbranch_vccnz .LBB243_28
; %bb.27:                               ;   in Loop: Header=BB243_21 Depth=1
	v_lshl_add_u64 v[82:83], v[30:31], 0, v[28:29]
	flat_load_ushort v81, v[82:83]
	s_waitcnt vmcnt(0) lgkmcnt(0)
	v_mul_f16_e32 v81, v46, v81
	s_branch .LBB243_29
.LBB243_28:                             ;   in Loop: Header=BB243_21 Depth=1
	v_mov_b32_e32 v81, 0
.LBB243_29:                             ;   in Loop: Header=BB243_21 Depth=1
	v_pk_max_f16 v102, v2, v2
	v_pk_max_f16 v98, v20, v20
	;; [unrolled: 1-line block ×17, first 2 shown]
	v_pk_min_f16 v2, v102, v98
	v_pk_min_f16 v20, v102, v99
	;; [unrolled: 1-line block ×26, first 2 shown]
	v_pk_max_f16 v0, v3, v3
	v_pk_max_f16 v104, v17, v17
	;; [unrolled: 1-line block ×5, first 2 shown]
	v_pk_min_f16 v113, v5, v121
	v_pk_min_f16 v114, v5, v122
	v_pk_min_f16 v115, v5, v123
	v_pk_min_f16 v116, v5, v124
	v_pk_max_f16 v5, v7, v7
	v_pk_max_f16 v1, v1, v1
	v_pk_min_f16 v85, v85, v103
	v_pk_min_f16 v88, v88, v103
	;; [unrolled: 1-line block ×33, first 2 shown]
	s_and_b64 vcc, exec, s[4:5]
	v_pk_min_f16 v7, v0, v124
	s_cbranch_vccz .LBB243_19
; %bb.30:                               ;   in Loop: Header=BB243_21 Depth=1
	v_mov_b32_e32 v0, 0
	v_mov_b32_e32 v1, 0
	s_branch .LBB243_20
.LBB243_31:
	s_load_dword s12, s[0:1], 0x58
	ds_read_b64 v[20:21], v58 offset:1024
	ds_read_b64 v[26:27], v57 offset:2560
	v_add_u32_e32 v28, s23, v48
	v_cmp_neq_f16_e64 s[4:5], 0, v36
	v_add_u32_e32 v16, s22, v47
	s_waitcnt lgkmcnt(0)
	v_mad_i64_i32 v[0:1], s[2:3], v28, s12, 0
	v_ashrrev_i32_e32 v17, 31, v16
	v_lshl_add_u64 v[22:23], v[0:1], 1, s[8:9]
	s_and_b64 vcc, exec, s[4:5]
	v_mov_b32_e32 v33, 0
	v_mov_b32_e32 v31, 0
	s_cbranch_vccz .LBB243_33
; %bb.32:
	v_lshl_add_u64 v[0:1], v[16:17], 1, v[22:23]
	flat_load_ushort v0, v[0:1]
	s_waitcnt vmcnt(0) lgkmcnt(0)
	v_mul_f16_e32 v31, v36, v0
.LBB243_33:
	ds_read_b64 v[24:25], v57 offset:3008
	ds_read_b64 v[18:19], v58 offset:1792
	ds_read2_b64 v[0:3], v58 offset0:160 offset1:192
	s_load_dword s13, s[0:1], 0x70
	s_load_dwordx2 s[2:3], s[0:1], 0x78
	v_pk_max_f16 v76, v20, v20
	v_pk_max_f16 v29, v26, v26
	v_add_u32_e32 v4, 0x800, v57
	v_pk_min_f16 v20, v29, v76
	ds_read2_b64 v[12:15], v4 offset0:72 offset1:80
	ds_read2_b64 v[8:11], v4 offset0:88 offset1:96
	;; [unrolled: 1-line block ×3, first 2 shown]
	v_pk_add_f16 v20, v20, v75
	v_pk_max_f16 v75, v21, v21
	v_pk_max_f16 v30, v27, v27
	s_waitcnt lgkmcnt(0)
	s_lshl_b64 s[0:1], s[2:3], 1
	v_pk_min_f16 v21, v30, v75
	s_add_u32 s2, s10, s0
	v_pk_add_f16 v32, v21, v20
	s_addc_u32 s3, s11, s1
	v_mad_i64_i32 v[26:27], s[0:1], v28, s13, 0
	v_add_f16_sdwa v32, v32, v32 dst_sel:DWORD dst_unused:UNUSED_PAD src0_sel:DWORD src1_sel:WORD_1
	v_add_u32_e32 v20, 8, v16
	v_lshl_add_u64 v[26:27], v[26:27], 1, s[2:3]
	v_add_f16_e32 v31, v32, v31
	v_cndmask_b32_e64 v32, 0, 1, s[4:5]
	v_ashrrev_i32_e32 v21, 31, v20
	v_lshl_add_u64 v[34:35], v[16:17], 1, v[26:27]
	v_cmp_ne_u32_e64 s[0:1], 1, v32
	s_andn2_b64 vcc, exec, s[4:5]
	global_store_short v[34:35], v31, off
	s_cbranch_vccnz .LBB243_35
; %bb.34:
	v_lshl_add_u64 v[32:33], v[20:21], 1, v[22:23]
	flat_load_ushort v31, v[32:33]
	s_waitcnt vmcnt(0) lgkmcnt(0)
	v_mul_f16_e32 v33, v36, v31
.LBB243_35:
	v_pk_max_f16 v31, v12, v12
	v_pk_max_f16 v32, v13, v13
	v_pk_min_f16 v12, v31, v76
	v_pk_min_f16 v13, v32, v75
	v_pk_add_f16 v12, v12, v73
	s_and_b64 vcc, exec, s[0:1]
	v_pk_add_f16 v12, v13, v12
	v_mov_b32_e32 v47, 0
	v_add_f16_sdwa v34, v12, v12 dst_sel:DWORD dst_unused:UNUSED_PAD src0_sel:DWORD src1_sel:WORD_1
	v_add_u32_e32 v12, 16, v16
	v_add_f16_e32 v33, v34, v33
	v_lshl_add_u64 v[34:35], v[20:21], 1, v[26:27]
	v_ashrrev_i32_e32 v13, 31, v12
	global_store_short v[34:35], v33, off
	v_mov_b32_e32 v35, 0
	s_cbranch_vccnz .LBB243_37
; %bb.36:
	v_lshl_add_u64 v[34:35], v[12:13], 1, v[22:23]
	flat_load_ushort v33, v[34:35]
	s_waitcnt vmcnt(0) lgkmcnt(0)
	v_mul_f16_e32 v35, v36, v33
.LBB243_37:
	v_pk_max_f16 v33, v14, v14
	v_pk_max_f16 v34, v15, v15
	v_pk_min_f16 v14, v33, v76
	v_pk_min_f16 v15, v34, v75
	v_pk_add_f16 v14, v14, v72
	v_lshl_add_u64 v[72:73], v[12:13], 1, v[26:27]
	v_pk_add_f16 v14, v15, v14
	s_and_b64 vcc, exec, s[0:1]
	v_add_f16_sdwa v46, v14, v14 dst_sel:DWORD dst_unused:UNUSED_PAD src0_sel:DWORD src1_sel:WORD_1
	v_add_u32_e32 v14, 24, v16
	v_ashrrev_i32_e32 v15, 31, v14
	v_add_f16_e32 v35, v46, v35
	global_store_short v[72:73], v35, off
	s_cbranch_vccnz .LBB243_39
; %bb.38:
	v_lshl_add_u64 v[46:47], v[14:15], 1, v[22:23]
	flat_load_ushort v35, v[46:47]
	s_waitcnt vmcnt(0) lgkmcnt(0)
	v_mul_f16_e32 v47, v36, v35
.LBB243_39:
	v_pk_max_f16 v35, v8, v8
	v_pk_max_f16 v46, v9, v9
	v_pk_min_f16 v8, v35, v76
	v_pk_min_f16 v9, v46, v75
	v_pk_add_f16 v8, v8, v74
	v_lshl_add_u64 v[72:73], v[14:15], 1, v[26:27]
	v_pk_add_f16 v8, v9, v8
	s_and_b64 vcc, exec, s[0:1]
	v_add_f16_sdwa v48, v8, v8 dst_sel:DWORD dst_unused:UNUSED_PAD src0_sel:DWORD src1_sel:WORD_1
	v_add_u32_e32 v8, 32, v16
	v_ashrrev_i32_e32 v9, 31, v8
	v_add_f16_e32 v47, v48, v47
	v_mov_b32_e32 v67, 0
	v_mov_b32_e32 v57, 0
	global_store_short v[72:73], v47, off
	s_cbranch_vccnz .LBB243_41
; %bb.40:
	v_lshl_add_u64 v[72:73], v[8:9], 1, v[22:23]
	flat_load_ushort v47, v[72:73]
	s_waitcnt vmcnt(0) lgkmcnt(0)
	v_mul_f16_e32 v57, v36, v47
.LBB243_41:
	v_pk_max_f16 v47, v10, v10
	v_pk_max_f16 v48, v11, v11
	v_pk_min_f16 v10, v47, v76
	v_pk_min_f16 v11, v48, v75
	v_pk_add_f16 v10, v10, v71
	v_lshl_add_u64 v[72:73], v[8:9], 1, v[26:27]
	v_pk_add_f16 v10, v11, v10
	s_and_b64 vcc, exec, s[0:1]
	v_add_f16_sdwa v58, v10, v10 dst_sel:DWORD dst_unused:UNUSED_PAD src0_sel:DWORD src1_sel:WORD_1
	v_add_u32_e32 v10, 40, v16
	v_ashrrev_i32_e32 v11, 31, v10
	v_add_f16_e32 v57, v58, v57
	global_store_short v[72:73], v57, off
	s_cbranch_vccnz .LBB243_43
; %bb.42:
	v_lshl_add_u64 v[72:73], v[10:11], 1, v[22:23]
	flat_load_ushort v57, v[72:73]
	s_waitcnt vmcnt(0) lgkmcnt(0)
	v_mul_f16_e32 v67, v36, v57
.LBB243_43:
	v_pk_max_f16 v57, v4, v4
	v_pk_max_f16 v58, v5, v5
	v_pk_min_f16 v4, v57, v76
	v_pk_min_f16 v5, v58, v75
	v_pk_add_f16 v4, v4, v70
	v_lshl_add_u64 v[70:71], v[10:11], 1, v[26:27]
	v_pk_add_f16 v4, v5, v4
	s_and_b64 vcc, exec, s[0:1]
	v_add_f16_sdwa v68, v4, v4 dst_sel:DWORD dst_unused:UNUSED_PAD src0_sel:DWORD src1_sel:WORD_1
	v_add_u32_e32 v4, 48, v16
	v_add_f16_e32 v67, v68, v67
	v_ashrrev_i32_e32 v5, 31, v4
	global_store_short v[70:71], v67, off
	v_mov_b32_e32 v70, 0
	v_mov_b32_e32 v71, 0
	s_cbranch_vccnz .LBB243_45
; %bb.44:
	v_lshl_add_u64 v[72:73], v[4:5], 1, v[22:23]
	flat_load_ushort v67, v[72:73]
	s_waitcnt vmcnt(0) lgkmcnt(0)
	v_mul_f16_e32 v71, v36, v67
.LBB243_45:
	v_pk_max_f16 v67, v6, v6
	v_pk_max_f16 v68, v7, v7
	v_pk_min_f16 v6, v67, v76
	v_pk_min_f16 v7, v68, v75
	v_pk_add_f16 v6, v6, v69
	v_lshl_add_u64 v[72:73], v[4:5], 1, v[26:27]
	v_pk_add_f16 v6, v7, v6
	s_and_b64 vcc, exec, s[0:1]
	v_add_f16_sdwa v69, v6, v6 dst_sel:DWORD dst_unused:UNUSED_PAD src0_sel:DWORD src1_sel:WORD_1
	v_add_u32_e32 v6, 56, v16
	v_ashrrev_i32_e32 v7, 31, v6
	v_add_f16_e32 v69, v69, v71
	global_store_short v[72:73], v69, off
	s_cbranch_vccnz .LBB243_47
; %bb.46:
	v_lshl_add_u64 v[22:23], v[6:7], 1, v[22:23]
	flat_load_ushort v22, v[22:23]
	s_waitcnt vmcnt(0) lgkmcnt(0)
	v_mul_f16_e32 v70, v36, v22
.LBB243_47:
	v_pk_max_f16 v24, v24, v24
	v_pk_max_f16 v25, v25, v25
	v_pk_min_f16 v22, v24, v76
	v_pk_min_f16 v23, v25, v75
	v_pk_add_f16 v22, v22, v66
	v_add_u32_e32 v69, 32, v28
	v_pk_add_f16 v22, v23, v22
	s_and_b64 vcc, exec, s[0:1]
	v_add_f16_sdwa v22, v22, v22 dst_sel:DWORD dst_unused:UNUSED_PAD src0_sel:DWORD src1_sel:WORD_1
	v_add_f16_e32 v66, v22, v70
	v_lshl_add_u64 v[22:23], v[6:7], 1, v[26:27]
	global_store_short v[22:23], v66, off
	v_mad_i64_i32 v[22:23], s[4:5], v69, s12, 0
	v_lshl_add_u64 v[22:23], v[22:23], 1, s[8:9]
	v_mov_b32_e32 v66, 0
	v_mov_b32_e32 v70, 0
	s_cbranch_vccnz .LBB243_49
; %bb.48:
	v_lshl_add_u64 v[26:27], v[16:17], 1, v[22:23]
	flat_load_ushort v26, v[26:27]
	s_waitcnt vmcnt(0) lgkmcnt(0)
	v_mul_f16_e32 v70, v36, v26
.LBB243_49:
	v_pk_max_f16 v26, v0, v0
	v_pk_max_f16 v27, v1, v1
	v_pk_min_f16 v0, v29, v26
	v_pk_min_f16 v1, v30, v27
	v_pk_add_f16 v0, v0, v64
	s_and_b64 vcc, exec, s[0:1]
	v_pk_add_f16 v64, v1, v0
	v_mad_i64_i32 v[0:1], s[4:5], v69, s13, 0
	v_lshl_add_u64 v[0:1], v[0:1], 1, s[2:3]
	v_add_f16_sdwa v64, v64, v64 dst_sel:DWORD dst_unused:UNUSED_PAD src0_sel:DWORD src1_sel:WORD_1
	v_add_f16_e32 v64, v64, v70
	v_lshl_add_u64 v[70:71], v[16:17], 1, v[0:1]
	global_store_short v[70:71], v64, off
	s_cbranch_vccnz .LBB243_51
; %bb.50:
	v_lshl_add_u64 v[70:71], v[20:21], 1, v[22:23]
	flat_load_ushort v64, v[70:71]
	s_waitcnt vmcnt(0) lgkmcnt(0)
	v_mul_f16_e32 v66, v36, v64
.LBB243_51:
	v_pk_min_f16 v64, v31, v26
	v_lshl_add_u64 v[70:71], v[20:21], 1, v[0:1]
	v_pk_add_f16 v62, v64, v62
	v_pk_min_f16 v64, v32, v27
	s_and_b64 vcc, exec, s[0:1]
	v_pk_add_f16 v62, v64, v62
	v_mov_b32_e32 v64, 0
	v_add_f16_sdwa v62, v62, v62 dst_sel:DWORD dst_unused:UNUSED_PAD src0_sel:DWORD src1_sel:WORD_1
	v_add_f16_e32 v62, v62, v66
	global_store_short v[70:71], v62, off
	v_mov_b32_e32 v62, 0
	s_cbranch_vccnz .LBB243_53
; %bb.52:
	v_lshl_add_u64 v[70:71], v[12:13], 1, v[22:23]
	flat_load_ushort v64, v[70:71]
	s_waitcnt vmcnt(0) lgkmcnt(0)
	v_mul_f16_e32 v64, v36, v64
.LBB243_53:
	v_pk_min_f16 v66, v33, v26
	v_lshl_add_u64 v[70:71], v[12:13], 1, v[0:1]
	v_pk_add_f16 v60, v66, v60
	v_pk_min_f16 v66, v34, v27
	s_and_b64 vcc, exec, s[0:1]
	v_pk_add_f16 v60, v66, v60
	s_nop 0
	v_add_f16_sdwa v60, v60, v60 dst_sel:DWORD dst_unused:UNUSED_PAD src0_sel:DWORD src1_sel:WORD_1
	v_add_f16_e32 v60, v60, v64
	global_store_short v[70:71], v60, off
	s_cbranch_vccnz .LBB243_55
; %bb.54:
	v_lshl_add_u64 v[70:71], v[14:15], 1, v[22:23]
	flat_load_ushort v60, v[70:71]
	s_waitcnt vmcnt(0) lgkmcnt(0)
	v_mul_f16_e32 v62, v36, v60
.LBB243_55:
	v_pk_min_f16 v60, v35, v26
	v_pk_min_f16 v64, v46, v27
	v_pk_add_f16 v60, v60, v65
	s_and_b64 vcc, exec, s[0:1]
	v_pk_add_f16 v60, v64, v60
	v_lshl_add_u64 v[64:65], v[14:15], 1, v[0:1]
	v_add_f16_sdwa v60, v60, v60 dst_sel:DWORD dst_unused:UNUSED_PAD src0_sel:DWORD src1_sel:WORD_1
	v_add_f16_e32 v60, v60, v62
	global_store_short v[64:65], v60, off
	v_mov_b32_e32 v60, 0
	v_mov_b32_e32 v62, 0
	s_cbranch_vccnz .LBB243_57
; %bb.56:
	v_lshl_add_u64 v[64:65], v[8:9], 1, v[22:23]
	flat_load_ushort v62, v[64:65]
	s_waitcnt vmcnt(0) lgkmcnt(0)
	v_mul_f16_e32 v62, v36, v62
.LBB243_57:
	v_pk_min_f16 v64, v47, v26
	s_and_b64 vcc, exec, s[0:1]
	v_pk_add_f16 v63, v64, v63
	v_pk_min_f16 v64, v48, v27
	s_nop 0
	v_pk_add_f16 v63, v64, v63
	s_nop 0
	v_add_f16_sdwa v63, v63, v63 dst_sel:DWORD dst_unused:UNUSED_PAD src0_sel:DWORD src1_sel:WORD_1
	v_add_f16_e32 v64, v63, v62
	v_lshl_add_u64 v[62:63], v[8:9], 1, v[0:1]
	global_store_short v[62:63], v64, off
	s_cbranch_vccnz .LBB243_59
; %bb.58:
	v_lshl_add_u64 v[62:63], v[10:11], 1, v[22:23]
	flat_load_ushort v60, v[62:63]
	s_waitcnt vmcnt(0) lgkmcnt(0)
	v_mul_f16_e32 v60, v36, v60
.LBB243_59:
	v_pk_min_f16 v62, v57, v26
	s_and_b64 vcc, exec, s[0:1]
	v_pk_add_f16 v61, v62, v61
	v_pk_min_f16 v62, v58, v27
	s_nop 0
	v_pk_add_f16 v61, v62, v61
	s_nop 0
	v_add_f16_sdwa v61, v61, v61 dst_sel:DWORD dst_unused:UNUSED_PAD src0_sel:DWORD src1_sel:WORD_1
	v_add_f16_e32 v62, v61, v60
	v_lshl_add_u64 v[60:61], v[10:11], 1, v[0:1]
	global_store_short v[60:61], v62, off
	v_mov_b32_e32 v60, 0
	v_mov_b32_e32 v61, 0
	s_cbranch_vccnz .LBB243_61
; %bb.60:
	v_lshl_add_u64 v[62:63], v[4:5], 1, v[22:23]
	flat_load_ushort v61, v[62:63]
	s_waitcnt vmcnt(0) lgkmcnt(0)
	v_mul_f16_e32 v61, v36, v61
.LBB243_61:
	v_pk_min_f16 v62, v67, v26
	s_and_b64 vcc, exec, s[0:1]
	v_pk_add_f16 v59, v62, v59
	v_pk_min_f16 v62, v68, v27
	s_nop 0
	v_pk_add_f16 v59, v62, v59
	v_lshl_add_u64 v[62:63], v[4:5], 1, v[0:1]
	v_add_f16_sdwa v59, v59, v59 dst_sel:DWORD dst_unused:UNUSED_PAD src0_sel:DWORD src1_sel:WORD_1
	v_add_f16_e32 v59, v59, v61
	global_store_short v[62:63], v59, off
	s_cbranch_vccnz .LBB243_63
; %bb.62:
	v_lshl_add_u64 v[22:23], v[6:7], 1, v[22:23]
	flat_load_ushort v22, v[22:23]
	s_waitcnt vmcnt(0) lgkmcnt(0)
	v_mul_f16_e32 v60, v36, v22
.LBB243_63:
	v_pk_min_f16 v22, v24, v26
	v_pk_min_f16 v23, v25, v27
	v_pk_add_f16 v22, v22, v56
	v_lshl_add_u64 v[0:1], v[6:7], 1, v[0:1]
	v_pk_add_f16 v22, v23, v22
	v_add_u32_e32 v27, 64, v28
	v_add_f16_sdwa v22, v22, v22 dst_sel:DWORD dst_unused:UNUSED_PAD src0_sel:DWORD src1_sel:WORD_1
	v_add_f16_e32 v22, v22, v60
	global_store_short v[0:1], v22, off
	v_mad_i64_i32 v[0:1], s[4:5], v27, s12, 0
	v_lshl_add_u64 v[0:1], v[0:1], 1, s[8:9]
	s_and_b64 vcc, exec, s[0:1]
	v_mov_b32_e32 v26, 0
	v_mov_b32_e32 v56, 0
	s_cbranch_vccnz .LBB243_65
; %bb.64:
	v_lshl_add_u64 v[22:23], v[16:17], 1, v[0:1]
	flat_load_ushort v22, v[22:23]
	s_waitcnt vmcnt(0) lgkmcnt(0)
	v_mul_f16_e32 v56, v36, v22
.LBB243_65:
	v_pk_max_f16 v22, v2, v2
	v_pk_max_f16 v23, v3, v3
	v_pk_min_f16 v2, v29, v22
	v_pk_min_f16 v3, v30, v23
	v_pk_add_f16 v2, v2, v54
	s_and_b64 vcc, exec, s[0:1]
	v_pk_add_f16 v54, v3, v2
	v_mad_i64_i32 v[2:3], s[4:5], v27, s13, 0
	v_lshl_add_u64 v[2:3], v[2:3], 1, s[2:3]
	v_add_f16_sdwa v27, v54, v54 dst_sel:DWORD dst_unused:UNUSED_PAD src0_sel:DWORD src1_sel:WORD_1
	v_add_f16_e32 v27, v27, v56
	v_lshl_add_u64 v[60:61], v[16:17], 1, v[2:3]
	global_store_short v[60:61], v27, off
	s_cbranch_vccnz .LBB243_67
; %bb.66:
	v_lshl_add_u64 v[26:27], v[20:21], 1, v[0:1]
	flat_load_ushort v26, v[26:27]
	s_waitcnt vmcnt(0) lgkmcnt(0)
	v_mul_f16_e32 v26, v36, v26
.LBB243_67:
	v_pk_min_f16 v27, v31, v22
	s_and_b64 vcc, exec, s[0:1]
	v_pk_add_f16 v27, v27, v52
	v_pk_min_f16 v52, v32, v23
	s_nop 0
	v_pk_add_f16 v27, v52, v27
	s_nop 0
	v_add_f16_sdwa v27, v27, v27 dst_sel:DWORD dst_unused:UNUSED_PAD src0_sel:DWORD src1_sel:WORD_1
	v_add_f16_e32 v52, v27, v26
	v_lshl_add_u64 v[26:27], v[20:21], 1, v[2:3]
	global_store_short v[26:27], v52, off
	v_mov_b32_e32 v26, 0
	v_mov_b32_e32 v27, 0
	s_cbranch_vccnz .LBB243_69
; %bb.68:
	v_lshl_add_u64 v[60:61], v[12:13], 1, v[0:1]
	flat_load_ushort v27, v[60:61]
	s_waitcnt vmcnt(0) lgkmcnt(0)
	v_mul_f16_e32 v27, v36, v27
.LBB243_69:
	v_pk_min_f16 v52, v33, v22
	v_lshl_add_u64 v[60:61], v[12:13], 1, v[2:3]
	v_pk_add_f16 v50, v52, v50
	v_pk_min_f16 v52, v34, v23
	s_and_b64 vcc, exec, s[0:1]
	v_pk_add_f16 v50, v52, v50
	s_nop 0
	v_add_f16_sdwa v50, v50, v50 dst_sel:DWORD dst_unused:UNUSED_PAD src0_sel:DWORD src1_sel:WORD_1
	v_add_f16_e32 v27, v50, v27
	global_store_short v[60:61], v27, off
	s_cbranch_vccnz .LBB243_71
; %bb.70:
	v_lshl_add_u64 v[26:27], v[14:15], 1, v[0:1]
	flat_load_ushort v26, v[26:27]
	s_waitcnt vmcnt(0) lgkmcnt(0)
	v_mul_f16_e32 v26, v36, v26
.LBB243_71:
	v_pk_min_f16 v27, v35, v22
	v_pk_min_f16 v50, v46, v23
	v_pk_add_f16 v27, v27, v55
	s_and_b64 vcc, exec, s[0:1]
	v_pk_add_f16 v27, v50, v27
	s_nop 0
	v_add_f16_sdwa v27, v27, v27 dst_sel:DWORD dst_unused:UNUSED_PAD src0_sel:DWORD src1_sel:WORD_1
	v_add_f16_e32 v50, v27, v26
	v_lshl_add_u64 v[26:27], v[14:15], 1, v[2:3]
	global_store_short v[26:27], v50, off
	v_mov_b32_e32 v26, 0
	v_mov_b32_e32 v27, 0
	s_cbranch_vccnz .LBB243_73
; %bb.72:
	v_lshl_add_u64 v[54:55], v[8:9], 1, v[0:1]
	flat_load_ushort v27, v[54:55]
	s_waitcnt vmcnt(0) lgkmcnt(0)
	v_mul_f16_e32 v27, v36, v27
.LBB243_73:
	v_pk_min_f16 v50, v47, v22
	v_pk_min_f16 v52, v48, v23
	v_pk_add_f16 v50, v50, v53
	s_and_b64 vcc, exec, s[0:1]
	v_pk_add_f16 v50, v52, v50
	v_lshl_add_u64 v[52:53], v[8:9], 1, v[2:3]
	v_add_f16_sdwa v50, v50, v50 dst_sel:DWORD dst_unused:UNUSED_PAD src0_sel:DWORD src1_sel:WORD_1
	v_add_f16_e32 v27, v50, v27
	global_store_short v[52:53], v27, off
	s_cbranch_vccnz .LBB243_75
; %bb.74:
	v_lshl_add_u64 v[26:27], v[10:11], 1, v[0:1]
	flat_load_ushort v26, v[26:27]
	s_waitcnt vmcnt(0) lgkmcnt(0)
	v_mul_f16_e32 v26, v36, v26
.LBB243_75:
	v_pk_min_f16 v27, v57, v22
	v_pk_min_f16 v50, v58, v23
	v_pk_add_f16 v27, v27, v51
	s_and_b64 vcc, exec, s[0:1]
	v_pk_add_f16 v27, v50, v27
	s_nop 0
	v_add_f16_sdwa v27, v27, v27 dst_sel:DWORD dst_unused:UNUSED_PAD src0_sel:DWORD src1_sel:WORD_1
	v_add_f16_e32 v50, v27, v26
	v_lshl_add_u64 v[26:27], v[10:11], 1, v[2:3]
	global_store_short v[26:27], v50, off
	v_mov_b32_e32 v26, 0
	v_mov_b32_e32 v27, 0
	s_cbranch_vccnz .LBB243_77
; %bb.76:
	v_lshl_add_u64 v[50:51], v[4:5], 1, v[0:1]
	flat_load_ushort v27, v[50:51]
	s_waitcnt vmcnt(0) lgkmcnt(0)
	v_mul_f16_e32 v27, v36, v27
.LBB243_77:
	v_pk_min_f16 v50, v67, v22
	s_and_b64 vcc, exec, s[0:1]
	v_pk_add_f16 v49, v50, v49
	v_pk_min_f16 v50, v68, v23
	s_nop 0
	v_pk_add_f16 v49, v50, v49
	v_lshl_add_u64 v[50:51], v[4:5], 1, v[2:3]
	v_add_f16_sdwa v49, v49, v49 dst_sel:DWORD dst_unused:UNUSED_PAD src0_sel:DWORD src1_sel:WORD_1
	v_add_f16_e32 v27, v49, v27
	global_store_short v[50:51], v27, off
	s_cbranch_vccnz .LBB243_79
; %bb.78:
	v_lshl_add_u64 v[0:1], v[6:7], 1, v[0:1]
	flat_load_ushort v0, v[0:1]
	s_waitcnt vmcnt(0) lgkmcnt(0)
	v_mul_f16_e32 v26, v36, v0
.LBB243_79:
	v_pk_min_f16 v0, v24, v22
	v_pk_min_f16 v1, v25, v23
	v_pk_add_f16 v0, v0, v45
	s_and_b64 vcc, exec, s[0:1]
	v_pk_add_f16 v0, v1, v0
	v_mov_b32_e32 v23, 0
	v_add_f16_sdwa v0, v0, v0 dst_sel:DWORD dst_unused:UNUSED_PAD src0_sel:DWORD src1_sel:WORD_1
	v_add_f16_e32 v22, v0, v26
	v_lshl_add_u64 v[0:1], v[6:7], 1, v[2:3]
	v_add_u32_e32 v2, 0x60, v28
	global_store_short v[0:1], v22, off
	v_mad_i64_i32 v[0:1], s[4:5], v2, s12, 0
	v_lshl_add_u64 v[0:1], v[0:1], 1, s[8:9]
	v_mov_b32_e32 v22, 0
	s_cbranch_vccnz .LBB243_81
; %bb.80:
	v_lshl_add_u64 v[26:27], v[16:17], 1, v[0:1]
	flat_load_ushort v3, v[26:27]
	s_waitcnt vmcnt(0) lgkmcnt(0)
	v_mul_f16_e32 v23, v36, v3
.LBB243_81:
	v_pk_max_f16 v18, v18, v18
	v_pk_max_f16 v19, v19, v19
	v_pk_min_f16 v3, v29, v18
	v_pk_min_f16 v26, v30, v19
	v_pk_add_f16 v3, v3, v43
	s_and_b64 vcc, exec, s[0:1]
	v_pk_add_f16 v26, v26, v3
	v_mad_i64_i32 v[2:3], s[4:5], v2, s13, 0
	v_lshl_add_u64 v[2:3], v[2:3], 1, s[2:3]
	v_add_f16_sdwa v26, v26, v26 dst_sel:DWORD dst_unused:UNUSED_PAD src0_sel:DWORD src1_sel:WORD_1
	v_add_f16_e32 v23, v26, v23
	v_lshl_add_u64 v[16:17], v[16:17], 1, v[2:3]
	global_store_short v[16:17], v23, off
	s_cbranch_vccnz .LBB243_83
; %bb.82:
	v_lshl_add_u64 v[16:17], v[20:21], 1, v[0:1]
	flat_load_ushort v16, v[16:17]
	s_waitcnt vmcnt(0) lgkmcnt(0)
	v_mul_f16_e32 v22, v36, v16
.LBB243_83:
	v_pk_min_f16 v16, v31, v18
	v_pk_min_f16 v17, v32, v19
	v_pk_add_f16 v16, v16, v40
	s_and_b64 vcc, exec, s[0:1]
	v_pk_add_f16 v16, v17, v16
	s_nop 0
	v_add_f16_sdwa v16, v16, v16 dst_sel:DWORD dst_unused:UNUSED_PAD src0_sel:DWORD src1_sel:WORD_1
	v_add_f16_e32 v22, v16, v22
	v_lshl_add_u64 v[16:17], v[20:21], 1, v[2:3]
	global_store_short v[16:17], v22, off
	v_mov_b32_e32 v16, 0
	v_mov_b32_e32 v17, 0
	s_cbranch_vccnz .LBB243_85
; %bb.84:
	v_lshl_add_u64 v[20:21], v[12:13], 1, v[0:1]
	flat_load_ushort v17, v[20:21]
	s_waitcnt vmcnt(0) lgkmcnt(0)
	v_mul_f16_e32 v17, v36, v17
.LBB243_85:
	v_pk_min_f16 v20, v33, v18
	v_pk_min_f16 v21, v34, v19
	v_pk_add_f16 v20, v20, v39
	v_lshl_add_u64 v[12:13], v[12:13], 1, v[2:3]
	v_pk_add_f16 v20, v21, v20
	s_and_b64 vcc, exec, s[0:1]
	v_add_f16_sdwa v20, v20, v20 dst_sel:DWORD dst_unused:UNUSED_PAD src0_sel:DWORD src1_sel:WORD_1
	v_add_f16_e32 v17, v20, v17
	global_store_short v[12:13], v17, off
	s_cbranch_vccnz .LBB243_87
; %bb.86:
	v_lshl_add_u64 v[12:13], v[14:15], 1, v[0:1]
	flat_load_ushort v12, v[12:13]
	s_waitcnt vmcnt(0) lgkmcnt(0)
	v_mul_f16_e32 v16, v36, v12
.LBB243_87:
	v_pk_min_f16 v12, v35, v18
	v_pk_min_f16 v13, v46, v19
	v_pk_add_f16 v12, v12, v44
	s_and_b64 vcc, exec, s[0:1]
	v_pk_add_f16 v12, v13, v12
	s_nop 0
	v_add_f16_sdwa v12, v12, v12 dst_sel:DWORD dst_unused:UNUSED_PAD src0_sel:DWORD src1_sel:WORD_1
	v_add_f16_e32 v16, v12, v16
	v_lshl_add_u64 v[12:13], v[14:15], 1, v[2:3]
	global_store_short v[12:13], v16, off
	v_mov_b32_e32 v12, 0
	v_mov_b32_e32 v13, 0
	s_cbranch_vccnz .LBB243_89
; %bb.88:
	v_lshl_add_u64 v[14:15], v[8:9], 1, v[0:1]
	flat_load_ushort v13, v[14:15]
	s_waitcnt vmcnt(0) lgkmcnt(0)
	v_mul_f16_e32 v13, v36, v13
.LBB243_89:
	v_pk_min_f16 v14, v47, v18
	v_pk_min_f16 v15, v48, v19
	v_pk_add_f16 v14, v14, v41
	v_lshl_add_u64 v[8:9], v[8:9], 1, v[2:3]
	v_pk_add_f16 v14, v15, v14
	s_and_b64 vcc, exec, s[0:1]
	v_add_f16_sdwa v14, v14, v14 dst_sel:DWORD dst_unused:UNUSED_PAD src0_sel:DWORD src1_sel:WORD_1
	v_add_f16_e32 v13, v14, v13
	global_store_short v[8:9], v13, off
	s_cbranch_vccnz .LBB243_91
; %bb.90:
	v_lshl_add_u64 v[8:9], v[10:11], 1, v[0:1]
	flat_load_ushort v8, v[8:9]
	s_waitcnt vmcnt(0) lgkmcnt(0)
	v_mul_f16_e32 v12, v36, v8
.LBB243_91:
	v_pk_min_f16 v8, v57, v18
	v_pk_min_f16 v9, v58, v19
	v_pk_add_f16 v8, v8, v38
	v_pk_min_f16 v13, v68, v19
	v_pk_add_f16 v8, v9, v8
	v_pk_min_f16 v9, v67, v18
	v_add_f16_sdwa v8, v8, v8 dst_sel:DWORD dst_unused:UNUSED_PAD src0_sel:DWORD src1_sel:WORD_1
	v_pk_add_f16 v9, v9, v42
	v_add_f16_e32 v12, v8, v12
	v_pk_add_f16 v13, v13, v9
	v_lshl_add_u64 v[8:9], v[10:11], 1, v[2:3]
	global_store_short v[8:9], v12, off
	v_add_f16_sdwa v8, v13, v13 dst_sel:DWORD dst_unused:UNUSED_PAD src0_sel:DWORD src1_sel:WORD_1
	s_mov_b64 vcc, s[6:7]
	s_cbranch_vccz .LBB243_94
; %bb.92:
	v_add_f16_e32 v9, 0, v8
	v_lshl_add_u64 v[10:11], v[4:5], 1, v[2:3]
	s_mov_b32 s2, 0
	global_store_short v[10:11], v9, off
	s_cbranch_execz .LBB243_95
; %bb.93:
	v_mov_b32_e32 v0, s2
	s_branch .LBB243_96
.LBB243_94:
                                        ; implicit-def: $sgpr2
.LBB243_95:
	v_lshlrev_b64 v[4:5], 1, v[4:5]
	v_lshl_add_u64 v[10:11], v[0:1], 0, v[4:5]
	flat_load_ushort v9, v[10:11]
	v_lshl_add_u64 v[4:5], v[2:3], 0, v[4:5]
	v_lshl_add_u64 v[0:1], v[6:7], 1, v[0:1]
	s_waitcnt vmcnt(0) lgkmcnt(0)
	v_fma_f16 v8, v36, v9, v8
	global_store_short v[4:5], v8, off
	flat_load_ushort v0, v[0:1]
	s_waitcnt vmcnt(0) lgkmcnt(0)
	v_mul_f16_e32 v0, v36, v0
.LBB243_96:
	v_pk_min_f16 v4, v24, v18
	v_pk_min_f16 v1, v25, v19
	v_pk_add_f16 v4, v4, v37
	s_nop 0
	v_pk_add_f16 v1, v1, v4
	s_nop 0
	v_add_f16_sdwa v1, v1, v1 dst_sel:DWORD dst_unused:UNUSED_PAD src0_sel:DWORD src1_sel:WORD_1
	v_add_f16_e32 v4, v1, v0
	v_lshl_add_u64 v[0:1], v[6:7], 1, v[2:3]
	global_store_short v[0:1], v4, off
	s_endpgm
	.section	.rodata,"a",@progbits
	.p2align	6, 0x0
	.amdhsa_kernel _ZN12_GLOBAL__N_120geam_min_plus_kernelIDF16_Dv2_DF16_S1_Li8ELi32ELi64ELi128ELi4ELi64ELi4ELi64ELi4ELc78ELc84ELb0ELb0ELb0EPKDF16_KS3_KPDF16_EEviiiT16_PT17_ilS9_ilS7_S9_ilPT18_ili26rocblas_geam_ex_operation_
		.amdhsa_group_segment_fixed_size 3072
		.amdhsa_private_segment_fixed_size 0
		.amdhsa_kernarg_size 136
		.amdhsa_user_sgpr_count 2
		.amdhsa_user_sgpr_dispatch_ptr 0
		.amdhsa_user_sgpr_queue_ptr 0
		.amdhsa_user_sgpr_kernarg_segment_ptr 1
		.amdhsa_user_sgpr_dispatch_id 0
		.amdhsa_user_sgpr_kernarg_preload_length 0
		.amdhsa_user_sgpr_kernarg_preload_offset 0
		.amdhsa_user_sgpr_private_segment_size 0
		.amdhsa_uses_dynamic_stack 0
		.amdhsa_enable_private_segment 0
		.amdhsa_system_sgpr_workgroup_id_x 1
		.amdhsa_system_sgpr_workgroup_id_y 0
		.amdhsa_system_sgpr_workgroup_id_z 1
		.amdhsa_system_sgpr_workgroup_info 0
		.amdhsa_system_vgpr_workitem_id 1
		.amdhsa_next_free_vgpr 126
		.amdhsa_next_free_sgpr 25
		.amdhsa_accum_offset 128
		.amdhsa_reserve_vcc 1
		.amdhsa_float_round_mode_32 0
		.amdhsa_float_round_mode_16_64 0
		.amdhsa_float_denorm_mode_32 3
		.amdhsa_float_denorm_mode_16_64 3
		.amdhsa_dx10_clamp 1
		.amdhsa_ieee_mode 1
		.amdhsa_fp16_overflow 0
		.amdhsa_tg_split 0
		.amdhsa_exception_fp_ieee_invalid_op 0
		.amdhsa_exception_fp_denorm_src 0
		.amdhsa_exception_fp_ieee_div_zero 0
		.amdhsa_exception_fp_ieee_overflow 0
		.amdhsa_exception_fp_ieee_underflow 0
		.amdhsa_exception_fp_ieee_inexact 0
		.amdhsa_exception_int_div_zero 0
	.end_amdhsa_kernel
	.section	.text._ZN12_GLOBAL__N_120geam_min_plus_kernelIDF16_Dv2_DF16_S1_Li8ELi32ELi64ELi128ELi4ELi64ELi4ELi64ELi4ELc78ELc84ELb0ELb0ELb0EPKDF16_KS3_KPDF16_EEviiiT16_PT17_ilS9_ilS7_S9_ilPT18_ili26rocblas_geam_ex_operation_,"axG",@progbits,_ZN12_GLOBAL__N_120geam_min_plus_kernelIDF16_Dv2_DF16_S1_Li8ELi32ELi64ELi128ELi4ELi64ELi4ELi64ELi4ELc78ELc84ELb0ELb0ELb0EPKDF16_KS3_KPDF16_EEviiiT16_PT17_ilS9_ilS7_S9_ilPT18_ili26rocblas_geam_ex_operation_,comdat
.Lfunc_end243:
	.size	_ZN12_GLOBAL__N_120geam_min_plus_kernelIDF16_Dv2_DF16_S1_Li8ELi32ELi64ELi128ELi4ELi64ELi4ELi64ELi4ELc78ELc84ELb0ELb0ELb0EPKDF16_KS3_KPDF16_EEviiiT16_PT17_ilS9_ilS7_S9_ilPT18_ili26rocblas_geam_ex_operation_, .Lfunc_end243-_ZN12_GLOBAL__N_120geam_min_plus_kernelIDF16_Dv2_DF16_S1_Li8ELi32ELi64ELi128ELi4ELi64ELi4ELi64ELi4ELc78ELc84ELb0ELb0ELb0EPKDF16_KS3_KPDF16_EEviiiT16_PT17_ilS9_ilS7_S9_ilPT18_ili26rocblas_geam_ex_operation_
                                        ; -- End function
	.section	.AMDGPU.csdata,"",@progbits
; Kernel info:
; codeLenInByte = 8940
; NumSgprs: 31
; NumVgprs: 126
; NumAgprs: 0
; TotalNumVgprs: 126
; ScratchSize: 0
; MemoryBound: 0
; FloatMode: 240
; IeeeMode: 1
; LDSByteSize: 3072 bytes/workgroup (compile time only)
; SGPRBlocks: 3
; VGPRBlocks: 15
; NumSGPRsForWavesPerEU: 31
; NumVGPRsForWavesPerEU: 126
; AccumOffset: 128
; Occupancy: 4
; WaveLimiterHint : 1
; COMPUTE_PGM_RSRC2:SCRATCH_EN: 0
; COMPUTE_PGM_RSRC2:USER_SGPR: 2
; COMPUTE_PGM_RSRC2:TRAP_HANDLER: 0
; COMPUTE_PGM_RSRC2:TGID_X_EN: 1
; COMPUTE_PGM_RSRC2:TGID_Y_EN: 0
; COMPUTE_PGM_RSRC2:TGID_Z_EN: 1
; COMPUTE_PGM_RSRC2:TIDIG_COMP_CNT: 1
; COMPUTE_PGM_RSRC3_GFX90A:ACCUM_OFFSET: 31
; COMPUTE_PGM_RSRC3_GFX90A:TG_SPLIT: 0
	.section	.text._ZN12_GLOBAL__N_120geam_min_plus_kernelIDF16_Dv2_DF16_S1_Li8ELi32ELi64ELi128ELi4ELi64ELi4ELi64ELi4ELc78ELc84ELb1ELb0ELb0EDF16_KPKDF16_KPDF16_EEviiiT16_PT17_ilS9_ilS7_S9_ilPT18_ili26rocblas_geam_ex_operation_,"axG",@progbits,_ZN12_GLOBAL__N_120geam_min_plus_kernelIDF16_Dv2_DF16_S1_Li8ELi32ELi64ELi128ELi4ELi64ELi4ELi64ELi4ELc78ELc84ELb1ELb0ELb0EDF16_KPKDF16_KPDF16_EEviiiT16_PT17_ilS9_ilS7_S9_ilPT18_ili26rocblas_geam_ex_operation_,comdat
	.globl	_ZN12_GLOBAL__N_120geam_min_plus_kernelIDF16_Dv2_DF16_S1_Li8ELi32ELi64ELi128ELi4ELi64ELi4ELi64ELi4ELc78ELc84ELb1ELb0ELb0EDF16_KPKDF16_KPDF16_EEviiiT16_PT17_ilS9_ilS7_S9_ilPT18_ili26rocblas_geam_ex_operation_ ; -- Begin function _ZN12_GLOBAL__N_120geam_min_plus_kernelIDF16_Dv2_DF16_S1_Li8ELi32ELi64ELi128ELi4ELi64ELi4ELi64ELi4ELc78ELc84ELb1ELb0ELb0EDF16_KPKDF16_KPDF16_EEviiiT16_PT17_ilS9_ilS7_S9_ilPT18_ili26rocblas_geam_ex_operation_
	.p2align	8
	.type	_ZN12_GLOBAL__N_120geam_min_plus_kernelIDF16_Dv2_DF16_S1_Li8ELi32ELi64ELi128ELi4ELi64ELi4ELi64ELi4ELc78ELc84ELb1ELb0ELb0EDF16_KPKDF16_KPDF16_EEviiiT16_PT17_ilS9_ilS7_S9_ilPT18_ili26rocblas_geam_ex_operation_,@function
_ZN12_GLOBAL__N_120geam_min_plus_kernelIDF16_Dv2_DF16_S1_Li8ELi32ELi64ELi128ELi4ELi64ELi4ELi64ELi4ELc78ELc84ELb1ELb0ELb0EDF16_KPKDF16_KPDF16_EEviiiT16_PT17_ilS9_ilS7_S9_ilPT18_ili26rocblas_geam_ex_operation_: ; @_ZN12_GLOBAL__N_120geam_min_plus_kernelIDF16_Dv2_DF16_S1_Li8ELi32ELi64ELi128ELi4ELi64ELi4ELi64ELi4ELc78ELc84ELb1ELb0ELb0EDF16_KPKDF16_KPDF16_EEviiiT16_PT17_ilS9_ilS7_S9_ilPT18_ili26rocblas_geam_ex_operation_
; %bb.0:
	s_load_dwordx2 s[12:13], s[0:1], 0x8
	s_load_dwordx4 s[4:7], s[0:1], 0x20
	s_mov_b32 s22, s3
	s_mov_b32 s23, 0
	s_waitcnt lgkmcnt(0)
	v_cmp_eq_f16_e64 s[8:9], s13, 0
	s_and_b64 vcc, exec, s[8:9]
	s_cbranch_vccnz .LBB244_3
; %bb.1:
	s_load_dwordx2 s[10:11], s[0:1], 0x10
	s_lshl_b64 s[14:15], s[22:23], 3
	s_waitcnt lgkmcnt(0)
	s_add_u32 s10, s10, s14
	s_addc_u32 s11, s11, s15
	s_load_dwordx2 s[10:11], s[10:11], 0x0
	s_lshl_b64 s[4:5], s[4:5], 1
	s_waitcnt lgkmcnt(0)
	s_add_u32 s14, s10, s4
	s_addc_u32 s15, s11, s5
	s_andn2_b64 vcc, exec, s[8:9]
	s_cbranch_vccnz .LBB244_4
.LBB244_2:
	s_mov_b64 s[16:17], 0
	s_cbranch_execz .LBB244_5
	s_branch .LBB244_6
.LBB244_3:
	s_mov_b64 s[14:15], 0
	s_andn2_b64 vcc, exec, s[8:9]
	s_cbranch_vccz .LBB244_2
.LBB244_4:
                                        ; implicit-def: $sgpr16_sgpr17
.LBB244_5:
	s_lshl_b64 s[8:9], s[22:23], 3
	s_add_u32 s6, s6, s8
	s_load_dwordx2 s[4:5], s[0:1], 0x38
	s_addc_u32 s7, s7, s9
	s_load_dwordx2 s[6:7], s[6:7], 0x0
	s_waitcnt lgkmcnt(0)
	s_lshl_b64 s[4:5], s[4:5], 1
	s_add_u32 s16, s6, s4
	s_addc_u32 s17, s7, s5
.LBB244_6:
	s_load_dword s13, s[0:1], 0x40
	s_load_dwordx4 s[8:11], s[0:1], 0x58
	s_waitcnt lgkmcnt(0)
	v_cmp_eq_f16_e64 s[4:5], s13, 0
	s_and_b64 s[4:5], exec, s[4:5]
	s_mov_b64 vcc, s[4:5]
	s_cbranch_vccnz .LBB244_8
; %bb.7:
	s_load_dwordx2 s[6:7], s[0:1], 0x48
	s_lshl_b64 s[18:19], s[22:23], 3
	s_waitcnt lgkmcnt(0)
	s_add_u32 s6, s6, s18
	s_addc_u32 s7, s7, s19
	s_load_dwordx2 s[6:7], s[6:7], 0x0
	s_lshl_b64 s[8:9], s[8:9], 1
	s_waitcnt lgkmcnt(0)
	s_add_u32 s6, s6, s8
	s_addc_u32 s7, s7, s9
	s_branch .LBB244_9
.LBB244_8:
	s_mov_b64 s[6:7], 0
.LBB244_9:
	s_load_dword s3, s[0:1], 0x0
	s_load_dword s20, s[0:1], 0x18
	;; [unrolled: 1-line block ×3, first 2 shown]
	s_lshl_b64 s[8:9], s[22:23], 3
	s_add_u32 s8, s10, s8
	s_addc_u32 s9, s11, s9
	s_waitcnt lgkmcnt(0)
	s_add_i32 s3, s3, -1
	s_ashr_i32 s10, s3, 31
	s_lshr_b32 s10, s10, 26
	s_add_i32 s3, s3, s10
	s_ashr_i32 s3, s3, 6
	s_add_i32 s10, s3, 1
	v_cvt_f32_u32_e32 v1, s10
	v_and_b32_e32 v37, 0x3ff, v0
	v_bfe_u32 v38, v0, 10, 10
	s_not_b32 s3, s3
	v_rcp_iflag_f32_e32 v1, v1
	v_lshlrev_b32_e32 v36, 3, v38
	v_lshlrev_b32_e32 v39, 3, v37
	v_add_u32_e32 v40, 0x800, v39
	v_mul_f32_e32 v0, 0x4f7ffffe, v1
	v_cvt_u32_f32_e32 v0, v0
	v_add_u32_e32 v1, v36, v37
	v_and_b32_e32 v9, 63, v1
	v_lshrrev_b32_e32 v8, 6, v1
	v_readfirstlane_b32 s11, v0
	s_mul_i32 s3, s3, s11
	s_mul_hi_u32 s3, s11, s3
	s_add_i32 s11, s11, s3
	s_mul_hi_u32 s3, s2, s11
	s_mul_i32 s11, s3, s10
	s_sub_i32 s11, s2, s11
	s_add_i32 s19, s3, 1
	s_sub_i32 s21, s11, s10
	s_cmp_ge_u32 s11, s10
	s_cselect_b32 s3, s19, s3
	s_cselect_b32 s11, s21, s11
	s_add_i32 s19, s3, 1
	s_cmp_ge_u32 s11, s10
	s_cselect_b32 s3, s19, s3
	s_mul_i32 s10, s3, s10
	s_sub_i32 s2, s2, s10
	s_lshl_b32 s23, s3, 7
	s_lshl_b32 s22, s2, 6
	v_or_b32_e32 v6, s23, v9
	v_or_b32_e32 v4, s22, v9
	v_mad_i64_i32 v[10:11], s[2:3], s18, v8, 0
	v_ashrrev_i32_e32 v7, 31, v6
	v_mad_i64_i32 v[0:1], s[2:3], s20, v8, 0
	v_ashrrev_i32_e32 v5, 31, v4
	v_lshl_add_u64 v[10:11], v[10:11], 1, s[16:17]
	v_lshlrev_b64 v[12:13], 1, v[6:7]
	v_lshl_add_u64 v[0:1], v[0:1], 1, s[14:15]
	v_lshlrev_b64 v[2:3], 1, v[4:5]
	v_lshl_add_u64 v[10:11], v[10:11], 0, v[12:13]
	v_lshl_add_u64 v[0:1], v[0:1], 0, v[2:3]
	flat_load_ushort v14, v[10:11]
	flat_load_ushort v15, v[10:11] offset:128
	flat_load_ushort v16, v[0:1]
	v_add_u32_e32 v10, 4, v8
	s_load_dwordx2 s[2:3], s[8:9], 0x0
	v_mad_i64_i32 v[0:1], s[8:9], s20, v10, 0
	v_mad_i64_i32 v[10:11], s[8:9], s18, v10, 0
	v_lshl_add_u64 v[0:1], v[0:1], 1, s[14:15]
	v_lshl_add_u64 v[10:11], v[10:11], 1, s[16:17]
	v_lshlrev_b32_e32 v17, 1, v8
	v_lshl_add_u64 v[10:11], v[10:11], 0, v[12:13]
	v_lshl_add_u64 v[0:1], v[0:1], 0, v[2:3]
	v_lshl_add_u32 v41, v9, 3, v17
	flat_load_ushort v9, v[10:11]
	flat_load_ushort v30, v[10:11] offset:128
	flat_load_ushort v31, v[0:1]
	s_cmp_lt_i32 s12, 9
	s_waitcnt vmcnt(0) lgkmcnt(0)
	ds_write_b16 v41, v14
	ds_write_b16 v41, v15 offset:512
	ds_write_b16 v41, v16 offset:2048
	s_waitcnt lgkmcnt(0)
	s_barrier
	ds_read2_b64 v[0:3], v40 offset0:48 offset1:56
	ds_read2_b64 v[10:13], v36 offset1:32
	ds_read2_b64 v[14:17], v36 offset0:64 offset1:96
	ds_read2_b64 v[18:21], v40 offset1:8
	ds_read2_b64 v[22:25], v40 offset0:16 offset1:24
	ds_read2_b64 v[26:29], v40 offset0:32 offset1:40
	s_waitcnt lgkmcnt(4)
	v_pk_max_f16 v10, v10, v10
	v_pk_max_f16 v2, v2, v2
	;; [unrolled: 1-line block ×3, first 2 shown]
	s_waitcnt lgkmcnt(3)
	v_pk_max_f16 v14, v14, v14
	s_waitcnt lgkmcnt(2)
	v_pk_max_f16 v18, v18, v18
	v_pk_max_f16 v16, v16, v16
	;; [unrolled: 1-line block ×3, first 2 shown]
	s_waitcnt lgkmcnt(1)
	v_pk_max_f16 v22, v22, v22
	v_pk_max_f16 v24, v24, v24
	s_waitcnt lgkmcnt(0)
	v_pk_max_f16 v26, v26, v26
	v_pk_max_f16 v28, v28, v28
	v_pk_max_f16 v11, v11, v11
	v_pk_min_f16 v32, v2, v10
	v_pk_max_f16 v0, v0, v0
	v_pk_max_f16 v3, v3, v3
	;; [unrolled: 1-line block ×3, first 2 shown]
	v_pk_min_f16 v33, v18, v10
	v_pk_min_f16 v34, v18, v12
	;; [unrolled: 1-line block ×31, first 2 shown]
	v_pk_add_f16 v16, v32, 0
	v_pk_min_f16 v32, v3, v11
	v_pk_max_f16 v15, v15, v15
	v_pk_add_f16 v62, v32, v16
	v_pk_add_f16 v16, v47, 0
	v_pk_min_f16 v32, v3, v13
	v_pk_max_f16 v19, v19, v19
	v_pk_add_f16 v55, v32, v16
	;; [unrolled: 4-line block ×6, first 2 shown]
	v_pk_add_f16 v16, v18, 0
	v_pk_min_f16 v18, v19, v17
	v_pk_min_f16 v19, v25, v17
	v_pk_add_f16 v47, v18, v16
	v_pk_add_f16 v16, v42, 0
	v_pk_min_f16 v18, v21, v11
	v_pk_max_f16 v1, v1, v1
	v_pk_add_f16 v70, v18, v16
	v_pk_add_f16 v16, v43, 0
	v_pk_min_f16 v18, v21, v13
	v_pk_add_f16 v10, v10, 0
	v_pk_add_f16 v63, v18, v16
	v_pk_add_f16 v16, v44, 0
	v_pk_min_f16 v18, v21, v15
	v_pk_add_f16 v12, v12, 0
	;; [unrolled: 4-line block ×8, first 2 shown]
	v_pk_add_f16 v71, v18, v16
	v_pk_add_f16 v16, v52, 0
	v_pk_min_f16 v18, v25, v13
	ds_write_b16 v41, v31 offset:2560
	ds_write_b16 v41, v9 offset:1024
	;; [unrolled: 1-line block ×3, first 2 shown]
	v_pk_add_f16 v65, v18, v16
	v_pk_add_f16 v16, v53, 0
	v_pk_min_f16 v18, v25, v15
	s_waitcnt lgkmcnt(0)
	v_pk_add_f16 v58, v18, v16
	v_pk_add_f16 v16, v24, 0
	;; [unrolled: 1-line block ×4, first 2 shown]
	v_pk_max_f16 v16, v27, v27
	s_barrier
	v_pk_min_f16 v19, v16, v11
	s_nop 0
	v_pk_add_f16 v72, v19, v18
	v_pk_add_f16 v18, v60, 0
	v_pk_min_f16 v19, v16, v13
	s_nop 0
	v_pk_add_f16 v66, v19, v18
	v_pk_add_f16 v18, v67, 0
	v_pk_min_f16 v19, v16, v15
	v_pk_min_f16 v16, v16, v17
	v_pk_add_f16 v59, v19, v18
	v_pk_add_f16 v18, v26, 0
	;; [unrolled: 1-line block ×4, first 2 shown]
	v_pk_max_f16 v16, v29, v29
	s_nop 0
	v_pk_min_f16 v18, v16, v11
	v_pk_min_f16 v11, v1, v11
	v_pk_add_f16 v73, v18, v19
	v_pk_add_f16 v81, v11, v10
	v_pk_min_f16 v10, v1, v13
	v_pk_min_f16 v18, v16, v13
	v_pk_add_f16 v80, v10, v12
	v_pk_min_f16 v10, v1, v15
	v_pk_min_f16 v1, v1, v17
	;; [unrolled: 3-line block ×3, first 2 shown]
	v_pk_add_f16 v75, v1, v0
	v_pk_min_f16 v0, v3, v17
	v_pk_add_f16 v60, v18, v21
	v_pk_add_f16 v53, v16, v22
	;; [unrolled: 1-line block ×4, first 2 shown]
	s_cbranch_scc1 .LBB244_12
; %bb.10:
	v_mov_b32_e32 v0, 0xa00
	v_add_u32_e32 v2, 8, v8
	v_lshl_add_u32 v45, v37, 3, v0
	v_mad_i64_i32 v[0:1], s[8:9], v2, s18, 0
	v_add_u32_e32 v3, 12, v8
	v_lshlrev_b64 v[28:29], 1, v[0:1]
	v_mad_i64_i32 v[0:1], s[10:11], v3, s20, 0
	v_lshl_add_u64 v[24:25], v[4:5], 1, s[14:15]
	v_lshlrev_b64 v[30:31], 1, v[0:1]
	v_mad_i64_i32 v[0:1], s[14:15], v2, s20, 0
	s_ashr_i32 s21, s20, 31
	s_ashr_i32 s19, s18, 31
	v_lshlrev_b64 v[32:33], 1, v[0:1]
	v_mad_i64_i32 v[0:1], s[14:15], v3, s18, 0
	v_or_b32_e32 v42, 0x800, v41
	v_add_u32_e32 v43, 0xa00, v41
	v_or_b32_e32 v44, 0x400, v41
	s_add_i32 s12, s12, -8
	v_add_u32_e32 v46, 0x400, v36
	v_lshl_add_u64 v[26:27], v[6:7], 1, s[16:17]
	s_lshl_b64 s[8:9], s[18:19], 4
	s_lshl_b64 s[10:11], s[20:21], 4
	v_lshlrev_b64 v[34:35], 1, v[0:1]
	s_mov_b32 s14, 0
.LBB244_11:                             ; =>This Inner Loop Header: Depth=1
	v_lshl_add_u64 v[0:1], v[24:25], 0, v[32:33]
	flat_load_ushort v77, v[0:1]
	v_lshl_add_u64 v[0:1], v[26:27], 0, v[28:29]
	flat_load_ushort v78, v[0:1]
	flat_load_ushort v79, v[0:1] offset:128
	ds_read2_b64 v[0:3], v45 offset0:48 offset1:56
	ds_read2_b64 v[8:11], v46 offset0:64 offset1:96
	ds_read2_b64 v[20:23], v46 offset1:32
	ds_read2_b64 v[16:19], v45 offset1:8
	ds_read2_b64 v[12:15], v45 offset0:16 offset1:24
	s_waitcnt lgkmcnt(0)
	v_pk_max_f16 v2, v2, v2
	v_pk_max_f16 v8, v8, v8
	;; [unrolled: 1-line block ×4, first 2 shown]
	v_pk_min_f16 v4, v2, v20
	v_pk_max_f16 v10, v10, v10
	v_pk_add_f16 v62, v4, v62
	v_pk_min_f16 v4, v2, v22
	v_pk_max_f16 v0, v0, v0
	v_pk_add_f16 v55, v4, v55
	v_pk_min_f16 v4, v2, v8
	v_pk_min_f16 v2, v2, v10
	v_pk_add_f16 v49, v4, v49
	v_pk_max_f16 v4, v16, v16
	v_pk_max_f16 v3, v3, v3
	v_pk_min_f16 v5, v4, v20
	v_pk_max_f16 v9, v9, v9
	v_pk_add_f16 v16, v5, v68
	v_pk_min_f16 v5, v4, v22
	v_pk_max_f16 v17, v17, v17
	v_pk_add_f16 v61, v5, v61
	v_pk_min_f16 v5, v4, v8
	v_pk_min_f16 v4, v4, v10
	v_pk_add_f16 v54, v5, v54
	v_pk_add_f16 v47, v4, v47
	v_pk_max_f16 v4, v18, v18
	v_pk_max_f16 v11, v11, v11
	v_pk_min_f16 v5, v4, v20
	v_pk_max_f16 v13, v13, v13
	v_pk_add_f16 v18, v5, v70
	v_pk_min_f16 v5, v4, v22
	v_pk_max_f16 v1, v1, v1
	v_pk_add_f16 v63, v5, v63
	v_pk_min_f16 v5, v4, v8
	v_pk_min_f16 v4, v4, v10
	v_pk_add_f16 v56, v5, v56
	v_pk_add_f16 v48, v4, v48
	v_pk_max_f16 v4, v12, v12
	v_pk_add_f16 v2, v2, v74
	v_pk_min_f16 v5, v4, v20
	s_add_i32 s14, s14, 8
	v_pk_add_f16 v12, v5, v69
	v_pk_min_f16 v5, v4, v22
	s_cmp_ge_i32 s14, s12
	v_pk_add_f16 v64, v5, v64
	v_pk_min_f16 v5, v4, v8
	v_pk_min_f16 v4, v4, v10
	v_pk_add_f16 v57, v5, v57
	v_pk_add_f16 v50, v4, v50
	v_pk_max_f16 v4, v14, v14
	s_nop 0
	v_pk_min_f16 v5, v4, v20
	s_nop 0
	v_pk_add_f16 v14, v5, v71
	v_pk_min_f16 v5, v4, v22
	s_nop 0
	v_pk_add_f16 v65, v5, v65
	v_pk_min_f16 v5, v4, v8
	v_pk_min_f16 v4, v4, v10
	v_pk_add_f16 v58, v5, v58
	v_pk_add_f16 v51, v4, v51
	ds_read2_b64 v[4:7], v45 offset0:32 offset1:40
	s_waitcnt vmcnt(0)
	ds_write_b16 v42, v77
	ds_write_b16 v41, v78
	ds_write_b16 v41, v79 offset:512
	s_waitcnt lgkmcnt(3)
	v_pk_max_f16 v4, v4, v4
	v_pk_max_f16 v6, v6, v6
	v_pk_min_f16 v69, v4, v22
	v_pk_min_f16 v68, v4, v20
	v_pk_add_f16 v66, v69, v66
	v_pk_min_f16 v69, v4, v8
	v_pk_min_f16 v4, v4, v10
	v_pk_add_f16 v59, v69, v59
	v_pk_min_f16 v69, v6, v22
	v_pk_add_f16 v4, v4, v52
	;; [unrolled: 2-line block ×3, first 2 shown]
	v_pk_min_f16 v69, v6, v8
	v_pk_min_f16 v6, v6, v10
	;; [unrolled: 1-line block ×6, first 2 shown]
	v_pk_max_f16 v10, v21, v21
	v_pk_add_f16 v6, v6, v53
	v_pk_min_f16 v21, v3, v10
	v_pk_add_f16 v60, v69, v60
	v_pk_add_f16 v53, v21, v62
	v_pk_max_f16 v21, v23, v23
	v_pk_max_f16 v5, v5, v5
	v_pk_min_f16 v23, v3, v21
	v_pk_add_f16 v68, v68, v72
	v_pk_add_f16 v55, v23, v55
	v_pk_min_f16 v23, v3, v9
	v_pk_add_f16 v52, v52, v73
	v_pk_add_f16 v49, v23, v49
	;; [unrolled: 3-line block ×5, first 2 shown]
	v_pk_min_f16 v16, v17, v11
	s_waitcnt lgkmcnt(0)
	v_pk_add_f16 v47, v16, v47
	v_pk_max_f16 v16, v19, v19
	s_barrier
	v_pk_min_f16 v17, v16, v10
	s_nop 0
	v_pk_add_f16 v69, v17, v18
	v_pk_min_f16 v17, v16, v21
	v_pk_add_f16 v8, v8, v76
	v_pk_add_f16 v63, v17, v63
	v_pk_min_f16 v17, v16, v9
	v_pk_min_f16 v16, v16, v11
	v_pk_add_f16 v56, v17, v56
	v_pk_add_f16 v48, v16, v48
	v_pk_min_f16 v16, v13, v10
	s_nop 0
	v_pk_add_f16 v70, v16, v12
	v_pk_min_f16 v12, v13, v21
	s_nop 0
	;; [unrolled: 3-line block ×4, first 2 shown]
	v_pk_add_f16 v50, v12, v50
	v_pk_max_f16 v12, v15, v15
	s_nop 0
	v_pk_min_f16 v13, v12, v10
	s_nop 0
	v_pk_add_f16 v71, v13, v14
	v_pk_min_f16 v13, v12, v21
	s_nop 0
	v_pk_add_f16 v65, v13, v65
	v_pk_min_f16 v13, v12, v9
	v_pk_min_f16 v12, v12, v11
	v_pk_add_f16 v58, v13, v58
	v_pk_add_f16 v51, v12, v51
	v_pk_min_f16 v12, v5, v10
	s_nop 0
	v_pk_add_f16 v68, v12, v68
	v_pk_min_f16 v12, v5, v21
	s_nop 0
	v_pk_add_f16 v66, v12, v66
	v_pk_min_f16 v12, v5, v9
	v_pk_min_f16 v5, v5, v11
	v_pk_add_f16 v59, v12, v59
	v_pk_add_f16 v72, v5, v4
	v_pk_max_f16 v4, v7, v7
	s_nop 0
	v_pk_min_f16 v5, v4, v10
	s_nop 0
	v_pk_add_f16 v52, v5, v52
	v_pk_min_f16 v5, v4, v21
	s_nop 0
	v_pk_add_f16 v67, v5, v67
	v_pk_min_f16 v5, v4, v9
	v_pk_min_f16 v4, v4, v11
	v_pk_add_f16 v60, v5, v60
	v_pk_add_f16 v73, v4, v6
	v_pk_min_f16 v4, v1, v10
	s_nop 0
	v_pk_add_f16 v74, v4, v20
	v_pk_min_f16 v4, v1, v21
	s_nop 0
	v_pk_add_f16 v75, v4, v22
	v_pk_min_f16 v4, v1, v9
	v_pk_min_f16 v1, v1, v11
	v_pk_add_f16 v76, v4, v8
	v_pk_add_f16 v80, v1, v0
	v_pk_min_f16 v0, v3, v11
	s_nop 0
	v_pk_add_f16 v81, v0, v2
	v_lshl_add_u64 v[0:1], v[24:25], 0, v[30:31]
	flat_load_ushort v77, v[0:1]
	v_lshl_add_u64 v[0:1], v[26:27], 0, v[34:35]
	flat_load_ushort v78, v[0:1]
	flat_load_ushort v79, v[0:1] offset:128
	ds_read2_b64 v[0:3], v40 offset0:48 offset1:56
	ds_read2_b64 v[12:15], v36 offset0:64 offset1:96
	ds_read2_b64 v[20:23], v36 offset1:32
	ds_read2_b64 v[16:19], v40 offset1:8
	ds_read2_b64 v[8:11], v40 offset0:16 offset1:24
	s_waitcnt lgkmcnt(0)
	v_pk_max_f16 v82, v2, v2
	v_pk_max_f16 v12, v12, v12
	;; [unrolled: 1-line block ×4, first 2 shown]
	v_pk_min_f16 v2, v82, v20
	v_pk_max_f16 v0, v0, v0
	v_pk_add_f16 v53, v2, v53
	v_pk_max_f16 v2, v22, v22
	v_pk_max_f16 v3, v3, v3
	v_pk_min_f16 v4, v82, v2
	v_pk_max_f16 v13, v13, v13
	v_pk_add_f16 v22, v4, v55
	v_pk_min_f16 v4, v82, v12
	v_pk_max_f16 v17, v17, v17
	v_pk_add_f16 v49, v4, v49
	v_pk_max_f16 v4, v16, v16
	v_pk_max_f16 v9, v9, v9
	v_pk_min_f16 v5, v4, v20
	v_pk_max_f16 v1, v1, v1
	v_pk_add_f16 v16, v5, v62
	v_pk_min_f16 v5, v4, v2
	v_lshl_add_u64 v[26:27], v[26:27], 0, s[8:9]
	v_pk_add_f16 v61, v5, v61
	v_pk_min_f16 v5, v4, v12
	v_pk_min_f16 v4, v4, v14
	v_pk_add_f16 v54, v5, v54
	v_pk_add_f16 v47, v4, v47
	v_pk_max_f16 v4, v18, v18
	v_lshl_add_u64 v[24:25], v[24:25], 0, s[10:11]
	v_pk_min_f16 v5, v4, v20
	s_nop 0
	v_pk_add_f16 v18, v5, v69
	v_pk_min_f16 v5, v4, v2
	s_nop 0
	v_pk_add_f16 v63, v5, v63
	v_pk_min_f16 v5, v4, v12
	v_pk_min_f16 v4, v4, v14
	v_pk_add_f16 v56, v5, v56
	v_pk_add_f16 v48, v4, v48
	v_pk_max_f16 v4, v8, v8
	s_nop 0
	v_pk_min_f16 v5, v4, v20
	s_nop 0
	v_pk_add_f16 v69, v5, v70
	v_pk_min_f16 v5, v4, v2
	s_nop 0
	v_pk_add_f16 v64, v5, v64
	v_pk_min_f16 v5, v4, v12
	v_pk_min_f16 v4, v4, v14
	v_pk_add_f16 v57, v5, v57
	v_pk_add_f16 v50, v4, v50
	v_pk_max_f16 v4, v10, v10
	v_pk_max_f16 v10, v21, v21
	v_pk_min_f16 v5, v4, v20
	s_nop 0
	v_pk_add_f16 v71, v5, v71
	v_pk_min_f16 v5, v4, v2
	s_nop 0
	v_pk_add_f16 v65, v5, v65
	v_pk_min_f16 v5, v4, v12
	v_pk_min_f16 v4, v4, v14
	v_pk_add_f16 v58, v5, v58
	v_pk_add_f16 v51, v4, v51
	ds_read2_b64 v[4:7], v40 offset0:32 offset1:40
	s_waitcnt vmcnt(0)
	ds_write_b16 v43, v77
	ds_write_b16 v44, v78
	ds_write_b16 v44, v79 offset:512
	s_waitcnt lgkmcnt(3)
	v_pk_max_f16 v4, v4, v4
	v_pk_max_f16 v5, v5, v5
	v_pk_min_f16 v8, v4, v20
	s_waitcnt lgkmcnt(0)
	v_pk_add_f16 v83, v8, v68
	v_pk_min_f16 v8, v4, v2
	s_barrier
	v_pk_add_f16 v66, v8, v66
	v_pk_min_f16 v8, v4, v12
	v_pk_min_f16 v4, v4, v14
	v_pk_add_f16 v59, v8, v59
	v_pk_add_f16 v84, v4, v72
	v_pk_max_f16 v4, v6, v6
	s_nop 0
	v_pk_min_f16 v6, v4, v20
	s_nop 0
	v_pk_add_f16 v85, v6, v52
	v_pk_min_f16 v6, v4, v2
	v_pk_min_f16 v2, v0, v2
	v_pk_add_f16 v67, v6, v67
	v_pk_min_f16 v6, v4, v12
	v_pk_min_f16 v4, v4, v14
	v_pk_add_f16 v60, v6, v60
	v_pk_add_f16 v6, v2, v75
	v_pk_min_f16 v2, v0, v12
	v_pk_min_f16 v12, v3, v10
	v_pk_add_f16 v86, v4, v73
	v_pk_min_f16 v4, v0, v20
	v_pk_min_f16 v0, v0, v14
	v_pk_add_f16 v62, v12, v53
	v_pk_max_f16 v12, v23, v23
	v_pk_add_f16 v8, v4, v74
	v_pk_add_f16 v4, v2, v76
	;; [unrolled: 1-line block ×3, first 2 shown]
	v_pk_min_f16 v0, v82, v14
	v_pk_min_f16 v14, v3, v12
	v_pk_add_f16 v0, v0, v81
	v_pk_add_f16 v55, v14, v22
	v_pk_min_f16 v14, v3, v13
	s_nop 0
	v_pk_add_f16 v49, v14, v49
	v_pk_min_f16 v14, v17, v10
	s_nop 0
	;; [unrolled: 3-line block ×4, first 2 shown]
	v_pk_add_f16 v54, v14, v54
	v_pk_max_f16 v14, v15, v15
	s_nop 0
	v_pk_min_f16 v15, v17, v14
	s_nop 0
	v_pk_add_f16 v47, v15, v47
	v_pk_max_f16 v15, v19, v19
	s_nop 0
	v_pk_min_f16 v16, v15, v10
	s_nop 0
	v_pk_add_f16 v70, v16, v18
	v_pk_min_f16 v16, v15, v12
	s_nop 0
	v_pk_add_f16 v63, v16, v63
	v_pk_min_f16 v16, v15, v13
	v_pk_min_f16 v15, v15, v14
	v_pk_add_f16 v56, v16, v56
	v_pk_add_f16 v48, v15, v48
	v_pk_min_f16 v15, v9, v10
	s_nop 0
	v_pk_add_f16 v69, v15, v69
	v_pk_min_f16 v15, v9, v12
	s_nop 0
	v_pk_add_f16 v64, v15, v64
	v_pk_min_f16 v15, v9, v13
	v_pk_min_f16 v9, v9, v14
	v_pk_add_f16 v57, v15, v57
	v_pk_add_f16 v50, v9, v50
	v_pk_max_f16 v9, v11, v11
	s_nop 0
	v_pk_min_f16 v11, v9, v10
	s_nop 0
	v_pk_add_f16 v71, v11, v71
	v_pk_min_f16 v11, v9, v12
	s_nop 0
	v_pk_add_f16 v65, v11, v65
	v_pk_min_f16 v11, v9, v13
	v_pk_min_f16 v9, v9, v14
	v_pk_add_f16 v58, v11, v58
	v_pk_add_f16 v51, v9, v51
	v_pk_min_f16 v9, v5, v10
	s_nop 0
	v_pk_add_f16 v72, v9, v83
	v_pk_min_f16 v9, v5, v12
	s_nop 0
	v_pk_add_f16 v66, v9, v66
	v_pk_min_f16 v9, v5, v13
	v_pk_min_f16 v5, v5, v14
	v_pk_add_f16 v59, v9, v59
	;; [unrolled: 22-line block ×3, first 2 shown]
	v_pk_add_f16 v75, v1, v2
	v_pk_min_f16 v1, v3, v14
	s_nop 0
	v_pk_add_f16 v74, v1, v0
	s_cbranch_scc0 .LBB244_11
.LBB244_12:
	s_load_dword s10, s[0:1], 0x50
	ds_read_b64 v[20:21], v36 offset:1024
	ds_read_b64 v[26:27], v39 offset:2560
	v_add_u32_e32 v28, s23, v38
	v_cmp_neq_f16_e64 s[8:9], s13, 0
	v_add_u32_e32 v16, s22, v37
	s_waitcnt lgkmcnt(0)
	v_mad_i64_i32 v[0:1], s[14:15], v28, s10, 0
	v_ashrrev_i32_e32 v17, 31, v16
	v_lshl_add_u64 v[22:23], v[0:1], 1, s[6:7]
	s_and_b64 vcc, exec, s[8:9]
	v_mov_b32_e32 v33, 0
	v_mov_b32_e32 v31, 0
	s_cbranch_vccz .LBB244_14
; %bb.13:
	v_lshl_add_u64 v[0:1], v[16:17], 1, v[22:23]
	flat_load_ushort v0, v[0:1]
	s_waitcnt vmcnt(0) lgkmcnt(0)
	v_mul_f16_e32 v31, s13, v0
.LBB244_14:
	ds_read_b64 v[24:25], v39 offset:3008
	ds_read_b64 v[18:19], v36 offset:1792
	ds_read2_b64 v[0:3], v36 offset0:160 offset1:192
	s_load_dword s11, s[0:1], 0x68
	s_load_dwordx2 s[14:15], s[0:1], 0x70
	v_add_u32_e32 v4, 0x800, v39
	v_pk_max_f16 v43, v20, v20
	v_pk_max_f16 v29, v26, v26
	ds_read2_b64 v[12:15], v4 offset0:72 offset1:80
	ds_read2_b64 v[8:11], v4 offset0:88 offset1:96
	;; [unrolled: 1-line block ×3, first 2 shown]
	v_pk_min_f16 v20, v29, v43
	v_pk_max_f16 v44, v21, v21
	v_pk_max_f16 v30, v27, v27
	s_waitcnt lgkmcnt(0)
	s_lshl_b64 s[0:1], s[14:15], 1
	v_pk_add_f16 v20, v20, v68
	v_pk_min_f16 v21, v30, v44
	s_add_u32 s2, s2, s0
	v_pk_add_f16 v32, v21, v20
	s_addc_u32 s3, s3, s1
	v_mad_i64_i32 v[26:27], s[0:1], v28, s11, 0
	v_add_f16_sdwa v32, v32, v32 dst_sel:DWORD dst_unused:UNUSED_PAD src0_sel:DWORD src1_sel:WORD_1
	v_add_u32_e32 v20, 8, v16
	v_lshl_add_u64 v[26:27], v[26:27], 1, s[2:3]
	v_add_f16_e32 v31, v32, v31
	v_cndmask_b32_e64 v32, 0, 1, s[8:9]
	v_ashrrev_i32_e32 v21, 31, v20
	v_lshl_add_u64 v[34:35], v[16:17], 1, v[26:27]
	v_cmp_ne_u32_e64 s[0:1], 1, v32
	s_andn2_b64 vcc, exec, s[8:9]
	global_store_short v[34:35], v31, off
	s_cbranch_vccnz .LBB244_16
; %bb.15:
	v_lshl_add_u64 v[32:33], v[20:21], 1, v[22:23]
	flat_load_ushort v31, v[32:33]
	s_waitcnt vmcnt(0) lgkmcnt(0)
	v_mul_f16_e32 v33, s13, v31
.LBB244_16:
	v_pk_max_f16 v31, v12, v12
	v_pk_max_f16 v32, v13, v13
	v_pk_min_f16 v12, v31, v43
	v_pk_min_f16 v13, v32, v44
	v_pk_add_f16 v12, v12, v70
	s_and_b64 vcc, exec, s[0:1]
	v_pk_add_f16 v12, v13, v12
	v_mov_b32_e32 v37, 0
	v_add_f16_sdwa v34, v12, v12 dst_sel:DWORD dst_unused:UNUSED_PAD src0_sel:DWORD src1_sel:WORD_1
	v_add_u32_e32 v12, 16, v16
	v_add_f16_e32 v33, v34, v33
	v_lshl_add_u64 v[34:35], v[20:21], 1, v[26:27]
	v_ashrrev_i32_e32 v13, 31, v12
	global_store_short v[34:35], v33, off
	v_mov_b32_e32 v35, 0
	s_cbranch_vccnz .LBB244_18
; %bb.17:
	v_lshl_add_u64 v[34:35], v[12:13], 1, v[22:23]
	flat_load_ushort v33, v[34:35]
	s_waitcnt vmcnt(0) lgkmcnt(0)
	v_mul_f16_e32 v35, s13, v33
.LBB244_18:
	v_pk_max_f16 v33, v14, v14
	v_pk_max_f16 v34, v15, v15
	v_pk_min_f16 v14, v33, v43
	v_pk_min_f16 v15, v34, v44
	v_pk_add_f16 v14, v14, v69
	v_lshl_add_u64 v[38:39], v[12:13], 1, v[26:27]
	v_pk_add_f16 v14, v15, v14
	s_and_b64 vcc, exec, s[0:1]
	v_add_f16_sdwa v36, v14, v14 dst_sel:DWORD dst_unused:UNUSED_PAD src0_sel:DWORD src1_sel:WORD_1
	v_add_u32_e32 v14, 24, v16
	v_ashrrev_i32_e32 v15, 31, v14
	v_add_f16_e32 v35, v36, v35
	global_store_short v[38:39], v35, off
	s_cbranch_vccnz .LBB244_20
; %bb.19:
	v_lshl_add_u64 v[36:37], v[14:15], 1, v[22:23]
	flat_load_ushort v35, v[36:37]
	s_waitcnt vmcnt(0) lgkmcnt(0)
	v_mul_f16_e32 v37, s13, v35
.LBB244_20:
	v_pk_max_f16 v35, v8, v8
	v_pk_max_f16 v36, v9, v9
	v_pk_min_f16 v8, v35, v43
	v_pk_min_f16 v9, v36, v44
	v_pk_add_f16 v8, v8, v71
	s_and_b64 vcc, exec, s[0:1]
	v_pk_add_f16 v8, v9, v8
	v_mov_b32_e32 v41, 0
	v_add_f16_sdwa v38, v8, v8 dst_sel:DWORD dst_unused:UNUSED_PAD src0_sel:DWORD src1_sel:WORD_1
	v_add_u32_e32 v8, 32, v16
	v_add_f16_e32 v37, v38, v37
	v_lshl_add_u64 v[38:39], v[14:15], 1, v[26:27]
	v_ashrrev_i32_e32 v9, 31, v8
	global_store_short v[38:39], v37, off
	v_mov_b32_e32 v39, 0
	s_cbranch_vccnz .LBB244_22
; %bb.21:
	v_lshl_add_u64 v[38:39], v[8:9], 1, v[22:23]
	flat_load_ushort v37, v[38:39]
	s_waitcnt vmcnt(0) lgkmcnt(0)
	v_mul_f16_e32 v39, s13, v37
.LBB244_22:
	v_pk_max_f16 v37, v10, v10
	v_pk_max_f16 v38, v11, v11
	v_pk_min_f16 v10, v37, v43
	v_pk_min_f16 v11, v38, v44
	v_pk_add_f16 v10, v10, v72
	v_lshl_add_u64 v[68:69], v[8:9], 1, v[26:27]
	v_pk_add_f16 v10, v11, v10
	s_and_b64 vcc, exec, s[0:1]
	v_add_f16_sdwa v40, v10, v10 dst_sel:DWORD dst_unused:UNUSED_PAD src0_sel:DWORD src1_sel:WORD_1
	v_add_u32_e32 v10, 40, v16
	v_ashrrev_i32_e32 v11, 31, v10
	v_add_f16_e32 v39, v40, v39
	global_store_short v[68:69], v39, off
	s_cbranch_vccnz .LBB244_24
; %bb.23:
	v_lshl_add_u64 v[40:41], v[10:11], 1, v[22:23]
	flat_load_ushort v39, v[40:41]
	s_waitcnt vmcnt(0) lgkmcnt(0)
	v_mul_f16_e32 v41, s13, v39
.LBB244_24:
	v_pk_max_f16 v39, v4, v4
	v_pk_max_f16 v40, v5, v5
	v_pk_min_f16 v4, v39, v43
	v_pk_min_f16 v5, v40, v44
	v_pk_add_f16 v4, v4, v73
	v_lshl_add_u64 v[68:69], v[10:11], 1, v[26:27]
	v_pk_add_f16 v4, v5, v4
	s_and_b64 vcc, exec, s[0:1]
	v_add_f16_sdwa v42, v4, v4 dst_sel:DWORD dst_unused:UNUSED_PAD src0_sel:DWORD src1_sel:WORD_1
	v_add_u32_e32 v4, 48, v16
	v_ashrrev_i32_e32 v5, 31, v4
	v_add_f16_e32 v41, v42, v41
	v_mov_b32_e32 v45, 0
	v_mov_b32_e32 v46, 0
	global_store_short v[68:69], v41, off
	s_cbranch_vccnz .LBB244_26
; %bb.25:
	v_lshl_add_u64 v[68:69], v[4:5], 1, v[22:23]
	flat_load_ushort v41, v[68:69]
	s_waitcnt vmcnt(0) lgkmcnt(0)
	v_mul_f16_e32 v46, s13, v41
.LBB244_26:
	v_pk_max_f16 v41, v6, v6
	v_pk_max_f16 v42, v7, v7
	v_pk_min_f16 v6, v41, v43
	v_pk_min_f16 v7, v42, v44
	v_pk_add_f16 v6, v6, v81
	s_and_b64 vcc, exec, s[0:1]
	v_pk_add_f16 v6, v7, v6
	s_nop 0
	v_add_f16_sdwa v68, v6, v6 dst_sel:DWORD dst_unused:UNUSED_PAD src0_sel:DWORD src1_sel:WORD_1
	v_add_u32_e32 v6, 56, v16
	v_ashrrev_i32_e32 v7, 31, v6
	v_add_f16_e32 v46, v68, v46
	v_lshl_add_u64 v[68:69], v[4:5], 1, v[26:27]
	global_store_short v[68:69], v46, off
	s_cbranch_vccnz .LBB244_28
; %bb.27:
	v_lshl_add_u64 v[22:23], v[6:7], 1, v[22:23]
	flat_load_ushort v22, v[22:23]
	s_waitcnt vmcnt(0) lgkmcnt(0)
	v_mul_f16_e32 v45, s13, v22
.LBB244_28:
	v_pk_max_f16 v24, v24, v24
	v_pk_max_f16 v25, v25, v25
	v_pk_min_f16 v22, v24, v43
	v_pk_min_f16 v23, v25, v44
	v_pk_add_f16 v22, v22, v62
	v_add_u32_e32 v44, 32, v28
	v_pk_add_f16 v22, v23, v22
	s_and_b64 vcc, exec, s[0:1]
	v_add_f16_sdwa v22, v22, v22 dst_sel:DWORD dst_unused:UNUSED_PAD src0_sel:DWORD src1_sel:WORD_1
	v_add_f16_e32 v43, v22, v45
	v_lshl_add_u64 v[22:23], v[6:7], 1, v[26:27]
	global_store_short v[22:23], v43, off
	v_mad_i64_i32 v[22:23], s[8:9], v44, s10, 0
	v_lshl_add_u64 v[22:23], v[22:23], 1, s[6:7]
	v_mov_b32_e32 v43, 0
	v_mov_b32_e32 v45, 0
	s_cbranch_vccnz .LBB244_30
; %bb.29:
	v_lshl_add_u64 v[26:27], v[16:17], 1, v[22:23]
	flat_load_ushort v26, v[26:27]
	s_waitcnt vmcnt(0) lgkmcnt(0)
	v_mul_f16_e32 v45, s13, v26
.LBB244_30:
	v_pk_max_f16 v26, v0, v0
	v_pk_max_f16 v27, v1, v1
	v_pk_min_f16 v0, v29, v26
	v_pk_min_f16 v1, v30, v27
	v_pk_add_f16 v0, v0, v61
	s_and_b64 vcc, exec, s[0:1]
	v_pk_add_f16 v46, v1, v0
	v_mad_i64_i32 v[0:1], s[8:9], v44, s11, 0
	v_lshl_add_u64 v[0:1], v[0:1], 1, s[2:3]
	v_add_f16_sdwa v44, v46, v46 dst_sel:DWORD dst_unused:UNUSED_PAD src0_sel:DWORD src1_sel:WORD_1
	v_add_f16_e32 v46, v44, v45
	v_lshl_add_u64 v[44:45], v[16:17], 1, v[0:1]
	global_store_short v[44:45], v46, off
	s_cbranch_vccnz .LBB244_32
; %bb.31:
	v_lshl_add_u64 v[44:45], v[20:21], 1, v[22:23]
	flat_load_ushort v43, v[44:45]
	s_waitcnt vmcnt(0) lgkmcnt(0)
	v_mul_f16_e32 v43, s13, v43
.LBB244_32:
	v_pk_min_f16 v44, v31, v26
	v_pk_min_f16 v45, v32, v27
	v_pk_add_f16 v44, v44, v63
	s_and_b64 vcc, exec, s[0:1]
	v_pk_add_f16 v44, v45, v44
	s_nop 0
	v_add_f16_sdwa v44, v44, v44 dst_sel:DWORD dst_unused:UNUSED_PAD src0_sel:DWORD src1_sel:WORD_1
	v_add_f16_e32 v43, v44, v43
	v_lshl_add_u64 v[44:45], v[20:21], 1, v[0:1]
	global_store_short v[44:45], v43, off
	v_mov_b32_e32 v43, 0
	v_mov_b32_e32 v44, 0
	s_cbranch_vccnz .LBB244_34
; %bb.33:
	v_lshl_add_u64 v[44:45], v[12:13], 1, v[22:23]
	flat_load_ushort v44, v[44:45]
	s_waitcnt vmcnt(0) lgkmcnt(0)
	v_mul_f16_e32 v44, s13, v44
.LBB244_34:
	v_pk_min_f16 v45, v33, v26
	v_pk_min_f16 v46, v34, v27
	v_pk_add_f16 v45, v45, v64
	s_and_b64 vcc, exec, s[0:1]
	v_pk_add_f16 v45, v46, v45
	s_nop 0
	v_add_f16_sdwa v45, v45, v45 dst_sel:DWORD dst_unused:UNUSED_PAD src0_sel:DWORD src1_sel:WORD_1
	v_add_f16_e32 v46, v45, v44
	v_lshl_add_u64 v[44:45], v[12:13], 1, v[0:1]
	global_store_short v[44:45], v46, off
	s_cbranch_vccnz .LBB244_36
; %bb.35:
	v_lshl_add_u64 v[44:45], v[14:15], 1, v[22:23]
	flat_load_ushort v43, v[44:45]
	s_waitcnt vmcnt(0) lgkmcnt(0)
	v_mul_f16_e32 v43, s13, v43
.LBB244_36:
	v_pk_min_f16 v44, v35, v26
	v_pk_min_f16 v45, v36, v27
	v_pk_add_f16 v44, v44, v65
	s_and_b64 vcc, exec, s[0:1]
	v_pk_add_f16 v44, v45, v44
	s_nop 0
	v_add_f16_sdwa v44, v44, v44 dst_sel:DWORD dst_unused:UNUSED_PAD src0_sel:DWORD src1_sel:WORD_1
	v_add_f16_e32 v43, v44, v43
	v_lshl_add_u64 v[44:45], v[14:15], 1, v[0:1]
	global_store_short v[44:45], v43, off
	v_mov_b32_e32 v43, 0
	v_mov_b32_e32 v44, 0
	s_cbranch_vccnz .LBB244_38
; %bb.37:
	v_lshl_add_u64 v[44:45], v[8:9], 1, v[22:23]
	flat_load_ushort v44, v[44:45]
	s_waitcnt vmcnt(0) lgkmcnt(0)
	v_mul_f16_e32 v44, s13, v44
.LBB244_38:
	v_pk_min_f16 v45, v37, v26
	v_pk_min_f16 v46, v38, v27
	v_pk_add_f16 v45, v45, v66
	s_and_b64 vcc, exec, s[0:1]
	v_pk_add_f16 v45, v46, v45
	s_nop 0
	;; [unrolled: 36-line block ×3, first 2 shown]
	v_add_f16_sdwa v45, v45, v45 dst_sel:DWORD dst_unused:UNUSED_PAD src0_sel:DWORD src1_sel:WORD_1
	v_add_f16_e32 v46, v45, v44
	v_lshl_add_u64 v[44:45], v[4:5], 1, v[0:1]
	global_store_short v[44:45], v46, off
	s_cbranch_vccnz .LBB244_44
; %bb.43:
	v_lshl_add_u64 v[22:23], v[6:7], 1, v[22:23]
	flat_load_ushort v22, v[22:23]
	s_waitcnt vmcnt(0) lgkmcnt(0)
	v_mul_f16_e32 v43, s13, v22
.LBB244_44:
	v_pk_min_f16 v22, v24, v26
	v_pk_min_f16 v23, v25, v27
	v_pk_add_f16 v22, v22, v55
	v_lshl_add_u64 v[0:1], v[6:7], 1, v[0:1]
	v_pk_add_f16 v22, v23, v22
	v_add_u32_e32 v27, 64, v28
	v_add_f16_sdwa v22, v22, v22 dst_sel:DWORD dst_unused:UNUSED_PAD src0_sel:DWORD src1_sel:WORD_1
	v_add_f16_e32 v22, v22, v43
	global_store_short v[0:1], v22, off
	v_mad_i64_i32 v[0:1], s[8:9], v27, s10, 0
	v_lshl_add_u64 v[0:1], v[0:1], 1, s[6:7]
	s_and_b64 vcc, exec, s[0:1]
	v_mov_b32_e32 v26, 0
	v_mov_b32_e32 v43, 0
	s_cbranch_vccnz .LBB244_46
; %bb.45:
	v_lshl_add_u64 v[22:23], v[16:17], 1, v[0:1]
	flat_load_ushort v22, v[22:23]
	s_waitcnt vmcnt(0) lgkmcnt(0)
	v_mul_f16_e32 v43, s13, v22
.LBB244_46:
	v_pk_max_f16 v22, v2, v2
	v_pk_max_f16 v23, v3, v3
	v_pk_min_f16 v2, v29, v22
	v_pk_min_f16 v3, v30, v23
	v_pk_add_f16 v2, v2, v54
	s_and_b64 vcc, exec, s[0:1]
	v_pk_add_f16 v44, v3, v2
	v_mad_i64_i32 v[2:3], s[8:9], v27, s11, 0
	v_lshl_add_u64 v[2:3], v[2:3], 1, s[2:3]
	v_add_f16_sdwa v27, v44, v44 dst_sel:DWORD dst_unused:UNUSED_PAD src0_sel:DWORD src1_sel:WORD_1
	v_add_f16_e32 v27, v27, v43
	v_lshl_add_u64 v[44:45], v[16:17], 1, v[2:3]
	global_store_short v[44:45], v27, off
	s_cbranch_vccnz .LBB244_48
; %bb.47:
	v_lshl_add_u64 v[26:27], v[20:21], 1, v[0:1]
	flat_load_ushort v26, v[26:27]
	s_waitcnt vmcnt(0) lgkmcnt(0)
	v_mul_f16_e32 v26, s13, v26
.LBB244_48:
	v_pk_min_f16 v27, v31, v22
	v_pk_min_f16 v43, v32, v23
	v_pk_add_f16 v27, v27, v56
	s_and_b64 vcc, exec, s[0:1]
	v_pk_add_f16 v27, v43, v27
	s_nop 0
	v_add_f16_sdwa v27, v27, v27 dst_sel:DWORD dst_unused:UNUSED_PAD src0_sel:DWORD src1_sel:WORD_1
	v_add_f16_e32 v43, v27, v26
	v_lshl_add_u64 v[26:27], v[20:21], 1, v[2:3]
	global_store_short v[26:27], v43, off
	v_mov_b32_e32 v26, 0
	v_mov_b32_e32 v27, 0
	s_cbranch_vccnz .LBB244_50
; %bb.49:
	v_lshl_add_u64 v[44:45], v[12:13], 1, v[0:1]
	flat_load_ushort v27, v[44:45]
	s_waitcnt vmcnt(0) lgkmcnt(0)
	v_mul_f16_e32 v27, s13, v27
.LBB244_50:
	v_pk_min_f16 v43, v33, v22
	v_pk_min_f16 v44, v34, v23
	v_pk_add_f16 v43, v43, v57
	s_and_b64 vcc, exec, s[0:1]
	v_pk_add_f16 v43, v44, v43
	v_lshl_add_u64 v[44:45], v[12:13], 1, v[2:3]
	v_add_f16_sdwa v43, v43, v43 dst_sel:DWORD dst_unused:UNUSED_PAD src0_sel:DWORD src1_sel:WORD_1
	v_add_f16_e32 v27, v43, v27
	global_store_short v[44:45], v27, off
	s_cbranch_vccnz .LBB244_52
; %bb.51:
	v_lshl_add_u64 v[26:27], v[14:15], 1, v[0:1]
	flat_load_ushort v26, v[26:27]
	s_waitcnt vmcnt(0) lgkmcnt(0)
	v_mul_f16_e32 v26, s13, v26
.LBB244_52:
	v_pk_min_f16 v27, v35, v22
	v_pk_min_f16 v43, v36, v23
	v_pk_add_f16 v27, v27, v58
	s_and_b64 vcc, exec, s[0:1]
	v_pk_add_f16 v27, v43, v27
	s_nop 0
	v_add_f16_sdwa v27, v27, v27 dst_sel:DWORD dst_unused:UNUSED_PAD src0_sel:DWORD src1_sel:WORD_1
	v_add_f16_e32 v43, v27, v26
	v_lshl_add_u64 v[26:27], v[14:15], 1, v[2:3]
	global_store_short v[26:27], v43, off
	v_mov_b32_e32 v26, 0
	v_mov_b32_e32 v27, 0
	s_cbranch_vccnz .LBB244_54
; %bb.53:
	v_lshl_add_u64 v[44:45], v[8:9], 1, v[0:1]
	flat_load_ushort v27, v[44:45]
	s_waitcnt vmcnt(0) lgkmcnt(0)
	v_mul_f16_e32 v27, s13, v27
.LBB244_54:
	v_pk_min_f16 v43, v37, v22
	v_pk_min_f16 v44, v38, v23
	v_pk_add_f16 v43, v43, v59
	s_and_b64 vcc, exec, s[0:1]
	v_pk_add_f16 v43, v44, v43
	v_lshl_add_u64 v[44:45], v[8:9], 1, v[2:3]
	v_add_f16_sdwa v43, v43, v43 dst_sel:DWORD dst_unused:UNUSED_PAD src0_sel:DWORD src1_sel:WORD_1
	v_add_f16_e32 v27, v43, v27
	global_store_short v[44:45], v27, off
	s_cbranch_vccnz .LBB244_56
; %bb.55:
	v_lshl_add_u64 v[26:27], v[10:11], 1, v[0:1]
	flat_load_ushort v26, v[26:27]
	s_waitcnt vmcnt(0) lgkmcnt(0)
	v_mul_f16_e32 v26, s13, v26
.LBB244_56:
	v_pk_min_f16 v27, v39, v22
	v_pk_min_f16 v43, v40, v23
	v_pk_add_f16 v27, v27, v60
	s_and_b64 vcc, exec, s[0:1]
	v_pk_add_f16 v27, v43, v27
	s_nop 0
	v_add_f16_sdwa v27, v27, v27 dst_sel:DWORD dst_unused:UNUSED_PAD src0_sel:DWORD src1_sel:WORD_1
	v_add_f16_e32 v43, v27, v26
	v_lshl_add_u64 v[26:27], v[10:11], 1, v[2:3]
	global_store_short v[26:27], v43, off
	v_mov_b32_e32 v26, 0
	v_mov_b32_e32 v27, 0
	s_cbranch_vccnz .LBB244_58
; %bb.57:
	v_lshl_add_u64 v[44:45], v[4:5], 1, v[0:1]
	flat_load_ushort v27, v[44:45]
	s_waitcnt vmcnt(0) lgkmcnt(0)
	v_mul_f16_e32 v27, s13, v27
.LBB244_58:
	v_pk_min_f16 v43, v41, v22
	v_pk_min_f16 v44, v42, v23
	v_pk_add_f16 v43, v43, v76
	s_and_b64 vcc, exec, s[0:1]
	v_pk_add_f16 v43, v44, v43
	v_lshl_add_u64 v[44:45], v[4:5], 1, v[2:3]
	v_add_f16_sdwa v43, v43, v43 dst_sel:DWORD dst_unused:UNUSED_PAD src0_sel:DWORD src1_sel:WORD_1
	v_add_f16_e32 v27, v43, v27
	global_store_short v[44:45], v27, off
	s_cbranch_vccnz .LBB244_60
; %bb.59:
	v_lshl_add_u64 v[0:1], v[6:7], 1, v[0:1]
	flat_load_ushort v0, v[0:1]
	s_waitcnt vmcnt(0) lgkmcnt(0)
	v_mul_f16_e32 v26, s13, v0
.LBB244_60:
	v_pk_min_f16 v0, v24, v22
	v_pk_min_f16 v1, v25, v23
	v_pk_add_f16 v0, v0, v49
	s_and_b64 vcc, exec, s[0:1]
	v_pk_add_f16 v0, v1, v0
	v_mov_b32_e32 v23, 0
	v_add_f16_sdwa v0, v0, v0 dst_sel:DWORD dst_unused:UNUSED_PAD src0_sel:DWORD src1_sel:WORD_1
	v_add_f16_e32 v22, v0, v26
	v_lshl_add_u64 v[0:1], v[6:7], 1, v[2:3]
	v_add_u32_e32 v2, 0x60, v28
	global_store_short v[0:1], v22, off
	v_mad_i64_i32 v[0:1], s[8:9], v2, s10, 0
	v_lshl_add_u64 v[0:1], v[0:1], 1, s[6:7]
	v_mov_b32_e32 v22, 0
	s_cbranch_vccnz .LBB244_62
; %bb.61:
	v_lshl_add_u64 v[26:27], v[16:17], 1, v[0:1]
	flat_load_ushort v3, v[26:27]
	s_waitcnt vmcnt(0) lgkmcnt(0)
	v_mul_f16_e32 v23, s13, v3
.LBB244_62:
	v_pk_max_f16 v18, v18, v18
	v_pk_max_f16 v19, v19, v19
	v_pk_min_f16 v3, v29, v18
	v_pk_min_f16 v26, v30, v19
	v_pk_add_f16 v3, v3, v47
	s_and_b64 vcc, exec, s[0:1]
	v_pk_add_f16 v26, v26, v3
	v_mad_i64_i32 v[2:3], s[6:7], v2, s11, 0
	v_lshl_add_u64 v[2:3], v[2:3], 1, s[2:3]
	v_add_f16_sdwa v26, v26, v26 dst_sel:DWORD dst_unused:UNUSED_PAD src0_sel:DWORD src1_sel:WORD_1
	v_add_f16_e32 v23, v26, v23
	v_lshl_add_u64 v[16:17], v[16:17], 1, v[2:3]
	global_store_short v[16:17], v23, off
	s_cbranch_vccnz .LBB244_64
; %bb.63:
	v_lshl_add_u64 v[16:17], v[20:21], 1, v[0:1]
	flat_load_ushort v16, v[16:17]
	s_waitcnt vmcnt(0) lgkmcnt(0)
	v_mul_f16_e32 v22, s13, v16
.LBB244_64:
	v_pk_min_f16 v16, v31, v18
	v_pk_min_f16 v17, v32, v19
	v_pk_add_f16 v16, v16, v48
	s_and_b64 vcc, exec, s[0:1]
	v_pk_add_f16 v16, v17, v16
	s_nop 0
	v_add_f16_sdwa v16, v16, v16 dst_sel:DWORD dst_unused:UNUSED_PAD src0_sel:DWORD src1_sel:WORD_1
	v_add_f16_e32 v22, v16, v22
	v_lshl_add_u64 v[16:17], v[20:21], 1, v[2:3]
	global_store_short v[16:17], v22, off
	v_mov_b32_e32 v16, 0
	v_mov_b32_e32 v17, 0
	s_cbranch_vccnz .LBB244_66
; %bb.65:
	v_lshl_add_u64 v[20:21], v[12:13], 1, v[0:1]
	flat_load_ushort v17, v[20:21]
	s_waitcnt vmcnt(0) lgkmcnt(0)
	v_mul_f16_e32 v17, s13, v17
.LBB244_66:
	v_pk_min_f16 v20, v33, v18
	v_pk_min_f16 v21, v34, v19
	v_pk_add_f16 v20, v20, v50
	v_lshl_add_u64 v[12:13], v[12:13], 1, v[2:3]
	v_pk_add_f16 v20, v21, v20
	s_and_b64 vcc, exec, s[0:1]
	v_add_f16_sdwa v20, v20, v20 dst_sel:DWORD dst_unused:UNUSED_PAD src0_sel:DWORD src1_sel:WORD_1
	v_add_f16_e32 v17, v20, v17
	global_store_short v[12:13], v17, off
	s_cbranch_vccnz .LBB244_68
; %bb.67:
	v_lshl_add_u64 v[12:13], v[14:15], 1, v[0:1]
	flat_load_ushort v12, v[12:13]
	s_waitcnt vmcnt(0) lgkmcnt(0)
	v_mul_f16_e32 v16, s13, v12
.LBB244_68:
	v_pk_min_f16 v12, v35, v18
	v_pk_min_f16 v13, v36, v19
	v_pk_add_f16 v12, v12, v51
	s_and_b64 vcc, exec, s[0:1]
	v_pk_add_f16 v12, v13, v12
	s_nop 0
	v_add_f16_sdwa v12, v12, v12 dst_sel:DWORD dst_unused:UNUSED_PAD src0_sel:DWORD src1_sel:WORD_1
	v_add_f16_e32 v16, v12, v16
	v_lshl_add_u64 v[12:13], v[14:15], 1, v[2:3]
	global_store_short v[12:13], v16, off
	v_mov_b32_e32 v12, 0
	v_mov_b32_e32 v13, 0
	s_cbranch_vccnz .LBB244_70
; %bb.69:
	v_lshl_add_u64 v[14:15], v[8:9], 1, v[0:1]
	flat_load_ushort v13, v[14:15]
	s_waitcnt vmcnt(0) lgkmcnt(0)
	v_mul_f16_e32 v13, s13, v13
.LBB244_70:
	v_pk_min_f16 v14, v37, v18
	v_pk_min_f16 v15, v38, v19
	v_pk_add_f16 v14, v14, v52
	v_lshl_add_u64 v[8:9], v[8:9], 1, v[2:3]
	v_pk_add_f16 v14, v15, v14
	s_and_b64 vcc, exec, s[0:1]
	v_add_f16_sdwa v14, v14, v14 dst_sel:DWORD dst_unused:UNUSED_PAD src0_sel:DWORD src1_sel:WORD_1
	v_add_f16_e32 v13, v14, v13
	global_store_short v[8:9], v13, off
	s_cbranch_vccnz .LBB244_72
; %bb.71:
	v_lshl_add_u64 v[8:9], v[10:11], 1, v[0:1]
	flat_load_ushort v8, v[8:9]
	s_waitcnt vmcnt(0) lgkmcnt(0)
	v_mul_f16_e32 v12, s13, v8
.LBB244_72:
	v_pk_min_f16 v8, v39, v18
	v_pk_min_f16 v9, v40, v19
	v_pk_add_f16 v8, v8, v53
	v_pk_min_f16 v13, v42, v19
	v_pk_add_f16 v8, v9, v8
	v_pk_min_f16 v9, v41, v18
	v_add_f16_sdwa v8, v8, v8 dst_sel:DWORD dst_unused:UNUSED_PAD src0_sel:DWORD src1_sel:WORD_1
	v_pk_add_f16 v9, v9, v75
	v_add_f16_e32 v12, v8, v12
	v_pk_add_f16 v13, v13, v9
	v_lshl_add_u64 v[8:9], v[10:11], 1, v[2:3]
	global_store_short v[8:9], v12, off
	v_add_f16_sdwa v8, v13, v13 dst_sel:DWORD dst_unused:UNUSED_PAD src0_sel:DWORD src1_sel:WORD_1
	s_mov_b64 vcc, s[4:5]
	s_cbranch_vccz .LBB244_75
; %bb.73:
	v_add_f16_e32 v9, 0, v8
	v_lshl_add_u64 v[10:11], v[4:5], 1, v[2:3]
	s_mov_b32 s2, 0
	global_store_short v[10:11], v9, off
	s_cbranch_execz .LBB244_76
; %bb.74:
	v_mov_b32_e32 v0, s2
	s_branch .LBB244_77
.LBB244_75:
                                        ; implicit-def: $sgpr2
.LBB244_76:
	v_lshlrev_b64 v[4:5], 1, v[4:5]
	v_lshl_add_u64 v[10:11], v[0:1], 0, v[4:5]
	flat_load_ushort v9, v[10:11]
	v_lshl_add_u64 v[4:5], v[2:3], 0, v[4:5]
	v_lshl_add_u64 v[0:1], v[6:7], 1, v[0:1]
	s_waitcnt vmcnt(0) lgkmcnt(0)
	v_fma_f16 v8, v9, s13, v8
	global_store_short v[4:5], v8, off
	flat_load_ushort v0, v[0:1]
	s_waitcnt vmcnt(0) lgkmcnt(0)
	v_mul_f16_e32 v0, s13, v0
.LBB244_77:
	v_pk_min_f16 v4, v24, v18
	v_pk_min_f16 v1, v25, v19
	v_pk_add_f16 v4, v4, v74
	s_nop 0
	v_pk_add_f16 v1, v1, v4
	s_nop 0
	v_add_f16_sdwa v1, v1, v1 dst_sel:DWORD dst_unused:UNUSED_PAD src0_sel:DWORD src1_sel:WORD_1
	v_add_f16_e32 v4, v1, v0
	v_lshl_add_u64 v[0:1], v[6:7], 1, v[2:3]
	global_store_short v[0:1], v4, off
	s_endpgm
	.section	.rodata,"a",@progbits
	.p2align	6, 0x0
	.amdhsa_kernel _ZN12_GLOBAL__N_120geam_min_plus_kernelIDF16_Dv2_DF16_S1_Li8ELi32ELi64ELi128ELi4ELi64ELi4ELi64ELi4ELc78ELc84ELb1ELb0ELb0EDF16_KPKDF16_KPDF16_EEviiiT16_PT17_ilS9_ilS7_S9_ilPT18_ili26rocblas_geam_ex_operation_
		.amdhsa_group_segment_fixed_size 3072
		.amdhsa_private_segment_fixed_size 0
		.amdhsa_kernarg_size 128
		.amdhsa_user_sgpr_count 2
		.amdhsa_user_sgpr_dispatch_ptr 0
		.amdhsa_user_sgpr_queue_ptr 0
		.amdhsa_user_sgpr_kernarg_segment_ptr 1
		.amdhsa_user_sgpr_dispatch_id 0
		.amdhsa_user_sgpr_kernarg_preload_length 0
		.amdhsa_user_sgpr_kernarg_preload_offset 0
		.amdhsa_user_sgpr_private_segment_size 0
		.amdhsa_uses_dynamic_stack 0
		.amdhsa_enable_private_segment 0
		.amdhsa_system_sgpr_workgroup_id_x 1
		.amdhsa_system_sgpr_workgroup_id_y 0
		.amdhsa_system_sgpr_workgroup_id_z 1
		.amdhsa_system_sgpr_workgroup_info 0
		.amdhsa_system_vgpr_workitem_id 1
		.amdhsa_next_free_vgpr 87
		.amdhsa_next_free_sgpr 24
		.amdhsa_accum_offset 88
		.amdhsa_reserve_vcc 1
		.amdhsa_float_round_mode_32 0
		.amdhsa_float_round_mode_16_64 0
		.amdhsa_float_denorm_mode_32 3
		.amdhsa_float_denorm_mode_16_64 3
		.amdhsa_dx10_clamp 1
		.amdhsa_ieee_mode 1
		.amdhsa_fp16_overflow 0
		.amdhsa_tg_split 0
		.amdhsa_exception_fp_ieee_invalid_op 0
		.amdhsa_exception_fp_denorm_src 0
		.amdhsa_exception_fp_ieee_div_zero 0
		.amdhsa_exception_fp_ieee_overflow 0
		.amdhsa_exception_fp_ieee_underflow 0
		.amdhsa_exception_fp_ieee_inexact 0
		.amdhsa_exception_int_div_zero 0
	.end_amdhsa_kernel
	.section	.text._ZN12_GLOBAL__N_120geam_min_plus_kernelIDF16_Dv2_DF16_S1_Li8ELi32ELi64ELi128ELi4ELi64ELi4ELi64ELi4ELc78ELc84ELb1ELb0ELb0EDF16_KPKDF16_KPDF16_EEviiiT16_PT17_ilS9_ilS7_S9_ilPT18_ili26rocblas_geam_ex_operation_,"axG",@progbits,_ZN12_GLOBAL__N_120geam_min_plus_kernelIDF16_Dv2_DF16_S1_Li8ELi32ELi64ELi128ELi4ELi64ELi4ELi64ELi4ELc78ELc84ELb1ELb0ELb0EDF16_KPKDF16_KPDF16_EEviiiT16_PT17_ilS9_ilS7_S9_ilPT18_ili26rocblas_geam_ex_operation_,comdat
.Lfunc_end244:
	.size	_ZN12_GLOBAL__N_120geam_min_plus_kernelIDF16_Dv2_DF16_S1_Li8ELi32ELi64ELi128ELi4ELi64ELi4ELi64ELi4ELc78ELc84ELb1ELb0ELb0EDF16_KPKDF16_KPDF16_EEviiiT16_PT17_ilS9_ilS7_S9_ilPT18_ili26rocblas_geam_ex_operation_, .Lfunc_end244-_ZN12_GLOBAL__N_120geam_min_plus_kernelIDF16_Dv2_DF16_S1_Li8ELi32ELi64ELi128ELi4ELi64ELi4ELi64ELi4ELc78ELc84ELb1ELb0ELb0EDF16_KPKDF16_KPDF16_EEviiiT16_PT17_ilS9_ilS7_S9_ilPT18_ili26rocblas_geam_ex_operation_
                                        ; -- End function
	.section	.AMDGPU.csdata,"",@progbits
; Kernel info:
; codeLenInByte = 8832
; NumSgprs: 30
; NumVgprs: 87
; NumAgprs: 0
; TotalNumVgprs: 87
; ScratchSize: 0
; MemoryBound: 0
; FloatMode: 240
; IeeeMode: 1
; LDSByteSize: 3072 bytes/workgroup (compile time only)
; SGPRBlocks: 3
; VGPRBlocks: 10
; NumSGPRsForWavesPerEU: 30
; NumVGPRsForWavesPerEU: 87
; AccumOffset: 88
; Occupancy: 5
; WaveLimiterHint : 1
; COMPUTE_PGM_RSRC2:SCRATCH_EN: 0
; COMPUTE_PGM_RSRC2:USER_SGPR: 2
; COMPUTE_PGM_RSRC2:TRAP_HANDLER: 0
; COMPUTE_PGM_RSRC2:TGID_X_EN: 1
; COMPUTE_PGM_RSRC2:TGID_Y_EN: 0
; COMPUTE_PGM_RSRC2:TGID_Z_EN: 1
; COMPUTE_PGM_RSRC2:TIDIG_COMP_CNT: 1
; COMPUTE_PGM_RSRC3_GFX90A:ACCUM_OFFSET: 21
; COMPUTE_PGM_RSRC3_GFX90A:TG_SPLIT: 0
	.section	.text._ZN12_GLOBAL__N_120geam_min_plus_kernelIDF16_Dv2_DF16_S1_Li8ELi32ELi64ELi128ELi4ELi64ELi4ELi64ELi4ELc78ELc84ELb0ELb0ELb0EDF16_KPKDF16_KPDF16_EEviiiT16_PT17_ilS9_ilS7_S9_ilPT18_ili26rocblas_geam_ex_operation_,"axG",@progbits,_ZN12_GLOBAL__N_120geam_min_plus_kernelIDF16_Dv2_DF16_S1_Li8ELi32ELi64ELi128ELi4ELi64ELi4ELi64ELi4ELc78ELc84ELb0ELb0ELb0EDF16_KPKDF16_KPDF16_EEviiiT16_PT17_ilS9_ilS7_S9_ilPT18_ili26rocblas_geam_ex_operation_,comdat
	.globl	_ZN12_GLOBAL__N_120geam_min_plus_kernelIDF16_Dv2_DF16_S1_Li8ELi32ELi64ELi128ELi4ELi64ELi4ELi64ELi4ELc78ELc84ELb0ELb0ELb0EDF16_KPKDF16_KPDF16_EEviiiT16_PT17_ilS9_ilS7_S9_ilPT18_ili26rocblas_geam_ex_operation_ ; -- Begin function _ZN12_GLOBAL__N_120geam_min_plus_kernelIDF16_Dv2_DF16_S1_Li8ELi32ELi64ELi128ELi4ELi64ELi4ELi64ELi4ELc78ELc84ELb0ELb0ELb0EDF16_KPKDF16_KPDF16_EEviiiT16_PT17_ilS9_ilS7_S9_ilPT18_ili26rocblas_geam_ex_operation_
	.p2align	8
	.type	_ZN12_GLOBAL__N_120geam_min_plus_kernelIDF16_Dv2_DF16_S1_Li8ELi32ELi64ELi128ELi4ELi64ELi4ELi64ELi4ELc78ELc84ELb0ELb0ELb0EDF16_KPKDF16_KPDF16_EEviiiT16_PT17_ilS9_ilS7_S9_ilPT18_ili26rocblas_geam_ex_operation_,@function
_ZN12_GLOBAL__N_120geam_min_plus_kernelIDF16_Dv2_DF16_S1_Li8ELi32ELi64ELi128ELi4ELi64ELi4ELi64ELi4ELc78ELc84ELb0ELb0ELb0EDF16_KPKDF16_KPDF16_EEviiiT16_PT17_ilS9_ilS7_S9_ilPT18_ili26rocblas_geam_ex_operation_: ; @_ZN12_GLOBAL__N_120geam_min_plus_kernelIDF16_Dv2_DF16_S1_Li8ELi32ELi64ELi128ELi4ELi64ELi4ELi64ELi4ELc78ELc84ELb0ELb0ELb0EDF16_KPKDF16_KPDF16_EEviiiT16_PT17_ilS9_ilS7_S9_ilPT18_ili26rocblas_geam_ex_operation_
; %bb.0:
	s_load_dwordx2 s[12:13], s[0:1], 0x8
	s_load_dwordx4 s[4:7], s[0:1], 0x20
	s_mov_b32 s20, s3
	s_mov_b32 s21, 0
	s_waitcnt lgkmcnt(0)
	v_cmp_eq_f16_e64 s[8:9], s13, 0
	s_and_b64 vcc, exec, s[8:9]
	s_cbranch_vccnz .LBB245_3
; %bb.1:
	s_load_dwordx2 s[10:11], s[0:1], 0x10
	s_lshl_b64 s[14:15], s[20:21], 3
	s_waitcnt lgkmcnt(0)
	s_add_u32 s10, s10, s14
	s_addc_u32 s11, s11, s15
	s_load_dwordx2 s[10:11], s[10:11], 0x0
	s_lshl_b64 s[4:5], s[4:5], 1
	s_waitcnt lgkmcnt(0)
	s_add_u32 s16, s10, s4
	s_addc_u32 s17, s11, s5
	s_andn2_b64 vcc, exec, s[8:9]
	s_cbranch_vccnz .LBB245_4
.LBB245_2:
	s_mov_b64 s[14:15], 0
	s_cbranch_execz .LBB245_5
	s_branch .LBB245_6
.LBB245_3:
	s_mov_b64 s[16:17], 0
	s_andn2_b64 vcc, exec, s[8:9]
	s_cbranch_vccz .LBB245_2
.LBB245_4:
                                        ; implicit-def: $sgpr14_sgpr15
.LBB245_5:
	s_lshl_b64 s[8:9], s[20:21], 3
	s_add_u32 s6, s6, s8
	s_load_dwordx2 s[4:5], s[0:1], 0x38
	s_addc_u32 s7, s7, s9
	s_load_dwordx2 s[6:7], s[6:7], 0x0
	s_waitcnt lgkmcnt(0)
	s_lshl_b64 s[4:5], s[4:5], 1
	s_add_u32 s14, s6, s4
	s_addc_u32 s15, s7, s5
.LBB245_6:
	s_load_dword s24, s[0:1], 0x40
	s_load_dwordx4 s[8:11], s[0:1], 0x58
	v_cmp_neq_f16_e64 s[22:23], s13, 0
	s_waitcnt lgkmcnt(0)
	v_cmp_eq_f16_e64 s[4:5], s24, 0
	s_and_b64 s[6:7], exec, s[4:5]
	s_mov_b64 vcc, s[6:7]
	s_cbranch_vccnz .LBB245_8
; %bb.7:
	s_load_dwordx2 s[4:5], s[0:1], 0x48
	s_lshl_b64 s[18:19], s[20:21], 3
	s_waitcnt lgkmcnt(0)
	s_add_u32 s4, s4, s18
	s_addc_u32 s5, s5, s19
	s_load_dwordx2 s[4:5], s[4:5], 0x0
	s_lshl_b64 s[8:9], s[8:9], 1
	s_waitcnt lgkmcnt(0)
	s_add_u32 s8, s4, s8
	s_addc_u32 s9, s5, s9
	s_branch .LBB245_9
.LBB245_8:
	s_mov_b64 s[8:9], 0
.LBB245_9:
	s_load_dword s18, s[0:1], 0x18
	s_load_dword s3, s[0:1], 0x0
	s_lshl_b64 s[4:5], s[20:21], 3
	v_and_b32_e32 v45, 0x3ff, v0
	v_bfe_u32 v46, v0, 10, 10
	s_waitcnt lgkmcnt(0)
	s_ashr_i32 s19, s18, 31
	s_add_u32 s10, s10, s4
	s_addc_u32 s11, s11, s5
	s_add_i32 s3, s3, -1
	s_ashr_i32 s4, s3, 31
	s_lshr_b32 s4, s4, 26
	s_add_i32 s3, s3, s4
	s_ashr_i32 s3, s3, 6
	s_add_i32 s20, s3, 1
	v_cvt_f32_u32_e32 v1, s20
	s_not_b32 s3, s3
	v_lshl_add_u32 v2, v46, 3, v45
	v_and_b32_e32 v5, 63, v2
	v_rcp_iflag_f32_e32 v0, v1
	v_cndmask_b32_e64 v1, 0, 1, s[22:23]
	v_cmp_ne_u32_e64 s[4:5], 1, v1
	v_lshrrev_b32_e32 v4, 6, v2
	v_mul_f32_e32 v0, 0x4f7ffffe, v0
	v_cvt_u32_f32_e32 v0, v0
	s_nop 0
	v_readfirstlane_b32 s21, v0
	s_mul_i32 s3, s3, s21
	s_mul_hi_u32 s3, s21, s3
	s_add_i32 s21, s21, s3
	s_mul_hi_u32 s3, s2, s21
	s_mul_i32 s21, s3, s20
	s_sub_i32 s21, s2, s21
	s_add_i32 s25, s3, 1
	s_sub_i32 s26, s21, s20
	s_cmp_ge_u32 s21, s20
	s_cselect_b32 s3, s25, s3
	s_cselect_b32 s21, s26, s21
	s_add_i32 s25, s3, 1
	s_cmp_ge_u32 s21, s20
	s_cselect_b32 s21, s25, s3
	s_mul_i32 s3, s21, s20
	s_sub_i32 s20, s2, s3
	s_lshl_b32 s25, s20, 6
	v_or_b32_e32 v0, s25, v5
	s_andn2_b64 vcc, exec, s[22:23]
	v_ashrrev_i32_e32 v1, 31, v0
	s_cbranch_vccnz .LBB245_11
; %bb.10:
	v_mad_i64_i32 v[2:3], s[22:23], s18, v4, 0
	v_lshl_add_u64 v[2:3], v[2:3], 1, s[16:17]
	v_lshl_add_u64 v[2:3], v[0:1], 1, v[2:3]
	flat_load_ushort v2, v[2:3]
	s_waitcnt vmcnt(0) lgkmcnt(0)
	v_mul_f16_e32 v6, s13, v2
	s_branch .LBB245_12
.LBB245_11:
	v_mov_b32_e32 v6, 0
.LBB245_12:
	s_load_dword s20, s[0:1], 0x30
	s_lshl_b32 s22, s21, 7
	v_or_b32_e32 v2, s22, v5
	s_and_b64 vcc, exec, s[4:5]
	v_ashrrev_i32_e32 v3, 31, v2
	s_waitcnt lgkmcnt(0)
	s_ashr_i32 s21, s20, 31
	s_cbranch_vccnz .LBB245_16
; %bb.13:
	v_mad_i64_i32 v[8:9], s[26:27], s20, v4, 0
	v_lshl_add_u64 v[8:9], v[8:9], 1, s[14:15]
	v_lshl_add_u64 v[8:9], v[2:3], 1, v[8:9]
	flat_load_ushort v7, v[8:9]
	flat_load_ushort v10, v[8:9] offset:128
	s_waitcnt vmcnt(0) lgkmcnt(0)
	v_mul_f16_e32 v7, s13, v7
	v_mul_f16_e32 v8, s13, v10
	s_and_b64 vcc, exec, s[4:5]
	v_add_u32_e32 v9, 4, v4
	s_cbranch_vccnz .LBB245_17
.LBB245_14:
	v_mad_i64_i32 v[10:11], s[26:27], s18, v9, 0
	v_lshl_add_u64 v[10:11], v[10:11], 1, s[16:17]
	v_lshl_add_u64 v[0:1], v[0:1], 1, v[10:11]
	flat_load_ushort v0, v[0:1]
	s_waitcnt vmcnt(0) lgkmcnt(0)
	v_mul_f16_e32 v0, s13, v0
	s_and_b64 vcc, exec, s[4:5]
	s_cbranch_vccnz .LBB245_18
.LBB245_15:
	v_mad_i64_i32 v[10:11], s[26:27], s20, v9, 0
	v_lshl_add_u64 v[10:11], v[10:11], 1, s[14:15]
	v_lshl_add_u64 v[2:3], v[2:3], 1, v[10:11]
	flat_load_ushort v1, v[2:3]
	flat_load_ushort v9, v[2:3] offset:128
	s_waitcnt vmcnt(0) lgkmcnt(0)
	v_mul_f16_e32 v1, s13, v1
	v_mul_f16_e32 v2, s13, v9
	s_branch .LBB245_19
.LBB245_16:
	v_mov_b32_e32 v7, 0
	v_mov_b32_e32 v8, 0
	s_and_b64 vcc, exec, s[4:5]
	v_add_u32_e32 v9, 4, v4
	s_cbranch_vccz .LBB245_14
.LBB245_17:
	v_mov_b32_e32 v0, 0
	s_and_b64 vcc, exec, s[4:5]
	s_cbranch_vccz .LBB245_15
.LBB245_18:
	v_mov_b32_e32 v1, 0
	v_mov_b32_e32 v2, 0
.LBB245_19:
	v_lshlrev_b32_e32 v3, 1, v4
	v_lshl_add_u32 v65, v5, 3, v3
	v_lshlrev_b32_e32 v55, 3, v45
	v_lshlrev_b32_e32 v56, 3, v46
	s_load_dwordx2 s[10:11], s[10:11], 0x0
	ds_write_b16 v65, v6 offset:2048
	ds_write_b16 v65, v7
	ds_write_b16 v65, v8 offset:512
	s_waitcnt lgkmcnt(0)
	s_barrier
	ds_read2_b64 v[6:9], v56 offset1:32
	v_add_u32_e32 v66, 0x800, v55
	ds_read2_b64 v[10:13], v66 offset0:48 offset1:56
	ds_read2_b64 v[14:17], v56 offset0:64 offset1:96
	ds_read2_b64 v[18:21], v66 offset1:8
	ds_read2_b64 v[22:25], v66 offset0:16 offset1:24
	ds_read2_b64 v[26:29], v66 offset0:32 offset1:40
	s_waitcnt lgkmcnt(5)
	v_pk_max_f16 v3, v6, v6
	s_waitcnt lgkmcnt(4)
	v_pk_max_f16 v6, v12, v12
	v_pk_max_f16 v8, v8, v8
	v_pk_min_f16 v12, v6, v3
	s_waitcnt lgkmcnt(3)
	v_pk_max_f16 v14, v14, v14
	s_waitcnt lgkmcnt(2)
	v_pk_max_f16 v18, v18, v18
	v_pk_max_f16 v16, v16, v16
	;; [unrolled: 1-line block ×3, first 2 shown]
	s_waitcnt lgkmcnt(1)
	v_pk_max_f16 v22, v22, v22
	v_pk_max_f16 v24, v24, v24
	s_waitcnt lgkmcnt(0)
	v_pk_max_f16 v26, v26, v26
	v_pk_max_f16 v7, v7, v7
	;; [unrolled: 1-line block ×5, first 2 shown]
	v_pk_min_f16 v30, v18, v3
	v_pk_min_f16 v31, v18, v8
	;; [unrolled: 1-line block ×17, first 2 shown]
	v_pk_max_f16 v9, v9, v9
	v_pk_min_f16 v48, v26, v8
	v_pk_min_f16 v51, v26, v14
	;; [unrolled: 1-line block ×14, first 2 shown]
	v_pk_add_f16 v12, v12, 0
	v_pk_min_f16 v16, v13, v7
	v_pk_max_f16 v15, v15, v15
	v_pk_add_f16 v64, v16, v12
	v_pk_add_f16 v12, v39, 0
	v_pk_min_f16 v16, v13, v9
	v_pk_max_f16 v19, v19, v19
	v_pk_add_f16 v54, v16, v12
	;; [unrolled: 4-line block ×5, first 2 shown]
	v_pk_add_f16 v12, v32, 0
	v_pk_min_f16 v16, v19, v15
	v_pk_min_f16 v31, v25, v7
	v_pk_add_f16 v52, v16, v12
	v_pk_add_f16 v12, v18, 0
	v_pk_min_f16 v16, v19, v17
	v_pk_add_f16 v19, v24, 0
	v_pk_add_f16 v42, v16, v12
	;; [unrolled: 1-line block ×3, first 2 shown]
	v_pk_min_f16 v16, v21, v7
	v_pk_add_f16 v24, v53, 0
	v_pk_add_f16 v72, v16, v12
	;; [unrolled: 1-line block ×3, first 2 shown]
	v_pk_min_f16 v16, v21, v9
	v_pk_max_f16 v11, v11, v11
	v_pk_add_f16 v60, v16, v12
	v_pk_add_f16 v12, v35, 0
	v_pk_min_f16 v16, v21, v15
	v_pk_add_f16 v3, v3, 0
	v_pk_add_f16 v50, v16, v12
	;; [unrolled: 1-line block ×3, first 2 shown]
	v_pk_min_f16 v16, v21, v17
	v_pk_add_f16 v20, v47, 0
	v_pk_add_f16 v39, v16, v12
	v_pk_max_f16 v16, v23, v23
	v_pk_add_f16 v12, v36, 0
	v_pk_min_f16 v18, v16, v7
	v_pk_add_f16 v21, v48, 0
	v_pk_add_f16 v70, v18, v12
	;; [unrolled: 1-line block ×3, first 2 shown]
	v_pk_min_f16 v18, v16, v9
	v_pk_add_f16 v23, v26, 0
	v_pk_add_f16 v58, v18, v12
	v_pk_add_f16 v12, v38, 0
	v_pk_min_f16 v18, v16, v15
	v_pk_min_f16 v16, v16, v17
	v_pk_add_f16 v49, v18, v12
	v_pk_add_f16 v12, v22, 0
	;; [unrolled: 1-line block ×7, first 2 shown]
	v_pk_min_f16 v12, v25, v9
	v_pk_add_f16 v22, v51, 0
	v_pk_add_f16 v63, v12, v16
	v_pk_min_f16 v12, v25, v15
	v_pk_add_f16 v8, v8, 0
	v_pk_add_f16 v53, v12, v18
	;; [unrolled: 3-line block ×3, first 2 shown]
	v_pk_max_f16 v12, v27, v27
	v_pk_add_f16 v14, v14, 0
	v_pk_min_f16 v16, v12, v7
	v_pk_add_f16 v10, v10, 0
	v_pk_add_f16 v69, v16, v20
	v_pk_min_f16 v16, v12, v9
	v_pk_add_f16 v30, v59, 0
	v_pk_add_f16 v61, v16, v21
	v_pk_min_f16 v16, v12, v15
	v_pk_min_f16 v12, v12, v17
	v_pk_add_f16 v51, v16, v22
	v_pk_add_f16 v40, v12, v23
	v_pk_max_f16 v12, v29, v29
	v_pk_add_f16 v28, v28, 0
	v_pk_min_f16 v16, v12, v7
	v_pk_min_f16 v7, v11, v7
	v_pk_add_f16 v68, v16, v24
	v_pk_add_f16 v67, v7, v3
	v_pk_min_f16 v3, v11, v9
	v_pk_min_f16 v16, v12, v9
	v_pk_add_f16 v57, v3, v8
	v_pk_min_f16 v3, v11, v15
	v_pk_add_f16 v6, v6, 0
	v_pk_add_f16 v47, v3, v14
	v_pk_min_f16 v3, v11, v17
	v_pk_add_f16 v59, v16, v26
	v_pk_min_f16 v16, v12, v15
	v_pk_min_f16 v12, v12, v17
	v_pk_add_f16 v41, v3, v10
	v_pk_min_f16 v3, v13, v17
	v_pk_add_f16 v48, v16, v30
	v_pk_add_f16 v37, v12, v28
	;; [unrolled: 1-line block ×3, first 2 shown]
	s_cmp_lt_i32 s12, 9
	ds_write_b16 v65, v0 offset:2560
	ds_write_b16 v65, v1 offset:1024
	;; [unrolled: 1-line block ×3, first 2 shown]
	s_waitcnt lgkmcnt(0)
	s_barrier
	s_cbranch_scc1 .LBB245_33
; %bb.20:
	v_mov_b32_e32 v0, 0xa00
	v_lshl_add_u32 v77, v45, 3, v0
	v_mov_b32_e32 v0, 0x400
	v_add_u32_e32 v2, 12, v4
	v_lshl_add_u32 v78, v46, 3, v0
	v_mad_i64_i32 v[0:1], s[26:27], v2, s20, 0
	v_lshlrev_b64 v[24:25], 1, v[0:1]
	v_add_u32_e32 v0, s22, v5
	v_ashrrev_i32_e32 v1, 31, v0
	v_lshl_add_u64 v[26:27], v[0:1], 1, s[14:15]
	v_mad_i64_i32 v[0:1], s[26:27], v2, s18, 0
	v_lshlrev_b64 v[28:29], 1, v[0:1]
	v_lshl_or_b32 v0, s2, 6, v5
	s_lshl_b32 s2, s3, 6
	v_subrev_u32_e32 v0, s2, v0
	v_ashrrev_i32_e32 v1, 31, v0
	v_add_u32_e32 v2, 8, v4
	v_lshl_add_u64 v[30:31], v[0:1], 1, s[16:17]
	v_mad_i64_i32 v[0:1], s[16:17], v2, s20, 0
	v_lshlrev_b64 v[32:33], 1, v[0:1]
	v_mad_i64_i32 v[0:1], s[16:17], v2, s18, 0
	v_or_b32_e32 v74, 0x800, v65
	v_add_u32_e32 v75, 0xa00, v65
	v_or_b32_e32 v76, 0x400, v65
	s_add_i32 s12, s12, -8
	s_lshl_b64 s[14:15], s[20:21], 4
	s_lshl_b64 s[2:3], s[18:19], 4
	v_lshlrev_b64 v[34:35], 1, v[0:1]
	s_mov_b32 s16, 0
	s_branch .LBB245_23
.LBB245_21:                             ;   in Loop: Header=BB245_23 Depth=1
	v_lshl_add_u64 v[0:1], v[26:27], 0, v[24:25]
	flat_load_ushort v122, v[0:1]
	flat_load_ushort v123, v[0:1] offset:128
	s_waitcnt vmcnt(0) lgkmcnt(0)
	v_mul_f16_e32 v0, s13, v122
	v_mul_f16_e32 v1, s13, v123
.LBB245_22:                             ;   in Loop: Header=BB245_23 Depth=1
	v_pk_add_f16 v20, v20, v54
	v_pk_add_f16 v12, v12, v44
	;; [unrolled: 1-line block ×17, first 2 shown]
	ds_read2_b64 v[8:11], v66 offset0:48 offset1:56
	ds_read2_b64 v[12:15], v56 offset1:32
	v_pk_add_f16 v16, v16, v73
	v_pk_add_f16 v4, v4, v69
	;; [unrolled: 1-line block ×3, first 2 shown]
	s_waitcnt lgkmcnt(1)
	v_pk_max_f16 v10, v10, v10
	s_waitcnt lgkmcnt(0)
	v_pk_max_f16 v12, v12, v12
	v_pk_add_f16 v18, v18, v72
	v_pk_add_f16 v52, v84, v58
	;; [unrolled: 1-line block ×9, first 2 shown]
	ds_read2_b64 v[2:5], v56 offset0:64 offset1:96
	v_pk_min_f16 v16, v10, v12
	v_pk_add_f16 v54, v87, v63
	v_pk_add_f16 v63, v19, v18
	;; [unrolled: 1-line block ×4, first 2 shown]
	ds_read2_b64 v[16:19], v66 offset1:8
	v_pk_max_f16 v14, v14, v14
	s_waitcnt lgkmcnt(1)
	v_pk_max_f16 v2, v2, v2
	v_pk_min_f16 v61, v10, v14
	v_pk_add_f16 v42, v102, v42
	v_pk_add_f16 v61, v61, v20
	v_pk_min_f16 v20, v10, v2
	s_waitcnt lgkmcnt(0)
	v_pk_max_f16 v16, v16, v16
	v_pk_add_f16 v69, v20, v21
	v_pk_min_f16 v20, v16, v12
	v_pk_max_f16 v18, v18, v18
	v_pk_add_f16 v62, v20, v62
	v_pk_min_f16 v20, v16, v14
	v_pk_add_f16 v39, v83, v39
	v_pk_add_f16 v70, v20, v22
	v_pk_min_f16 v20, v16, v2
	v_pk_max_f16 v4, v4, v4
	v_pk_add_f16 v71, v20, v23
	v_pk_min_f16 v20, v18, v12
	v_pk_add_f16 v39, v104, v39
	v_pk_add_f16 v63, v20, v63
	v_pk_min_f16 v20, v18, v14
	v_pk_add_f16 v50, v82, v50
	v_pk_add_f16 v84, v20, v42
	ds_read2_b64 v[20:23], v66 offset0:16 offset1:24
	v_pk_min_f16 v42, v18, v2
	v_pk_min_f16 v18, v18, v4
	v_pk_add_f16 v49, v85, v49
	v_pk_add_f16 v18, v18, v39
	s_waitcnt lgkmcnt(0)
	v_pk_max_f16 v20, v20, v20
	v_pk_add_f16 v38, v86, v38
	v_pk_min_f16 v39, v20, v12
	v_pk_add_f16 v52, v105, v52
	v_pk_add_f16 v85, v39, v64
	v_pk_min_f16 v39, v20, v14
	ds_read2_b64 v[80:83], v66 offset0:32 offset1:40
	v_pk_add_f16 v38, v107, v38
	v_pk_add_f16 v86, v39, v52
	v_pk_min_f16 v39, v20, v2
	v_pk_min_f16 v20, v20, v4
	v_pk_max_f16 v22, v22, v22
	v_pk_add_f16 v20, v20, v38
	v_pk_min_f16 v38, v22, v12
	v_pk_add_f16 v53, v88, v53
	v_pk_add_f16 v54, v108, v54
	;; [unrolled: 1-line block ×3, first 2 shown]
	v_pk_min_f16 v38, v22, v14
	v_pk_add_f16 v53, v109, v53
	v_pk_add_f16 v87, v38, v54
	v_pk_min_f16 v38, v22, v2
	v_pk_add_f16 v49, v106, v49
	v_pk_add_f16 v53, v38, v53
	s_waitcnt lgkmcnt(0)
	v_pk_max_f16 v38, v80, v80
	v_pk_add_f16 v49, v39, v49
	v_pk_min_f16 v39, v38, v12
	v_pk_add_f16 v40, v92, v40
	v_pk_add_f16 v58, v112, v58
	;; [unrolled: 1-line block ×3, first 2 shown]
	v_pk_min_f16 v39, v38, v14
	v_pk_add_f16 v51, v91, v51
	v_pk_add_f16 v40, v114, v40
	;; [unrolled: 1-line block ×3, first 2 shown]
	v_pk_min_f16 v39, v38, v2
	v_pk_min_f16 v38, v38, v4
	v_pk_add_f16 v51, v113, v51
	v_pk_add_f16 v40, v38, v40
	v_pk_max_f16 v38, v82, v82
	v_pk_add_f16 v59, v93, v59
	v_pk_add_f16 v6, v115, v6
	;; [unrolled: 1-line block ×3, first 2 shown]
	v_pk_min_f16 v39, v38, v12
	v_pk_add_f16 v59, v116, v59
	v_pk_add_f16 v6, v39, v6
	v_pk_min_f16 v39, v38, v14
	v_pk_max_f16 v8, v8, v8
	v_pk_min_f16 v16, v16, v4
	v_pk_min_f16 v22, v22, v4
	v_pk_add_f16 v59, v39, v59
	v_pk_min_f16 v39, v38, v2
	v_pk_min_f16 v38, v38, v4
	;; [unrolled: 1-line block ×7, first 2 shown]
	v_pk_max_f16 v10, v13, v13
	v_pk_add_f16 v4, v4, v7
	v_pk_max_f16 v7, v11, v11
	v_pk_max_f16 v3, v3, v3
	v_pk_min_f16 v11, v7, v10
	v_pk_add_f16 v16, v16, v44
	v_pk_add_f16 v64, v11, v36
	v_pk_max_f16 v11, v15, v15
	v_pk_max_f16 v5, v5, v5
	v_pk_min_f16 v13, v7, v11
	v_pk_add_f16 v50, v103, v50
	v_pk_add_f16 v54, v13, v61
	v_pk_min_f16 v13, v7, v3
	v_pk_add_f16 v50, v42, v50
	v_pk_add_f16 v44, v13, v69
	v_pk_max_f16 v13, v17, v17
	v_pk_add_f16 v48, v94, v48
	v_pk_min_f16 v15, v13, v10
	v_pk_add_f16 v60, v119, v60
	v_pk_add_f16 v73, v15, v62
	v_pk_min_f16 v15, v13, v11
	v_pk_add_f16 v48, v117, v48
	v_pk_add_f16 v62, v15, v70
	v_pk_min_f16 v15, v13, v3
	v_pk_min_f16 v13, v13, v5
	v_pk_add_f16 v52, v15, v71
	v_pk_add_f16 v42, v13, v16
	v_pk_max_f16 v13, v19, v19
	v_pk_add_f16 v12, v12, v60
	v_pk_min_f16 v15, v13, v10
	v_pk_add_f16 v48, v39, v48
	v_pk_add_f16 v72, v15, v63
	v_pk_min_f16 v15, v13, v11
	v_pk_add_f16 v37, v95, v37
	v_pk_add_f16 v60, v15, v84
	v_pk_min_f16 v15, v13, v3
	;; [unrolled: 12-line block ×6, first 2 shown]
	s_add_i32 s16, s16, 8
	v_pk_add_f16 v48, v6, v48
	v_pk_min_f16 v6, v13, v5
	v_lshl_add_u64 v[26:27], v[26:27], 0, s[14:15]
	v_pk_add_f16 v37, v6, v37
	v_pk_max_f16 v6, v9, v9
	s_cmp_ge_i32 s16, s12
	v_pk_min_f16 v3, v6, v3
	v_pk_min_f16 v9, v6, v10
	v_pk_add_f16 v47, v3, v2
	v_pk_min_f16 v2, v6, v5
	v_pk_add_f16 v67, v9, v12
	;; [unrolled: 2-line block ×4, first 2 shown]
	v_pk_add_f16 v36, v2, v4
	v_lshl_add_u64 v[30:31], v[30:31], 0, s[2:3]
	ds_write_b16 v75, v79
	ds_write_b16 v76, v0
	ds_write_b16 v76, v1 offset:512
	s_waitcnt lgkmcnt(0)
	s_barrier
	s_cbranch_scc1 .LBB245_33
.LBB245_23:                             ; =>This Inner Loop Header: Depth=1
	s_and_b64 vcc, exec, s[4:5]
	s_cbranch_vccnz .LBB245_26
; %bb.24:                               ;   in Loop: Header=BB245_23 Depth=1
	v_lshl_add_u64 v[0:1], v[30:31], 0, v[34:35]
	flat_load_ushort v0, v[0:1]
	s_waitcnt vmcnt(0) lgkmcnt(0)
	v_mul_f16_e32 v79, s13, v0
	s_and_b64 vcc, exec, s[4:5]
	s_cbranch_vccnz .LBB245_27
.LBB245_25:                             ;   in Loop: Header=BB245_23 Depth=1
	v_lshl_add_u64 v[0:1], v[26:27], 0, v[32:33]
	flat_load_ushort v2, v[0:1]
	flat_load_ushort v3, v[0:1] offset:128
	s_waitcnt vmcnt(0) lgkmcnt(0)
	v_mul_f16_e32 v80, s13, v2
	v_mul_f16_e32 v81, s13, v3
	s_branch .LBB245_28
.LBB245_26:                             ;   in Loop: Header=BB245_23 Depth=1
	v_mov_b32_e32 v79, 0
	s_and_b64 vcc, exec, s[4:5]
	s_cbranch_vccz .LBB245_25
.LBB245_27:                             ;   in Loop: Header=BB245_23 Depth=1
	v_mov_b32_e32 v80, 0
	v_mov_b32_e32 v81, 0
.LBB245_28:                             ;   in Loop: Header=BB245_23 Depth=1
	ds_read2_b64 v[0:3], v77 offset0:48 offset1:56
	ds_read2_b64 v[12:15], v78 offset0:64 offset1:96
	ds_read2_b64 v[20:23], v78 offset1:32
	ds_read2_b64 v[16:19], v77 offset1:8
	ds_read2_b64 v[8:11], v77 offset0:16 offset1:24
	ds_read2_b64 v[4:7], v77 offset0:32 offset1:40
	s_and_b64 vcc, exec, s[4:5]
	ds_write_b16 v74, v79
	ds_write_b16 v65, v80
	ds_write_b16 v65, v81 offset:512
	s_waitcnt lgkmcnt(0)
	s_barrier
	s_cbranch_vccnz .LBB245_30
; %bb.29:                               ;   in Loop: Header=BB245_23 Depth=1
	v_lshl_add_u64 v[80:81], v[30:31], 0, v[28:29]
	flat_load_ushort v79, v[80:81]
	s_waitcnt vmcnt(0) lgkmcnt(0)
	v_mul_f16_e32 v79, s13, v79
	s_branch .LBB245_31
.LBB245_30:                             ;   in Loop: Header=BB245_23 Depth=1
	v_mov_b32_e32 v79, 0
.LBB245_31:                             ;   in Loop: Header=BB245_23 Depth=1
	v_pk_max_f16 v100, v2, v2
	v_pk_max_f16 v96, v20, v20
	;; [unrolled: 1-line block ×17, first 2 shown]
	v_pk_min_f16 v2, v100, v96
	v_pk_min_f16 v20, v100, v97
	v_pk_min_f16 v12, v100, v98
	v_pk_min_f16 v16, v81, v96
	v_pk_min_f16 v22, v81, v97
	v_pk_min_f16 v80, v81, v98
	v_pk_min_f16 v14, v81, v101
	v_pk_min_f16 v18, v83, v96
	v_pk_min_f16 v81, v83, v97
	v_pk_min_f16 v82, v83, v98
	v_pk_min_f16 v8, v86, v96
	v_pk_min_f16 v84, v86, v97
	v_pk_min_f16 v85, v86, v98
	v_pk_min_f16 v10, v89, v96
	v_pk_min_f16 v87, v89, v97
	v_pk_min_f16 v88, v89, v98
	v_pk_min_f16 v4, v92, v96
	v_pk_min_f16 v90, v92, v97
	v_pk_min_f16 v91, v92, v98
	v_pk_min_f16 v6, v95, v96
	v_pk_min_f16 v93, v95, v97
	v_pk_min_f16 v94, v95, v98
	v_pk_min_f16 v96, v0, v96
	v_pk_min_f16 v97, v0, v97
	v_pk_min_f16 v98, v0, v98
	v_pk_min_f16 v99, v0, v101
	v_pk_max_f16 v0, v3, v3
	v_pk_max_f16 v102, v17, v17
	;; [unrolled: 1-line block ×5, first 2 shown]
	v_pk_min_f16 v111, v5, v119
	v_pk_min_f16 v112, v5, v120
	;; [unrolled: 1-line block ×4, first 2 shown]
	v_pk_max_f16 v5, v7, v7
	v_pk_max_f16 v1, v1, v1
	v_pk_min_f16 v83, v83, v101
	v_pk_min_f16 v86, v86, v101
	;; [unrolled: 1-line block ×33, first 2 shown]
	s_and_b64 vcc, exec, s[4:5]
	v_pk_min_f16 v7, v0, v122
	s_cbranch_vccz .LBB245_21
; %bb.32:                               ;   in Loop: Header=BB245_23 Depth=1
	v_mov_b32_e32 v0, 0
	v_mov_b32_e32 v1, 0
	s_branch .LBB245_22
.LBB245_33:
	s_load_dword s12, s[0:1], 0x50
	ds_read_b64 v[20:21], v56 offset:1024
	ds_read_b64 v[26:27], v55 offset:2560
	v_add_u32_e32 v28, s22, v46
	v_cmp_neq_f16_e64 s[4:5], s24, 0
	v_add_u32_e32 v16, s25, v45
	s_waitcnt lgkmcnt(0)
	v_mad_i64_i32 v[0:1], s[2:3], v28, s12, 0
	v_ashrrev_i32_e32 v17, 31, v16
	v_lshl_add_u64 v[22:23], v[0:1], 1, s[8:9]
	s_and_b64 vcc, exec, s[4:5]
	v_mov_b32_e32 v33, 0
	v_mov_b32_e32 v31, 0
	s_cbranch_vccz .LBB245_35
; %bb.34:
	v_lshl_add_u64 v[0:1], v[16:17], 1, v[22:23]
	flat_load_ushort v0, v[0:1]
	s_waitcnt vmcnt(0) lgkmcnt(0)
	v_mul_f16_e32 v31, s24, v0
.LBB245_35:
	ds_read_b64 v[24:25], v55 offset:3008
	ds_read_b64 v[18:19], v56 offset:1792
	ds_read2_b64 v[0:3], v56 offset0:160 offset1:192
	s_load_dword s13, s[0:1], 0x68
	s_load_dwordx2 s[2:3], s[0:1], 0x70
	v_pk_max_f16 v74, v20, v20
	v_pk_max_f16 v29, v26, v26
	v_add_u32_e32 v4, 0x800, v55
	v_pk_min_f16 v20, v29, v74
	ds_read2_b64 v[12:15], v4 offset0:72 offset1:80
	ds_read2_b64 v[8:11], v4 offset0:88 offset1:96
	;; [unrolled: 1-line block ×3, first 2 shown]
	v_pk_add_f16 v20, v20, v73
	v_pk_max_f16 v73, v21, v21
	v_pk_max_f16 v30, v27, v27
	s_waitcnt lgkmcnt(0)
	s_lshl_b64 s[0:1], s[2:3], 1
	v_pk_min_f16 v21, v30, v73
	s_add_u32 s2, s10, s0
	v_pk_add_f16 v32, v21, v20
	s_addc_u32 s3, s11, s1
	v_mad_i64_i32 v[26:27], s[0:1], v28, s13, 0
	v_add_f16_sdwa v32, v32, v32 dst_sel:DWORD dst_unused:UNUSED_PAD src0_sel:DWORD src1_sel:WORD_1
	v_add_u32_e32 v20, 8, v16
	v_lshl_add_u64 v[26:27], v[26:27], 1, s[2:3]
	v_add_f16_e32 v31, v32, v31
	v_cndmask_b32_e64 v32, 0, 1, s[4:5]
	v_ashrrev_i32_e32 v21, 31, v20
	v_lshl_add_u64 v[34:35], v[16:17], 1, v[26:27]
	v_cmp_ne_u32_e64 s[0:1], 1, v32
	s_andn2_b64 vcc, exec, s[4:5]
	global_store_short v[34:35], v31, off
	s_cbranch_vccnz .LBB245_37
; %bb.36:
	v_lshl_add_u64 v[32:33], v[20:21], 1, v[22:23]
	flat_load_ushort v31, v[32:33]
	s_waitcnt vmcnt(0) lgkmcnt(0)
	v_mul_f16_e32 v33, s24, v31
.LBB245_37:
	v_pk_max_f16 v31, v12, v12
	v_pk_max_f16 v32, v13, v13
	v_pk_min_f16 v12, v31, v74
	v_pk_min_f16 v13, v32, v73
	v_pk_add_f16 v12, v12, v72
	s_and_b64 vcc, exec, s[0:1]
	v_pk_add_f16 v12, v13, v12
	v_mov_b32_e32 v46, 0
	v_add_f16_sdwa v34, v12, v12 dst_sel:DWORD dst_unused:UNUSED_PAD src0_sel:DWORD src1_sel:WORD_1
	v_add_u32_e32 v12, 16, v16
	v_add_f16_e32 v33, v34, v33
	v_lshl_add_u64 v[34:35], v[20:21], 1, v[26:27]
	v_ashrrev_i32_e32 v13, 31, v12
	global_store_short v[34:35], v33, off
	v_mov_b32_e32 v35, 0
	s_cbranch_vccnz .LBB245_39
; %bb.38:
	v_lshl_add_u64 v[34:35], v[12:13], 1, v[22:23]
	flat_load_ushort v33, v[34:35]
	s_waitcnt vmcnt(0) lgkmcnt(0)
	v_mul_f16_e32 v35, s24, v33
.LBB245_39:
	v_pk_max_f16 v33, v14, v14
	v_pk_max_f16 v34, v15, v15
	v_pk_min_f16 v14, v33, v74
	v_pk_min_f16 v15, v34, v73
	v_pk_add_f16 v14, v14, v70
	v_lshl_add_u64 v[76:77], v[12:13], 1, v[26:27]
	v_pk_add_f16 v14, v15, v14
	s_and_b64 vcc, exec, s[0:1]
	v_add_f16_sdwa v45, v14, v14 dst_sel:DWORD dst_unused:UNUSED_PAD src0_sel:DWORD src1_sel:WORD_1
	v_add_u32_e32 v14, 24, v16
	v_ashrrev_i32_e32 v15, 31, v14
	v_add_f16_e32 v35, v45, v35
	global_store_short v[76:77], v35, off
	s_cbranch_vccnz .LBB245_41
; %bb.40:
	v_lshl_add_u64 v[76:77], v[14:15], 1, v[22:23]
	flat_load_ushort v35, v[76:77]
	s_waitcnt vmcnt(0) lgkmcnt(0)
	v_mul_f16_e32 v46, s24, v35
.LBB245_41:
	v_pk_max_f16 v35, v8, v8
	v_pk_max_f16 v45, v9, v9
	v_pk_min_f16 v8, v35, v74
	v_pk_min_f16 v9, v45, v73
	v_pk_add_f16 v8, v8, v71
	v_lshl_add_u64 v[70:71], v[14:15], 1, v[26:27]
	v_pk_add_f16 v8, v9, v8
	s_and_b64 vcc, exec, s[0:1]
	v_add_f16_sdwa v55, v8, v8 dst_sel:DWORD dst_unused:UNUSED_PAD src0_sel:DWORD src1_sel:WORD_1
	v_add_u32_e32 v8, 32, v16
	v_ashrrev_i32_e32 v9, 31, v8
	v_add_f16_e32 v46, v55, v46
	v_mov_b32_e32 v66, 0
	v_mov_b32_e32 v56, 0
	global_store_short v[70:71], v46, off
	s_cbranch_vccnz .LBB245_43
; %bb.42:
	v_lshl_add_u64 v[70:71], v[8:9], 1, v[22:23]
	flat_load_ushort v46, v[70:71]
	s_waitcnt vmcnt(0) lgkmcnt(0)
	v_mul_f16_e32 v56, s24, v46
.LBB245_43:
	v_pk_max_f16 v46, v10, v10
	v_pk_max_f16 v55, v11, v11
	v_pk_min_f16 v10, v46, v74
	v_pk_min_f16 v11, v55, v73
	v_pk_add_f16 v10, v10, v69
	v_lshl_add_u64 v[70:71], v[8:9], 1, v[26:27]
	v_pk_add_f16 v10, v11, v10
	s_and_b64 vcc, exec, s[0:1]
	v_add_f16_sdwa v65, v10, v10 dst_sel:DWORD dst_unused:UNUSED_PAD src0_sel:DWORD src1_sel:WORD_1
	v_add_u32_e32 v10, 40, v16
	v_ashrrev_i32_e32 v11, 31, v10
	v_add_f16_e32 v56, v65, v56
	global_store_short v[70:71], v56, off
	s_cbranch_vccnz .LBB245_45
; %bb.44:
	v_lshl_add_u64 v[70:71], v[10:11], 1, v[22:23]
	flat_load_ushort v56, v[70:71]
	s_waitcnt vmcnt(0) lgkmcnt(0)
	v_mul_f16_e32 v66, s24, v56
.LBB245_45:
	v_pk_max_f16 v56, v4, v4
	v_pk_max_f16 v65, v5, v5
	v_pk_min_f16 v4, v56, v74
	v_pk_min_f16 v5, v65, v73
	v_pk_add_f16 v4, v4, v68
	s_and_b64 vcc, exec, s[0:1]
	v_pk_add_f16 v4, v5, v4
	s_nop 0
	v_add_f16_sdwa v68, v4, v4 dst_sel:DWORD dst_unused:UNUSED_PAD src0_sel:DWORD src1_sel:WORD_1
	v_add_u32_e32 v4, 48, v16
	v_add_f16_e32 v66, v68, v66
	v_lshl_add_u64 v[68:69], v[10:11], 1, v[26:27]
	v_ashrrev_i32_e32 v5, 31, v4
	global_store_short v[68:69], v66, off
	v_mov_b32_e32 v68, 0
	v_mov_b32_e32 v69, 0
	s_cbranch_vccnz .LBB245_47
; %bb.46:
	v_lshl_add_u64 v[70:71], v[4:5], 1, v[22:23]
	flat_load_ushort v66, v[70:71]
	s_waitcnt vmcnt(0) lgkmcnt(0)
	v_mul_f16_e32 v69, s24, v66
.LBB245_47:
	v_pk_max_f16 v66, v6, v6
	s_and_b64 vcc, exec, s[0:1]
	v_pk_min_f16 v6, v66, v74
	s_nop 0
	v_pk_add_f16 v6, v6, v67
	v_pk_max_f16 v67, v7, v7
	s_nop 0
	v_pk_min_f16 v7, v67, v73
	s_nop 0
	v_pk_add_f16 v6, v7, v6
	s_nop 0
	v_add_f16_sdwa v70, v6, v6 dst_sel:DWORD dst_unused:UNUSED_PAD src0_sel:DWORD src1_sel:WORD_1
	v_add_u32_e32 v6, 56, v16
	v_ashrrev_i32_e32 v7, 31, v6
	v_add_f16_e32 v69, v70, v69
	v_lshl_add_u64 v[70:71], v[4:5], 1, v[26:27]
	global_store_short v[70:71], v69, off
	s_cbranch_vccnz .LBB245_49
; %bb.48:
	v_lshl_add_u64 v[22:23], v[6:7], 1, v[22:23]
	flat_load_ushort v22, v[22:23]
	s_waitcnt vmcnt(0) lgkmcnt(0)
	v_mul_f16_e32 v68, s24, v22
.LBB245_49:
	v_pk_max_f16 v24, v24, v24
	v_pk_max_f16 v25, v25, v25
	v_pk_min_f16 v22, v24, v74
	v_pk_min_f16 v23, v25, v73
	v_pk_add_f16 v22, v22, v64
	s_and_b64 vcc, exec, s[0:1]
	v_pk_add_f16 v22, v23, v22
	v_mov_b32_e32 v69, 0
	v_add_f16_sdwa v22, v22, v22 dst_sel:DWORD dst_unused:UNUSED_PAD src0_sel:DWORD src1_sel:WORD_1
	v_add_f16_e32 v64, v22, v68
	v_lshl_add_u64 v[22:23], v[6:7], 1, v[26:27]
	v_add_u32_e32 v68, 32, v28
	global_store_short v[22:23], v64, off
	v_mad_i64_i32 v[22:23], s[4:5], v68, s12, 0
	v_lshl_add_u64 v[22:23], v[22:23], 1, s[8:9]
	v_mov_b32_e32 v64, 0
	s_cbranch_vccnz .LBB245_51
; %bb.50:
	v_lshl_add_u64 v[26:27], v[16:17], 1, v[22:23]
	flat_load_ushort v26, v[26:27]
	s_waitcnt vmcnt(0) lgkmcnt(0)
	v_mul_f16_e32 v69, s24, v26
.LBB245_51:
	v_pk_max_f16 v26, v0, v0
	v_pk_max_f16 v27, v1, v1
	v_pk_min_f16 v0, v29, v26
	v_pk_min_f16 v1, v30, v27
	v_pk_add_f16 v0, v0, v62
	s_and_b64 vcc, exec, s[0:1]
	v_pk_add_f16 v62, v1, v0
	v_mad_i64_i32 v[0:1], s[4:5], v68, s13, 0
	v_lshl_add_u64 v[0:1], v[0:1], 1, s[2:3]
	v_add_f16_sdwa v62, v62, v62 dst_sel:DWORD dst_unused:UNUSED_PAD src0_sel:DWORD src1_sel:WORD_1
	v_add_f16_e32 v62, v62, v69
	v_lshl_add_u64 v[68:69], v[16:17], 1, v[0:1]
	global_store_short v[68:69], v62, off
	s_cbranch_vccnz .LBB245_53
; %bb.52:
	v_lshl_add_u64 v[68:69], v[20:21], 1, v[22:23]
	flat_load_ushort v62, v[68:69]
	s_waitcnt vmcnt(0) lgkmcnt(0)
	v_mul_f16_e32 v64, s24, v62
.LBB245_53:
	v_pk_min_f16 v62, v31, v26
	v_lshl_add_u64 v[68:69], v[20:21], 1, v[0:1]
	v_pk_add_f16 v60, v62, v60
	v_pk_min_f16 v62, v32, v27
	s_and_b64 vcc, exec, s[0:1]
	v_pk_add_f16 v60, v62, v60
	v_mov_b32_e32 v62, 0
	v_add_f16_sdwa v60, v60, v60 dst_sel:DWORD dst_unused:UNUSED_PAD src0_sel:DWORD src1_sel:WORD_1
	v_add_f16_e32 v60, v60, v64
	global_store_short v[68:69], v60, off
	v_mov_b32_e32 v60, 0
	s_cbranch_vccnz .LBB245_55
; %bb.54:
	v_lshl_add_u64 v[68:69], v[12:13], 1, v[22:23]
	flat_load_ushort v62, v[68:69]
	s_waitcnt vmcnt(0) lgkmcnt(0)
	v_mul_f16_e32 v62, s24, v62
.LBB245_55:
	v_pk_min_f16 v64, v33, v26
	v_lshl_add_u64 v[68:69], v[12:13], 1, v[0:1]
	v_pk_add_f16 v58, v64, v58
	v_pk_min_f16 v64, v34, v27
	s_and_b64 vcc, exec, s[0:1]
	v_pk_add_f16 v58, v64, v58
	s_nop 0
	v_add_f16_sdwa v58, v58, v58 dst_sel:DWORD dst_unused:UNUSED_PAD src0_sel:DWORD src1_sel:WORD_1
	v_add_f16_e32 v58, v58, v62
	global_store_short v[68:69], v58, off
	s_cbranch_vccnz .LBB245_57
; %bb.56:
	v_lshl_add_u64 v[68:69], v[14:15], 1, v[22:23]
	flat_load_ushort v58, v[68:69]
	s_waitcnt vmcnt(0) lgkmcnt(0)
	v_mul_f16_e32 v60, s24, v58
.LBB245_57:
	v_pk_min_f16 v58, v35, v26
	v_pk_min_f16 v62, v45, v27
	v_pk_add_f16 v58, v58, v63
	s_and_b64 vcc, exec, s[0:1]
	v_pk_add_f16 v58, v62, v58
	v_lshl_add_u64 v[62:63], v[14:15], 1, v[0:1]
	v_add_f16_sdwa v58, v58, v58 dst_sel:DWORD dst_unused:UNUSED_PAD src0_sel:DWORD src1_sel:WORD_1
	v_add_f16_e32 v58, v58, v60
	global_store_short v[62:63], v58, off
	v_mov_b32_e32 v58, 0
	v_mov_b32_e32 v60, 0
	s_cbranch_vccnz .LBB245_59
; %bb.58:
	v_lshl_add_u64 v[62:63], v[8:9], 1, v[22:23]
	flat_load_ushort v60, v[62:63]
	s_waitcnt vmcnt(0) lgkmcnt(0)
	v_mul_f16_e32 v60, s24, v60
.LBB245_59:
	v_pk_min_f16 v62, v46, v26
	s_and_b64 vcc, exec, s[0:1]
	v_pk_add_f16 v61, v62, v61
	v_pk_min_f16 v62, v55, v27
	s_nop 0
	v_pk_add_f16 v61, v62, v61
	s_nop 0
	v_add_f16_sdwa v61, v61, v61 dst_sel:DWORD dst_unused:UNUSED_PAD src0_sel:DWORD src1_sel:WORD_1
	v_add_f16_e32 v62, v61, v60
	v_lshl_add_u64 v[60:61], v[8:9], 1, v[0:1]
	global_store_short v[60:61], v62, off
	s_cbranch_vccnz .LBB245_61
; %bb.60:
	v_lshl_add_u64 v[60:61], v[10:11], 1, v[22:23]
	flat_load_ushort v58, v[60:61]
	s_waitcnt vmcnt(0) lgkmcnt(0)
	v_mul_f16_e32 v58, s24, v58
.LBB245_61:
	v_pk_min_f16 v60, v56, v26
	s_and_b64 vcc, exec, s[0:1]
	v_pk_add_f16 v59, v60, v59
	v_pk_min_f16 v60, v65, v27
	s_nop 0
	v_pk_add_f16 v59, v60, v59
	s_nop 0
	v_add_f16_sdwa v59, v59, v59 dst_sel:DWORD dst_unused:UNUSED_PAD src0_sel:DWORD src1_sel:WORD_1
	v_add_f16_e32 v60, v59, v58
	v_lshl_add_u64 v[58:59], v[10:11], 1, v[0:1]
	global_store_short v[58:59], v60, off
	v_mov_b32_e32 v58, 0
	v_mov_b32_e32 v59, 0
	s_cbranch_vccnz .LBB245_63
; %bb.62:
	v_lshl_add_u64 v[60:61], v[4:5], 1, v[22:23]
	flat_load_ushort v59, v[60:61]
	s_waitcnt vmcnt(0) lgkmcnt(0)
	v_mul_f16_e32 v59, s24, v59
.LBB245_63:
	v_pk_min_f16 v60, v66, v26
	s_and_b64 vcc, exec, s[0:1]
	v_pk_add_f16 v57, v60, v57
	v_pk_min_f16 v60, v67, v27
	s_nop 0
	v_pk_add_f16 v57, v60, v57
	v_lshl_add_u64 v[60:61], v[4:5], 1, v[0:1]
	v_add_f16_sdwa v57, v57, v57 dst_sel:DWORD dst_unused:UNUSED_PAD src0_sel:DWORD src1_sel:WORD_1
	v_add_f16_e32 v57, v57, v59
	global_store_short v[60:61], v57, off
	s_cbranch_vccnz .LBB245_65
; %bb.64:
	v_lshl_add_u64 v[22:23], v[6:7], 1, v[22:23]
	flat_load_ushort v22, v[22:23]
	s_waitcnt vmcnt(0) lgkmcnt(0)
	v_mul_f16_e32 v58, s24, v22
.LBB245_65:
	v_pk_min_f16 v22, v24, v26
	v_pk_min_f16 v23, v25, v27
	v_pk_add_f16 v22, v22, v54
	v_lshl_add_u64 v[0:1], v[6:7], 1, v[0:1]
	v_pk_add_f16 v22, v23, v22
	v_add_u32_e32 v27, 64, v28
	v_add_f16_sdwa v22, v22, v22 dst_sel:DWORD dst_unused:UNUSED_PAD src0_sel:DWORD src1_sel:WORD_1
	v_add_f16_e32 v22, v22, v58
	global_store_short v[0:1], v22, off
	v_mad_i64_i32 v[0:1], s[4:5], v27, s12, 0
	v_lshl_add_u64 v[0:1], v[0:1], 1, s[8:9]
	s_and_b64 vcc, exec, s[0:1]
	v_mov_b32_e32 v26, 0
	v_mov_b32_e32 v54, 0
	s_cbranch_vccnz .LBB245_67
; %bb.66:
	v_lshl_add_u64 v[22:23], v[16:17], 1, v[0:1]
	flat_load_ushort v22, v[22:23]
	s_waitcnt vmcnt(0) lgkmcnt(0)
	v_mul_f16_e32 v54, s24, v22
.LBB245_67:
	v_pk_max_f16 v22, v2, v2
	v_pk_max_f16 v23, v3, v3
	v_pk_min_f16 v2, v29, v22
	v_pk_min_f16 v3, v30, v23
	v_pk_add_f16 v2, v2, v52
	s_and_b64 vcc, exec, s[0:1]
	v_pk_add_f16 v52, v3, v2
	v_mad_i64_i32 v[2:3], s[4:5], v27, s13, 0
	v_lshl_add_u64 v[2:3], v[2:3], 1, s[2:3]
	v_add_f16_sdwa v27, v52, v52 dst_sel:DWORD dst_unused:UNUSED_PAD src0_sel:DWORD src1_sel:WORD_1
	v_add_f16_e32 v27, v27, v54
	v_lshl_add_u64 v[58:59], v[16:17], 1, v[2:3]
	global_store_short v[58:59], v27, off
	s_cbranch_vccnz .LBB245_69
; %bb.68:
	v_lshl_add_u64 v[26:27], v[20:21], 1, v[0:1]
	flat_load_ushort v26, v[26:27]
	s_waitcnt vmcnt(0) lgkmcnt(0)
	v_mul_f16_e32 v26, s24, v26
.LBB245_69:
	v_pk_min_f16 v27, v31, v22
	s_and_b64 vcc, exec, s[0:1]
	v_pk_add_f16 v27, v27, v50
	v_pk_min_f16 v50, v32, v23
	s_nop 0
	v_pk_add_f16 v27, v50, v27
	s_nop 0
	v_add_f16_sdwa v27, v27, v27 dst_sel:DWORD dst_unused:UNUSED_PAD src0_sel:DWORD src1_sel:WORD_1
	v_add_f16_e32 v50, v27, v26
	v_lshl_add_u64 v[26:27], v[20:21], 1, v[2:3]
	global_store_short v[26:27], v50, off
	v_mov_b32_e32 v26, 0
	v_mov_b32_e32 v27, 0
	s_cbranch_vccnz .LBB245_71
; %bb.70:
	v_lshl_add_u64 v[58:59], v[12:13], 1, v[0:1]
	flat_load_ushort v27, v[58:59]
	s_waitcnt vmcnt(0) lgkmcnt(0)
	v_mul_f16_e32 v27, s24, v27
.LBB245_71:
	v_pk_min_f16 v50, v33, v22
	v_lshl_add_u64 v[58:59], v[12:13], 1, v[2:3]
	v_pk_add_f16 v49, v50, v49
	v_pk_min_f16 v50, v34, v23
	s_and_b64 vcc, exec, s[0:1]
	v_pk_add_f16 v49, v50, v49
	s_nop 0
	v_add_f16_sdwa v49, v49, v49 dst_sel:DWORD dst_unused:UNUSED_PAD src0_sel:DWORD src1_sel:WORD_1
	v_add_f16_e32 v27, v49, v27
	global_store_short v[58:59], v27, off
	s_cbranch_vccnz .LBB245_73
; %bb.72:
	v_lshl_add_u64 v[26:27], v[14:15], 1, v[0:1]
	flat_load_ushort v26, v[26:27]
	s_waitcnt vmcnt(0) lgkmcnt(0)
	v_mul_f16_e32 v26, s24, v26
.LBB245_73:
	v_pk_min_f16 v27, v35, v22
	v_pk_min_f16 v49, v45, v23
	v_pk_add_f16 v27, v27, v53
	s_and_b64 vcc, exec, s[0:1]
	v_pk_add_f16 v27, v49, v27
	s_nop 0
	v_add_f16_sdwa v27, v27, v27 dst_sel:DWORD dst_unused:UNUSED_PAD src0_sel:DWORD src1_sel:WORD_1
	v_add_f16_e32 v49, v27, v26
	v_lshl_add_u64 v[26:27], v[14:15], 1, v[2:3]
	global_store_short v[26:27], v49, off
	v_mov_b32_e32 v26, 0
	v_mov_b32_e32 v27, 0
	s_cbranch_vccnz .LBB245_75
; %bb.74:
	v_lshl_add_u64 v[52:53], v[8:9], 1, v[0:1]
	flat_load_ushort v27, v[52:53]
	s_waitcnt vmcnt(0) lgkmcnt(0)
	v_mul_f16_e32 v27, s24, v27
.LBB245_75:
	v_pk_min_f16 v49, v46, v22
	v_pk_min_f16 v50, v55, v23
	v_pk_add_f16 v49, v49, v51
	s_and_b64 vcc, exec, s[0:1]
	v_pk_add_f16 v49, v50, v49
	v_lshl_add_u64 v[50:51], v[8:9], 1, v[2:3]
	v_add_f16_sdwa v49, v49, v49 dst_sel:DWORD dst_unused:UNUSED_PAD src0_sel:DWORD src1_sel:WORD_1
	v_add_f16_e32 v27, v49, v27
	global_store_short v[50:51], v27, off
	s_cbranch_vccnz .LBB245_77
; %bb.76:
	v_lshl_add_u64 v[26:27], v[10:11], 1, v[0:1]
	flat_load_ushort v26, v[26:27]
	s_waitcnt vmcnt(0) lgkmcnt(0)
	v_mul_f16_e32 v26, s24, v26
.LBB245_77:
	v_pk_min_f16 v27, v56, v22
	s_and_b64 vcc, exec, s[0:1]
	v_pk_add_f16 v27, v27, v48
	v_pk_min_f16 v48, v65, v23
	s_nop 0
	v_pk_add_f16 v27, v48, v27
	s_nop 0
	v_add_f16_sdwa v27, v27, v27 dst_sel:DWORD dst_unused:UNUSED_PAD src0_sel:DWORD src1_sel:WORD_1
	v_add_f16_e32 v48, v27, v26
	v_lshl_add_u64 v[26:27], v[10:11], 1, v[2:3]
	global_store_short v[26:27], v48, off
	v_mov_b32_e32 v26, 0
	v_mov_b32_e32 v27, 0
	s_cbranch_vccnz .LBB245_79
; %bb.78:
	v_lshl_add_u64 v[48:49], v[4:5], 1, v[0:1]
	flat_load_ushort v27, v[48:49]
	s_waitcnt vmcnt(0) lgkmcnt(0)
	v_mul_f16_e32 v27, s24, v27
.LBB245_79:
	v_pk_min_f16 v48, v66, v22
	s_and_b64 vcc, exec, s[0:1]
	v_pk_add_f16 v47, v48, v47
	v_pk_min_f16 v48, v67, v23
	s_nop 0
	v_pk_add_f16 v47, v48, v47
	v_lshl_add_u64 v[48:49], v[4:5], 1, v[2:3]
	v_add_f16_sdwa v47, v47, v47 dst_sel:DWORD dst_unused:UNUSED_PAD src0_sel:DWORD src1_sel:WORD_1
	v_add_f16_e32 v27, v47, v27
	global_store_short v[48:49], v27, off
	s_cbranch_vccnz .LBB245_81
; %bb.80:
	v_lshl_add_u64 v[0:1], v[6:7], 1, v[0:1]
	flat_load_ushort v0, v[0:1]
	s_waitcnt vmcnt(0) lgkmcnt(0)
	v_mul_f16_e32 v26, s24, v0
.LBB245_81:
	v_pk_min_f16 v0, v24, v22
	v_pk_min_f16 v1, v25, v23
	v_pk_add_f16 v0, v0, v44
	s_and_b64 vcc, exec, s[0:1]
	v_pk_add_f16 v0, v1, v0
	v_mov_b32_e32 v23, 0
	v_add_f16_sdwa v0, v0, v0 dst_sel:DWORD dst_unused:UNUSED_PAD src0_sel:DWORD src1_sel:WORD_1
	v_add_f16_e32 v22, v0, v26
	v_lshl_add_u64 v[0:1], v[6:7], 1, v[2:3]
	v_add_u32_e32 v2, 0x60, v28
	global_store_short v[0:1], v22, off
	v_mad_i64_i32 v[0:1], s[4:5], v2, s12, 0
	v_lshl_add_u64 v[0:1], v[0:1], 1, s[8:9]
	v_mov_b32_e32 v22, 0
	s_cbranch_vccnz .LBB245_83
; %bb.82:
	v_lshl_add_u64 v[26:27], v[16:17], 1, v[0:1]
	flat_load_ushort v3, v[26:27]
	s_waitcnt vmcnt(0) lgkmcnt(0)
	v_mul_f16_e32 v23, s24, v3
.LBB245_83:
	v_pk_max_f16 v18, v18, v18
	v_pk_max_f16 v19, v19, v19
	v_pk_min_f16 v3, v29, v18
	v_pk_min_f16 v26, v30, v19
	v_pk_add_f16 v3, v3, v42
	s_and_b64 vcc, exec, s[0:1]
	v_pk_add_f16 v26, v26, v3
	v_mad_i64_i32 v[2:3], s[4:5], v2, s13, 0
	v_lshl_add_u64 v[2:3], v[2:3], 1, s[2:3]
	v_add_f16_sdwa v26, v26, v26 dst_sel:DWORD dst_unused:UNUSED_PAD src0_sel:DWORD src1_sel:WORD_1
	v_add_f16_e32 v23, v26, v23
	v_lshl_add_u64 v[16:17], v[16:17], 1, v[2:3]
	global_store_short v[16:17], v23, off
	s_cbranch_vccnz .LBB245_85
; %bb.84:
	v_lshl_add_u64 v[16:17], v[20:21], 1, v[0:1]
	flat_load_ushort v16, v[16:17]
	s_waitcnt vmcnt(0) lgkmcnt(0)
	v_mul_f16_e32 v22, s24, v16
.LBB245_85:
	v_pk_min_f16 v16, v31, v18
	v_pk_min_f16 v17, v32, v19
	v_pk_add_f16 v16, v16, v39
	s_and_b64 vcc, exec, s[0:1]
	v_pk_add_f16 v16, v17, v16
	s_nop 0
	v_add_f16_sdwa v16, v16, v16 dst_sel:DWORD dst_unused:UNUSED_PAD src0_sel:DWORD src1_sel:WORD_1
	v_add_f16_e32 v22, v16, v22
	v_lshl_add_u64 v[16:17], v[20:21], 1, v[2:3]
	global_store_short v[16:17], v22, off
	v_mov_b32_e32 v16, 0
	v_mov_b32_e32 v17, 0
	s_cbranch_vccnz .LBB245_87
; %bb.86:
	v_lshl_add_u64 v[20:21], v[12:13], 1, v[0:1]
	flat_load_ushort v17, v[20:21]
	s_waitcnt vmcnt(0) lgkmcnt(0)
	v_mul_f16_e32 v17, s24, v17
.LBB245_87:
	v_pk_min_f16 v20, v33, v18
	v_pk_min_f16 v21, v34, v19
	v_pk_add_f16 v20, v20, v38
	v_lshl_add_u64 v[12:13], v[12:13], 1, v[2:3]
	v_pk_add_f16 v20, v21, v20
	s_and_b64 vcc, exec, s[0:1]
	v_add_f16_sdwa v20, v20, v20 dst_sel:DWORD dst_unused:UNUSED_PAD src0_sel:DWORD src1_sel:WORD_1
	v_add_f16_e32 v17, v20, v17
	global_store_short v[12:13], v17, off
	s_cbranch_vccnz .LBB245_89
; %bb.88:
	v_lshl_add_u64 v[12:13], v[14:15], 1, v[0:1]
	flat_load_ushort v12, v[12:13]
	s_waitcnt vmcnt(0) lgkmcnt(0)
	v_mul_f16_e32 v16, s24, v12
.LBB245_89:
	v_pk_min_f16 v12, v35, v18
	v_pk_min_f16 v13, v45, v19
	v_pk_add_f16 v12, v12, v43
	s_and_b64 vcc, exec, s[0:1]
	v_pk_add_f16 v12, v13, v12
	s_nop 0
	v_add_f16_sdwa v12, v12, v12 dst_sel:DWORD dst_unused:UNUSED_PAD src0_sel:DWORD src1_sel:WORD_1
	v_add_f16_e32 v16, v12, v16
	v_lshl_add_u64 v[12:13], v[14:15], 1, v[2:3]
	global_store_short v[12:13], v16, off
	v_mov_b32_e32 v12, 0
	v_mov_b32_e32 v13, 0
	s_cbranch_vccnz .LBB245_91
; %bb.90:
	v_lshl_add_u64 v[14:15], v[8:9], 1, v[0:1]
	flat_load_ushort v13, v[14:15]
	s_waitcnt vmcnt(0) lgkmcnt(0)
	v_mul_f16_e32 v13, s24, v13
.LBB245_91:
	v_pk_min_f16 v14, v46, v18
	v_pk_min_f16 v15, v55, v19
	v_pk_add_f16 v14, v14, v40
	v_lshl_add_u64 v[8:9], v[8:9], 1, v[2:3]
	v_pk_add_f16 v14, v15, v14
	s_and_b64 vcc, exec, s[0:1]
	v_add_f16_sdwa v14, v14, v14 dst_sel:DWORD dst_unused:UNUSED_PAD src0_sel:DWORD src1_sel:WORD_1
	v_add_f16_e32 v13, v14, v13
	global_store_short v[8:9], v13, off
	s_cbranch_vccnz .LBB245_93
; %bb.92:
	v_lshl_add_u64 v[8:9], v[10:11], 1, v[0:1]
	flat_load_ushort v8, v[8:9]
	s_waitcnt vmcnt(0) lgkmcnt(0)
	v_mul_f16_e32 v12, s24, v8
.LBB245_93:
	v_pk_min_f16 v8, v56, v18
	v_pk_min_f16 v9, v65, v19
	v_pk_add_f16 v8, v8, v37
	v_pk_min_f16 v13, v67, v19
	v_pk_add_f16 v8, v9, v8
	v_pk_min_f16 v9, v66, v18
	v_add_f16_sdwa v8, v8, v8 dst_sel:DWORD dst_unused:UNUSED_PAD src0_sel:DWORD src1_sel:WORD_1
	v_pk_add_f16 v9, v9, v41
	v_add_f16_e32 v12, v8, v12
	v_pk_add_f16 v13, v13, v9
	v_lshl_add_u64 v[8:9], v[10:11], 1, v[2:3]
	global_store_short v[8:9], v12, off
	v_add_f16_sdwa v8, v13, v13 dst_sel:DWORD dst_unused:UNUSED_PAD src0_sel:DWORD src1_sel:WORD_1
	s_mov_b64 vcc, s[6:7]
	s_cbranch_vccz .LBB245_96
; %bb.94:
	v_add_f16_e32 v9, 0, v8
	v_lshl_add_u64 v[10:11], v[4:5], 1, v[2:3]
	s_mov_b32 s2, 0
	global_store_short v[10:11], v9, off
	s_cbranch_execz .LBB245_97
; %bb.95:
	v_mov_b32_e32 v0, s2
	s_branch .LBB245_98
.LBB245_96:
                                        ; implicit-def: $sgpr2
.LBB245_97:
	v_lshlrev_b64 v[4:5], 1, v[4:5]
	v_lshl_add_u64 v[10:11], v[0:1], 0, v[4:5]
	flat_load_ushort v9, v[10:11]
	v_lshl_add_u64 v[4:5], v[2:3], 0, v[4:5]
	v_lshl_add_u64 v[0:1], v[6:7], 1, v[0:1]
	s_waitcnt vmcnt(0) lgkmcnt(0)
	v_fma_f16 v8, v9, s24, v8
	global_store_short v[4:5], v8, off
	flat_load_ushort v0, v[0:1]
	s_waitcnt vmcnt(0) lgkmcnt(0)
	v_mul_f16_e32 v0, s24, v0
.LBB245_98:
	v_pk_min_f16 v4, v24, v18
	v_pk_min_f16 v1, v25, v19
	v_pk_add_f16 v4, v4, v36
	s_nop 0
	v_pk_add_f16 v1, v1, v4
	s_nop 0
	v_add_f16_sdwa v1, v1, v1 dst_sel:DWORD dst_unused:UNUSED_PAD src0_sel:DWORD src1_sel:WORD_1
	v_add_f16_e32 v4, v1, v0
	v_lshl_add_u64 v[0:1], v[6:7], 1, v[2:3]
	global_store_short v[0:1], v4, off
	s_endpgm
	.section	.rodata,"a",@progbits
	.p2align	6, 0x0
	.amdhsa_kernel _ZN12_GLOBAL__N_120geam_min_plus_kernelIDF16_Dv2_DF16_S1_Li8ELi32ELi64ELi128ELi4ELi64ELi4ELi64ELi4ELc78ELc84ELb0ELb0ELb0EDF16_KPKDF16_KPDF16_EEviiiT16_PT17_ilS9_ilS7_S9_ilPT18_ili26rocblas_geam_ex_operation_
		.amdhsa_group_segment_fixed_size 3072
		.amdhsa_private_segment_fixed_size 0
		.amdhsa_kernarg_size 128
		.amdhsa_user_sgpr_count 2
		.amdhsa_user_sgpr_dispatch_ptr 0
		.amdhsa_user_sgpr_queue_ptr 0
		.amdhsa_user_sgpr_kernarg_segment_ptr 1
		.amdhsa_user_sgpr_dispatch_id 0
		.amdhsa_user_sgpr_kernarg_preload_length 0
		.amdhsa_user_sgpr_kernarg_preload_offset 0
		.amdhsa_user_sgpr_private_segment_size 0
		.amdhsa_uses_dynamic_stack 0
		.amdhsa_enable_private_segment 0
		.amdhsa_system_sgpr_workgroup_id_x 1
		.amdhsa_system_sgpr_workgroup_id_y 0
		.amdhsa_system_sgpr_workgroup_id_z 1
		.amdhsa_system_sgpr_workgroup_info 0
		.amdhsa_system_vgpr_workitem_id 1
		.amdhsa_next_free_vgpr 124
		.amdhsa_next_free_sgpr 28
		.amdhsa_accum_offset 124
		.amdhsa_reserve_vcc 1
		.amdhsa_float_round_mode_32 0
		.amdhsa_float_round_mode_16_64 0
		.amdhsa_float_denorm_mode_32 3
		.amdhsa_float_denorm_mode_16_64 3
		.amdhsa_dx10_clamp 1
		.amdhsa_ieee_mode 1
		.amdhsa_fp16_overflow 0
		.amdhsa_tg_split 0
		.amdhsa_exception_fp_ieee_invalid_op 0
		.amdhsa_exception_fp_denorm_src 0
		.amdhsa_exception_fp_ieee_div_zero 0
		.amdhsa_exception_fp_ieee_overflow 0
		.amdhsa_exception_fp_ieee_underflow 0
		.amdhsa_exception_fp_ieee_inexact 0
		.amdhsa_exception_int_div_zero 0
	.end_amdhsa_kernel
	.section	.text._ZN12_GLOBAL__N_120geam_min_plus_kernelIDF16_Dv2_DF16_S1_Li8ELi32ELi64ELi128ELi4ELi64ELi4ELi64ELi4ELc78ELc84ELb0ELb0ELb0EDF16_KPKDF16_KPDF16_EEviiiT16_PT17_ilS9_ilS7_S9_ilPT18_ili26rocblas_geam_ex_operation_,"axG",@progbits,_ZN12_GLOBAL__N_120geam_min_plus_kernelIDF16_Dv2_DF16_S1_Li8ELi32ELi64ELi128ELi4ELi64ELi4ELi64ELi4ELc78ELc84ELb0ELb0ELb0EDF16_KPKDF16_KPDF16_EEviiiT16_PT17_ilS9_ilS7_S9_ilPT18_ili26rocblas_geam_ex_operation_,comdat
.Lfunc_end245:
	.size	_ZN12_GLOBAL__N_120geam_min_plus_kernelIDF16_Dv2_DF16_S1_Li8ELi32ELi64ELi128ELi4ELi64ELi4ELi64ELi4ELc78ELc84ELb0ELb0ELb0EDF16_KPKDF16_KPDF16_EEviiiT16_PT17_ilS9_ilS7_S9_ilPT18_ili26rocblas_geam_ex_operation_, .Lfunc_end245-_ZN12_GLOBAL__N_120geam_min_plus_kernelIDF16_Dv2_DF16_S1_Li8ELi32ELi64ELi128ELi4ELi64ELi4ELi64ELi4ELc78ELc84ELb0ELb0ELb0EDF16_KPKDF16_KPDF16_EEviiiT16_PT17_ilS9_ilS7_S9_ilPT18_ili26rocblas_geam_ex_operation_
                                        ; -- End function
	.section	.AMDGPU.csdata,"",@progbits
; Kernel info:
; codeLenInByte = 8952
; NumSgprs: 34
; NumVgprs: 124
; NumAgprs: 0
; TotalNumVgprs: 124
; ScratchSize: 0
; MemoryBound: 0
; FloatMode: 240
; IeeeMode: 1
; LDSByteSize: 3072 bytes/workgroup (compile time only)
; SGPRBlocks: 4
; VGPRBlocks: 15
; NumSGPRsForWavesPerEU: 34
; NumVGPRsForWavesPerEU: 124
; AccumOffset: 124
; Occupancy: 4
; WaveLimiterHint : 1
; COMPUTE_PGM_RSRC2:SCRATCH_EN: 0
; COMPUTE_PGM_RSRC2:USER_SGPR: 2
; COMPUTE_PGM_RSRC2:TRAP_HANDLER: 0
; COMPUTE_PGM_RSRC2:TGID_X_EN: 1
; COMPUTE_PGM_RSRC2:TGID_Y_EN: 0
; COMPUTE_PGM_RSRC2:TGID_Z_EN: 1
; COMPUTE_PGM_RSRC2:TIDIG_COMP_CNT: 1
; COMPUTE_PGM_RSRC3_GFX90A:ACCUM_OFFSET: 30
; COMPUTE_PGM_RSRC3_GFX90A:TG_SPLIT: 0
	.section	.text._ZN12_GLOBAL__N_120geam_min_plus_kernelIDF16_Dv2_DF16_S1_Li8ELi32ELi64ELi128ELi4ELi64ELi4ELi64ELi4ELc78ELc84ELb0ELb1ELb0EPKDF16_KS3_KPDF16_EEviiiT16_PT17_ilS9_ilS7_S9_ilPT18_ili26rocblas_geam_ex_operation_,"axG",@progbits,_ZN12_GLOBAL__N_120geam_min_plus_kernelIDF16_Dv2_DF16_S1_Li8ELi32ELi64ELi128ELi4ELi64ELi4ELi64ELi4ELc78ELc84ELb0ELb1ELb0EPKDF16_KS3_KPDF16_EEviiiT16_PT17_ilS9_ilS7_S9_ilPT18_ili26rocblas_geam_ex_operation_,comdat
	.globl	_ZN12_GLOBAL__N_120geam_min_plus_kernelIDF16_Dv2_DF16_S1_Li8ELi32ELi64ELi128ELi4ELi64ELi4ELi64ELi4ELc78ELc84ELb0ELb1ELb0EPKDF16_KS3_KPDF16_EEviiiT16_PT17_ilS9_ilS7_S9_ilPT18_ili26rocblas_geam_ex_operation_ ; -- Begin function _ZN12_GLOBAL__N_120geam_min_plus_kernelIDF16_Dv2_DF16_S1_Li8ELi32ELi64ELi128ELi4ELi64ELi4ELi64ELi4ELc78ELc84ELb0ELb1ELb0EPKDF16_KS3_KPDF16_EEviiiT16_PT17_ilS9_ilS7_S9_ilPT18_ili26rocblas_geam_ex_operation_
	.p2align	8
	.type	_ZN12_GLOBAL__N_120geam_min_plus_kernelIDF16_Dv2_DF16_S1_Li8ELi32ELi64ELi128ELi4ELi64ELi4ELi64ELi4ELc78ELc84ELb0ELb1ELb0EPKDF16_KS3_KPDF16_EEviiiT16_PT17_ilS9_ilS7_S9_ilPT18_ili26rocblas_geam_ex_operation_,@function
_ZN12_GLOBAL__N_120geam_min_plus_kernelIDF16_Dv2_DF16_S1_Li8ELi32ELi64ELi128ELi4ELi64ELi4ELi64ELi4ELc78ELc84ELb0ELb1ELb0EPKDF16_KS3_KPDF16_EEviiiT16_PT17_ilS9_ilS7_S9_ilPT18_ili26rocblas_geam_ex_operation_: ; @_ZN12_GLOBAL__N_120geam_min_plus_kernelIDF16_Dv2_DF16_S1_Li8ELi32ELi64ELi128ELi4ELi64ELi4ELi64ELi4ELc78ELc84ELb0ELb1ELb0EPKDF16_KS3_KPDF16_EEviiiT16_PT17_ilS9_ilS7_S9_ilPT18_ili26rocblas_geam_ex_operation_
; %bb.0:
	s_load_dwordx4 s[4:7], s[0:1], 0x10
	s_load_dwordx4 s[8:11], s[0:1], 0x28
	;; [unrolled: 1-line block ×3, first 2 shown]
	s_load_dwordx2 s[18:19], s[0:1], 0x50
	s_mov_b32 s16, s3
	s_mov_b32 s17, 0
	s_lshl_b64 s[20:21], s[16:17], 1
	s_waitcnt lgkmcnt(0)
	s_add_u32 s4, s4, s20
	s_addc_u32 s5, s5, s21
	v_mov_b32_e32 v1, 0
	global_load_ushort v36, v1, s[4:5]
	s_add_u32 s4, s14, s20
	s_addc_u32 s5, s15, s21
	global_load_ushort v44, v1, s[4:5]
	s_mov_b64 s[14:15], 0
	s_mov_b64 s[26:27], 0
	s_waitcnt vmcnt(1)
	v_cmp_eq_f16_e32 vcc, 0, v36
	v_cmp_neq_f16_e64 s[4:5], 0, v36
	s_cbranch_vccnz .LBB246_2
; %bb.1:
	s_lshl_b64 s[20:21], s[16:17], 3
	s_add_u32 s6, s6, s20
	s_addc_u32 s7, s7, s21
	s_load_dwordx2 s[6:7], s[6:7], 0x0
	s_lshl_b64 s[8:9], s[8:9], 1
	s_waitcnt lgkmcnt(0)
	s_add_u32 s26, s6, s8
	s_addc_u32 s27, s7, s9
.LBB246_2:
	s_andn2_b64 vcc, exec, s[4:5]
	s_cbranch_vccnz .LBB246_4
; %bb.3:
	s_lshl_b64 s[6:7], s[16:17], 3
	s_add_u32 s6, s10, s6
	s_addc_u32 s7, s11, s7
	s_load_dwordx2 s[6:7], s[6:7], 0x0
	s_lshl_b64 s[8:9], s[12:13], 1
	s_waitcnt lgkmcnt(0)
	s_add_u32 s14, s6, s8
	s_addc_u32 s15, s7, s9
.LBB246_4:
	s_load_dwordx4 s[8:11], s[0:1], 0x60
	s_waitcnt vmcnt(0)
	v_cmp_eq_f16_e32 vcc, 0, v44
	v_cmp_neq_f16_e64 s[12:13], 0, v44
	s_cbranch_vccnz .LBB246_6
; %bb.5:
	s_lshl_b64 s[6:7], s[16:17], 3
	s_add_u32 s6, s18, s6
	s_addc_u32 s7, s19, s7
	s_load_dwordx2 s[6:7], s[6:7], 0x0
	s_waitcnt lgkmcnt(0)
	s_lshl_b64 s[8:9], s[8:9], 1
	s_add_u32 s24, s6, s8
	s_addc_u32 s25, s7, s9
	s_branch .LBB246_7
.LBB246_6:
	s_mov_b64 s[24:25], 0
.LBB246_7:
	s_load_dword s28, s[0:1], 0x20
	s_load_dwordx4 s[20:23], s[0:1], 0x0
	s_lshl_b64 s[6:7], s[16:17], 3
	v_and_b32_e32 v34, 0x3ff, v0
	v_bfe_u32 v35, v0, 10, 10
	s_waitcnt lgkmcnt(0)
	s_ashr_i32 s29, s28, 31
	s_add_u32 s8, s10, s6
	s_addc_u32 s9, s11, s7
	s_add_i32 s3, s20, -1
	s_ashr_i32 s6, s3, 31
	s_lshr_b32 s6, s6, 26
	s_add_i32 s3, s3, s6
	s_ashr_i32 s3, s3, 6
	s_add_i32 s10, s3, 1
	v_cvt_f32_u32_e32 v1, s10
	s_load_dwordx2 s[16:17], s[8:9], 0x0
	s_not_b32 s3, s3
	v_mov_b32_e32 v8, 0
	v_rcp_iflag_f32_e32 v0, v1
	v_lshl_add_u32 v1, v35, 3, v34
	v_and_b32_e32 v7, 63, v1
	v_lshrrev_b32_e32 v37, 6, v1
	v_mul_f32_e32 v0, 0x4f7ffffe, v0
	v_cvt_u32_f32_e32 v0, v0
	v_cmp_gt_i32_e64 s[6:7], s22, v37
	v_mov_b32_e32 v9, 0
	v_readfirstlane_b32 s8, v0
	s_mul_i32 s3, s3, s8
	s_mul_hi_u32 s3, s8, s3
	s_add_i32 s8, s8, s3
	s_mul_hi_u32 s3, s2, s8
	s_mul_i32 s8, s3, s10
	s_sub_i32 s8, s2, s8
	s_add_i32 s9, s3, 1
	s_sub_i32 s11, s8, s10
	s_cmp_ge_u32 s8, s10
	s_cselect_b32 s3, s9, s3
	s_cselect_b32 s8, s11, s8
	s_add_i32 s9, s3, 1
	s_cmp_ge_u32 s8, s10
	s_cselect_b32 s8, s9, s3
	s_mul_i32 s3, s8, s10
	s_sub_i32 s2, s2, s3
	s_lshl_b32 s30, s2, 6
	v_or_b32_e32 v0, s30, v7
	v_cmp_gt_i32_e32 vcc, s20, v0
	s_and_b64 s[2:3], s[6:7], vcc
	s_and_b64 s[6:7], s[4:5], s[2:3]
	v_ashrrev_i32_e32 v1, 31, v0
	s_and_saveexec_b64 s[2:3], s[6:7]
	s_cbranch_execz .LBB246_9
; %bb.8:
	v_mad_i64_i32 v[2:3], s[6:7], s28, v37, 0
	v_lshl_add_u64 v[2:3], v[2:3], 1, s[26:27]
	v_lshl_add_u64 v[2:3], v[0:1], 1, v[2:3]
	flat_load_ushort v2, v[2:3]
	s_waitcnt vmcnt(0) lgkmcnt(0)
	v_mul_f16_e32 v9, v36, v2
.LBB246_9:
	s_or_b64 exec, exec, s[2:3]
	s_load_dword s23, s[0:1], 0x38
	s_lshl_b32 s31, s8, 7
	s_add_i32 s33, s22, -1
	v_or_b32_e32 v24, s31, v7
	v_min_i32_e32 v2, s33, v37
	v_cmp_le_i32_e64 s[10:11], s22, v37
	s_waitcnt lgkmcnt(0)
	v_mad_i64_i32 v[2:3], s[2:3], s23, v2, 0
	v_cmp_le_i32_e64 s[6:7], s21, v24
	s_or_b64 s[2:3], s[10:11], s[6:7]
	s_xor_b64 s[18:19], s[4:5], -1
	s_or_b64 s[2:3], s[2:3], s[18:19]
	v_lshl_add_u64 v[2:3], v[2:3], 1, s[14:15]
	s_xor_b64 s[8:9], s[2:3], -1
	v_ashrrev_i32_e32 v25, 31, v24
	s_and_saveexec_b64 s[2:3], s[8:9]
	s_cbranch_execz .LBB246_11
; %bb.10:
	v_lshl_add_u64 v[4:5], v[24:25], 1, v[2:3]
	flat_load_ushort v4, v[4:5]
	s_waitcnt vmcnt(0) lgkmcnt(0)
	v_mul_f16_e32 v8, v36, v4
.LBB246_11:
	s_or_b64 exec, exec, s[2:3]
	v_or_b32_e32 v4, 64, v24
	v_cmp_le_i32_e64 s[8:9], s21, v4
	s_or_b64 s[2:3], s[10:11], s[8:9]
	s_or_b64 s[2:3], s[2:3], s[18:19]
	s_xor_b64 s[10:11], s[2:3], -1
	v_mov_b32_e32 v4, 0
	v_mov_b32_e32 v10, 0
	s_and_saveexec_b64 s[2:3], s[10:11]
	s_cbranch_execz .LBB246_13
; %bb.12:
	v_lshl_add_u64 v[2:3], v[24:25], 1, v[2:3]
	flat_load_ushort v2, v[2:3] offset:128
	s_waitcnt vmcnt(0) lgkmcnt(0)
	v_mul_f16_e32 v10, v36, v2
.LBB246_13:
	s_or_b64 exec, exec, s[2:3]
	v_add_u32_e32 v2, 4, v37
	v_cmp_gt_i32_e64 s[2:3], s22, v2
	s_and_b64 s[2:3], vcc, s[2:3]
	s_and_b64 s[10:11], s[4:5], s[2:3]
	s_and_saveexec_b64 s[2:3], s[10:11]
	s_cbranch_execz .LBB246_15
; %bb.14:
	v_mad_u64_u32 v[4:5], s[10:11], s28, v2, 0
	v_mov_b32_e32 v6, v5
	v_mad_u64_u32 v[12:13], s[10:11], s29, v2, v[6:7]
	v_mov_b32_e32 v5, v12
	v_lshl_add_u64 v[4:5], v[4:5], 1, s[26:27]
	v_lshl_add_u64 v[4:5], v[0:1], 1, v[4:5]
	flat_load_ushort v3, v[4:5]
	s_waitcnt vmcnt(0) lgkmcnt(0)
	v_mul_f16_e32 v4, v36, v3
.LBB246_15:
	s_or_b64 exec, exec, s[2:3]
	v_cmp_le_i32_e64 s[10:11], s22, v2
	v_min_i32_e32 v2, s33, v2
	v_mad_i64_i32 v[2:3], s[2:3], s23, v2, 0
	s_or_b64 s[2:3], s[6:7], s[10:11]
	s_or_b64 s[2:3], s[2:3], s[18:19]
	v_lshl_add_u64 v[2:3], v[2:3], 1, s[14:15]
	s_xor_b64 s[34:35], s[2:3], -1
	v_mov_b32_e32 v5, 0
	v_mov_b32_e32 v6, 0
	s_and_saveexec_b64 s[2:3], s[34:35]
	s_cbranch_execz .LBB246_17
; %bb.16:
	v_lshl_add_u64 v[12:13], v[24:25], 1, v[2:3]
	flat_load_ushort v6, v[12:13]
	s_waitcnt vmcnt(0) lgkmcnt(0)
	v_mul_f16_e32 v6, v36, v6
.LBB246_17:
	s_or_b64 exec, exec, s[2:3]
	s_or_b64 s[2:3], s[8:9], s[10:11]
	s_or_b64 s[2:3], s[2:3], s[18:19]
	s_xor_b64 s[10:11], s[2:3], -1
	s_and_saveexec_b64 s[2:3], s[10:11]
	s_cbranch_execz .LBB246_19
; %bb.18:
	v_lshl_add_u64 v[2:3], v[24:25], 1, v[2:3]
	flat_load_ushort v2, v[2:3] offset:128
	s_waitcnt vmcnt(0) lgkmcnt(0)
	v_mul_f16_e32 v5, v36, v2
.LBB246_19:
	s_or_b64 exec, exec, s[2:3]
	v_lshlrev_b32_e32 v2, 1, v37
	v_lshlrev_b32_e32 v39, 3, v34
	v_lshl_add_u32 v40, v7, 3, v2
	v_lshlrev_b32_e32 v38, 3, v35
	v_add_u32_e32 v41, 0x800, v39
	ds_write_b16 v40, v9 offset:2048
	ds_write_b16 v40, v8
	ds_write_b16 v40, v10 offset:512
	s_waitcnt lgkmcnt(0)
	s_barrier
	ds_read2_b64 v[8:11], v38 offset1:32
	ds_read2_b64 v[12:15], v41 offset0:48 offset1:56
	ds_read2_b64 v[16:19], v38 offset0:64 offset1:96
	ds_read2_b64 v[20:23], v41 offset1:8
	ds_read2_b64 v[26:29], v41 offset0:16 offset1:24
	ds_read2_b64 v[30:33], v41 offset0:32 offset1:40
	s_waitcnt lgkmcnt(5)
	v_pk_max_f16 v2, v8, v8
	s_waitcnt lgkmcnt(4)
	v_pk_max_f16 v3, v14, v14
	v_pk_max_f16 v8, v10, v10
	v_pk_min_f16 v7, v3, v2
	s_waitcnt lgkmcnt(3)
	v_pk_max_f16 v14, v16, v16
	s_waitcnt lgkmcnt(2)
	v_pk_max_f16 v16, v20, v20
	v_pk_max_f16 v18, v18, v18
	;; [unrolled: 1-line block ×3, first 2 shown]
	s_waitcnt lgkmcnt(1)
	v_pk_max_f16 v26, v26, v26
	v_pk_max_f16 v28, v28, v28
	s_waitcnt lgkmcnt(0)
	v_pk_max_f16 v30, v30, v30
	v_pk_max_f16 v9, v9, v9
	;; [unrolled: 1-line block ×5, first 2 shown]
	v_pk_min_f16 v10, v3, v8
	v_pk_min_f16 v20, v16, v2
	;; [unrolled: 1-line block ×18, first 2 shown]
	v_pk_max_f16 v11, v11, v11
	v_pk_min_f16 v62, v30, v8
	v_pk_min_f16 v63, v30, v14
	;; [unrolled: 1-line block ×13, first 2 shown]
	v_pk_add_f16 v7, v7, 0
	v_pk_min_f16 v18, v15, v9
	v_pk_max_f16 v17, v17, v17
	v_pk_add_f16 v69, v7, v18
	v_pk_add_f16 v7, v10, 0
	v_pk_min_f16 v10, v15, v11
	v_pk_max_f16 v21, v21, v21
	v_pk_add_f16 v61, v7, v10
	;; [unrolled: 4-line block ×4, first 2 shown]
	v_pk_add_f16 v7, v42, 0
	v_pk_min_f16 v10, v21, v11
	v_pk_add_f16 v18, v55, 0
	v_pk_add_f16 v68, v7, v10
	;; [unrolled: 1-line block ×3, first 2 shown]
	v_pk_min_f16 v10, v21, v17
	v_pk_add_f16 v20, v56, 0
	v_pk_add_f16 v60, v7, v10
	;; [unrolled: 1-line block ×3, first 2 shown]
	v_pk_min_f16 v10, v21, v19
	v_pk_min_f16 v16, v23, v19
	v_pk_add_f16 v52, v7, v10
	v_pk_add_f16 v7, v45, 0
	v_pk_min_f16 v10, v23, v9
	v_pk_add_f16 v21, v28, 0
	v_pk_add_f16 v76, v7, v10
	v_pk_add_f16 v7, v46, 0
	v_pk_min_f16 v10, v23, v11
	v_pk_add_f16 v28, v64, 0
	;; [unrolled: 4-line block ×3, first 2 shown]
	v_pk_add_f16 v59, v7, v10
	v_pk_add_f16 v7, v22, 0
	;; [unrolled: 1-line block ×4, first 2 shown]
	v_pk_max_f16 v7, v27, v27
	v_pk_add_f16 v27, v30, 0
	v_pk_min_f16 v16, v7, v9
	v_pk_add_f16 v30, v65, 0
	v_pk_add_f16 v75, v10, v16
	v_pk_add_f16 v10, v49, 0
	v_pk_min_f16 v16, v7, v11
	v_pk_add_f16 v22, v57, 0
	v_pk_add_f16 v66, v10, v16
	;; [unrolled: 1-line block ×3, first 2 shown]
	v_pk_min_f16 v16, v7, v17
	v_pk_min_f16 v7, v7, v19
	v_pk_add_f16 v58, v10, v16
	v_pk_add_f16 v10, v26, 0
	;; [unrolled: 1-line block ×4, first 2 shown]
	v_pk_max_f16 v7, v29, v29
	v_pk_add_f16 v26, v63, 0
	v_pk_min_f16 v10, v7, v9
	v_pk_add_f16 v32, v32, 0
	v_pk_add_f16 v74, v16, v10
	v_pk_min_f16 v10, v7, v11
	v_pk_add_f16 v2, v2, 0
	v_pk_add_f16 v65, v18, v10
	v_pk_min_f16 v10, v7, v17
	v_pk_min_f16 v7, v7, v19
	v_pk_add_f16 v57, v20, v10
	v_pk_add_f16 v49, v21, v7
	v_pk_max_f16 v7, v31, v31
	v_pk_add_f16 v8, v8, 0
	v_pk_min_f16 v10, v7, v9
	v_pk_add_f16 v14, v14, 0
	v_pk_add_f16 v73, v22, v10
	v_pk_min_f16 v10, v7, v11
	v_pk_add_f16 v12, v12, 0
	v_pk_add_f16 v64, v23, v10
	v_pk_min_f16 v10, v7, v17
	v_pk_min_f16 v7, v7, v19
	v_pk_add_f16 v56, v26, v10
	v_pk_add_f16 v48, v27, v7
	v_pk_max_f16 v7, v33, v33
	v_pk_add_f16 v42, v70, 0
	v_pk_min_f16 v10, v7, v9
	v_pk_add_f16 v3, v3, 0
	v_pk_add_f16 v72, v28, v10
	v_pk_min_f16 v10, v7, v11
	s_mov_b32 s34, 0
	v_pk_add_f16 v63, v30, v10
	v_pk_min_f16 v10, v7, v17
	v_pk_min_f16 v7, v7, v19
	v_pk_add_f16 v55, v42, v10
	v_pk_add_f16 v47, v32, v7
	v_pk_max_f16 v7, v13, v13
	s_cmp_lt_i32 s22, 9
	v_pk_min_f16 v9, v7, v9
	ds_write_b16 v40, v4 offset:2560
	ds_write_b16 v40, v6 offset:1024
	;; [unrolled: 1-line block ×3, first 2 shown]
	v_pk_add_f16 v71, v2, v9
	v_pk_min_f16 v2, v7, v11
	s_waitcnt lgkmcnt(0)
	v_pk_add_f16 v62, v8, v2
	v_pk_min_f16 v2, v7, v17
	s_barrier
	v_pk_add_f16 v54, v14, v2
	v_pk_min_f16 v2, v7, v19
	s_nop 0
	v_pk_add_f16 v46, v12, v2
	v_pk_min_f16 v2, v15, v19
	s_nop 0
	v_pk_add_f16 v45, v3, v2
	s_cbranch_scc1 .LBB246_34
; %bb.20:
	v_lshl_add_u64 v[26:27], v[0:1], 1, s[26:27]
	v_mov_b32_e32 v0, 0xa00
	v_lshl_add_u32 v78, v34, 3, v0
	v_add_u32_e32 v0, v38, v34
	v_lshrrev_b32_e32 v2, 6, v0
	v_add_u32_e32 v0, 12, v2
	v_mad_i64_i32 v[0:1], s[2:3], v0, s28, 0
	v_lshlrev_b64 v[28:29], 1, v[0:1]
	v_add_u32_e32 v0, 8, v2
	v_mad_i64_i32 v[0:1], s[2:3], v0, s28, 0
	v_or_b32_e32 v42, 0x800, v40
	v_add_u32_e32 v43, 0xa00, v40
	v_or_b32_e32 v70, 0x400, v40
	s_add_i32 s35, s22, -8
	v_add_u32_e32 v79, 0x400, v38
	s_lshl_b64 s[26:27], s[28:29], 4
	v_lshlrev_b64 v[30:31], 1, v[0:1]
	s_branch .LBB246_22
.LBB246_21:                             ;   in Loop: Header=BB246_22 Depth=1
	s_or_b64 exec, exec, s[2:3]
	v_pk_add_f16 v20, v61, v20
	v_pk_add_f16 v12, v53, v12
	;; [unrolled: 1-line block ×19, first 2 shown]
	ds_read2_b64 v[6:9], v41 offset0:48 offset1:56
	ds_read2_b64 v[10:13], v38 offset1:32
	v_pk_add_f16 v2, v69, v2
	v_pk_add_f16 v22, v68, v22
	;; [unrolled: 1-line block ×5, first 2 shown]
	s_waitcnt lgkmcnt(1)
	v_pk_max_f16 v8, v8, v8
	s_waitcnt lgkmcnt(0)
	v_pk_max_f16 v10, v10, v10
	v_pk_add_f16 v16, v77, v16
	v_pk_add_f16 v61, v63, v96
	;; [unrolled: 1-line block ×9, first 2 shown]
	ds_read2_b64 v[0:3], v38 offset0:64 offset1:96
	v_pk_min_f16 v14, v8, v10
	v_pk_add_f16 v60, v64, v93
	v_pk_add_f16 v64, v16, v17
	;; [unrolled: 1-line block ×4, first 2 shown]
	ds_read2_b64 v[14:17], v41 offset1:8
	v_pk_max_f16 v12, v12, v12
	s_waitcnt lgkmcnt(1)
	v_pk_max_f16 v0, v0, v0
	v_pk_min_f16 v63, v8, v12
	v_pk_max_f16 v2, v2, v2
	v_pk_add_f16 v63, v20, v63
	v_pk_min_f16 v20, v8, v0
	s_waitcnt lgkmcnt(0)
	v_pk_max_f16 v14, v14, v14
	v_pk_add_f16 v68, v21, v20
	v_pk_min_f16 v20, v14, v10
	v_pk_max_f16 v16, v16, v16
	v_pk_add_f16 v64, v64, v20
	v_pk_min_f16 v20, v14, v12
	v_pk_add_f16 v51, v51, v86
	v_pk_add_f16 v22, v22, v20
	v_pk_min_f16 v20, v14, v0
	v_pk_min_f16 v14, v14, v2
	v_pk_add_f16 v23, v23, v20
	v_pk_min_f16 v20, v16, v10
	v_pk_add_f16 v14, v32, v14
	v_pk_add_f16 v32, v18, v20
	v_pk_min_f16 v18, v16, v12
	v_pk_add_f16 v51, v51, v106
	v_pk_add_f16 v71, v19, v18
	ds_read2_b64 v[18:21], v41 offset0:16 offset1:24
	v_pk_min_f16 v69, v16, v0
	v_pk_min_f16 v16, v16, v2
	v_pk_add_f16 v50, v50, v89
	v_pk_add_f16 v16, v51, v16
	s_waitcnt lgkmcnt(0)
	v_pk_max_f16 v18, v18, v18
	v_pk_add_f16 v53, v53, v107
	v_pk_min_f16 v51, v18, v10
	ds_read2_b64 v[84:87], v41 offset0:32 offset1:40
	v_pk_add_f16 v72, v52, v51
	v_pk_min_f16 v51, v18, v12
	v_pk_add_f16 v4, v73, v4
	v_pk_add_f16 v50, v50, v109
	;; [unrolled: 1-line block ×3, first 2 shown]
	v_pk_min_f16 v51, v18, v0
	v_pk_min_f16 v18, v18, v2
	v_pk_max_f16 v20, v20, v20
	v_pk_add_f16 v18, v50, v18
	v_pk_min_f16 v50, v20, v10
	v_pk_add_f16 v49, v49, v92
	v_pk_add_f16 v59, v59, v110
	;; [unrolled: 1-line block ×3, first 2 shown]
	v_pk_min_f16 v50, v20, v12
	v_pk_add_f16 v57, v57, v91
	v_pk_add_f16 v49, v49, v112
	;; [unrolled: 1-line block ×3, first 2 shown]
	v_pk_min_f16 v50, v20, v0
	v_pk_min_f16 v20, v20, v2
	v_pk_add_f16 v57, v57, v111
	v_pk_add_f16 v20, v49, v20
	s_waitcnt lgkmcnt(0)
	v_pk_max_f16 v49, v84, v84
	v_pk_add_f16 v4, v4, v113
	v_pk_add_f16 v57, v57, v50
	v_pk_min_f16 v50, v49, v10
	v_pk_add_f16 v48, v48, v95
	v_pk_add_f16 v60, v60, v114
	;; [unrolled: 1-line block ×3, first 2 shown]
	v_pk_min_f16 v50, v49, v12
	v_pk_add_f16 v56, v56, v94
	v_pk_add_f16 v48, v48, v116
	;; [unrolled: 1-line block ×3, first 2 shown]
	v_pk_min_f16 v50, v49, v0
	v_pk_min_f16 v49, v49, v2
	v_pk_add_f16 v56, v56, v115
	v_pk_add_f16 v48, v48, v49
	v_pk_max_f16 v49, v86, v86
	v_pk_add_f16 v56, v56, v50
	v_pk_min_f16 v50, v49, v10
	v_pk_add_f16 v61, v61, v117
	v_pk_add_f16 v86, v66, v50
	v_pk_min_f16 v50, v49, v12
	v_pk_max_f16 v6, v6, v6
	v_pk_add_f16 v58, v58, v88
	v_pk_add_f16 v88, v61, v50
	v_pk_min_f16 v50, v49, v0
	v_pk_min_f16 v49, v49, v2
	;; [unrolled: 1-line block ×7, first 2 shown]
	v_pk_max_f16 v8, v11, v11
	v_pk_add_f16 v2, v5, v2
	v_pk_max_f16 v5, v9, v9
	v_pk_add_f16 v33, v33, v69
	v_pk_min_f16 v9, v5, v8
	v_pk_max_f16 v1, v1, v1
	v_pk_add_f16 v69, v45, v9
	v_pk_max_f16 v9, v13, v13
	v_pk_max_f16 v3, v3, v3
	v_pk_min_f16 v11, v5, v9
	v_pk_add_f16 v58, v58, v108
	v_pk_add_f16 v61, v63, v11
	v_pk_min_f16 v11, v5, v1
	v_pk_add_f16 v10, v67, v10
	v_pk_add_f16 v53, v68, v11
	v_pk_max_f16 v11, v15, v15
	v_pk_add_f16 v58, v58, v51
	v_pk_min_f16 v13, v11, v8
	v_pk_add_f16 v55, v55, v97
	v_pk_add_f16 v77, v64, v13
	v_pk_min_f16 v13, v11, v9
	v_pk_add_f16 v55, v55, v118
	v_pk_add_f16 v68, v22, v13
	v_pk_min_f16 v13, v11, v1
	v_pk_min_f16 v11, v11, v3
	v_pk_add_f16 v60, v23, v13
	v_pk_add_f16 v52, v14, v11
	v_pk_max_f16 v11, v17, v17
	v_pk_add_f16 v55, v55, v50
	v_pk_min_f16 v13, v11, v8
	v_pk_add_f16 v47, v47, v98
	v_pk_add_f16 v76, v32, v13
	v_pk_min_f16 v13, v11, v9
	v_pk_add_f16 v47, v47, v119
	v_pk_add_f16 v67, v71, v13
	v_pk_min_f16 v13, v11, v1
	;; [unrolled: 12-line block ×4, first 2 shown]
	v_pk_min_f16 v11, v11, v3
	v_pk_add_f16 v57, v57, v13
	v_pk_add_f16 v49, v20, v11
	v_pk_max_f16 v11, v85, v85
	v_pk_add_f16 v6, v46, v6
	v_pk_min_f16 v13, v11, v8
	v_pk_add_f16 v12, v62, v12
	v_pk_add_f16 v73, v4, v13
	v_pk_min_f16 v4, v11, v9
	s_add_i32 s34, s34, 8
	v_pk_add_f16 v64, v84, v4
	v_pk_min_f16 v4, v11, v1
	s_cmp_ge_i32 s34, s35
	v_pk_add_f16 v56, v56, v4
	v_pk_min_f16 v4, v11, v3
	v_lshl_add_u64 v[26:27], v[26:27], 0, s[26:27]
	v_pk_add_f16 v48, v48, v4
	v_pk_max_f16 v4, v87, v87
	ds_write_b16 v43, v80
	ds_write_b16 v70, v82
	ds_write_b16 v70, v81 offset:512
	v_pk_min_f16 v11, v4, v8
	s_waitcnt lgkmcnt(0)
	v_pk_add_f16 v72, v86, v11
	v_pk_min_f16 v11, v4, v9
	s_barrier
	v_pk_add_f16 v63, v88, v11
	v_pk_min_f16 v11, v4, v1
	v_pk_min_f16 v4, v4, v3
	v_pk_add_f16 v55, v55, v11
	v_pk_add_f16 v47, v47, v4
	v_pk_max_f16 v4, v7, v7
	s_nop 0
	v_pk_min_f16 v1, v4, v1
	v_pk_min_f16 v7, v4, v8
	v_pk_add_f16 v54, v0, v1
	v_pk_min_f16 v0, v4, v3
	v_pk_add_f16 v71, v10, v7
	;; [unrolled: 2-line block ×4, first 2 shown]
	v_pk_add_f16 v45, v2, v0
	s_cbranch_scc1 .LBB246_34
.LBB246_22:                             ; =>This Inner Loop Header: Depth=1
	v_add_u32_e32 v32, s34, v37
	v_add_u32_e32 v0, 8, v32
	v_cmp_gt_i32_e64 s[2:3], s22, v0
	s_and_b64 s[2:3], vcc, s[2:3]
	s_and_b64 s[10:11], s[4:5], s[2:3]
	v_mov_b32_e32 v33, 0
	v_mov_b32_e32 v81, 0
	s_and_saveexec_b64 s[2:3], s[10:11]
	s_cbranch_execz .LBB246_24
; %bb.23:                               ;   in Loop: Header=BB246_22 Depth=1
	v_lshl_add_u64 v[2:3], v[26:27], 0, v[30:31]
	flat_load_ushort v1, v[2:3]
	s_waitcnt vmcnt(0) lgkmcnt(0)
	v_mul_f16_e32 v81, v36, v1
.LBB246_24:                             ;   in Loop: Header=BB246_22 Depth=1
	s_or_b64 exec, exec, s[2:3]
	v_cmp_le_i32_e64 s[10:11], s22, v0
	v_min_i32_e32 v0, s33, v0
	v_mad_i64_i32 v[0:1], s[2:3], v0, s23, 0
	s_or_b64 s[2:3], s[6:7], s[10:11]
	v_lshl_add_u64 v[0:1], v[0:1], 1, s[14:15]
	s_or_b64 s[2:3], s[2:3], s[18:19]
	s_xor_b64 s[28:29], s[2:3], -1
	v_lshl_add_u64 v[0:1], v[24:25], 1, v[0:1]
	s_and_saveexec_b64 s[2:3], s[28:29]
	s_cbranch_execz .LBB246_26
; %bb.25:                               ;   in Loop: Header=BB246_22 Depth=1
	flat_load_ushort v2, v[0:1]
	s_waitcnt vmcnt(0) lgkmcnt(0)
	v_mul_f16_e32 v33, v36, v2
.LBB246_26:                             ;   in Loop: Header=BB246_22 Depth=1
	s_or_b64 exec, exec, s[2:3]
	s_or_b64 s[2:3], s[8:9], s[10:11]
	s_or_b64 s[2:3], s[2:3], s[18:19]
	s_xor_b64 s[10:11], s[2:3], -1
	v_mov_b32_e32 v80, 0
	v_mov_b32_e32 v82, 0
	s_and_saveexec_b64 s[2:3], s[10:11]
	s_cbranch_execz .LBB246_28
; %bb.27:                               ;   in Loop: Header=BB246_22 Depth=1
	flat_load_ushort v0, v[0:1] offset:128
	s_waitcnt vmcnt(0) lgkmcnt(0)
	v_mul_f16_e32 v82, v36, v0
.LBB246_28:                             ;   in Loop: Header=BB246_22 Depth=1
	s_or_b64 exec, exec, s[2:3]
	ds_read2_b64 v[0:3], v78 offset0:48 offset1:56
	ds_read2_b64 v[12:15], v79 offset0:64 offset1:96
	ds_read2_b64 v[20:23], v79 offset1:32
	ds_read2_b64 v[16:19], v78 offset1:8
	ds_read2_b64 v[8:11], v78 offset0:16 offset1:24
	ds_read2_b64 v[4:7], v78 offset0:32 offset1:40
	v_add_u32_e32 v32, 12, v32
	v_cmp_gt_i32_e64 s[2:3], s22, v32
	s_and_b64 s[2:3], vcc, s[2:3]
	s_and_b64 s[10:11], s[4:5], s[2:3]
	ds_write_b16 v42, v81
	ds_write_b16 v40, v33
	ds_write_b16 v40, v82 offset:512
	s_waitcnt lgkmcnt(0)
	s_barrier
	s_and_saveexec_b64 s[2:3], s[10:11]
	s_cbranch_execz .LBB246_30
; %bb.29:                               ;   in Loop: Header=BB246_22 Depth=1
	v_lshl_add_u64 v[80:81], v[26:27], 0, v[28:29]
	flat_load_ushort v33, v[80:81]
	s_waitcnt vmcnt(0) lgkmcnt(0)
	v_mul_f16_e32 v80, v36, v33
.LBB246_30:                             ;   in Loop: Header=BB246_22 Depth=1
	s_or_b64 exec, exec, s[2:3]
	v_cmp_le_i32_e64 s[10:11], s22, v32
	v_min_i32_e32 v32, s33, v32
	v_mad_i64_i32 v[32:33], s[2:3], v32, s23, 0
	s_or_b64 s[2:3], s[6:7], s[10:11]
	v_lshl_add_u64 v[32:33], v[32:33], 1, s[14:15]
	s_or_b64 s[2:3], s[2:3], s[18:19]
	s_xor_b64 s[28:29], s[2:3], -1
	v_mov_b32_e32 v81, 0
	v_lshl_add_u64 v[32:33], v[24:25], 1, v[32:33]
	v_mov_b32_e32 v82, 0
	s_and_saveexec_b64 s[2:3], s[28:29]
	s_cbranch_execz .LBB246_32
; %bb.31:                               ;   in Loop: Header=BB246_22 Depth=1
	flat_load_ushort v82, v[32:33]
	s_waitcnt vmcnt(0) lgkmcnt(0)
	v_mul_f16_e32 v82, v36, v82
.LBB246_32:                             ;   in Loop: Header=BB246_22 Depth=1
	s_or_b64 exec, exec, s[2:3]
	v_pk_max_f16 v102, v2, v2
	v_pk_max_f16 v99, v20, v20
	;; [unrolled: 1-line block ×17, first 2 shown]
	s_or_b64 s[2:3], s[8:9], s[10:11]
	v_pk_min_f16 v2, v102, v99
	v_pk_min_f16 v20, v102, v100
	;; [unrolled: 1-line block ×26, first 2 shown]
	v_pk_max_f16 v123, v3, v3
	v_pk_max_f16 v104, v17, v17
	;; [unrolled: 1-line block ×5, first 2 shown]
	v_pk_min_f16 v113, v5, v120
	v_pk_min_f16 v114, v5, v121
	;; [unrolled: 1-line block ×4, first 2 shown]
	v_pk_max_f16 v5, v7, v7
	v_pk_max_f16 v1, v1, v1
	s_or_b64 s[2:3], s[2:3], s[18:19]
	v_pk_min_f16 v86, v86, v103
	v_pk_min_f16 v89, v89, v103
	;; [unrolled: 1-line block ×34, first 2 shown]
	s_xor_b64 s[10:11], s[2:3], -1
	s_and_saveexec_b64 s[2:3], s[10:11]
	s_cbranch_execz .LBB246_21
; %bb.33:                               ;   in Loop: Header=BB246_22 Depth=1
	flat_load_ushort v32, v[32:33] offset:128
	s_waitcnt vmcnt(0) lgkmcnt(0)
	v_mul_f16_e32 v81, v36, v32
	s_branch .LBB246_21
.LBB246_34:
	s_load_dwordx2 s[2:3], s[0:1], 0x78
	s_load_dword s29, s[0:1], 0x58
	s_load_dword s28, s[0:1], 0x70
	v_add_u32_e32 v8, 0x800, v39
	ds_read2_b64 v[0:3], v8 offset0:112 offset1:120
	ds_read2_b64 v[4:7], v38 offset0:192 offset1:224
	;; [unrolled: 1-line block ×6, first 2 shown]
	s_waitcnt lgkmcnt(0)
	s_lshl_b64 s[0:1], s[2:3], 1
	s_add_u32 s22, s16, s0
	v_add_u32_e32 v70, s31, v35
	s_addc_u32 s23, s17, s1
	v_mad_i64_i32 v[26:27], s[0:1], v70, s29, 0
	v_add_u32_e32 v24, s30, v34
	v_lshl_add_u64 v[42:43], v[26:27], 1, s[24:25]
	v_mad_i64_i32 v[26:27], s[0:1], v70, s28, 0
	v_cmp_gt_i32_e64 s[18:19], s21, v70
	v_lshl_add_u64 v[40:41], v[26:27], 1, s[22:23]
	v_cmp_gt_i32_e64 s[4:5], s20, v24
	v_cndmask_b32_e64 v26, 0, 1, s[12:13]
	s_and_b64 s[6:7], s[4:5], s[18:19]
	v_ashrrev_i32_e32 v25, 31, v24
	v_cmp_ne_u32_e64 s[0:1], 1, v26
	s_and_saveexec_b64 s[2:3], s[6:7]
	s_cbranch_execz .LBB246_39
; %bb.35:
	s_and_b64 vcc, exec, s[0:1]
	s_cbranch_vccnz .LBB246_37
; %bb.36:
	v_lshl_add_u64 v[26:27], v[24:25], 1, v[42:43]
	flat_load_ushort v26, v[26:27]
	s_waitcnt vmcnt(0) lgkmcnt(0)
	v_mul_f16_e32 v26, v44, v26
	s_branch .LBB246_38
.LBB246_37:
	v_mov_b32_e32 v26, 0
.LBB246_38:
	v_pk_max_f16 v27, v20, v20
	v_pk_max_f16 v28, v16, v16
	v_pk_max_f16 v29, v17, v17
	v_pk_min_f16 v27, v28, v27
	v_pk_max_f16 v28, v21, v21
	v_pk_add_f16 v27, v77, v27
	v_pk_min_f16 v28, v29, v28
	s_nop 0
	v_pk_add_f16 v27, v27, v28
	s_nop 0
	v_add_f16_sdwa v27, v27, v27 dst_sel:DWORD dst_unused:UNUSED_PAD src0_sel:DWORD src1_sel:WORD_1
	v_add_f16_e32 v28, v27, v26
	v_lshl_add_u64 v[26:27], v[24:25], 1, v[40:41]
	global_store_short v[26:27], v28, off
.LBB246_39:
	s_or_b64 exec, exec, s[2:3]
	v_add_u32_e32 v26, 8, v24
	v_cmp_gt_i32_e64 s[2:3], s20, v26
	s_and_b64 s[8:9], s[2:3], s[18:19]
	v_ashrrev_i32_e32 v27, 31, v26
	s_and_saveexec_b64 s[6:7], s[8:9]
	s_cbranch_execz .LBB246_44
; %bb.40:
	s_and_b64 vcc, exec, s[0:1]
	s_cbranch_vccnz .LBB246_42
; %bb.41:
	v_lshl_add_u64 v[28:29], v[26:27], 1, v[42:43]
	flat_load_ushort v28, v[28:29]
	s_waitcnt vmcnt(0) lgkmcnt(0)
	v_mul_f16_e32 v28, v44, v28
	s_branch .LBB246_43
.LBB246_42:
	v_mov_b32_e32 v28, 0
.LBB246_43:
	v_pk_max_f16 v29, v20, v20
	v_pk_max_f16 v30, v18, v18
	v_pk_max_f16 v31, v19, v19
	v_pk_min_f16 v29, v30, v29
	v_pk_max_f16 v30, v21, v21
	v_pk_add_f16 v29, v76, v29
	v_pk_min_f16 v30, v31, v30
	s_nop 0
	v_pk_add_f16 v29, v29, v30
	s_nop 0
	v_add_f16_sdwa v29, v29, v29 dst_sel:DWORD dst_unused:UNUSED_PAD src0_sel:DWORD src1_sel:WORD_1
	v_add_f16_e32 v30, v29, v28
	v_lshl_add_u64 v[28:29], v[26:27], 1, v[40:41]
	global_store_short v[28:29], v30, off
.LBB246_44:
	s_or_b64 exec, exec, s[6:7]
	v_add_u32_e32 v28, 16, v24
	v_cmp_gt_i32_e64 s[6:7], s20, v28
	s_and_b64 s[10:11], s[6:7], s[18:19]
	v_ashrrev_i32_e32 v29, 31, v28
	;; [unrolled: 34-line block ×6, first 2 shown]
	s_and_saveexec_b64 s[16:17], s[26:27]
	s_cbranch_execz .LBB246_69
; %bb.65:
	s_and_b64 vcc, exec, s[0:1]
	s_cbranch_vccnz .LBB246_67
; %bb.66:
	v_lshl_add_u64 v[38:39], v[36:37], 1, v[42:43]
	flat_load_ushort v38, v[38:39]
	s_waitcnt vmcnt(0) lgkmcnt(0)
	v_mul_f16_e32 v38, v44, v38
	s_branch .LBB246_68
.LBB246_67:
	v_mov_b32_e32 v38, 0
.LBB246_68:
	v_pk_max_f16 v39, v20, v20
	v_pk_max_f16 v72, v0, v0
	s_nop 0
	v_pk_min_f16 v39, v72, v39
	v_pk_max_f16 v72, v1, v1
	v_pk_add_f16 v39, v71, v39
	v_pk_max_f16 v71, v21, v21
	s_nop 0
	v_pk_min_f16 v71, v72, v71
	s_nop 0
	v_pk_add_f16 v39, v39, v71
	s_nop 0
	v_add_f16_sdwa v39, v39, v39 dst_sel:DWORD dst_unused:UNUSED_PAD src0_sel:DWORD src1_sel:WORD_1
	v_add_f16_e32 v71, v39, v38
	v_lshl_add_u64 v[38:39], v[36:37], 1, v[40:41]
	global_store_short v[38:39], v71, off
.LBB246_69:
	s_or_b64 exec, exec, s[16:17]
	v_add_u32_e32 v38, 56, v24
	v_cmp_gt_i32_e64 s[16:17], s20, v38
	s_and_b64 s[26:27], s[16:17], s[18:19]
	v_ashrrev_i32_e32 v39, 31, v38
	s_and_saveexec_b64 s[18:19], s[26:27]
	s_cbranch_execz .LBB246_74
; %bb.70:
	s_and_b64 vcc, exec, s[0:1]
	s_cbranch_vccnz .LBB246_72
; %bb.71:
	v_lshl_add_u64 v[42:43], v[38:39], 1, v[42:43]
	flat_load_ushort v42, v[42:43]
	s_waitcnt vmcnt(0) lgkmcnt(0)
	v_mul_f16_e32 v42, v44, v42
	s_branch .LBB246_73
.LBB246_72:
	v_mov_b32_e32 v42, 0
.LBB246_73:
	v_pk_max_f16 v20, v20, v20
	v_pk_max_f16 v43, v2, v2
	;; [unrolled: 1-line block ×3, first 2 shown]
	v_pk_min_f16 v20, v43, v20
	v_pk_max_f16 v43, v3, v3
	v_pk_add_f16 v20, v69, v20
	v_pk_min_f16 v21, v43, v21
	s_nop 0
	v_pk_add_f16 v20, v20, v21
	s_nop 0
	v_add_f16_sdwa v20, v20, v20 dst_sel:DWORD dst_unused:UNUSED_PAD src0_sel:DWORD src1_sel:WORD_1
	v_add_f16_e32 v42, v20, v42
	v_lshl_add_u64 v[20:21], v[38:39], 1, v[40:41]
	global_store_short v[20:21], v42, off
.LBB246_74:
	s_or_b64 exec, exec, s[18:19]
	v_add_u32_e32 v42, 32, v70
	v_mad_i64_i32 v[20:21], s[26:27], v42, s29, 0
	v_cmp_gt_i32_e64 s[18:19], s21, v42
	v_lshl_add_u64 v[40:41], v[20:21], 1, s[24:25]
	v_mad_i64_i32 v[20:21], s[26:27], v42, s28, 0
	v_lshl_add_u64 v[20:21], v[20:21], 1, s[22:23]
	s_and_b64 s[30:31], s[4:5], s[18:19]
	s_and_saveexec_b64 s[26:27], s[30:31]
	s_cbranch_execnz .LBB246_82
; %bb.75:
	s_or_b64 exec, exec, s[26:27]
	s_and_b64 s[30:31], s[2:3], s[18:19]
	s_and_saveexec_b64 s[26:27], s[30:31]
	s_cbranch_execnz .LBB246_86
.LBB246_76:
	s_or_b64 exec, exec, s[26:27]
	s_and_b64 s[30:31], s[6:7], s[18:19]
	s_and_saveexec_b64 s[26:27], s[30:31]
	s_cbranch_execnz .LBB246_90
.LBB246_77:
	s_or_b64 exec, exec, s[26:27]
	s_and_b64 s[30:31], s[8:9], s[18:19]
	s_and_saveexec_b64 s[26:27], s[30:31]
	s_cbranch_execnz .LBB246_94
.LBB246_78:
	s_or_b64 exec, exec, s[26:27]
	s_and_b64 s[30:31], s[10:11], s[18:19]
	s_and_saveexec_b64 s[26:27], s[30:31]
	s_cbranch_execnz .LBB246_98
.LBB246_79:
	s_or_b64 exec, exec, s[26:27]
	s_and_b64 s[30:31], s[12:13], s[18:19]
	s_and_saveexec_b64 s[26:27], s[30:31]
	s_cbranch_execnz .LBB246_102
.LBB246_80:
	s_or_b64 exec, exec, s[26:27]
	s_and_b64 s[30:31], s[14:15], s[18:19]
	s_and_saveexec_b64 s[26:27], s[30:31]
	s_cbranch_execnz .LBB246_106
.LBB246_81:
	s_or_b64 exec, exec, s[26:27]
	s_and_b64 s[26:27], s[16:17], s[18:19]
	s_and_saveexec_b64 s[18:19], s[26:27]
	s_cbranch_execnz .LBB246_110
	s_branch .LBB246_114
.LBB246_82:
	s_and_b64 vcc, exec, s[0:1]
	s_cbranch_vccnz .LBB246_84
; %bb.83:
	v_lshl_add_u64 v[42:43], v[24:25], 1, v[40:41]
	flat_load_ushort v42, v[42:43]
	s_waitcnt vmcnt(0) lgkmcnt(0)
	v_mul_f16_e32 v42, v44, v42
	s_branch .LBB246_85
.LBB246_84:
	v_mov_b32_e32 v42, 0
.LBB246_85:
	v_pk_max_f16 v43, v22, v22
	v_pk_max_f16 v69, v16, v16
	s_nop 0
	v_pk_min_f16 v43, v69, v43
	v_pk_max_f16 v69, v17, v17
	v_pk_add_f16 v43, v68, v43
	v_pk_max_f16 v68, v23, v23
	s_nop 0
	v_pk_min_f16 v68, v69, v68
	s_nop 0
	v_pk_add_f16 v43, v43, v68
	s_nop 0
	v_add_f16_sdwa v43, v43, v43 dst_sel:DWORD dst_unused:UNUSED_PAD src0_sel:DWORD src1_sel:WORD_1
	v_add_f16_e32 v68, v43, v42
	v_lshl_add_u64 v[42:43], v[24:25], 1, v[20:21]
	global_store_short v[42:43], v68, off
	s_or_b64 exec, exec, s[26:27]
	s_and_b64 s[30:31], s[2:3], s[18:19]
	s_and_saveexec_b64 s[26:27], s[30:31]
	s_cbranch_execz .LBB246_76
.LBB246_86:
	s_and_b64 vcc, exec, s[0:1]
	s_cbranch_vccnz .LBB246_88
; %bb.87:
	v_lshl_add_u64 v[42:43], v[26:27], 1, v[40:41]
	flat_load_ushort v42, v[42:43]
	s_waitcnt vmcnt(0) lgkmcnt(0)
	v_mul_f16_e32 v42, v44, v42
	s_branch .LBB246_89
.LBB246_88:
	v_mov_b32_e32 v42, 0
.LBB246_89:
	v_pk_max_f16 v43, v22, v22
	v_pk_max_f16 v68, v18, v18
	s_nop 0
	v_pk_min_f16 v43, v68, v43
	v_pk_max_f16 v68, v19, v19
	v_pk_add_f16 v43, v67, v43
	v_pk_max_f16 v67, v23, v23
	s_nop 0
	v_pk_min_f16 v67, v68, v67
	s_nop 0
	v_pk_add_f16 v43, v43, v67
	s_nop 0
	v_add_f16_sdwa v43, v43, v43 dst_sel:DWORD dst_unused:UNUSED_PAD src0_sel:DWORD src1_sel:WORD_1
	v_add_f16_e32 v67, v43, v42
	v_lshl_add_u64 v[42:43], v[26:27], 1, v[20:21]
	global_store_short v[42:43], v67, off
	s_or_b64 exec, exec, s[26:27]
	s_and_b64 s[30:31], s[6:7], s[18:19]
	s_and_saveexec_b64 s[26:27], s[30:31]
	s_cbranch_execz .LBB246_77
.LBB246_90:
	s_and_b64 vcc, exec, s[0:1]
	s_cbranch_vccnz .LBB246_92
; %bb.91:
	v_lshl_add_u64 v[42:43], v[28:29], 1, v[40:41]
	flat_load_ushort v42, v[42:43]
	s_waitcnt vmcnt(0) lgkmcnt(0)
	v_mul_f16_e32 v42, v44, v42
	s_branch .LBB246_93
.LBB246_92:
	v_mov_b32_e32 v42, 0
.LBB246_93:
	v_pk_max_f16 v43, v22, v22
	v_pk_max_f16 v67, v12, v12
	s_nop 0
	v_pk_min_f16 v43, v67, v43
	v_pk_max_f16 v67, v13, v13
	v_pk_add_f16 v43, v66, v43
	v_pk_max_f16 v66, v23, v23
	s_nop 0
	v_pk_min_f16 v66, v67, v66
	s_nop 0
	v_pk_add_f16 v43, v43, v66
	s_nop 0
	v_add_f16_sdwa v43, v43, v43 dst_sel:DWORD dst_unused:UNUSED_PAD src0_sel:DWORD src1_sel:WORD_1
	v_add_f16_e32 v66, v43, v42
	v_lshl_add_u64 v[42:43], v[28:29], 1, v[20:21]
	global_store_short v[42:43], v66, off
	s_or_b64 exec, exec, s[26:27]
	s_and_b64 s[30:31], s[8:9], s[18:19]
	s_and_saveexec_b64 s[26:27], s[30:31]
	s_cbranch_execz .LBB246_78
.LBB246_94:
	s_and_b64 vcc, exec, s[0:1]
	s_cbranch_vccnz .LBB246_96
; %bb.95:
	v_lshl_add_u64 v[42:43], v[30:31], 1, v[40:41]
	flat_load_ushort v42, v[42:43]
	s_waitcnt vmcnt(0) lgkmcnt(0)
	v_mul_f16_e32 v42, v44, v42
	s_branch .LBB246_97
.LBB246_96:
	v_mov_b32_e32 v42, 0
.LBB246_97:
	v_pk_max_f16 v43, v22, v22
	v_pk_max_f16 v66, v14, v14
	s_nop 0
	v_pk_min_f16 v43, v66, v43
	v_pk_max_f16 v66, v15, v15
	v_pk_add_f16 v43, v65, v43
	v_pk_max_f16 v65, v23, v23
	s_nop 0
	v_pk_min_f16 v65, v66, v65
	s_nop 0
	v_pk_add_f16 v43, v43, v65
	s_nop 0
	v_add_f16_sdwa v43, v43, v43 dst_sel:DWORD dst_unused:UNUSED_PAD src0_sel:DWORD src1_sel:WORD_1
	v_add_f16_e32 v65, v43, v42
	v_lshl_add_u64 v[42:43], v[30:31], 1, v[20:21]
	global_store_short v[42:43], v65, off
	s_or_b64 exec, exec, s[26:27]
	s_and_b64 s[30:31], s[10:11], s[18:19]
	s_and_saveexec_b64 s[26:27], s[30:31]
	s_cbranch_execz .LBB246_79
.LBB246_98:
	s_and_b64 vcc, exec, s[0:1]
	s_cbranch_vccnz .LBB246_100
; %bb.99:
	v_lshl_add_u64 v[42:43], v[32:33], 1, v[40:41]
	flat_load_ushort v42, v[42:43]
	s_waitcnt vmcnt(0) lgkmcnt(0)
	v_mul_f16_e32 v42, v44, v42
	s_branch .LBB246_101
.LBB246_100:
	v_mov_b32_e32 v42, 0
.LBB246_101:
	v_pk_max_f16 v43, v22, v22
	v_pk_max_f16 v65, v8, v8
	s_nop 0
	v_pk_min_f16 v43, v65, v43
	v_pk_max_f16 v65, v9, v9
	v_pk_add_f16 v43, v64, v43
	v_pk_max_f16 v64, v23, v23
	s_nop 0
	v_pk_min_f16 v64, v65, v64
	s_nop 0
	v_pk_add_f16 v43, v43, v64
	s_nop 0
	v_add_f16_sdwa v43, v43, v43 dst_sel:DWORD dst_unused:UNUSED_PAD src0_sel:DWORD src1_sel:WORD_1
	v_add_f16_e32 v64, v43, v42
	v_lshl_add_u64 v[42:43], v[32:33], 1, v[20:21]
	global_store_short v[42:43], v64, off
	s_or_b64 exec, exec, s[26:27]
	s_and_b64 s[30:31], s[12:13], s[18:19]
	s_and_saveexec_b64 s[26:27], s[30:31]
	s_cbranch_execz .LBB246_80
.LBB246_102:
	s_and_b64 vcc, exec, s[0:1]
	s_cbranch_vccnz .LBB246_104
; %bb.103:
	v_lshl_add_u64 v[42:43], v[34:35], 1, v[40:41]
	flat_load_ushort v42, v[42:43]
	s_waitcnt vmcnt(0) lgkmcnt(0)
	v_mul_f16_e32 v42, v44, v42
	s_branch .LBB246_105
.LBB246_104:
	v_mov_b32_e32 v42, 0
.LBB246_105:
	v_pk_max_f16 v43, v22, v22
	v_pk_max_f16 v64, v10, v10
	s_nop 0
	v_pk_min_f16 v43, v64, v43
	v_pk_max_f16 v64, v11, v11
	v_pk_add_f16 v43, v63, v43
	v_pk_max_f16 v63, v23, v23
	s_nop 0
	v_pk_min_f16 v63, v64, v63
	s_nop 0
	v_pk_add_f16 v43, v43, v63
	s_nop 0
	v_add_f16_sdwa v43, v43, v43 dst_sel:DWORD dst_unused:UNUSED_PAD src0_sel:DWORD src1_sel:WORD_1
	v_add_f16_e32 v63, v43, v42
	v_lshl_add_u64 v[42:43], v[34:35], 1, v[20:21]
	global_store_short v[42:43], v63, off
	s_or_b64 exec, exec, s[26:27]
	s_and_b64 s[30:31], s[14:15], s[18:19]
	s_and_saveexec_b64 s[26:27], s[30:31]
	s_cbranch_execz .LBB246_81
.LBB246_106:
	s_and_b64 vcc, exec, s[0:1]
	s_cbranch_vccnz .LBB246_108
; %bb.107:
	v_lshl_add_u64 v[42:43], v[36:37], 1, v[40:41]
	flat_load_ushort v42, v[42:43]
	s_waitcnt vmcnt(0) lgkmcnt(0)
	v_mul_f16_e32 v42, v44, v42
	s_branch .LBB246_109
.LBB246_108:
	v_mov_b32_e32 v42, 0
.LBB246_109:
	v_pk_max_f16 v43, v22, v22
	v_pk_max_f16 v63, v0, v0
	s_nop 0
	v_pk_min_f16 v43, v63, v43
	v_pk_max_f16 v63, v1, v1
	v_pk_add_f16 v43, v62, v43
	v_pk_max_f16 v62, v23, v23
	s_nop 0
	v_pk_min_f16 v62, v63, v62
	s_nop 0
	v_pk_add_f16 v43, v43, v62
	s_nop 0
	v_add_f16_sdwa v43, v43, v43 dst_sel:DWORD dst_unused:UNUSED_PAD src0_sel:DWORD src1_sel:WORD_1
	v_add_f16_e32 v62, v43, v42
	v_lshl_add_u64 v[42:43], v[36:37], 1, v[20:21]
	global_store_short v[42:43], v62, off
	s_or_b64 exec, exec, s[26:27]
	s_and_b64 s[26:27], s[16:17], s[18:19]
	s_and_saveexec_b64 s[18:19], s[26:27]
	s_cbranch_execz .LBB246_114
.LBB246_110:
	s_and_b64 vcc, exec, s[0:1]
	s_cbranch_vccnz .LBB246_112
; %bb.111:
	v_lshl_add_u64 v[40:41], v[38:39], 1, v[40:41]
	flat_load_ushort v40, v[40:41]
	s_waitcnt vmcnt(0) lgkmcnt(0)
	v_mul_f16_e32 v40, v44, v40
	s_branch .LBB246_113
.LBB246_112:
	v_mov_b32_e32 v40, 0
.LBB246_113:
	v_pk_max_f16 v22, v22, v22
	v_pk_max_f16 v41, v2, v2
	;; [unrolled: 1-line block ×3, first 2 shown]
	v_pk_min_f16 v22, v41, v22
	v_pk_max_f16 v41, v3, v3
	v_pk_add_f16 v22, v61, v22
	v_pk_min_f16 v23, v41, v23
	v_lshl_add_u64 v[20:21], v[38:39], 1, v[20:21]
	v_pk_add_f16 v22, v22, v23
	s_nop 0
	v_add_f16_sdwa v22, v22, v22 dst_sel:DWORD dst_unused:UNUSED_PAD src0_sel:DWORD src1_sel:WORD_1
	v_add_f16_e32 v22, v22, v40
	global_store_short v[20:21], v22, off
.LBB246_114:
	s_or_b64 exec, exec, s[18:19]
	v_add_u32_e32 v40, 64, v70
	v_mad_i64_i32 v[20:21], s[26:27], v40, s29, 0
	v_cmp_gt_i32_e64 s[18:19], s21, v40
	v_lshl_add_u64 v[22:23], v[20:21], 1, s[24:25]
	v_mad_i64_i32 v[20:21], s[26:27], v40, s28, 0
	v_lshl_add_u64 v[20:21], v[20:21], 1, s[22:23]
	s_and_b64 s[30:31], s[4:5], s[18:19]
	s_and_saveexec_b64 s[26:27], s[30:31]
	s_cbranch_execnz .LBB246_122
; %bb.115:
	s_or_b64 exec, exec, s[26:27]
	s_and_b64 s[30:31], s[2:3], s[18:19]
	s_and_saveexec_b64 s[26:27], s[30:31]
	s_cbranch_execnz .LBB246_126
.LBB246_116:
	s_or_b64 exec, exec, s[26:27]
	s_and_b64 s[30:31], s[6:7], s[18:19]
	s_and_saveexec_b64 s[26:27], s[30:31]
	s_cbranch_execnz .LBB246_130
.LBB246_117:
	s_or_b64 exec, exec, s[26:27]
	s_and_b64 s[30:31], s[8:9], s[18:19]
	s_and_saveexec_b64 s[26:27], s[30:31]
	s_cbranch_execnz .LBB246_134
.LBB246_118:
	s_or_b64 exec, exec, s[26:27]
	s_and_b64 s[30:31], s[10:11], s[18:19]
	s_and_saveexec_b64 s[26:27], s[30:31]
	s_cbranch_execnz .LBB246_138
.LBB246_119:
	s_or_b64 exec, exec, s[26:27]
	s_and_b64 s[30:31], s[12:13], s[18:19]
	s_and_saveexec_b64 s[26:27], s[30:31]
	s_cbranch_execnz .LBB246_142
.LBB246_120:
	s_or_b64 exec, exec, s[26:27]
	s_and_b64 s[30:31], s[14:15], s[18:19]
	s_and_saveexec_b64 s[26:27], s[30:31]
	s_cbranch_execnz .LBB246_146
.LBB246_121:
	s_or_b64 exec, exec, s[26:27]
	s_and_b64 s[26:27], s[16:17], s[18:19]
	s_and_saveexec_b64 s[18:19], s[26:27]
	s_cbranch_execnz .LBB246_150
	s_branch .LBB246_154
.LBB246_122:
	s_and_b64 vcc, exec, s[0:1]
	s_cbranch_vccnz .LBB246_124
; %bb.123:
	v_lshl_add_u64 v[40:41], v[24:25], 1, v[22:23]
	flat_load_ushort v40, v[40:41]
	s_waitcnt vmcnt(0) lgkmcnt(0)
	v_mul_f16_e32 v40, v44, v40
	s_branch .LBB246_125
.LBB246_124:
	v_mov_b32_e32 v40, 0
.LBB246_125:
	v_pk_max_f16 v41, v4, v4
	v_pk_max_f16 v42, v16, v16
	;; [unrolled: 1-line block ×3, first 2 shown]
	v_pk_min_f16 v41, v42, v41
	v_pk_max_f16 v42, v5, v5
	v_pk_add_f16 v41, v60, v41
	v_pk_min_f16 v42, v43, v42
	s_nop 0
	v_pk_add_f16 v41, v41, v42
	s_nop 0
	v_add_f16_sdwa v41, v41, v41 dst_sel:DWORD dst_unused:UNUSED_PAD src0_sel:DWORD src1_sel:WORD_1
	v_add_f16_e32 v42, v41, v40
	v_lshl_add_u64 v[40:41], v[24:25], 1, v[20:21]
	global_store_short v[40:41], v42, off
	s_or_b64 exec, exec, s[26:27]
	s_and_b64 s[30:31], s[2:3], s[18:19]
	s_and_saveexec_b64 s[26:27], s[30:31]
	s_cbranch_execz .LBB246_116
.LBB246_126:
	s_and_b64 vcc, exec, s[0:1]
	s_cbranch_vccnz .LBB246_128
; %bb.127:
	v_lshl_add_u64 v[40:41], v[26:27], 1, v[22:23]
	flat_load_ushort v40, v[40:41]
	s_waitcnt vmcnt(0) lgkmcnt(0)
	v_mul_f16_e32 v40, v44, v40
	s_branch .LBB246_129
.LBB246_128:
	v_mov_b32_e32 v40, 0
.LBB246_129:
	v_pk_max_f16 v41, v4, v4
	v_pk_max_f16 v42, v18, v18
	;; [unrolled: 1-line block ×3, first 2 shown]
	v_pk_min_f16 v41, v42, v41
	v_pk_max_f16 v42, v5, v5
	v_pk_add_f16 v41, v59, v41
	v_pk_min_f16 v42, v43, v42
	s_nop 0
	v_pk_add_f16 v41, v41, v42
	s_nop 0
	v_add_f16_sdwa v41, v41, v41 dst_sel:DWORD dst_unused:UNUSED_PAD src0_sel:DWORD src1_sel:WORD_1
	v_add_f16_e32 v42, v41, v40
	v_lshl_add_u64 v[40:41], v[26:27], 1, v[20:21]
	global_store_short v[40:41], v42, off
	s_or_b64 exec, exec, s[26:27]
	s_and_b64 s[30:31], s[6:7], s[18:19]
	s_and_saveexec_b64 s[26:27], s[30:31]
	s_cbranch_execz .LBB246_117
.LBB246_130:
	s_and_b64 vcc, exec, s[0:1]
	s_cbranch_vccnz .LBB246_132
; %bb.131:
	v_lshl_add_u64 v[40:41], v[28:29], 1, v[22:23]
	flat_load_ushort v40, v[40:41]
	s_waitcnt vmcnt(0) lgkmcnt(0)
	v_mul_f16_e32 v40, v44, v40
	s_branch .LBB246_133
.LBB246_132:
	v_mov_b32_e32 v40, 0
.LBB246_133:
	v_pk_max_f16 v41, v4, v4
	v_pk_max_f16 v42, v12, v12
	v_pk_max_f16 v43, v13, v13
	v_pk_min_f16 v41, v42, v41
	v_pk_max_f16 v42, v5, v5
	v_pk_add_f16 v41, v58, v41
	v_pk_min_f16 v42, v43, v42
	s_nop 0
	v_pk_add_f16 v41, v41, v42
	s_nop 0
	v_add_f16_sdwa v41, v41, v41 dst_sel:DWORD dst_unused:UNUSED_PAD src0_sel:DWORD src1_sel:WORD_1
	v_add_f16_e32 v42, v41, v40
	v_lshl_add_u64 v[40:41], v[28:29], 1, v[20:21]
	global_store_short v[40:41], v42, off
	s_or_b64 exec, exec, s[26:27]
	s_and_b64 s[30:31], s[8:9], s[18:19]
	s_and_saveexec_b64 s[26:27], s[30:31]
	s_cbranch_execz .LBB246_118
.LBB246_134:
	s_and_b64 vcc, exec, s[0:1]
	s_cbranch_vccnz .LBB246_136
; %bb.135:
	v_lshl_add_u64 v[40:41], v[30:31], 1, v[22:23]
	flat_load_ushort v40, v[40:41]
	s_waitcnt vmcnt(0) lgkmcnt(0)
	v_mul_f16_e32 v40, v44, v40
	s_branch .LBB246_137
.LBB246_136:
	v_mov_b32_e32 v40, 0
.LBB246_137:
	v_pk_max_f16 v41, v4, v4
	v_pk_max_f16 v42, v14, v14
	;; [unrolled: 1-line block ×3, first 2 shown]
	v_pk_min_f16 v41, v42, v41
	v_pk_max_f16 v42, v5, v5
	v_pk_add_f16 v41, v57, v41
	v_pk_min_f16 v42, v43, v42
	s_nop 0
	v_pk_add_f16 v41, v41, v42
	s_nop 0
	v_add_f16_sdwa v41, v41, v41 dst_sel:DWORD dst_unused:UNUSED_PAD src0_sel:DWORD src1_sel:WORD_1
	v_add_f16_e32 v42, v41, v40
	v_lshl_add_u64 v[40:41], v[30:31], 1, v[20:21]
	global_store_short v[40:41], v42, off
	s_or_b64 exec, exec, s[26:27]
	s_and_b64 s[30:31], s[10:11], s[18:19]
	s_and_saveexec_b64 s[26:27], s[30:31]
	s_cbranch_execz .LBB246_119
.LBB246_138:
	s_and_b64 vcc, exec, s[0:1]
	s_cbranch_vccnz .LBB246_140
; %bb.139:
	v_lshl_add_u64 v[40:41], v[32:33], 1, v[22:23]
	flat_load_ushort v40, v[40:41]
	s_waitcnt vmcnt(0) lgkmcnt(0)
	v_mul_f16_e32 v40, v44, v40
	s_branch .LBB246_141
.LBB246_140:
	v_mov_b32_e32 v40, 0
.LBB246_141:
	v_pk_max_f16 v41, v4, v4
	v_pk_max_f16 v42, v8, v8
	;; [unrolled: 1-line block ×3, first 2 shown]
	v_pk_min_f16 v41, v42, v41
	v_pk_max_f16 v42, v5, v5
	v_pk_add_f16 v41, v56, v41
	v_pk_min_f16 v42, v43, v42
	s_nop 0
	v_pk_add_f16 v41, v41, v42
	s_nop 0
	v_add_f16_sdwa v41, v41, v41 dst_sel:DWORD dst_unused:UNUSED_PAD src0_sel:DWORD src1_sel:WORD_1
	v_add_f16_e32 v42, v41, v40
	v_lshl_add_u64 v[40:41], v[32:33], 1, v[20:21]
	global_store_short v[40:41], v42, off
	s_or_b64 exec, exec, s[26:27]
	s_and_b64 s[30:31], s[12:13], s[18:19]
	s_and_saveexec_b64 s[26:27], s[30:31]
	s_cbranch_execz .LBB246_120
.LBB246_142:
	s_and_b64 vcc, exec, s[0:1]
	s_cbranch_vccnz .LBB246_144
; %bb.143:
	v_lshl_add_u64 v[40:41], v[34:35], 1, v[22:23]
	flat_load_ushort v40, v[40:41]
	s_waitcnt vmcnt(0) lgkmcnt(0)
	v_mul_f16_e32 v40, v44, v40
	s_branch .LBB246_145
.LBB246_144:
	v_mov_b32_e32 v40, 0
.LBB246_145:
	v_pk_max_f16 v41, v4, v4
	v_pk_max_f16 v42, v10, v10
	;; [unrolled: 1-line block ×3, first 2 shown]
	v_pk_min_f16 v41, v42, v41
	v_pk_max_f16 v42, v5, v5
	v_pk_add_f16 v41, v55, v41
	v_pk_min_f16 v42, v43, v42
	s_nop 0
	v_pk_add_f16 v41, v41, v42
	s_nop 0
	v_add_f16_sdwa v41, v41, v41 dst_sel:DWORD dst_unused:UNUSED_PAD src0_sel:DWORD src1_sel:WORD_1
	v_add_f16_e32 v42, v41, v40
	v_lshl_add_u64 v[40:41], v[34:35], 1, v[20:21]
	global_store_short v[40:41], v42, off
	s_or_b64 exec, exec, s[26:27]
	s_and_b64 s[30:31], s[14:15], s[18:19]
	s_and_saveexec_b64 s[26:27], s[30:31]
	s_cbranch_execz .LBB246_121
.LBB246_146:
	s_and_b64 vcc, exec, s[0:1]
	s_cbranch_vccnz .LBB246_148
; %bb.147:
	v_lshl_add_u64 v[40:41], v[36:37], 1, v[22:23]
	flat_load_ushort v40, v[40:41]
	s_waitcnt vmcnt(0) lgkmcnt(0)
	v_mul_f16_e32 v40, v44, v40
	s_branch .LBB246_149
.LBB246_148:
	v_mov_b32_e32 v40, 0
.LBB246_149:
	v_pk_max_f16 v41, v4, v4
	v_pk_max_f16 v42, v0, v0
	;; [unrolled: 1-line block ×3, first 2 shown]
	v_pk_min_f16 v41, v42, v41
	v_pk_max_f16 v42, v5, v5
	v_pk_add_f16 v41, v54, v41
	v_pk_min_f16 v42, v43, v42
	s_nop 0
	v_pk_add_f16 v41, v41, v42
	s_nop 0
	v_add_f16_sdwa v41, v41, v41 dst_sel:DWORD dst_unused:UNUSED_PAD src0_sel:DWORD src1_sel:WORD_1
	v_add_f16_e32 v42, v41, v40
	v_lshl_add_u64 v[40:41], v[36:37], 1, v[20:21]
	global_store_short v[40:41], v42, off
	s_or_b64 exec, exec, s[26:27]
	s_and_b64 s[26:27], s[16:17], s[18:19]
	s_and_saveexec_b64 s[18:19], s[26:27]
	s_cbranch_execz .LBB246_154
.LBB246_150:
	s_and_b64 vcc, exec, s[0:1]
	s_cbranch_vccnz .LBB246_152
; %bb.151:
	v_lshl_add_u64 v[22:23], v[38:39], 1, v[22:23]
	flat_load_ushort v22, v[22:23]
	s_waitcnt vmcnt(0) lgkmcnt(0)
	v_mul_f16_e32 v22, v44, v22
	s_branch .LBB246_153
.LBB246_152:
	v_mov_b32_e32 v22, 0
.LBB246_153:
	v_pk_max_f16 v4, v4, v4
	v_pk_max_f16 v23, v2, v2
	;; [unrolled: 1-line block ×3, first 2 shown]
	v_pk_min_f16 v4, v23, v4
	v_pk_max_f16 v23, v3, v3
	v_pk_add_f16 v4, v53, v4
	v_pk_min_f16 v5, v23, v5
	s_nop 0
	v_pk_add_f16 v4, v4, v5
	s_nop 0
	v_add_f16_sdwa v4, v4, v4 dst_sel:DWORD dst_unused:UNUSED_PAD src0_sel:DWORD src1_sel:WORD_1
	v_add_f16_e32 v22, v4, v22
	v_lshl_add_u64 v[4:5], v[38:39], 1, v[20:21]
	global_store_short v[4:5], v22, off
.LBB246_154:
	s_or_b64 exec, exec, s[18:19]
	v_add_u32_e32 v22, 0x60, v70
	v_cmp_gt_i32_e64 s[18:19], s21, v22
	v_mad_i64_i32 v[4:5], s[20:21], v22, s29, 0
	v_lshl_add_u64 v[20:21], v[4:5], 1, s[24:25]
	v_mad_i64_i32 v[4:5], s[20:21], v22, s28, 0
	v_lshl_add_u64 v[4:5], v[4:5], 1, s[22:23]
	s_and_b64 s[20:21], s[4:5], s[18:19]
	s_and_saveexec_b64 s[4:5], s[20:21]
	s_cbranch_execnz .LBB246_163
; %bb.155:
	s_or_b64 exec, exec, s[4:5]
	s_and_b64 s[4:5], s[2:3], s[18:19]
	s_and_saveexec_b64 s[2:3], s[4:5]
	s_cbranch_execnz .LBB246_167
.LBB246_156:
	s_or_b64 exec, exec, s[2:3]
	s_and_b64 s[4:5], s[6:7], s[18:19]
	s_and_saveexec_b64 s[2:3], s[4:5]
	s_cbranch_execnz .LBB246_171
.LBB246_157:
	s_or_b64 exec, exec, s[2:3]
	s_and_b64 s[4:5], s[8:9], s[18:19]
	s_and_saveexec_b64 s[2:3], s[4:5]
	s_cbranch_execnz .LBB246_175
.LBB246_158:
	s_or_b64 exec, exec, s[2:3]
	s_and_b64 s[4:5], s[10:11], s[18:19]
	s_and_saveexec_b64 s[2:3], s[4:5]
	s_cbranch_execnz .LBB246_179
.LBB246_159:
	s_or_b64 exec, exec, s[2:3]
	s_and_b64 s[4:5], s[12:13], s[18:19]
	s_and_saveexec_b64 s[2:3], s[4:5]
	s_cbranch_execnz .LBB246_183
.LBB246_160:
	s_or_b64 exec, exec, s[2:3]
	s_and_b64 s[4:5], s[14:15], s[18:19]
	s_and_saveexec_b64 s[2:3], s[4:5]
	s_cbranch_execnz .LBB246_187
.LBB246_161:
	s_or_b64 exec, exec, s[2:3]
	s_and_b64 s[2:3], s[16:17], s[18:19]
	s_and_saveexec_b64 s[4:5], s[2:3]
	s_cbranch_execnz .LBB246_191
.LBB246_162:
	s_endpgm
.LBB246_163:
	s_and_b64 vcc, exec, s[0:1]
	s_cbranch_vccnz .LBB246_165
; %bb.164:
	v_lshl_add_u64 v[22:23], v[24:25], 1, v[20:21]
	flat_load_ushort v22, v[22:23]
	s_waitcnt vmcnt(0) lgkmcnt(0)
	v_mul_f16_e32 v22, v44, v22
	s_branch .LBB246_166
.LBB246_165:
	v_mov_b32_e32 v22, 0
.LBB246_166:
	v_pk_max_f16 v23, v6, v6
	v_pk_max_f16 v16, v16, v16
	;; [unrolled: 1-line block ×3, first 2 shown]
	v_pk_min_f16 v16, v16, v23
	v_pk_max_f16 v23, v7, v7
	v_pk_add_f16 v16, v52, v16
	v_pk_min_f16 v17, v17, v23
	s_nop 0
	v_pk_add_f16 v16, v16, v17
	s_nop 0
	v_add_f16_sdwa v16, v16, v16 dst_sel:DWORD dst_unused:UNUSED_PAD src0_sel:DWORD src1_sel:WORD_1
	v_add_f16_e32 v22, v16, v22
	v_lshl_add_u64 v[16:17], v[24:25], 1, v[4:5]
	global_store_short v[16:17], v22, off
	s_or_b64 exec, exec, s[4:5]
	s_and_b64 s[4:5], s[2:3], s[18:19]
	s_and_saveexec_b64 s[2:3], s[4:5]
	s_cbranch_execz .LBB246_156
.LBB246_167:
	s_and_b64 vcc, exec, s[0:1]
	s_cbranch_vccnz .LBB246_169
; %bb.168:
	v_lshl_add_u64 v[16:17], v[26:27], 1, v[20:21]
	flat_load_ushort v16, v[16:17]
	s_waitcnt vmcnt(0) lgkmcnt(0)
	v_mul_f16_e32 v16, v44, v16
	s_branch .LBB246_170
.LBB246_169:
	v_mov_b32_e32 v16, 0
.LBB246_170:
	v_pk_max_f16 v17, v6, v6
	v_pk_max_f16 v18, v18, v18
	;; [unrolled: 1-line block ×3, first 2 shown]
	v_pk_min_f16 v17, v18, v17
	v_pk_max_f16 v18, v7, v7
	v_pk_add_f16 v17, v51, v17
	v_pk_min_f16 v18, v19, v18
	s_nop 0
	v_pk_add_f16 v17, v17, v18
	s_nop 0
	v_add_f16_sdwa v17, v17, v17 dst_sel:DWORD dst_unused:UNUSED_PAD src0_sel:DWORD src1_sel:WORD_1
	v_add_f16_e32 v18, v17, v16
	v_lshl_add_u64 v[16:17], v[26:27], 1, v[4:5]
	global_store_short v[16:17], v18, off
	s_or_b64 exec, exec, s[2:3]
	s_and_b64 s[4:5], s[6:7], s[18:19]
	s_and_saveexec_b64 s[2:3], s[4:5]
	s_cbranch_execz .LBB246_157
.LBB246_171:
	s_and_b64 vcc, exec, s[0:1]
	s_cbranch_vccnz .LBB246_173
; %bb.172:
	v_lshl_add_u64 v[16:17], v[28:29], 1, v[20:21]
	flat_load_ushort v16, v[16:17]
	s_waitcnt vmcnt(0) lgkmcnt(0)
	v_mul_f16_e32 v16, v44, v16
	s_branch .LBB246_174
.LBB246_173:
	v_mov_b32_e32 v16, 0
.LBB246_174:
	v_pk_max_f16 v17, v6, v6
	v_pk_max_f16 v12, v12, v12
	v_pk_max_f16 v13, v13, v13
	v_pk_min_f16 v12, v12, v17
	v_pk_max_f16 v17, v7, v7
	v_pk_add_f16 v12, v50, v12
	v_pk_min_f16 v13, v13, v17
	s_nop 0
	v_pk_add_f16 v12, v12, v13
	s_nop 0
	v_add_f16_sdwa v12, v12, v12 dst_sel:DWORD dst_unused:UNUSED_PAD src0_sel:DWORD src1_sel:WORD_1
	v_add_f16_e32 v16, v12, v16
	v_lshl_add_u64 v[12:13], v[28:29], 1, v[4:5]
	global_store_short v[12:13], v16, off
	s_or_b64 exec, exec, s[2:3]
	s_and_b64 s[4:5], s[8:9], s[18:19]
	s_and_saveexec_b64 s[2:3], s[4:5]
	s_cbranch_execz .LBB246_158
.LBB246_175:
	s_and_b64 vcc, exec, s[0:1]
	s_cbranch_vccnz .LBB246_177
; %bb.176:
	v_lshl_add_u64 v[12:13], v[30:31], 1, v[20:21]
	flat_load_ushort v12, v[12:13]
	s_waitcnt vmcnt(0) lgkmcnt(0)
	v_mul_f16_e32 v12, v44, v12
	s_branch .LBB246_178
.LBB246_177:
	v_mov_b32_e32 v12, 0
.LBB246_178:
	v_pk_max_f16 v13, v6, v6
	v_pk_max_f16 v14, v14, v14
	;; [unrolled: 1-line block ×3, first 2 shown]
	v_pk_min_f16 v13, v14, v13
	v_pk_max_f16 v14, v7, v7
	v_pk_add_f16 v13, v49, v13
	v_pk_min_f16 v14, v15, v14
	s_nop 0
	v_pk_add_f16 v13, v13, v14
	s_nop 0
	v_add_f16_sdwa v13, v13, v13 dst_sel:DWORD dst_unused:UNUSED_PAD src0_sel:DWORD src1_sel:WORD_1
	v_add_f16_e32 v14, v13, v12
	v_lshl_add_u64 v[12:13], v[30:31], 1, v[4:5]
	global_store_short v[12:13], v14, off
	s_or_b64 exec, exec, s[2:3]
	s_and_b64 s[4:5], s[10:11], s[18:19]
	s_and_saveexec_b64 s[2:3], s[4:5]
	s_cbranch_execz .LBB246_159
.LBB246_179:
	s_and_b64 vcc, exec, s[0:1]
	s_cbranch_vccnz .LBB246_181
; %bb.180:
	v_lshl_add_u64 v[12:13], v[32:33], 1, v[20:21]
	flat_load_ushort v12, v[12:13]
	s_waitcnt vmcnt(0) lgkmcnt(0)
	v_mul_f16_e32 v12, v44, v12
	s_branch .LBB246_182
.LBB246_181:
	v_mov_b32_e32 v12, 0
.LBB246_182:
	v_pk_max_f16 v13, v6, v6
	v_pk_max_f16 v8, v8, v8
	;; [unrolled: 1-line block ×3, first 2 shown]
	v_pk_min_f16 v8, v8, v13
	v_pk_max_f16 v13, v7, v7
	v_pk_add_f16 v8, v48, v8
	v_pk_min_f16 v9, v9, v13
	s_nop 0
	v_pk_add_f16 v8, v8, v9
	s_nop 0
	v_add_f16_sdwa v8, v8, v8 dst_sel:DWORD dst_unused:UNUSED_PAD src0_sel:DWORD src1_sel:WORD_1
	v_add_f16_e32 v12, v8, v12
	v_lshl_add_u64 v[8:9], v[32:33], 1, v[4:5]
	global_store_short v[8:9], v12, off
	s_or_b64 exec, exec, s[2:3]
	s_and_b64 s[4:5], s[12:13], s[18:19]
	s_and_saveexec_b64 s[2:3], s[4:5]
	s_cbranch_execz .LBB246_160
.LBB246_183:
	s_and_b64 vcc, exec, s[0:1]
	s_cbranch_vccnz .LBB246_185
; %bb.184:
	v_lshl_add_u64 v[8:9], v[34:35], 1, v[20:21]
	flat_load_ushort v8, v[8:9]
	s_waitcnt vmcnt(0) lgkmcnt(0)
	v_mul_f16_e32 v8, v44, v8
	s_branch .LBB246_186
.LBB246_185:
	v_mov_b32_e32 v8, 0
.LBB246_186:
	v_pk_max_f16 v9, v6, v6
	v_pk_max_f16 v10, v10, v10
	;; [unrolled: 1-line block ×3, first 2 shown]
	v_pk_min_f16 v9, v10, v9
	v_pk_max_f16 v10, v7, v7
	v_pk_add_f16 v9, v47, v9
	v_pk_min_f16 v10, v11, v10
	s_nop 0
	v_pk_add_f16 v9, v9, v10
	s_nop 0
	v_add_f16_sdwa v9, v9, v9 dst_sel:DWORD dst_unused:UNUSED_PAD src0_sel:DWORD src1_sel:WORD_1
	v_add_f16_e32 v10, v9, v8
	v_lshl_add_u64 v[8:9], v[34:35], 1, v[4:5]
	global_store_short v[8:9], v10, off
	s_or_b64 exec, exec, s[2:3]
	s_and_b64 s[4:5], s[14:15], s[18:19]
	s_and_saveexec_b64 s[2:3], s[4:5]
	s_cbranch_execz .LBB246_161
.LBB246_187:
	s_and_b64 vcc, exec, s[0:1]
	s_cbranch_vccnz .LBB246_189
; %bb.188:
	v_lshl_add_u64 v[8:9], v[36:37], 1, v[20:21]
	flat_load_ushort v8, v[8:9]
	s_waitcnt vmcnt(0) lgkmcnt(0)
	v_mul_f16_e32 v8, v44, v8
	s_branch .LBB246_190
.LBB246_189:
	v_mov_b32_e32 v8, 0
.LBB246_190:
	v_pk_max_f16 v9, v6, v6
	v_pk_max_f16 v0, v0, v0
	;; [unrolled: 1-line block ×3, first 2 shown]
	v_pk_min_f16 v0, v0, v9
	v_pk_max_f16 v9, v7, v7
	v_pk_add_f16 v0, v46, v0
	v_pk_min_f16 v1, v1, v9
	s_nop 0
	v_pk_add_f16 v0, v0, v1
	s_nop 0
	v_add_f16_sdwa v0, v0, v0 dst_sel:DWORD dst_unused:UNUSED_PAD src0_sel:DWORD src1_sel:WORD_1
	v_add_f16_e32 v8, v0, v8
	v_lshl_add_u64 v[0:1], v[36:37], 1, v[4:5]
	global_store_short v[0:1], v8, off
	s_or_b64 exec, exec, s[2:3]
	s_and_b64 s[2:3], s[16:17], s[18:19]
	s_and_saveexec_b64 s[4:5], s[2:3]
	s_cbranch_execz .LBB246_162
.LBB246_191:
	s_and_b64 vcc, exec, s[0:1]
	s_cbranch_vccnz .LBB246_193
; %bb.192:
	v_lshl_add_u64 v[0:1], v[38:39], 1, v[20:21]
	flat_load_ushort v0, v[0:1]
	s_waitcnt vmcnt(0) lgkmcnt(0)
	v_mul_f16_e32 v0, v44, v0
	s_branch .LBB246_194
.LBB246_193:
	v_mov_b32_e32 v0, 0
.LBB246_194:
	v_pk_max_f16 v1, v6, v6
	v_pk_max_f16 v2, v2, v2
	;; [unrolled: 1-line block ×3, first 2 shown]
	v_pk_min_f16 v1, v2, v1
	v_pk_max_f16 v2, v7, v7
	v_pk_add_f16 v1, v45, v1
	v_pk_min_f16 v2, v3, v2
	s_nop 0
	v_pk_add_f16 v1, v1, v2
	s_nop 0
	v_add_f16_sdwa v1, v1, v1 dst_sel:DWORD dst_unused:UNUSED_PAD src0_sel:DWORD src1_sel:WORD_1
	v_add_f16_e32 v2, v1, v0
	v_lshl_add_u64 v[0:1], v[38:39], 1, v[4:5]
	global_store_short v[0:1], v2, off
	s_endpgm
	.section	.rodata,"a",@progbits
	.p2align	6, 0x0
	.amdhsa_kernel _ZN12_GLOBAL__N_120geam_min_plus_kernelIDF16_Dv2_DF16_S1_Li8ELi32ELi64ELi128ELi4ELi64ELi4ELi64ELi4ELc78ELc84ELb0ELb1ELb0EPKDF16_KS3_KPDF16_EEviiiT16_PT17_ilS9_ilS7_S9_ilPT18_ili26rocblas_geam_ex_operation_
		.amdhsa_group_segment_fixed_size 3072
		.amdhsa_private_segment_fixed_size 0
		.amdhsa_kernarg_size 136
		.amdhsa_user_sgpr_count 2
		.amdhsa_user_sgpr_dispatch_ptr 0
		.amdhsa_user_sgpr_queue_ptr 0
		.amdhsa_user_sgpr_kernarg_segment_ptr 1
		.amdhsa_user_sgpr_dispatch_id 0
		.amdhsa_user_sgpr_kernarg_preload_length 0
		.amdhsa_user_sgpr_kernarg_preload_offset 0
		.amdhsa_user_sgpr_private_segment_size 0
		.amdhsa_uses_dynamic_stack 0
		.amdhsa_enable_private_segment 0
		.amdhsa_system_sgpr_workgroup_id_x 1
		.amdhsa_system_sgpr_workgroup_id_y 0
		.amdhsa_system_sgpr_workgroup_id_z 1
		.amdhsa_system_sgpr_workgroup_info 0
		.amdhsa_system_vgpr_workitem_id 1
		.amdhsa_next_free_vgpr 125
		.amdhsa_next_free_sgpr 36
		.amdhsa_accum_offset 128
		.amdhsa_reserve_vcc 1
		.amdhsa_float_round_mode_32 0
		.amdhsa_float_round_mode_16_64 0
		.amdhsa_float_denorm_mode_32 3
		.amdhsa_float_denorm_mode_16_64 3
		.amdhsa_dx10_clamp 1
		.amdhsa_ieee_mode 1
		.amdhsa_fp16_overflow 0
		.amdhsa_tg_split 0
		.amdhsa_exception_fp_ieee_invalid_op 0
		.amdhsa_exception_fp_denorm_src 0
		.amdhsa_exception_fp_ieee_div_zero 0
		.amdhsa_exception_fp_ieee_overflow 0
		.amdhsa_exception_fp_ieee_underflow 0
		.amdhsa_exception_fp_ieee_inexact 0
		.amdhsa_exception_int_div_zero 0
	.end_amdhsa_kernel
	.section	.text._ZN12_GLOBAL__N_120geam_min_plus_kernelIDF16_Dv2_DF16_S1_Li8ELi32ELi64ELi128ELi4ELi64ELi4ELi64ELi4ELc78ELc84ELb0ELb1ELb0EPKDF16_KS3_KPDF16_EEviiiT16_PT17_ilS9_ilS7_S9_ilPT18_ili26rocblas_geam_ex_operation_,"axG",@progbits,_ZN12_GLOBAL__N_120geam_min_plus_kernelIDF16_Dv2_DF16_S1_Li8ELi32ELi64ELi128ELi4ELi64ELi4ELi64ELi4ELc78ELc84ELb0ELb1ELb0EPKDF16_KS3_KPDF16_EEviiiT16_PT17_ilS9_ilS7_S9_ilPT18_ili26rocblas_geam_ex_operation_,comdat
.Lfunc_end246:
	.size	_ZN12_GLOBAL__N_120geam_min_plus_kernelIDF16_Dv2_DF16_S1_Li8ELi32ELi64ELi128ELi4ELi64ELi4ELi64ELi4ELc78ELc84ELb0ELb1ELb0EPKDF16_KS3_KPDF16_EEviiiT16_PT17_ilS9_ilS7_S9_ilPT18_ili26rocblas_geam_ex_operation_, .Lfunc_end246-_ZN12_GLOBAL__N_120geam_min_plus_kernelIDF16_Dv2_DF16_S1_Li8ELi32ELi64ELi128ELi4ELi64ELi4ELi64ELi4ELc78ELc84ELb0ELb1ELb0EPKDF16_KS3_KPDF16_EEviiiT16_PT17_ilS9_ilS7_S9_ilPT18_ili26rocblas_geam_ex_operation_
                                        ; -- End function
	.section	.AMDGPU.csdata,"",@progbits
; Kernel info:
; codeLenInByte = 11304
; NumSgprs: 42
; NumVgprs: 125
; NumAgprs: 0
; TotalNumVgprs: 125
; ScratchSize: 0
; MemoryBound: 0
; FloatMode: 240
; IeeeMode: 1
; LDSByteSize: 3072 bytes/workgroup (compile time only)
; SGPRBlocks: 5
; VGPRBlocks: 15
; NumSGPRsForWavesPerEU: 42
; NumVGPRsForWavesPerEU: 125
; AccumOffset: 128
; Occupancy: 4
; WaveLimiterHint : 1
; COMPUTE_PGM_RSRC2:SCRATCH_EN: 0
; COMPUTE_PGM_RSRC2:USER_SGPR: 2
; COMPUTE_PGM_RSRC2:TRAP_HANDLER: 0
; COMPUTE_PGM_RSRC2:TGID_X_EN: 1
; COMPUTE_PGM_RSRC2:TGID_Y_EN: 0
; COMPUTE_PGM_RSRC2:TGID_Z_EN: 1
; COMPUTE_PGM_RSRC2:TIDIG_COMP_CNT: 1
; COMPUTE_PGM_RSRC3_GFX90A:ACCUM_OFFSET: 31
; COMPUTE_PGM_RSRC3_GFX90A:TG_SPLIT: 0
	.section	.text._ZN12_GLOBAL__N_120geam_min_plus_kernelIDF16_Dv2_DF16_S1_Li8ELi32ELi64ELi128ELi4ELi64ELi4ELi64ELi4ELc78ELc84ELb1ELb1ELb0EDF16_KPKDF16_KPDF16_EEviiiT16_PT17_ilS9_ilS7_S9_ilPT18_ili26rocblas_geam_ex_operation_,"axG",@progbits,_ZN12_GLOBAL__N_120geam_min_plus_kernelIDF16_Dv2_DF16_S1_Li8ELi32ELi64ELi128ELi4ELi64ELi4ELi64ELi4ELc78ELc84ELb1ELb1ELb0EDF16_KPKDF16_KPDF16_EEviiiT16_PT17_ilS9_ilS7_S9_ilPT18_ili26rocblas_geam_ex_operation_,comdat
	.globl	_ZN12_GLOBAL__N_120geam_min_plus_kernelIDF16_Dv2_DF16_S1_Li8ELi32ELi64ELi128ELi4ELi64ELi4ELi64ELi4ELc78ELc84ELb1ELb1ELb0EDF16_KPKDF16_KPDF16_EEviiiT16_PT17_ilS9_ilS7_S9_ilPT18_ili26rocblas_geam_ex_operation_ ; -- Begin function _ZN12_GLOBAL__N_120geam_min_plus_kernelIDF16_Dv2_DF16_S1_Li8ELi32ELi64ELi128ELi4ELi64ELi4ELi64ELi4ELc78ELc84ELb1ELb1ELb0EDF16_KPKDF16_KPDF16_EEviiiT16_PT17_ilS9_ilS7_S9_ilPT18_ili26rocblas_geam_ex_operation_
	.p2align	8
	.type	_ZN12_GLOBAL__N_120geam_min_plus_kernelIDF16_Dv2_DF16_S1_Li8ELi32ELi64ELi128ELi4ELi64ELi4ELi64ELi4ELc78ELc84ELb1ELb1ELb0EDF16_KPKDF16_KPDF16_EEviiiT16_PT17_ilS9_ilS7_S9_ilPT18_ili26rocblas_geam_ex_operation_,@function
_ZN12_GLOBAL__N_120geam_min_plus_kernelIDF16_Dv2_DF16_S1_Li8ELi32ELi64ELi128ELi4ELi64ELi4ELi64ELi4ELc78ELc84ELb1ELb1ELb0EDF16_KPKDF16_KPDF16_EEviiiT16_PT17_ilS9_ilS7_S9_ilPT18_ili26rocblas_geam_ex_operation_: ; @_ZN12_GLOBAL__N_120geam_min_plus_kernelIDF16_Dv2_DF16_S1_Li8ELi32ELi64ELi128ELi4ELi64ELi4ELi64ELi4ELc78ELc84ELb1ELb1ELb0EDF16_KPKDF16_KPDF16_EEviiiT16_PT17_ilS9_ilS7_S9_ilPT18_ili26rocblas_geam_ex_operation_
; %bb.0:
	s_load_dwordx4 s[20:23], s[0:1], 0x0
	s_load_dwordx4 s[4:7], s[0:1], 0x20
	s_mov_b32 s10, s3
	s_mov_b32 s11, 0
	s_waitcnt lgkmcnt(0)
	v_cmp_eq_f16_e64 s[8:9], s23, 0
	s_and_b64 vcc, exec, s[8:9]
	s_cbranch_vccnz .LBB247_3
; %bb.1:
	s_load_dwordx2 s[12:13], s[0:1], 0x10
	s_lshl_b64 s[14:15], s[10:11], 3
	s_waitcnt lgkmcnt(0)
	s_add_u32 s12, s12, s14
	s_addc_u32 s13, s13, s15
	s_load_dwordx2 s[12:13], s[12:13], 0x0
	s_lshl_b64 s[4:5], s[4:5], 1
	s_waitcnt lgkmcnt(0)
	s_add_u32 s12, s12, s4
	s_addc_u32 s13, s13, s5
	s_andn2_b64 vcc, exec, s[8:9]
	s_cbranch_vccnz .LBB247_4
.LBB247_2:
	s_mov_b64 s[14:15], 0
	s_cbranch_execz .LBB247_5
	s_branch .LBB247_6
.LBB247_3:
	s_mov_b64 s[12:13], 0
	s_andn2_b64 vcc, exec, s[8:9]
	s_cbranch_vccz .LBB247_2
.LBB247_4:
                                        ; implicit-def: $sgpr14_sgpr15
.LBB247_5:
	s_lshl_b64 s[8:9], s[10:11], 3
	s_add_u32 s6, s6, s8
	s_load_dwordx2 s[4:5], s[0:1], 0x38
	s_addc_u32 s7, s7, s9
	s_load_dwordx2 s[6:7], s[6:7], 0x0
	s_waitcnt lgkmcnt(0)
	s_lshl_b64 s[4:5], s[4:5], 1
	s_add_u32 s14, s6, s4
	s_addc_u32 s15, s7, s5
.LBB247_6:
	s_load_dword s28, s[0:1], 0x40
	s_load_dwordx4 s[4:7], s[0:1], 0x58
	s_waitcnt lgkmcnt(0)
	v_cmp_eq_f16_e64 s[16:17], s28, 0
	v_cmp_neq_f16_e64 s[8:9], s28, 0
	s_and_b64 vcc, exec, s[16:17]
	s_cbranch_vccnz .LBB247_8
; %bb.7:
	s_load_dwordx2 s[16:17], s[0:1], 0x48
	s_lshl_b64 s[18:19], s[10:11], 3
	s_waitcnt lgkmcnt(0)
	s_add_u32 s16, s16, s18
	s_addc_u32 s17, s17, s19
	s_load_dwordx2 s[16:17], s[16:17], 0x0
	s_lshl_b64 s[4:5], s[4:5], 1
	s_waitcnt lgkmcnt(0)
	s_add_u32 s24, s16, s4
	s_addc_u32 s25, s17, s5
	s_branch .LBB247_9
.LBB247_8:
	s_mov_b64 s[24:25], 0
.LBB247_9:
	s_load_dword s16, s[0:1], 0x18
	s_lshl_b64 s[4:5], s[10:11], 3
	v_and_b32_e32 v38, 0x3ff, v0
	v_bfe_u32 v39, v0, 10, 10
	v_mov_b32_e32 v9, 0
	s_waitcnt lgkmcnt(0)
	s_ashr_i32 s17, s16, 31
	s_add_u32 s4, s6, s4
	s_addc_u32 s5, s7, s5
	s_add_i32 s3, s20, -1
	s_ashr_i32 s6, s3, 31
	s_lshr_b32 s6, s6, 26
	s_add_i32 s3, s3, s6
	s_ashr_i32 s3, s3, 6
	s_add_i32 s18, s3, 1
	v_cvt_f32_u32_e32 v1, s18
	s_load_dwordx2 s[10:11], s[4:5], 0x0
	s_not_b32 s3, s3
	v_mov_b32_e32 v11, 0
	v_rcp_iflag_f32_e32 v0, v1
	v_lshl_add_u32 v1, v39, 3, v38
	v_and_b32_e32 v10, 63, v1
	v_lshrrev_b32_e32 v40, 6, v1
	v_mul_f32_e32 v0, 0x4f7ffffe, v0
	v_cvt_u32_f32_e32 v0, v0
	v_cmp_le_i32_e64 s[6:7], s22, v40
	v_readfirstlane_b32 s4, v0
	s_mul_i32 s3, s3, s4
	s_mul_hi_u32 s3, s4, s3
	s_add_i32 s4, s4, s3
	s_mul_hi_u32 s3, s2, s4
	s_mul_i32 s4, s3, s18
	s_sub_i32 s4, s2, s4
	s_add_i32 s5, s3, 1
	s_sub_i32 s19, s4, s18
	s_cmp_ge_u32 s4, s18
	s_cselect_b32 s3, s5, s3
	s_cselect_b32 s4, s19, s4
	s_add_i32 s5, s3, 1
	s_cmp_ge_u32 s4, s18
	s_cselect_b32 s4, s5, s3
	s_mul_i32 s3, s4, s18
	s_sub_i32 s2, s2, s3
	s_lshl_b32 s29, s2, 6
	v_or_b32_e32 v0, s29, v10
	v_cmp_le_i32_e32 vcc, s20, v0
	s_or_b64 s[2:3], s[6:7], vcc
	s_xor_b64 s[18:19], s[2:3], -1
	v_ashrrev_i32_e32 v1, 31, v0
	s_and_saveexec_b64 s[2:3], s[18:19]
	s_cbranch_execz .LBB247_11
; %bb.10:
	v_mad_i64_i32 v[2:3], s[18:19], s16, v40, 0
	v_lshl_add_u64 v[2:3], v[2:3], 1, s[12:13]
	v_lshl_add_u64 v[2:3], v[0:1], 1, v[2:3]
	flat_load_ushort v11, v[2:3]
.LBB247_11:
	s_or_b64 exec, exec, s[2:3]
	s_load_dword s18, s[0:1], 0x30
	s_lshl_b32 s30, s4, 7
	v_or_b32_e32 v2, s30, v10
	v_ashrrev_i32_e32 v3, 31, v2
	s_waitcnt lgkmcnt(0)
	v_mad_i64_i32 v[4:5], s[2:3], v40, s18, 0
	v_cmp_le_i32_e64 s[2:3], s21, v2
	s_or_b64 s[4:5], s[6:7], s[2:3]
	s_ashr_i32 s19, s18, 31
	v_lshl_add_u64 v[4:5], v[4:5], 1, s[14:15]
	s_xor_b64 s[26:27], s[4:5], -1
	s_and_saveexec_b64 s[4:5], s[26:27]
	s_cbranch_execz .LBB247_13
; %bb.12:
	v_lshl_add_u64 v[6:7], v[2:3], 1, v[4:5]
	flat_load_ushort v9, v[6:7]
.LBB247_13:
	s_or_b64 exec, exec, s[4:5]
	v_or_b32_e32 v6, 64, v2
	v_cmp_le_i32_e64 s[4:5], s21, v6
	s_or_b64 s[6:7], s[6:7], s[4:5]
	s_xor_b64 s[26:27], s[6:7], -1
	v_mov_b32_e32 v6, 0
	v_mov_b32_e32 v12, 0
	s_and_saveexec_b64 s[6:7], s[26:27]
	s_cbranch_execz .LBB247_15
; %bb.14:
	v_lshl_add_u64 v[4:5], v[2:3], 1, v[4:5]
	flat_load_ushort v12, v[4:5] offset:128
.LBB247_15:
	s_or_b64 exec, exec, s[6:7]
	v_add_u32_e32 v4, 4, v40
	v_cmp_le_i32_e64 s[6:7], s22, v4
	s_or_b64 s[26:27], vcc, s[6:7]
	s_xor_b64 s[34:35], s[26:27], -1
	s_and_saveexec_b64 s[26:27], s[34:35]
	s_cbranch_execz .LBB247_17
; %bb.16:
	v_mad_i64_i32 v[6:7], s[34:35], s16, v4, 0
	v_lshl_add_u64 v[6:7], v[6:7], 1, s[12:13]
	v_lshl_add_u64 v[6:7], v[0:1], 1, v[6:7]
	flat_load_ushort v6, v[6:7]
.LBB247_17:
	s_or_b64 exec, exec, s[26:27]
	v_mad_i64_i32 v[4:5], s[26:27], v4, s18, 0
	s_or_b64 s[26:27], s[2:3], s[6:7]
	v_lshl_add_u64 v[4:5], v[4:5], 1, s[14:15]
	s_xor_b64 s[34:35], s[26:27], -1
	v_mov_b32_e32 v7, 0
	v_mov_b32_e32 v8, 0
	s_and_saveexec_b64 s[26:27], s[34:35]
	s_cbranch_execz .LBB247_19
; %bb.18:
	v_lshl_add_u64 v[14:15], v[2:3], 1, v[4:5]
	flat_load_ushort v8, v[14:15]
.LBB247_19:
	s_or_b64 exec, exec, s[26:27]
	s_or_b64 s[6:7], s[4:5], s[6:7]
	s_xor_b64 s[26:27], s[6:7], -1
	s_and_saveexec_b64 s[6:7], s[26:27]
	s_cbranch_execz .LBB247_21
; %bb.20:
	v_lshl_add_u64 v[4:5], v[2:3], 1, v[4:5]
	flat_load_ushort v7, v[4:5] offset:128
.LBB247_21:
	s_or_b64 exec, exec, s[6:7]
	v_lshlrev_b32_e32 v4, 1, v40
	v_lshlrev_b32_e32 v42, 3, v38
	v_lshl_add_u32 v43, v10, 3, v4
	v_lshlrev_b32_e32 v41, 3, v39
	v_add_u32_e32 v69, 0x800, v42
	s_waitcnt vmcnt(0)
	ds_write_b16 v43, v11 offset:2048
	s_waitcnt lgkmcnt(0)
	ds_write_b16 v43, v9
	ds_write_b16 v43, v12 offset:512
	s_waitcnt lgkmcnt(0)
	s_barrier
	ds_read2_b64 v[10:13], v41 offset1:32
	ds_read2_b64 v[14:17], v69 offset0:48 offset1:56
	ds_read2_b64 v[18:21], v41 offset0:64 offset1:96
	ds_read2_b64 v[22:25], v69 offset1:8
	ds_read2_b64 v[26:29], v69 offset0:16 offset1:24
	ds_read2_b64 v[30:33], v69 offset0:32 offset1:40
	s_waitcnt lgkmcnt(5)
	v_pk_max_f16 v4, v10, v10
	s_waitcnt lgkmcnt(4)
	v_pk_max_f16 v5, v16, v16
	v_pk_max_f16 v10, v12, v12
	v_pk_min_f16 v9, v5, v4
	s_waitcnt lgkmcnt(3)
	v_pk_max_f16 v16, v18, v18
	s_waitcnt lgkmcnt(2)
	v_pk_max_f16 v18, v22, v22
	v_pk_max_f16 v20, v20, v20
	;; [unrolled: 1-line block ×3, first 2 shown]
	s_waitcnt lgkmcnt(1)
	v_pk_max_f16 v26, v26, v26
	v_pk_max_f16 v28, v28, v28
	s_waitcnt lgkmcnt(0)
	v_pk_max_f16 v30, v30, v30
	v_pk_max_f16 v11, v11, v11
	;; [unrolled: 1-line block ×5, first 2 shown]
	v_pk_min_f16 v12, v5, v10
	v_pk_min_f16 v22, v18, v4
	;; [unrolled: 1-line block ×18, first 2 shown]
	v_pk_max_f16 v13, v13, v13
	v_pk_min_f16 v55, v30, v10
	v_pk_min_f16 v56, v30, v16
	;; [unrolled: 1-line block ×13, first 2 shown]
	v_pk_add_f16 v9, v9, 0
	v_pk_min_f16 v20, v17, v11
	v_pk_max_f16 v19, v19, v19
	v_pk_add_f16 v68, v9, v20
	v_pk_add_f16 v9, v12, 0
	v_pk_min_f16 v12, v17, v13
	v_pk_max_f16 v23, v23, v23
	v_pk_add_f16 v60, v9, v12
	;; [unrolled: 4-line block ×4, first 2 shown]
	v_pk_add_f16 v9, v34, 0
	v_pk_min_f16 v12, v23, v13
	v_pk_add_f16 v20, v49, 0
	v_pk_add_f16 v67, v9, v12
	;; [unrolled: 1-line block ×3, first 2 shown]
	v_pk_min_f16 v12, v23, v19
	v_pk_add_f16 v22, v53, 0
	v_pk_add_f16 v59, v9, v12
	;; [unrolled: 1-line block ×3, first 2 shown]
	v_pk_min_f16 v12, v23, v21
	v_pk_min_f16 v18, v25, v21
	v_pk_add_f16 v51, v9, v12
	v_pk_add_f16 v9, v36, 0
	v_pk_min_f16 v12, v25, v11
	v_pk_add_f16 v23, v28, 0
	v_pk_add_f16 v75, v9, v12
	v_pk_add_f16 v9, v37, 0
	v_pk_min_f16 v12, v25, v13
	v_pk_add_f16 v34, v63, 0
	;; [unrolled: 4-line block ×3, first 2 shown]
	v_pk_add_f16 v58, v9, v12
	v_pk_add_f16 v9, v24, 0
	;; [unrolled: 1-line block ×4, first 2 shown]
	v_pk_max_f16 v9, v27, v27
	v_pk_add_f16 v24, v54, 0
	v_pk_min_f16 v18, v9, v11
	v_pk_add_f16 v27, v30, 0
	v_pk_add_f16 v74, v12, v18
	;; [unrolled: 1-line block ×3, first 2 shown]
	v_pk_min_f16 v18, v9, v13
	v_pk_add_f16 v28, v61, 0
	v_pk_add_f16 v65, v12, v18
	;; [unrolled: 1-line block ×3, first 2 shown]
	v_pk_min_f16 v18, v9, v19
	v_pk_min_f16 v9, v9, v21
	v_pk_add_f16 v57, v12, v18
	v_pk_add_f16 v12, v26, 0
	;; [unrolled: 1-line block ×4, first 2 shown]
	v_pk_max_f16 v9, v29, v29
	v_pk_add_f16 v26, v56, 0
	v_pk_min_f16 v12, v9, v11
	v_pk_add_f16 v30, v62, 0
	v_pk_add_f16 v73, v18, v12
	v_pk_min_f16 v12, v9, v13
	v_pk_add_f16 v32, v32, 0
	v_pk_add_f16 v64, v20, v12
	v_pk_min_f16 v12, v9, v19
	v_pk_min_f16 v9, v9, v21
	v_pk_add_f16 v56, v22, v12
	v_pk_add_f16 v48, v23, v9
	v_pk_max_f16 v9, v31, v31
	v_pk_add_f16 v4, v4, 0
	v_pk_min_f16 v12, v9, v11
	v_pk_add_f16 v10, v10, 0
	v_pk_add_f16 v72, v24, v12
	v_pk_min_f16 v12, v9, v13
	v_pk_add_f16 v16, v16, 0
	v_pk_add_f16 v63, v25, v12
	v_pk_min_f16 v12, v9, v19
	v_pk_min_f16 v9, v9, v21
	v_pk_add_f16 v55, v26, v12
	v_pk_add_f16 v47, v27, v9
	v_pk_max_f16 v9, v33, v33
	v_pk_add_f16 v14, v14, 0
	v_pk_min_f16 v12, v9, v11
	v_pk_add_f16 v5, v5, 0
	v_pk_add_f16 v71, v28, v12
	v_pk_min_f16 v12, v9, v13
	s_mov_b32 s23, 0
	v_pk_add_f16 v62, v30, v12
	v_pk_min_f16 v12, v9, v19
	v_pk_min_f16 v9, v9, v21
	v_pk_add_f16 v54, v34, v12
	v_pk_add_f16 v46, v32, v9
	v_pk_max_f16 v9, v15, v15
	s_cmp_lt_i32 s22, 9
	v_pk_min_f16 v11, v9, v11
	ds_write_b16 v43, v6 offset:2560
	ds_write_b16 v43, v8 offset:1024
	ds_write_b16 v43, v7 offset:1536
	v_pk_add_f16 v70, v4, v11
	v_pk_min_f16 v4, v9, v13
	s_waitcnt lgkmcnt(0)
	v_pk_add_f16 v61, v10, v4
	v_pk_min_f16 v4, v9, v19
	s_barrier
	v_pk_add_f16 v53, v16, v4
	v_pk_min_f16 v4, v9, v21
	s_nop 0
	v_pk_add_f16 v45, v14, v4
	v_pk_min_f16 v4, v17, v21
	s_nop 0
	v_pk_add_f16 v44, v5, v4
	s_cbranch_scc1 .LBB247_36
; %bb.22:
	v_lshl_add_u64 v[24:25], v[0:1], 1, s[12:13]
	v_mov_b32_e32 v0, 0xa00
	v_lshl_add_u32 v80, v38, 3, v0
	v_add_u32_e32 v0, v41, v38
	v_lshrrev_b32_e32 v4, 6, v0
	v_add_u32_e32 v5, 12, v4
	v_mad_i64_i32 v[0:1], s[6:7], v5, s18, 0
	v_lshlrev_b64 v[26:27], 1, v[0:1]
	v_lshl_add_u64 v[28:29], v[2:3], 1, s[14:15]
	v_mad_i64_i32 v[0:1], s[6:7], v5, s16, 0
	v_add_u32_e32 v2, 8, v4
	v_lshlrev_b64 v[30:31], 1, v[0:1]
	v_mad_i64_i32 v[0:1], s[6:7], v2, s16, 0
	v_lshlrev_b64 v[32:33], 1, v[0:1]
	v_mad_i64_i32 v[0:1], s[6:7], v2, s18, 0
	v_or_b32_e32 v77, 0x800, v43
	v_add_u32_e32 v78, 0xa00, v43
	v_or_b32_e32 v79, 0x400, v43
	s_add_i32 s26, s22, -8
	v_add_u32_e32 v81, 0x400, v41
	s_lshl_b64 s[12:13], s[18:19], 4
	s_lshl_b64 s[14:15], s[16:17], 4
	v_lshlrev_b64 v[34:35], 1, v[0:1]
	s_branch .LBB247_24
.LBB247_23:                             ;   in Loop: Header=BB247_24 Depth=1
	s_or_b64 exec, exec, s[6:7]
	v_pk_add_f16 v20, v60, v20
	v_pk_add_f16 v12, v52, v12
	;; [unrolled: 1-line block ×19, first 2 shown]
	ds_read2_b64 v[6:9], v69 offset0:48 offset1:56
	ds_read2_b64 v[10:13], v41 offset1:32
	v_pk_add_f16 v2, v68, v2
	v_pk_add_f16 v22, v67, v22
	;; [unrolled: 1-line block ×5, first 2 shown]
	s_waitcnt lgkmcnt(0)
	v_pk_max_f16 v8, v8, v8
	v_pk_max_f16 v10, v10, v10
	v_pk_add_f16 v16, v76, v16
	v_pk_add_f16 v60, v62, v98
	;; [unrolled: 1-line block ×9, first 2 shown]
	ds_read2_b64 v[0:3], v41 offset0:64 offset1:96
	v_pk_min_f16 v14, v8, v10
	v_pk_add_f16 v59, v63, v95
	v_pk_add_f16 v63, v16, v17
	v_pk_add_f16 v5, v44, v5
	v_pk_add_f16 v44, v62, v14
	ds_read2_b64 v[14:17], v69 offset1:8
	v_pk_max_f16 v12, v12, v12
	s_waitcnt lgkmcnt(0)
	v_pk_max_f16 v0, v0, v0
	v_pk_min_f16 v62, v8, v12
	v_pk_max_f16 v2, v2, v2
	v_pk_add_f16 v62, v20, v62
	v_pk_min_f16 v20, v8, v0
	v_pk_max_f16 v14, v14, v14
	v_pk_add_f16 v67, v21, v20
	v_pk_min_f16 v20, v14, v10
	v_pk_max_f16 v16, v16, v16
	v_pk_add_f16 v63, v63, v20
	v_pk_min_f16 v20, v14, v12
	v_pk_add_f16 v50, v50, v88
	v_pk_add_f16 v22, v22, v20
	v_pk_min_f16 v20, v14, v0
	v_pk_min_f16 v14, v14, v2
	v_pk_add_f16 v23, v23, v20
	v_pk_min_f16 v20, v16, v10
	v_pk_add_f16 v14, v36, v14
	v_pk_add_f16 v36, v18, v20
	v_pk_min_f16 v18, v16, v12
	v_pk_add_f16 v50, v50, v108
	v_pk_add_f16 v70, v19, v18
	ds_read2_b64 v[18:21], v69 offset0:16 offset1:24
	v_pk_min_f16 v68, v16, v0
	v_pk_min_f16 v16, v16, v2
	v_pk_add_f16 v49, v49, v91
	v_pk_add_f16 v16, v50, v16
	s_waitcnt lgkmcnt(0)
	v_pk_max_f16 v18, v18, v18
	v_pk_add_f16 v52, v52, v109
	v_pk_min_f16 v50, v18, v10
	ds_read2_b64 v[86:89], v69 offset0:32 offset1:40
	v_pk_add_f16 v71, v51, v50
	v_pk_min_f16 v50, v18, v12
	v_pk_add_f16 v4, v72, v4
	v_pk_add_f16 v49, v49, v111
	;; [unrolled: 1-line block ×3, first 2 shown]
	v_pk_min_f16 v50, v18, v0
	v_pk_min_f16 v18, v18, v2
	v_pk_max_f16 v20, v20, v20
	v_pk_add_f16 v18, v49, v18
	v_pk_min_f16 v49, v20, v10
	v_pk_add_f16 v48, v48, v94
	v_pk_add_f16 v58, v58, v112
	v_pk_add_f16 v64, v64, v49
	v_pk_min_f16 v49, v20, v12
	v_pk_add_f16 v56, v56, v93
	v_pk_add_f16 v48, v48, v114
	;; [unrolled: 1-line block ×3, first 2 shown]
	v_pk_min_f16 v49, v20, v0
	v_pk_min_f16 v20, v20, v2
	v_pk_add_f16 v56, v56, v113
	v_pk_add_f16 v20, v48, v20
	s_waitcnt lgkmcnt(0)
	v_pk_max_f16 v48, v86, v86
	v_pk_add_f16 v4, v4, v115
	v_pk_add_f16 v56, v56, v49
	v_pk_min_f16 v49, v48, v10
	v_pk_add_f16 v47, v47, v97
	v_pk_add_f16 v59, v59, v116
	;; [unrolled: 1-line block ×3, first 2 shown]
	v_pk_min_f16 v49, v48, v12
	v_pk_add_f16 v55, v55, v96
	v_pk_add_f16 v47, v47, v118
	;; [unrolled: 1-line block ×3, first 2 shown]
	v_pk_min_f16 v49, v48, v0
	v_pk_min_f16 v48, v48, v2
	v_pk_add_f16 v55, v55, v117
	v_pk_add_f16 v47, v47, v48
	v_pk_max_f16 v48, v88, v88
	v_pk_add_f16 v55, v55, v49
	v_pk_min_f16 v49, v48, v10
	v_pk_add_f16 v60, v60, v119
	v_pk_add_f16 v88, v65, v49
	v_pk_min_f16 v49, v48, v12
	v_pk_max_f16 v6, v6, v6
	v_pk_add_f16 v57, v57, v90
	v_pk_add_f16 v90, v60, v49
	v_pk_min_f16 v49, v48, v0
	v_pk_min_f16 v48, v48, v2
	;; [unrolled: 1-line block ×7, first 2 shown]
	v_pk_max_f16 v8, v11, v11
	v_pk_add_f16 v2, v5, v2
	v_pk_max_f16 v5, v9, v9
	v_pk_add_f16 v37, v37, v68
	v_pk_min_f16 v9, v5, v8
	v_pk_max_f16 v1, v1, v1
	v_pk_add_f16 v68, v44, v9
	v_pk_max_f16 v9, v13, v13
	v_pk_max_f16 v3, v3, v3
	v_pk_min_f16 v11, v5, v9
	v_pk_add_f16 v57, v57, v110
	v_pk_add_f16 v60, v62, v11
	v_pk_min_f16 v11, v5, v1
	v_pk_add_f16 v10, v66, v10
	v_pk_add_f16 v52, v67, v11
	v_pk_max_f16 v11, v15, v15
	v_pk_add_f16 v57, v57, v50
	v_pk_min_f16 v13, v11, v8
	v_pk_add_f16 v54, v54, v99
	v_pk_add_f16 v76, v63, v13
	v_pk_min_f16 v13, v11, v9
	v_pk_add_f16 v54, v54, v120
	v_pk_add_f16 v67, v22, v13
	v_pk_min_f16 v13, v11, v1
	v_pk_min_f16 v11, v11, v3
	v_pk_add_f16 v59, v23, v13
	v_pk_add_f16 v51, v14, v11
	v_pk_max_f16 v11, v17, v17
	v_pk_add_f16 v54, v54, v49
	v_pk_min_f16 v13, v11, v8
	v_pk_add_f16 v46, v46, v100
	v_pk_add_f16 v75, v36, v13
	v_pk_min_f16 v13, v11, v9
	v_pk_add_f16 v46, v46, v121
	v_pk_add_f16 v66, v70, v13
	v_pk_min_f16 v13, v11, v1
	;; [unrolled: 12-line block ×4, first 2 shown]
	v_pk_min_f16 v11, v11, v3
	v_pk_add_f16 v56, v56, v13
	v_pk_add_f16 v48, v20, v11
	v_pk_max_f16 v11, v87, v87
	v_pk_add_f16 v6, v45, v6
	v_pk_min_f16 v13, v11, v8
	v_pk_add_f16 v12, v61, v12
	v_pk_add_f16 v72, v4, v13
	v_pk_min_f16 v4, v11, v9
	s_add_i32 s23, s23, 8
	v_pk_add_f16 v63, v86, v4
	v_pk_min_f16 v4, v11, v1
	v_lshl_add_u64 v[28:29], v[28:29], 0, s[12:13]
	v_pk_add_f16 v55, v55, v4
	v_pk_min_f16 v4, v11, v3
	s_cmp_ge_i32 s23, s26
	v_pk_add_f16 v47, v47, v4
	v_pk_max_f16 v4, v89, v89
	v_lshl_add_u64 v[24:25], v[24:25], 0, s[14:15]
	v_pk_min_f16 v11, v4, v8
	s_waitcnt vmcnt(0)
	ds_write_b16 v78, v82
	ds_write_b16 v79, v84
	ds_write_b16 v79, v83 offset:512
	v_pk_add_f16 v71, v88, v11
	v_pk_min_f16 v11, v4, v9
	s_waitcnt lgkmcnt(0)
	v_pk_add_f16 v62, v90, v11
	v_pk_min_f16 v11, v4, v1
	v_pk_min_f16 v4, v4, v3
	v_pk_add_f16 v54, v54, v11
	v_pk_add_f16 v46, v46, v4
	v_pk_max_f16 v4, v7, v7
	s_barrier
	v_pk_min_f16 v1, v4, v1
	v_pk_min_f16 v7, v4, v8
	v_pk_add_f16 v53, v0, v1
	v_pk_min_f16 v0, v4, v3
	v_pk_add_f16 v70, v10, v7
	;; [unrolled: 2-line block ×4, first 2 shown]
	v_pk_add_f16 v44, v2, v0
	s_cbranch_scc1 .LBB247_36
.LBB247_24:                             ; =>This Inner Loop Header: Depth=1
	v_add_u32_e32 v36, s23, v40
	v_add_u32_e32 v0, 8, v36
	v_cmp_le_i32_e64 s[6:7], s22, v0
	s_or_b64 s[16:17], vcc, s[6:7]
	s_xor_b64 s[18:19], s[16:17], -1
	v_mov_b32_e32 v37, 0
	v_mov_b32_e32 v83, 0
	s_and_saveexec_b64 s[16:17], s[18:19]
	s_cbranch_execz .LBB247_26
; %bb.25:                               ;   in Loop: Header=BB247_24 Depth=1
	v_lshl_add_u64 v[0:1], v[24:25], 0, v[32:33]
	flat_load_ushort v83, v[0:1]
.LBB247_26:                             ;   in Loop: Header=BB247_24 Depth=1
	s_or_b64 exec, exec, s[16:17]
	s_or_b64 s[16:17], s[2:3], s[6:7]
	s_xor_b64 s[18:19], s[16:17], -1
	v_lshl_add_u64 v[0:1], v[28:29], 0, v[34:35]
	s_and_saveexec_b64 s[16:17], s[18:19]
	s_cbranch_execz .LBB247_28
; %bb.27:                               ;   in Loop: Header=BB247_24 Depth=1
	flat_load_ushort v37, v[0:1]
.LBB247_28:                             ;   in Loop: Header=BB247_24 Depth=1
	s_or_b64 exec, exec, s[16:17]
	s_or_b64 s[6:7], s[4:5], s[6:7]
	s_xor_b64 s[16:17], s[6:7], -1
	v_mov_b32_e32 v82, 0
	v_mov_b32_e32 v84, 0
	s_and_saveexec_b64 s[6:7], s[16:17]
	s_cbranch_execz .LBB247_30
; %bb.29:                               ;   in Loop: Header=BB247_24 Depth=1
	flat_load_ushort v84, v[0:1] offset:128
.LBB247_30:                             ;   in Loop: Header=BB247_24 Depth=1
	s_or_b64 exec, exec, s[6:7]
	ds_read2_b64 v[0:3], v80 offset0:48 offset1:56
	ds_read2_b64 v[12:15], v81 offset0:64 offset1:96
	ds_read2_b64 v[20:23], v81 offset1:32
	ds_read2_b64 v[16:19], v80 offset1:8
	ds_read2_b64 v[8:11], v80 offset0:16 offset1:24
	ds_read2_b64 v[4:7], v80 offset0:32 offset1:40
	v_add_u32_e32 v36, 12, v36
	v_cmp_le_i32_e64 s[6:7], s22, v36
	s_or_b64 s[16:17], vcc, s[6:7]
	s_xor_b64 s[18:19], s[16:17], -1
	s_waitcnt vmcnt(0) lgkmcnt(0)
	ds_write_b16 v77, v83
	ds_write_b16 v43, v37
	ds_write_b16 v43, v84 offset:512
	s_waitcnt lgkmcnt(0)
	s_barrier
	s_and_saveexec_b64 s[16:17], s[18:19]
	s_cbranch_execz .LBB247_32
; %bb.31:                               ;   in Loop: Header=BB247_24 Depth=1
	v_lshl_add_u64 v[36:37], v[24:25], 0, v[30:31]
	flat_load_ushort v82, v[36:37]
.LBB247_32:                             ;   in Loop: Header=BB247_24 Depth=1
	s_or_b64 exec, exec, s[16:17]
	s_or_b64 s[16:17], s[2:3], s[6:7]
	s_xor_b64 s[18:19], s[16:17], -1
	v_mov_b32_e32 v83, 0
	v_lshl_add_u64 v[36:37], v[28:29], 0, v[26:27]
	v_mov_b32_e32 v84, 0
	s_and_saveexec_b64 s[16:17], s[18:19]
	s_cbranch_execz .LBB247_34
; %bb.33:                               ;   in Loop: Header=BB247_24 Depth=1
	flat_load_ushort v84, v[36:37]
.LBB247_34:                             ;   in Loop: Header=BB247_24 Depth=1
	s_or_b64 exec, exec, s[16:17]
	v_pk_max_f16 v104, v2, v2
	v_pk_max_f16 v101, v20, v20
	;; [unrolled: 1-line block ×17, first 2 shown]
	v_pk_min_f16 v2, v104, v101
	v_pk_min_f16 v20, v104, v102
	;; [unrolled: 1-line block ×26, first 2 shown]
	v_pk_max_f16 v125, v3, v3
	v_pk_max_f16 v106, v17, v17
	;; [unrolled: 1-line block ×5, first 2 shown]
	v_pk_min_f16 v115, v5, v122
	v_pk_min_f16 v116, v5, v123
	;; [unrolled: 1-line block ×4, first 2 shown]
	v_pk_max_f16 v5, v7, v7
	v_pk_max_f16 v1, v1, v1
	s_or_b64 s[6:7], s[4:5], s[6:7]
	v_pk_min_f16 v88, v88, v105
	v_pk_min_f16 v91, v91, v105
	;; [unrolled: 1-line block ×34, first 2 shown]
	s_xor_b64 s[16:17], s[6:7], -1
	s_and_saveexec_b64 s[6:7], s[16:17]
	s_cbranch_execz .LBB247_23
; %bb.35:                               ;   in Loop: Header=BB247_24 Depth=1
	flat_load_ushort v83, v[36:37] offset:128
	s_branch .LBB247_23
.LBB247_36:
	s_load_dwordx2 s[2:3], s[0:1], 0x70
	s_load_dword s33, s[0:1], 0x50
	s_load_dword s31, s[0:1], 0x68
	v_add_u32_e32 v8, 0x800, v42
	ds_read2_b64 v[0:3], v8 offset0:112 offset1:120
	ds_read2_b64 v[4:7], v41 offset0:192 offset1:224
	;; [unrolled: 1-line block ×6, first 2 shown]
	s_waitcnt lgkmcnt(0)
	s_lshl_b64 s[0:1], s[2:3], 1
	s_add_u32 s22, s10, s0
	v_add_u32_e32 v69, s30, v39
	s_addc_u32 s23, s11, s1
	v_mad_i64_i32 v[26:27], s[0:1], v69, s33, 0
	v_add_u32_e32 v24, s29, v38
	v_lshl_add_u64 v[42:43], v[26:27], 1, s[24:25]
	v_mad_i64_i32 v[26:27], s[0:1], v69, s31, 0
	v_cmp_gt_i32_e64 s[18:19], s21, v69
	v_lshl_add_u64 v[40:41], v[26:27], 1, s[22:23]
	v_cmp_gt_i32_e64 s[2:3], s20, v24
	v_cndmask_b32_e64 v26, 0, 1, s[8:9]
	s_and_b64 s[6:7], s[2:3], s[18:19]
	v_ashrrev_i32_e32 v25, 31, v24
	v_cmp_ne_u32_e64 s[0:1], 1, v26
	s_and_saveexec_b64 s[4:5], s[6:7]
	s_cbranch_execz .LBB247_41
; %bb.37:
	s_and_b64 vcc, exec, s[0:1]
	s_cbranch_vccnz .LBB247_39
; %bb.38:
	v_lshl_add_u64 v[26:27], v[24:25], 1, v[42:43]
	flat_load_ushort v26, v[26:27]
	s_waitcnt vmcnt(0) lgkmcnt(0)
	v_mul_f16_e32 v26, s28, v26
	s_branch .LBB247_40
.LBB247_39:
	v_mov_b32_e32 v26, 0
.LBB247_40:
	v_pk_max_f16 v27, v20, v20
	v_pk_max_f16 v28, v16, v16
	v_pk_max_f16 v29, v17, v17
	v_pk_min_f16 v27, v28, v27
	v_pk_max_f16 v28, v21, v21
	v_pk_add_f16 v27, v76, v27
	v_pk_min_f16 v28, v29, v28
	s_nop 0
	v_pk_add_f16 v27, v27, v28
	s_nop 0
	v_add_f16_sdwa v27, v27, v27 dst_sel:DWORD dst_unused:UNUSED_PAD src0_sel:DWORD src1_sel:WORD_1
	v_add_f16_e32 v28, v27, v26
	v_lshl_add_u64 v[26:27], v[24:25], 1, v[40:41]
	global_store_short v[26:27], v28, off
.LBB247_41:
	s_or_b64 exec, exec, s[4:5]
	v_add_u32_e32 v26, 8, v24
	v_cmp_gt_i32_e64 s[4:5], s20, v26
	s_and_b64 s[8:9], s[4:5], s[18:19]
	v_ashrrev_i32_e32 v27, 31, v26
	s_and_saveexec_b64 s[6:7], s[8:9]
	s_cbranch_execz .LBB247_46
; %bb.42:
	s_and_b64 vcc, exec, s[0:1]
	s_cbranch_vccnz .LBB247_44
; %bb.43:
	v_lshl_add_u64 v[28:29], v[26:27], 1, v[42:43]
	flat_load_ushort v28, v[28:29]
	s_waitcnt vmcnt(0) lgkmcnt(0)
	v_mul_f16_e32 v28, s28, v28
	s_branch .LBB247_45
.LBB247_44:
	v_mov_b32_e32 v28, 0
.LBB247_45:
	v_pk_max_f16 v29, v20, v20
	v_pk_max_f16 v30, v18, v18
	v_pk_max_f16 v31, v19, v19
	v_pk_min_f16 v29, v30, v29
	v_pk_max_f16 v30, v21, v21
	v_pk_add_f16 v29, v75, v29
	v_pk_min_f16 v30, v31, v30
	s_nop 0
	v_pk_add_f16 v29, v29, v30
	s_nop 0
	v_add_f16_sdwa v29, v29, v29 dst_sel:DWORD dst_unused:UNUSED_PAD src0_sel:DWORD src1_sel:WORD_1
	v_add_f16_e32 v30, v29, v28
	v_lshl_add_u64 v[28:29], v[26:27], 1, v[40:41]
	global_store_short v[28:29], v30, off
.LBB247_46:
	s_or_b64 exec, exec, s[6:7]
	v_add_u32_e32 v28, 16, v24
	v_cmp_gt_i32_e64 s[6:7], s20, v28
	s_and_b64 s[10:11], s[6:7], s[18:19]
	v_ashrrev_i32_e32 v29, 31, v28
	s_and_saveexec_b64 s[8:9], s[10:11]
	s_cbranch_execz .LBB247_51
; %bb.47:
	s_and_b64 vcc, exec, s[0:1]
	s_cbranch_vccnz .LBB247_49
; %bb.48:
	v_lshl_add_u64 v[30:31], v[28:29], 1, v[42:43]
	flat_load_ushort v30, v[30:31]
	s_waitcnt vmcnt(0) lgkmcnt(0)
	v_mul_f16_e32 v30, s28, v30
	s_branch .LBB247_50
.LBB247_49:
	v_mov_b32_e32 v30, 0
.LBB247_50:
	v_pk_max_f16 v31, v20, v20
	v_pk_max_f16 v32, v12, v12
	v_pk_max_f16 v33, v13, v13
	v_pk_min_f16 v31, v32, v31
	v_pk_max_f16 v32, v21, v21
	v_pk_add_f16 v31, v74, v31
	v_pk_min_f16 v32, v33, v32
	s_nop 0
	v_pk_add_f16 v31, v31, v32
	s_nop 0
	v_add_f16_sdwa v31, v31, v31 dst_sel:DWORD dst_unused:UNUSED_PAD src0_sel:DWORD src1_sel:WORD_1
	v_add_f16_e32 v32, v31, v30
	v_lshl_add_u64 v[30:31], v[28:29], 1, v[40:41]
	global_store_short v[30:31], v32, off
.LBB247_51:
	s_or_b64 exec, exec, s[8:9]
	v_add_u32_e32 v30, 24, v24
	v_cmp_gt_i32_e64 s[8:9], s20, v30
	s_and_b64 s[12:13], s[8:9], s[18:19]
	v_ashrrev_i32_e32 v31, 31, v30
	s_and_saveexec_b64 s[10:11], s[12:13]
	s_cbranch_execz .LBB247_56
; %bb.52:
	s_and_b64 vcc, exec, s[0:1]
	s_cbranch_vccnz .LBB247_54
; %bb.53:
	v_lshl_add_u64 v[32:33], v[30:31], 1, v[42:43]
	flat_load_ushort v32, v[32:33]
	s_waitcnt vmcnt(0) lgkmcnt(0)
	v_mul_f16_e32 v32, s28, v32
	s_branch .LBB247_55
.LBB247_54:
	v_mov_b32_e32 v32, 0
.LBB247_55:
	v_pk_max_f16 v33, v20, v20
	v_pk_max_f16 v34, v14, v14
	v_pk_max_f16 v35, v15, v15
	v_pk_min_f16 v33, v34, v33
	v_pk_max_f16 v34, v21, v21
	v_pk_add_f16 v33, v73, v33
	v_pk_min_f16 v34, v35, v34
	s_nop 0
	v_pk_add_f16 v33, v33, v34
	s_nop 0
	v_add_f16_sdwa v33, v33, v33 dst_sel:DWORD dst_unused:UNUSED_PAD src0_sel:DWORD src1_sel:WORD_1
	v_add_f16_e32 v34, v33, v32
	v_lshl_add_u64 v[32:33], v[30:31], 1, v[40:41]
	global_store_short v[32:33], v34, off
.LBB247_56:
	s_or_b64 exec, exec, s[10:11]
	v_add_u32_e32 v32, 32, v24
	v_cmp_gt_i32_e64 s[10:11], s20, v32
	s_and_b64 s[14:15], s[10:11], s[18:19]
	v_ashrrev_i32_e32 v33, 31, v32
	s_and_saveexec_b64 s[12:13], s[14:15]
	s_cbranch_execz .LBB247_61
; %bb.57:
	s_and_b64 vcc, exec, s[0:1]
	s_cbranch_vccnz .LBB247_59
; %bb.58:
	v_lshl_add_u64 v[34:35], v[32:33], 1, v[42:43]
	flat_load_ushort v34, v[34:35]
	s_waitcnt vmcnt(0) lgkmcnt(0)
	v_mul_f16_e32 v34, s28, v34
	s_branch .LBB247_60
.LBB247_59:
	v_mov_b32_e32 v34, 0
.LBB247_60:
	v_pk_max_f16 v35, v20, v20
	v_pk_max_f16 v36, v8, v8
	v_pk_max_f16 v37, v9, v9
	v_pk_min_f16 v35, v36, v35
	v_pk_max_f16 v36, v21, v21
	v_pk_add_f16 v35, v72, v35
	v_pk_min_f16 v36, v37, v36
	s_nop 0
	v_pk_add_f16 v35, v35, v36
	s_nop 0
	v_add_f16_sdwa v35, v35, v35 dst_sel:DWORD dst_unused:UNUSED_PAD src0_sel:DWORD src1_sel:WORD_1
	v_add_f16_e32 v36, v35, v34
	v_lshl_add_u64 v[34:35], v[32:33], 1, v[40:41]
	global_store_short v[34:35], v36, off
.LBB247_61:
	s_or_b64 exec, exec, s[12:13]
	v_add_u32_e32 v34, 40, v24
	v_cmp_gt_i32_e64 s[12:13], s20, v34
	s_and_b64 s[16:17], s[12:13], s[18:19]
	v_ashrrev_i32_e32 v35, 31, v34
	s_and_saveexec_b64 s[14:15], s[16:17]
	s_cbranch_execz .LBB247_66
; %bb.62:
	s_and_b64 vcc, exec, s[0:1]
	s_cbranch_vccnz .LBB247_64
; %bb.63:
	v_lshl_add_u64 v[36:37], v[34:35], 1, v[42:43]
	flat_load_ushort v36, v[36:37]
	s_waitcnt vmcnt(0) lgkmcnt(0)
	v_mul_f16_e32 v36, s28, v36
	s_branch .LBB247_65
.LBB247_64:
	v_mov_b32_e32 v36, 0
.LBB247_65:
	v_pk_max_f16 v37, v20, v20
	v_pk_max_f16 v38, v10, v10
	v_pk_max_f16 v39, v11, v11
	v_pk_min_f16 v37, v38, v37
	v_pk_max_f16 v38, v21, v21
	v_pk_add_f16 v37, v71, v37
	v_pk_min_f16 v38, v39, v38
	s_nop 0
	v_pk_add_f16 v37, v37, v38
	s_nop 0
	v_add_f16_sdwa v37, v37, v37 dst_sel:DWORD dst_unused:UNUSED_PAD src0_sel:DWORD src1_sel:WORD_1
	v_add_f16_e32 v38, v37, v36
	v_lshl_add_u64 v[36:37], v[34:35], 1, v[40:41]
	global_store_short v[36:37], v38, off
.LBB247_66:
	s_or_b64 exec, exec, s[14:15]
	v_add_u32_e32 v36, 48, v24
	v_cmp_gt_i32_e64 s[14:15], s20, v36
	s_and_b64 s[26:27], s[14:15], s[18:19]
	v_ashrrev_i32_e32 v37, 31, v36
	s_and_saveexec_b64 s[16:17], s[26:27]
	s_cbranch_execz .LBB247_71
; %bb.67:
	s_and_b64 vcc, exec, s[0:1]
	s_cbranch_vccnz .LBB247_69
; %bb.68:
	v_lshl_add_u64 v[38:39], v[36:37], 1, v[42:43]
	flat_load_ushort v38, v[38:39]
	s_waitcnt vmcnt(0) lgkmcnt(0)
	v_mul_f16_e32 v38, s28, v38
	s_branch .LBB247_70
.LBB247_69:
	v_mov_b32_e32 v38, 0
.LBB247_70:
	v_pk_max_f16 v39, v20, v20
	v_pk_max_f16 v71, v0, v0
	s_nop 0
	v_pk_min_f16 v39, v71, v39
	v_pk_max_f16 v71, v1, v1
	v_pk_add_f16 v39, v70, v39
	v_pk_max_f16 v70, v21, v21
	s_nop 0
	v_pk_min_f16 v70, v71, v70
	s_nop 0
	v_pk_add_f16 v39, v39, v70
	s_nop 0
	v_add_f16_sdwa v39, v39, v39 dst_sel:DWORD dst_unused:UNUSED_PAD src0_sel:DWORD src1_sel:WORD_1
	v_add_f16_e32 v70, v39, v38
	v_lshl_add_u64 v[38:39], v[36:37], 1, v[40:41]
	global_store_short v[38:39], v70, off
.LBB247_71:
	s_or_b64 exec, exec, s[16:17]
	v_add_u32_e32 v38, 56, v24
	v_cmp_gt_i32_e64 s[16:17], s20, v38
	s_and_b64 s[26:27], s[16:17], s[18:19]
	v_ashrrev_i32_e32 v39, 31, v38
	s_and_saveexec_b64 s[18:19], s[26:27]
	s_cbranch_execz .LBB247_76
; %bb.72:
	s_and_b64 vcc, exec, s[0:1]
	s_cbranch_vccnz .LBB247_74
; %bb.73:
	v_lshl_add_u64 v[42:43], v[38:39], 1, v[42:43]
	flat_load_ushort v42, v[42:43]
	s_waitcnt vmcnt(0) lgkmcnt(0)
	v_mul_f16_e32 v42, s28, v42
	s_branch .LBB247_75
.LBB247_74:
	v_mov_b32_e32 v42, 0
.LBB247_75:
	v_pk_max_f16 v20, v20, v20
	v_pk_max_f16 v43, v2, v2
	;; [unrolled: 1-line block ×3, first 2 shown]
	v_pk_min_f16 v20, v43, v20
	v_pk_max_f16 v43, v3, v3
	v_pk_add_f16 v20, v68, v20
	v_pk_min_f16 v21, v43, v21
	s_nop 0
	v_pk_add_f16 v20, v20, v21
	s_nop 0
	v_add_f16_sdwa v20, v20, v20 dst_sel:DWORD dst_unused:UNUSED_PAD src0_sel:DWORD src1_sel:WORD_1
	v_add_f16_e32 v42, v20, v42
	v_lshl_add_u64 v[20:21], v[38:39], 1, v[40:41]
	global_store_short v[20:21], v42, off
.LBB247_76:
	s_or_b64 exec, exec, s[18:19]
	v_add_u32_e32 v42, 32, v69
	v_mad_i64_i32 v[20:21], s[26:27], v42, s33, 0
	v_cmp_gt_i32_e64 s[18:19], s21, v42
	v_lshl_add_u64 v[40:41], v[20:21], 1, s[24:25]
	v_mad_i64_i32 v[20:21], s[26:27], v42, s31, 0
	v_lshl_add_u64 v[20:21], v[20:21], 1, s[22:23]
	s_and_b64 s[34:35], s[2:3], s[18:19]
	s_and_saveexec_b64 s[26:27], s[34:35]
	s_cbranch_execnz .LBB247_84
; %bb.77:
	s_or_b64 exec, exec, s[26:27]
	s_and_b64 s[34:35], s[4:5], s[18:19]
	s_and_saveexec_b64 s[26:27], s[34:35]
	s_cbranch_execnz .LBB247_88
.LBB247_78:
	s_or_b64 exec, exec, s[26:27]
	s_and_b64 s[34:35], s[6:7], s[18:19]
	s_and_saveexec_b64 s[26:27], s[34:35]
	s_cbranch_execnz .LBB247_92
.LBB247_79:
	s_or_b64 exec, exec, s[26:27]
	s_and_b64 s[34:35], s[8:9], s[18:19]
	s_and_saveexec_b64 s[26:27], s[34:35]
	s_cbranch_execnz .LBB247_96
.LBB247_80:
	s_or_b64 exec, exec, s[26:27]
	s_and_b64 s[34:35], s[10:11], s[18:19]
	s_and_saveexec_b64 s[26:27], s[34:35]
	s_cbranch_execnz .LBB247_100
.LBB247_81:
	s_or_b64 exec, exec, s[26:27]
	s_and_b64 s[34:35], s[12:13], s[18:19]
	s_and_saveexec_b64 s[26:27], s[34:35]
	s_cbranch_execnz .LBB247_104
.LBB247_82:
	s_or_b64 exec, exec, s[26:27]
	s_and_b64 s[34:35], s[14:15], s[18:19]
	s_and_saveexec_b64 s[26:27], s[34:35]
	s_cbranch_execnz .LBB247_108
.LBB247_83:
	s_or_b64 exec, exec, s[26:27]
	s_and_b64 s[26:27], s[16:17], s[18:19]
	s_and_saveexec_b64 s[18:19], s[26:27]
	s_cbranch_execnz .LBB247_112
	s_branch .LBB247_116
.LBB247_84:
	s_and_b64 vcc, exec, s[0:1]
	s_cbranch_vccnz .LBB247_86
; %bb.85:
	v_lshl_add_u64 v[42:43], v[24:25], 1, v[40:41]
	flat_load_ushort v42, v[42:43]
	s_waitcnt vmcnt(0) lgkmcnt(0)
	v_mul_f16_e32 v42, s28, v42
	s_branch .LBB247_87
.LBB247_86:
	v_mov_b32_e32 v42, 0
.LBB247_87:
	v_pk_max_f16 v43, v22, v22
	v_pk_max_f16 v68, v16, v16
	s_nop 0
	v_pk_min_f16 v43, v68, v43
	v_pk_max_f16 v68, v17, v17
	v_pk_add_f16 v43, v67, v43
	v_pk_max_f16 v67, v23, v23
	s_nop 0
	v_pk_min_f16 v67, v68, v67
	s_nop 0
	v_pk_add_f16 v43, v43, v67
	s_nop 0
	v_add_f16_sdwa v43, v43, v43 dst_sel:DWORD dst_unused:UNUSED_PAD src0_sel:DWORD src1_sel:WORD_1
	v_add_f16_e32 v67, v43, v42
	v_lshl_add_u64 v[42:43], v[24:25], 1, v[20:21]
	global_store_short v[42:43], v67, off
	s_or_b64 exec, exec, s[26:27]
	s_and_b64 s[34:35], s[4:5], s[18:19]
	s_and_saveexec_b64 s[26:27], s[34:35]
	s_cbranch_execz .LBB247_78
.LBB247_88:
	s_and_b64 vcc, exec, s[0:1]
	s_cbranch_vccnz .LBB247_90
; %bb.89:
	v_lshl_add_u64 v[42:43], v[26:27], 1, v[40:41]
	flat_load_ushort v42, v[42:43]
	s_waitcnt vmcnt(0) lgkmcnt(0)
	v_mul_f16_e32 v42, s28, v42
	s_branch .LBB247_91
.LBB247_90:
	v_mov_b32_e32 v42, 0
.LBB247_91:
	v_pk_max_f16 v43, v22, v22
	v_pk_max_f16 v67, v18, v18
	s_nop 0
	v_pk_min_f16 v43, v67, v43
	v_pk_max_f16 v67, v19, v19
	v_pk_add_f16 v43, v66, v43
	v_pk_max_f16 v66, v23, v23
	s_nop 0
	v_pk_min_f16 v66, v67, v66
	s_nop 0
	v_pk_add_f16 v43, v43, v66
	s_nop 0
	v_add_f16_sdwa v43, v43, v43 dst_sel:DWORD dst_unused:UNUSED_PAD src0_sel:DWORD src1_sel:WORD_1
	v_add_f16_e32 v66, v43, v42
	v_lshl_add_u64 v[42:43], v[26:27], 1, v[20:21]
	global_store_short v[42:43], v66, off
	s_or_b64 exec, exec, s[26:27]
	s_and_b64 s[34:35], s[6:7], s[18:19]
	s_and_saveexec_b64 s[26:27], s[34:35]
	s_cbranch_execz .LBB247_79
.LBB247_92:
	s_and_b64 vcc, exec, s[0:1]
	s_cbranch_vccnz .LBB247_94
; %bb.93:
	v_lshl_add_u64 v[42:43], v[28:29], 1, v[40:41]
	flat_load_ushort v42, v[42:43]
	s_waitcnt vmcnt(0) lgkmcnt(0)
	v_mul_f16_e32 v42, s28, v42
	s_branch .LBB247_95
.LBB247_94:
	v_mov_b32_e32 v42, 0
.LBB247_95:
	v_pk_max_f16 v43, v22, v22
	v_pk_max_f16 v66, v12, v12
	s_nop 0
	v_pk_min_f16 v43, v66, v43
	v_pk_max_f16 v66, v13, v13
	v_pk_add_f16 v43, v65, v43
	v_pk_max_f16 v65, v23, v23
	s_nop 0
	v_pk_min_f16 v65, v66, v65
	s_nop 0
	v_pk_add_f16 v43, v43, v65
	s_nop 0
	v_add_f16_sdwa v43, v43, v43 dst_sel:DWORD dst_unused:UNUSED_PAD src0_sel:DWORD src1_sel:WORD_1
	v_add_f16_e32 v65, v43, v42
	v_lshl_add_u64 v[42:43], v[28:29], 1, v[20:21]
	global_store_short v[42:43], v65, off
	s_or_b64 exec, exec, s[26:27]
	s_and_b64 s[34:35], s[8:9], s[18:19]
	s_and_saveexec_b64 s[26:27], s[34:35]
	s_cbranch_execz .LBB247_80
.LBB247_96:
	s_and_b64 vcc, exec, s[0:1]
	s_cbranch_vccnz .LBB247_98
; %bb.97:
	v_lshl_add_u64 v[42:43], v[30:31], 1, v[40:41]
	flat_load_ushort v42, v[42:43]
	s_waitcnt vmcnt(0) lgkmcnt(0)
	v_mul_f16_e32 v42, s28, v42
	s_branch .LBB247_99
.LBB247_98:
	v_mov_b32_e32 v42, 0
.LBB247_99:
	v_pk_max_f16 v43, v22, v22
	v_pk_max_f16 v65, v14, v14
	s_nop 0
	v_pk_min_f16 v43, v65, v43
	v_pk_max_f16 v65, v15, v15
	v_pk_add_f16 v43, v64, v43
	v_pk_max_f16 v64, v23, v23
	s_nop 0
	v_pk_min_f16 v64, v65, v64
	s_nop 0
	v_pk_add_f16 v43, v43, v64
	s_nop 0
	v_add_f16_sdwa v43, v43, v43 dst_sel:DWORD dst_unused:UNUSED_PAD src0_sel:DWORD src1_sel:WORD_1
	v_add_f16_e32 v64, v43, v42
	v_lshl_add_u64 v[42:43], v[30:31], 1, v[20:21]
	global_store_short v[42:43], v64, off
	s_or_b64 exec, exec, s[26:27]
	s_and_b64 s[34:35], s[10:11], s[18:19]
	s_and_saveexec_b64 s[26:27], s[34:35]
	s_cbranch_execz .LBB247_81
.LBB247_100:
	s_and_b64 vcc, exec, s[0:1]
	s_cbranch_vccnz .LBB247_102
; %bb.101:
	v_lshl_add_u64 v[42:43], v[32:33], 1, v[40:41]
	flat_load_ushort v42, v[42:43]
	s_waitcnt vmcnt(0) lgkmcnt(0)
	v_mul_f16_e32 v42, s28, v42
	s_branch .LBB247_103
.LBB247_102:
	v_mov_b32_e32 v42, 0
.LBB247_103:
	v_pk_max_f16 v43, v22, v22
	v_pk_max_f16 v64, v8, v8
	s_nop 0
	v_pk_min_f16 v43, v64, v43
	v_pk_max_f16 v64, v9, v9
	v_pk_add_f16 v43, v63, v43
	v_pk_max_f16 v63, v23, v23
	s_nop 0
	v_pk_min_f16 v63, v64, v63
	s_nop 0
	v_pk_add_f16 v43, v43, v63
	s_nop 0
	v_add_f16_sdwa v43, v43, v43 dst_sel:DWORD dst_unused:UNUSED_PAD src0_sel:DWORD src1_sel:WORD_1
	v_add_f16_e32 v63, v43, v42
	v_lshl_add_u64 v[42:43], v[32:33], 1, v[20:21]
	global_store_short v[42:43], v63, off
	s_or_b64 exec, exec, s[26:27]
	s_and_b64 s[34:35], s[12:13], s[18:19]
	s_and_saveexec_b64 s[26:27], s[34:35]
	s_cbranch_execz .LBB247_82
.LBB247_104:
	s_and_b64 vcc, exec, s[0:1]
	s_cbranch_vccnz .LBB247_106
; %bb.105:
	v_lshl_add_u64 v[42:43], v[34:35], 1, v[40:41]
	flat_load_ushort v42, v[42:43]
	s_waitcnt vmcnt(0) lgkmcnt(0)
	v_mul_f16_e32 v42, s28, v42
	s_branch .LBB247_107
.LBB247_106:
	v_mov_b32_e32 v42, 0
.LBB247_107:
	v_pk_max_f16 v43, v22, v22
	v_pk_max_f16 v63, v10, v10
	s_nop 0
	v_pk_min_f16 v43, v63, v43
	v_pk_max_f16 v63, v11, v11
	v_pk_add_f16 v43, v62, v43
	v_pk_max_f16 v62, v23, v23
	s_nop 0
	v_pk_min_f16 v62, v63, v62
	s_nop 0
	v_pk_add_f16 v43, v43, v62
	s_nop 0
	v_add_f16_sdwa v43, v43, v43 dst_sel:DWORD dst_unused:UNUSED_PAD src0_sel:DWORD src1_sel:WORD_1
	v_add_f16_e32 v62, v43, v42
	v_lshl_add_u64 v[42:43], v[34:35], 1, v[20:21]
	global_store_short v[42:43], v62, off
	s_or_b64 exec, exec, s[26:27]
	s_and_b64 s[34:35], s[14:15], s[18:19]
	s_and_saveexec_b64 s[26:27], s[34:35]
	s_cbranch_execz .LBB247_83
.LBB247_108:
	s_and_b64 vcc, exec, s[0:1]
	s_cbranch_vccnz .LBB247_110
; %bb.109:
	v_lshl_add_u64 v[42:43], v[36:37], 1, v[40:41]
	flat_load_ushort v42, v[42:43]
	s_waitcnt vmcnt(0) lgkmcnt(0)
	v_mul_f16_e32 v42, s28, v42
	s_branch .LBB247_111
.LBB247_110:
	v_mov_b32_e32 v42, 0
.LBB247_111:
	v_pk_max_f16 v43, v22, v22
	v_pk_max_f16 v62, v0, v0
	s_nop 0
	v_pk_min_f16 v43, v62, v43
	v_pk_max_f16 v62, v1, v1
	v_pk_add_f16 v43, v61, v43
	v_pk_max_f16 v61, v23, v23
	s_nop 0
	v_pk_min_f16 v61, v62, v61
	s_nop 0
	v_pk_add_f16 v43, v43, v61
	s_nop 0
	v_add_f16_sdwa v43, v43, v43 dst_sel:DWORD dst_unused:UNUSED_PAD src0_sel:DWORD src1_sel:WORD_1
	v_add_f16_e32 v61, v43, v42
	v_lshl_add_u64 v[42:43], v[36:37], 1, v[20:21]
	global_store_short v[42:43], v61, off
	s_or_b64 exec, exec, s[26:27]
	s_and_b64 s[26:27], s[16:17], s[18:19]
	s_and_saveexec_b64 s[18:19], s[26:27]
	s_cbranch_execz .LBB247_116
.LBB247_112:
	s_and_b64 vcc, exec, s[0:1]
	s_cbranch_vccnz .LBB247_114
; %bb.113:
	v_lshl_add_u64 v[40:41], v[38:39], 1, v[40:41]
	flat_load_ushort v40, v[40:41]
	s_waitcnt vmcnt(0) lgkmcnt(0)
	v_mul_f16_e32 v40, s28, v40
	s_branch .LBB247_115
.LBB247_114:
	v_mov_b32_e32 v40, 0
.LBB247_115:
	v_pk_max_f16 v22, v22, v22
	v_pk_max_f16 v41, v2, v2
	v_pk_max_f16 v23, v23, v23
	v_pk_min_f16 v22, v41, v22
	v_pk_max_f16 v41, v3, v3
	v_pk_add_f16 v22, v60, v22
	v_pk_min_f16 v23, v41, v23
	v_lshl_add_u64 v[20:21], v[38:39], 1, v[20:21]
	v_pk_add_f16 v22, v22, v23
	s_nop 0
	v_add_f16_sdwa v22, v22, v22 dst_sel:DWORD dst_unused:UNUSED_PAD src0_sel:DWORD src1_sel:WORD_1
	v_add_f16_e32 v22, v22, v40
	global_store_short v[20:21], v22, off
.LBB247_116:
	s_or_b64 exec, exec, s[18:19]
	v_add_u32_e32 v40, 64, v69
	v_mad_i64_i32 v[20:21], s[26:27], v40, s33, 0
	v_cmp_gt_i32_e64 s[18:19], s21, v40
	v_lshl_add_u64 v[22:23], v[20:21], 1, s[24:25]
	v_mad_i64_i32 v[20:21], s[26:27], v40, s31, 0
	v_lshl_add_u64 v[20:21], v[20:21], 1, s[22:23]
	s_and_b64 s[34:35], s[2:3], s[18:19]
	s_and_saveexec_b64 s[26:27], s[34:35]
	s_cbranch_execnz .LBB247_124
; %bb.117:
	s_or_b64 exec, exec, s[26:27]
	s_and_b64 s[34:35], s[4:5], s[18:19]
	s_and_saveexec_b64 s[26:27], s[34:35]
	s_cbranch_execnz .LBB247_128
.LBB247_118:
	s_or_b64 exec, exec, s[26:27]
	s_and_b64 s[34:35], s[6:7], s[18:19]
	s_and_saveexec_b64 s[26:27], s[34:35]
	s_cbranch_execnz .LBB247_132
.LBB247_119:
	s_or_b64 exec, exec, s[26:27]
	s_and_b64 s[34:35], s[8:9], s[18:19]
	s_and_saveexec_b64 s[26:27], s[34:35]
	s_cbranch_execnz .LBB247_136
.LBB247_120:
	s_or_b64 exec, exec, s[26:27]
	s_and_b64 s[34:35], s[10:11], s[18:19]
	s_and_saveexec_b64 s[26:27], s[34:35]
	s_cbranch_execnz .LBB247_140
.LBB247_121:
	s_or_b64 exec, exec, s[26:27]
	s_and_b64 s[34:35], s[12:13], s[18:19]
	s_and_saveexec_b64 s[26:27], s[34:35]
	s_cbranch_execnz .LBB247_144
.LBB247_122:
	s_or_b64 exec, exec, s[26:27]
	s_and_b64 s[34:35], s[14:15], s[18:19]
	s_and_saveexec_b64 s[26:27], s[34:35]
	s_cbranch_execnz .LBB247_148
.LBB247_123:
	s_or_b64 exec, exec, s[26:27]
	s_and_b64 s[26:27], s[16:17], s[18:19]
	s_and_saveexec_b64 s[18:19], s[26:27]
	s_cbranch_execnz .LBB247_152
	s_branch .LBB247_156
.LBB247_124:
	s_and_b64 vcc, exec, s[0:1]
	s_cbranch_vccnz .LBB247_126
; %bb.125:
	v_lshl_add_u64 v[40:41], v[24:25], 1, v[22:23]
	flat_load_ushort v40, v[40:41]
	s_waitcnt vmcnt(0) lgkmcnt(0)
	v_mul_f16_e32 v40, s28, v40
	s_branch .LBB247_127
.LBB247_126:
	v_mov_b32_e32 v40, 0
.LBB247_127:
	v_pk_max_f16 v41, v4, v4
	v_pk_max_f16 v42, v16, v16
	;; [unrolled: 1-line block ×3, first 2 shown]
	v_pk_min_f16 v41, v42, v41
	v_pk_max_f16 v42, v5, v5
	v_pk_add_f16 v41, v59, v41
	v_pk_min_f16 v42, v43, v42
	s_nop 0
	v_pk_add_f16 v41, v41, v42
	s_nop 0
	v_add_f16_sdwa v41, v41, v41 dst_sel:DWORD dst_unused:UNUSED_PAD src0_sel:DWORD src1_sel:WORD_1
	v_add_f16_e32 v42, v41, v40
	v_lshl_add_u64 v[40:41], v[24:25], 1, v[20:21]
	global_store_short v[40:41], v42, off
	s_or_b64 exec, exec, s[26:27]
	s_and_b64 s[34:35], s[4:5], s[18:19]
	s_and_saveexec_b64 s[26:27], s[34:35]
	s_cbranch_execz .LBB247_118
.LBB247_128:
	s_and_b64 vcc, exec, s[0:1]
	s_cbranch_vccnz .LBB247_130
; %bb.129:
	v_lshl_add_u64 v[40:41], v[26:27], 1, v[22:23]
	flat_load_ushort v40, v[40:41]
	s_waitcnt vmcnt(0) lgkmcnt(0)
	v_mul_f16_e32 v40, s28, v40
	s_branch .LBB247_131
.LBB247_130:
	v_mov_b32_e32 v40, 0
.LBB247_131:
	v_pk_max_f16 v41, v4, v4
	v_pk_max_f16 v42, v18, v18
	;; [unrolled: 1-line block ×3, first 2 shown]
	v_pk_min_f16 v41, v42, v41
	v_pk_max_f16 v42, v5, v5
	v_pk_add_f16 v41, v58, v41
	v_pk_min_f16 v42, v43, v42
	s_nop 0
	v_pk_add_f16 v41, v41, v42
	s_nop 0
	v_add_f16_sdwa v41, v41, v41 dst_sel:DWORD dst_unused:UNUSED_PAD src0_sel:DWORD src1_sel:WORD_1
	v_add_f16_e32 v42, v41, v40
	v_lshl_add_u64 v[40:41], v[26:27], 1, v[20:21]
	global_store_short v[40:41], v42, off
	s_or_b64 exec, exec, s[26:27]
	s_and_b64 s[34:35], s[6:7], s[18:19]
	s_and_saveexec_b64 s[26:27], s[34:35]
	s_cbranch_execz .LBB247_119
.LBB247_132:
	s_and_b64 vcc, exec, s[0:1]
	s_cbranch_vccnz .LBB247_134
; %bb.133:
	v_lshl_add_u64 v[40:41], v[28:29], 1, v[22:23]
	flat_load_ushort v40, v[40:41]
	s_waitcnt vmcnt(0) lgkmcnt(0)
	v_mul_f16_e32 v40, s28, v40
	s_branch .LBB247_135
.LBB247_134:
	v_mov_b32_e32 v40, 0
.LBB247_135:
	v_pk_max_f16 v41, v4, v4
	v_pk_max_f16 v42, v12, v12
	;; [unrolled: 1-line block ×3, first 2 shown]
	v_pk_min_f16 v41, v42, v41
	v_pk_max_f16 v42, v5, v5
	v_pk_add_f16 v41, v57, v41
	v_pk_min_f16 v42, v43, v42
	s_nop 0
	v_pk_add_f16 v41, v41, v42
	s_nop 0
	v_add_f16_sdwa v41, v41, v41 dst_sel:DWORD dst_unused:UNUSED_PAD src0_sel:DWORD src1_sel:WORD_1
	v_add_f16_e32 v42, v41, v40
	v_lshl_add_u64 v[40:41], v[28:29], 1, v[20:21]
	global_store_short v[40:41], v42, off
	s_or_b64 exec, exec, s[26:27]
	s_and_b64 s[34:35], s[8:9], s[18:19]
	s_and_saveexec_b64 s[26:27], s[34:35]
	s_cbranch_execz .LBB247_120
.LBB247_136:
	s_and_b64 vcc, exec, s[0:1]
	s_cbranch_vccnz .LBB247_138
; %bb.137:
	v_lshl_add_u64 v[40:41], v[30:31], 1, v[22:23]
	flat_load_ushort v40, v[40:41]
	s_waitcnt vmcnt(0) lgkmcnt(0)
	v_mul_f16_e32 v40, s28, v40
	s_branch .LBB247_139
.LBB247_138:
	v_mov_b32_e32 v40, 0
.LBB247_139:
	v_pk_max_f16 v41, v4, v4
	v_pk_max_f16 v42, v14, v14
	;; [unrolled: 1-line block ×3, first 2 shown]
	v_pk_min_f16 v41, v42, v41
	v_pk_max_f16 v42, v5, v5
	v_pk_add_f16 v41, v56, v41
	v_pk_min_f16 v42, v43, v42
	s_nop 0
	v_pk_add_f16 v41, v41, v42
	s_nop 0
	v_add_f16_sdwa v41, v41, v41 dst_sel:DWORD dst_unused:UNUSED_PAD src0_sel:DWORD src1_sel:WORD_1
	v_add_f16_e32 v42, v41, v40
	v_lshl_add_u64 v[40:41], v[30:31], 1, v[20:21]
	global_store_short v[40:41], v42, off
	s_or_b64 exec, exec, s[26:27]
	s_and_b64 s[34:35], s[10:11], s[18:19]
	s_and_saveexec_b64 s[26:27], s[34:35]
	s_cbranch_execz .LBB247_121
.LBB247_140:
	s_and_b64 vcc, exec, s[0:1]
	s_cbranch_vccnz .LBB247_142
; %bb.141:
	v_lshl_add_u64 v[40:41], v[32:33], 1, v[22:23]
	flat_load_ushort v40, v[40:41]
	s_waitcnt vmcnt(0) lgkmcnt(0)
	v_mul_f16_e32 v40, s28, v40
	s_branch .LBB247_143
.LBB247_142:
	v_mov_b32_e32 v40, 0
.LBB247_143:
	v_pk_max_f16 v41, v4, v4
	v_pk_max_f16 v42, v8, v8
	v_pk_max_f16 v43, v9, v9
	v_pk_min_f16 v41, v42, v41
	v_pk_max_f16 v42, v5, v5
	v_pk_add_f16 v41, v55, v41
	v_pk_min_f16 v42, v43, v42
	s_nop 0
	v_pk_add_f16 v41, v41, v42
	s_nop 0
	v_add_f16_sdwa v41, v41, v41 dst_sel:DWORD dst_unused:UNUSED_PAD src0_sel:DWORD src1_sel:WORD_1
	v_add_f16_e32 v42, v41, v40
	v_lshl_add_u64 v[40:41], v[32:33], 1, v[20:21]
	global_store_short v[40:41], v42, off
	s_or_b64 exec, exec, s[26:27]
	s_and_b64 s[34:35], s[12:13], s[18:19]
	s_and_saveexec_b64 s[26:27], s[34:35]
	s_cbranch_execz .LBB247_122
.LBB247_144:
	s_and_b64 vcc, exec, s[0:1]
	s_cbranch_vccnz .LBB247_146
; %bb.145:
	v_lshl_add_u64 v[40:41], v[34:35], 1, v[22:23]
	flat_load_ushort v40, v[40:41]
	s_waitcnt vmcnt(0) lgkmcnt(0)
	v_mul_f16_e32 v40, s28, v40
	s_branch .LBB247_147
.LBB247_146:
	v_mov_b32_e32 v40, 0
.LBB247_147:
	v_pk_max_f16 v41, v4, v4
	v_pk_max_f16 v42, v10, v10
	;; [unrolled: 1-line block ×3, first 2 shown]
	v_pk_min_f16 v41, v42, v41
	v_pk_max_f16 v42, v5, v5
	v_pk_add_f16 v41, v54, v41
	v_pk_min_f16 v42, v43, v42
	s_nop 0
	v_pk_add_f16 v41, v41, v42
	s_nop 0
	v_add_f16_sdwa v41, v41, v41 dst_sel:DWORD dst_unused:UNUSED_PAD src0_sel:DWORD src1_sel:WORD_1
	v_add_f16_e32 v42, v41, v40
	v_lshl_add_u64 v[40:41], v[34:35], 1, v[20:21]
	global_store_short v[40:41], v42, off
	s_or_b64 exec, exec, s[26:27]
	s_and_b64 s[34:35], s[14:15], s[18:19]
	s_and_saveexec_b64 s[26:27], s[34:35]
	s_cbranch_execz .LBB247_123
.LBB247_148:
	s_and_b64 vcc, exec, s[0:1]
	s_cbranch_vccnz .LBB247_150
; %bb.149:
	v_lshl_add_u64 v[40:41], v[36:37], 1, v[22:23]
	flat_load_ushort v40, v[40:41]
	s_waitcnt vmcnt(0) lgkmcnt(0)
	v_mul_f16_e32 v40, s28, v40
	s_branch .LBB247_151
.LBB247_150:
	v_mov_b32_e32 v40, 0
.LBB247_151:
	v_pk_max_f16 v41, v4, v4
	v_pk_max_f16 v42, v0, v0
	;; [unrolled: 1-line block ×3, first 2 shown]
	v_pk_min_f16 v41, v42, v41
	v_pk_max_f16 v42, v5, v5
	v_pk_add_f16 v41, v53, v41
	v_pk_min_f16 v42, v43, v42
	s_nop 0
	v_pk_add_f16 v41, v41, v42
	s_nop 0
	v_add_f16_sdwa v41, v41, v41 dst_sel:DWORD dst_unused:UNUSED_PAD src0_sel:DWORD src1_sel:WORD_1
	v_add_f16_e32 v42, v41, v40
	v_lshl_add_u64 v[40:41], v[36:37], 1, v[20:21]
	global_store_short v[40:41], v42, off
	s_or_b64 exec, exec, s[26:27]
	s_and_b64 s[26:27], s[16:17], s[18:19]
	s_and_saveexec_b64 s[18:19], s[26:27]
	s_cbranch_execz .LBB247_156
.LBB247_152:
	s_and_b64 vcc, exec, s[0:1]
	s_cbranch_vccnz .LBB247_154
; %bb.153:
	v_lshl_add_u64 v[22:23], v[38:39], 1, v[22:23]
	flat_load_ushort v22, v[22:23]
	s_waitcnt vmcnt(0) lgkmcnt(0)
	v_mul_f16_e32 v22, s28, v22
	s_branch .LBB247_155
.LBB247_154:
	v_mov_b32_e32 v22, 0
.LBB247_155:
	v_pk_max_f16 v4, v4, v4
	v_pk_max_f16 v23, v2, v2
	;; [unrolled: 1-line block ×3, first 2 shown]
	v_pk_min_f16 v4, v23, v4
	v_pk_max_f16 v23, v3, v3
	v_pk_add_f16 v4, v52, v4
	v_pk_min_f16 v5, v23, v5
	s_nop 0
	v_pk_add_f16 v4, v4, v5
	s_nop 0
	v_add_f16_sdwa v4, v4, v4 dst_sel:DWORD dst_unused:UNUSED_PAD src0_sel:DWORD src1_sel:WORD_1
	v_add_f16_e32 v22, v4, v22
	v_lshl_add_u64 v[4:5], v[38:39], 1, v[20:21]
	global_store_short v[4:5], v22, off
.LBB247_156:
	s_or_b64 exec, exec, s[18:19]
	v_add_u32_e32 v22, 0x60, v69
	v_cmp_gt_i32_e64 s[18:19], s21, v22
	v_mad_i64_i32 v[4:5], s[20:21], v22, s33, 0
	v_lshl_add_u64 v[20:21], v[4:5], 1, s[24:25]
	v_mad_i64_i32 v[4:5], s[20:21], v22, s31, 0
	v_lshl_add_u64 v[4:5], v[4:5], 1, s[22:23]
	s_and_b64 s[20:21], s[2:3], s[18:19]
	s_and_saveexec_b64 s[2:3], s[20:21]
	s_cbranch_execnz .LBB247_165
; %bb.157:
	s_or_b64 exec, exec, s[2:3]
	s_and_b64 s[4:5], s[4:5], s[18:19]
	s_and_saveexec_b64 s[2:3], s[4:5]
	s_cbranch_execnz .LBB247_169
.LBB247_158:
	s_or_b64 exec, exec, s[2:3]
	s_and_b64 s[4:5], s[6:7], s[18:19]
	s_and_saveexec_b64 s[2:3], s[4:5]
	s_cbranch_execnz .LBB247_173
.LBB247_159:
	s_or_b64 exec, exec, s[2:3]
	s_and_b64 s[4:5], s[8:9], s[18:19]
	s_and_saveexec_b64 s[2:3], s[4:5]
	s_cbranch_execnz .LBB247_177
.LBB247_160:
	s_or_b64 exec, exec, s[2:3]
	s_and_b64 s[4:5], s[10:11], s[18:19]
	s_and_saveexec_b64 s[2:3], s[4:5]
	s_cbranch_execnz .LBB247_181
.LBB247_161:
	s_or_b64 exec, exec, s[2:3]
	s_and_b64 s[4:5], s[12:13], s[18:19]
	s_and_saveexec_b64 s[2:3], s[4:5]
	s_cbranch_execnz .LBB247_185
.LBB247_162:
	s_or_b64 exec, exec, s[2:3]
	s_and_b64 s[4:5], s[14:15], s[18:19]
	s_and_saveexec_b64 s[2:3], s[4:5]
	s_cbranch_execnz .LBB247_189
.LBB247_163:
	s_or_b64 exec, exec, s[2:3]
	s_and_b64 s[2:3], s[16:17], s[18:19]
	s_and_saveexec_b64 s[4:5], s[2:3]
	s_cbranch_execnz .LBB247_193
.LBB247_164:
	s_endpgm
.LBB247_165:
	s_and_b64 vcc, exec, s[0:1]
	s_cbranch_vccnz .LBB247_167
; %bb.166:
	v_lshl_add_u64 v[22:23], v[24:25], 1, v[20:21]
	flat_load_ushort v22, v[22:23]
	s_waitcnt vmcnt(0) lgkmcnt(0)
	v_mul_f16_e32 v22, s28, v22
	s_branch .LBB247_168
.LBB247_167:
	v_mov_b32_e32 v22, 0
.LBB247_168:
	v_pk_max_f16 v23, v6, v6
	v_pk_max_f16 v16, v16, v16
	;; [unrolled: 1-line block ×3, first 2 shown]
	v_pk_min_f16 v16, v16, v23
	v_pk_max_f16 v23, v7, v7
	v_pk_add_f16 v16, v51, v16
	v_pk_min_f16 v17, v17, v23
	s_nop 0
	v_pk_add_f16 v16, v16, v17
	s_nop 0
	v_add_f16_sdwa v16, v16, v16 dst_sel:DWORD dst_unused:UNUSED_PAD src0_sel:DWORD src1_sel:WORD_1
	v_add_f16_e32 v22, v16, v22
	v_lshl_add_u64 v[16:17], v[24:25], 1, v[4:5]
	global_store_short v[16:17], v22, off
	s_or_b64 exec, exec, s[2:3]
	s_and_b64 s[4:5], s[4:5], s[18:19]
	s_and_saveexec_b64 s[2:3], s[4:5]
	s_cbranch_execz .LBB247_158
.LBB247_169:
	s_and_b64 vcc, exec, s[0:1]
	s_cbranch_vccnz .LBB247_171
; %bb.170:
	v_lshl_add_u64 v[16:17], v[26:27], 1, v[20:21]
	flat_load_ushort v16, v[16:17]
	s_waitcnt vmcnt(0) lgkmcnt(0)
	v_mul_f16_e32 v16, s28, v16
	s_branch .LBB247_172
.LBB247_171:
	v_mov_b32_e32 v16, 0
.LBB247_172:
	v_pk_max_f16 v17, v6, v6
	v_pk_max_f16 v18, v18, v18
	;; [unrolled: 1-line block ×3, first 2 shown]
	v_pk_min_f16 v17, v18, v17
	v_pk_max_f16 v18, v7, v7
	v_pk_add_f16 v17, v50, v17
	v_pk_min_f16 v18, v19, v18
	s_nop 0
	v_pk_add_f16 v17, v17, v18
	s_nop 0
	v_add_f16_sdwa v17, v17, v17 dst_sel:DWORD dst_unused:UNUSED_PAD src0_sel:DWORD src1_sel:WORD_1
	v_add_f16_e32 v18, v17, v16
	v_lshl_add_u64 v[16:17], v[26:27], 1, v[4:5]
	global_store_short v[16:17], v18, off
	s_or_b64 exec, exec, s[2:3]
	s_and_b64 s[4:5], s[6:7], s[18:19]
	s_and_saveexec_b64 s[2:3], s[4:5]
	s_cbranch_execz .LBB247_159
.LBB247_173:
	s_and_b64 vcc, exec, s[0:1]
	s_cbranch_vccnz .LBB247_175
; %bb.174:
	v_lshl_add_u64 v[16:17], v[28:29], 1, v[20:21]
	flat_load_ushort v16, v[16:17]
	s_waitcnt vmcnt(0) lgkmcnt(0)
	v_mul_f16_e32 v16, s28, v16
	s_branch .LBB247_176
.LBB247_175:
	v_mov_b32_e32 v16, 0
.LBB247_176:
	v_pk_max_f16 v17, v6, v6
	v_pk_max_f16 v12, v12, v12
	v_pk_max_f16 v13, v13, v13
	v_pk_min_f16 v12, v12, v17
	v_pk_max_f16 v17, v7, v7
	v_pk_add_f16 v12, v49, v12
	v_pk_min_f16 v13, v13, v17
	s_nop 0
	v_pk_add_f16 v12, v12, v13
	s_nop 0
	v_add_f16_sdwa v12, v12, v12 dst_sel:DWORD dst_unused:UNUSED_PAD src0_sel:DWORD src1_sel:WORD_1
	v_add_f16_e32 v16, v12, v16
	v_lshl_add_u64 v[12:13], v[28:29], 1, v[4:5]
	global_store_short v[12:13], v16, off
	s_or_b64 exec, exec, s[2:3]
	s_and_b64 s[4:5], s[8:9], s[18:19]
	s_and_saveexec_b64 s[2:3], s[4:5]
	s_cbranch_execz .LBB247_160
.LBB247_177:
	s_and_b64 vcc, exec, s[0:1]
	s_cbranch_vccnz .LBB247_179
; %bb.178:
	v_lshl_add_u64 v[12:13], v[30:31], 1, v[20:21]
	flat_load_ushort v12, v[12:13]
	s_waitcnt vmcnt(0) lgkmcnt(0)
	v_mul_f16_e32 v12, s28, v12
	s_branch .LBB247_180
.LBB247_179:
	v_mov_b32_e32 v12, 0
.LBB247_180:
	v_pk_max_f16 v13, v6, v6
	v_pk_max_f16 v14, v14, v14
	;; [unrolled: 1-line block ×3, first 2 shown]
	v_pk_min_f16 v13, v14, v13
	v_pk_max_f16 v14, v7, v7
	v_pk_add_f16 v13, v48, v13
	v_pk_min_f16 v14, v15, v14
	s_nop 0
	v_pk_add_f16 v13, v13, v14
	s_nop 0
	v_add_f16_sdwa v13, v13, v13 dst_sel:DWORD dst_unused:UNUSED_PAD src0_sel:DWORD src1_sel:WORD_1
	v_add_f16_e32 v14, v13, v12
	v_lshl_add_u64 v[12:13], v[30:31], 1, v[4:5]
	global_store_short v[12:13], v14, off
	s_or_b64 exec, exec, s[2:3]
	s_and_b64 s[4:5], s[10:11], s[18:19]
	s_and_saveexec_b64 s[2:3], s[4:5]
	s_cbranch_execz .LBB247_161
.LBB247_181:
	s_and_b64 vcc, exec, s[0:1]
	s_cbranch_vccnz .LBB247_183
; %bb.182:
	v_lshl_add_u64 v[12:13], v[32:33], 1, v[20:21]
	flat_load_ushort v12, v[12:13]
	s_waitcnt vmcnt(0) lgkmcnt(0)
	v_mul_f16_e32 v12, s28, v12
	s_branch .LBB247_184
.LBB247_183:
	v_mov_b32_e32 v12, 0
.LBB247_184:
	v_pk_max_f16 v13, v6, v6
	v_pk_max_f16 v8, v8, v8
	;; [unrolled: 1-line block ×3, first 2 shown]
	v_pk_min_f16 v8, v8, v13
	v_pk_max_f16 v13, v7, v7
	v_pk_add_f16 v8, v47, v8
	v_pk_min_f16 v9, v9, v13
	s_nop 0
	v_pk_add_f16 v8, v8, v9
	s_nop 0
	v_add_f16_sdwa v8, v8, v8 dst_sel:DWORD dst_unused:UNUSED_PAD src0_sel:DWORD src1_sel:WORD_1
	v_add_f16_e32 v12, v8, v12
	v_lshl_add_u64 v[8:9], v[32:33], 1, v[4:5]
	global_store_short v[8:9], v12, off
	s_or_b64 exec, exec, s[2:3]
	s_and_b64 s[4:5], s[12:13], s[18:19]
	s_and_saveexec_b64 s[2:3], s[4:5]
	s_cbranch_execz .LBB247_162
.LBB247_185:
	s_and_b64 vcc, exec, s[0:1]
	s_cbranch_vccnz .LBB247_187
; %bb.186:
	v_lshl_add_u64 v[8:9], v[34:35], 1, v[20:21]
	flat_load_ushort v8, v[8:9]
	s_waitcnt vmcnt(0) lgkmcnt(0)
	v_mul_f16_e32 v8, s28, v8
	s_branch .LBB247_188
.LBB247_187:
	v_mov_b32_e32 v8, 0
.LBB247_188:
	v_pk_max_f16 v9, v6, v6
	v_pk_max_f16 v10, v10, v10
	;; [unrolled: 1-line block ×3, first 2 shown]
	v_pk_min_f16 v9, v10, v9
	v_pk_max_f16 v10, v7, v7
	v_pk_add_f16 v9, v46, v9
	v_pk_min_f16 v10, v11, v10
	s_nop 0
	v_pk_add_f16 v9, v9, v10
	s_nop 0
	v_add_f16_sdwa v9, v9, v9 dst_sel:DWORD dst_unused:UNUSED_PAD src0_sel:DWORD src1_sel:WORD_1
	v_add_f16_e32 v10, v9, v8
	v_lshl_add_u64 v[8:9], v[34:35], 1, v[4:5]
	global_store_short v[8:9], v10, off
	s_or_b64 exec, exec, s[2:3]
	s_and_b64 s[4:5], s[14:15], s[18:19]
	s_and_saveexec_b64 s[2:3], s[4:5]
	s_cbranch_execz .LBB247_163
.LBB247_189:
	s_and_b64 vcc, exec, s[0:1]
	s_cbranch_vccnz .LBB247_191
; %bb.190:
	v_lshl_add_u64 v[8:9], v[36:37], 1, v[20:21]
	flat_load_ushort v8, v[8:9]
	s_waitcnt vmcnt(0) lgkmcnt(0)
	v_mul_f16_e32 v8, s28, v8
	s_branch .LBB247_192
.LBB247_191:
	v_mov_b32_e32 v8, 0
.LBB247_192:
	v_pk_max_f16 v9, v6, v6
	v_pk_max_f16 v0, v0, v0
	;; [unrolled: 1-line block ×3, first 2 shown]
	v_pk_min_f16 v0, v0, v9
	v_pk_max_f16 v9, v7, v7
	v_pk_add_f16 v0, v45, v0
	v_pk_min_f16 v1, v1, v9
	s_nop 0
	v_pk_add_f16 v0, v0, v1
	s_nop 0
	v_add_f16_sdwa v0, v0, v0 dst_sel:DWORD dst_unused:UNUSED_PAD src0_sel:DWORD src1_sel:WORD_1
	v_add_f16_e32 v8, v0, v8
	v_lshl_add_u64 v[0:1], v[36:37], 1, v[4:5]
	global_store_short v[0:1], v8, off
	s_or_b64 exec, exec, s[2:3]
	s_and_b64 s[2:3], s[16:17], s[18:19]
	s_and_saveexec_b64 s[4:5], s[2:3]
	s_cbranch_execz .LBB247_164
.LBB247_193:
	s_and_b64 vcc, exec, s[0:1]
	s_cbranch_vccnz .LBB247_195
; %bb.194:
	v_lshl_add_u64 v[0:1], v[38:39], 1, v[20:21]
	flat_load_ushort v0, v[0:1]
	s_waitcnt vmcnt(0) lgkmcnt(0)
	v_mul_f16_e32 v0, s28, v0
	s_branch .LBB247_196
.LBB247_195:
	v_mov_b32_e32 v0, 0
.LBB247_196:
	v_pk_max_f16 v1, v6, v6
	v_pk_max_f16 v2, v2, v2
	;; [unrolled: 1-line block ×3, first 2 shown]
	v_pk_min_f16 v1, v2, v1
	v_pk_max_f16 v2, v7, v7
	v_pk_add_f16 v1, v44, v1
	v_pk_min_f16 v2, v3, v2
	s_nop 0
	v_pk_add_f16 v1, v1, v2
	s_nop 0
	v_add_f16_sdwa v1, v1, v1 dst_sel:DWORD dst_unused:UNUSED_PAD src0_sel:DWORD src1_sel:WORD_1
	v_add_f16_e32 v2, v1, v0
	v_lshl_add_u64 v[0:1], v[38:39], 1, v[4:5]
	global_store_short v[0:1], v2, off
	s_endpgm
	.section	.rodata,"a",@progbits
	.p2align	6, 0x0
	.amdhsa_kernel _ZN12_GLOBAL__N_120geam_min_plus_kernelIDF16_Dv2_DF16_S1_Li8ELi32ELi64ELi128ELi4ELi64ELi4ELi64ELi4ELc78ELc84ELb1ELb1ELb0EDF16_KPKDF16_KPDF16_EEviiiT16_PT17_ilS9_ilS7_S9_ilPT18_ili26rocblas_geam_ex_operation_
		.amdhsa_group_segment_fixed_size 3072
		.amdhsa_private_segment_fixed_size 0
		.amdhsa_kernarg_size 128
		.amdhsa_user_sgpr_count 2
		.amdhsa_user_sgpr_dispatch_ptr 0
		.amdhsa_user_sgpr_queue_ptr 0
		.amdhsa_user_sgpr_kernarg_segment_ptr 1
		.amdhsa_user_sgpr_dispatch_id 0
		.amdhsa_user_sgpr_kernarg_preload_length 0
		.amdhsa_user_sgpr_kernarg_preload_offset 0
		.amdhsa_user_sgpr_private_segment_size 0
		.amdhsa_uses_dynamic_stack 0
		.amdhsa_enable_private_segment 0
		.amdhsa_system_sgpr_workgroup_id_x 1
		.amdhsa_system_sgpr_workgroup_id_y 0
		.amdhsa_system_sgpr_workgroup_id_z 1
		.amdhsa_system_sgpr_workgroup_info 0
		.amdhsa_system_vgpr_workitem_id 1
		.amdhsa_next_free_vgpr 127
		.amdhsa_next_free_sgpr 36
		.amdhsa_accum_offset 128
		.amdhsa_reserve_vcc 1
		.amdhsa_float_round_mode_32 0
		.amdhsa_float_round_mode_16_64 0
		.amdhsa_float_denorm_mode_32 3
		.amdhsa_float_denorm_mode_16_64 3
		.amdhsa_dx10_clamp 1
		.amdhsa_ieee_mode 1
		.amdhsa_fp16_overflow 0
		.amdhsa_tg_split 0
		.amdhsa_exception_fp_ieee_invalid_op 0
		.amdhsa_exception_fp_denorm_src 0
		.amdhsa_exception_fp_ieee_div_zero 0
		.amdhsa_exception_fp_ieee_overflow 0
		.amdhsa_exception_fp_ieee_underflow 0
		.amdhsa_exception_fp_ieee_inexact 0
		.amdhsa_exception_int_div_zero 0
	.end_amdhsa_kernel
	.section	.text._ZN12_GLOBAL__N_120geam_min_plus_kernelIDF16_Dv2_DF16_S1_Li8ELi32ELi64ELi128ELi4ELi64ELi4ELi64ELi4ELc78ELc84ELb1ELb1ELb0EDF16_KPKDF16_KPDF16_EEviiiT16_PT17_ilS9_ilS7_S9_ilPT18_ili26rocblas_geam_ex_operation_,"axG",@progbits,_ZN12_GLOBAL__N_120geam_min_plus_kernelIDF16_Dv2_DF16_S1_Li8ELi32ELi64ELi128ELi4ELi64ELi4ELi64ELi4ELc78ELc84ELb1ELb1ELb0EDF16_KPKDF16_KPDF16_EEviiiT16_PT17_ilS9_ilS7_S9_ilPT18_ili26rocblas_geam_ex_operation_,comdat
.Lfunc_end247:
	.size	_ZN12_GLOBAL__N_120geam_min_plus_kernelIDF16_Dv2_DF16_S1_Li8ELi32ELi64ELi128ELi4ELi64ELi4ELi64ELi4ELc78ELc84ELb1ELb1ELb0EDF16_KPKDF16_KPDF16_EEviiiT16_PT17_ilS9_ilS7_S9_ilPT18_ili26rocblas_geam_ex_operation_, .Lfunc_end247-_ZN12_GLOBAL__N_120geam_min_plus_kernelIDF16_Dv2_DF16_S1_Li8ELi32ELi64ELi128ELi4ELi64ELi4ELi64ELi4ELc78ELc84ELb1ELb1ELb0EDF16_KPKDF16_KPDF16_EEviiiT16_PT17_ilS9_ilS7_S9_ilPT18_ili26rocblas_geam_ex_operation_
                                        ; -- End function
	.section	.AMDGPU.csdata,"",@progbits
; Kernel info:
; codeLenInByte = 11128
; NumSgprs: 42
; NumVgprs: 127
; NumAgprs: 0
; TotalNumVgprs: 127
; ScratchSize: 0
; MemoryBound: 0
; FloatMode: 240
; IeeeMode: 1
; LDSByteSize: 3072 bytes/workgroup (compile time only)
; SGPRBlocks: 5
; VGPRBlocks: 15
; NumSGPRsForWavesPerEU: 42
; NumVGPRsForWavesPerEU: 127
; AccumOffset: 128
; Occupancy: 4
; WaveLimiterHint : 1
; COMPUTE_PGM_RSRC2:SCRATCH_EN: 0
; COMPUTE_PGM_RSRC2:USER_SGPR: 2
; COMPUTE_PGM_RSRC2:TRAP_HANDLER: 0
; COMPUTE_PGM_RSRC2:TGID_X_EN: 1
; COMPUTE_PGM_RSRC2:TGID_Y_EN: 0
; COMPUTE_PGM_RSRC2:TGID_Z_EN: 1
; COMPUTE_PGM_RSRC2:TIDIG_COMP_CNT: 1
; COMPUTE_PGM_RSRC3_GFX90A:ACCUM_OFFSET: 31
; COMPUTE_PGM_RSRC3_GFX90A:TG_SPLIT: 0
	.section	.text._ZN12_GLOBAL__N_120geam_min_plus_kernelIDF16_Dv2_DF16_S1_Li8ELi32ELi64ELi128ELi4ELi64ELi4ELi64ELi4ELc78ELc84ELb0ELb1ELb0EDF16_KPKDF16_KPDF16_EEviiiT16_PT17_ilS9_ilS7_S9_ilPT18_ili26rocblas_geam_ex_operation_,"axG",@progbits,_ZN12_GLOBAL__N_120geam_min_plus_kernelIDF16_Dv2_DF16_S1_Li8ELi32ELi64ELi128ELi4ELi64ELi4ELi64ELi4ELc78ELc84ELb0ELb1ELb0EDF16_KPKDF16_KPDF16_EEviiiT16_PT17_ilS9_ilS7_S9_ilPT18_ili26rocblas_geam_ex_operation_,comdat
	.globl	_ZN12_GLOBAL__N_120geam_min_plus_kernelIDF16_Dv2_DF16_S1_Li8ELi32ELi64ELi128ELi4ELi64ELi4ELi64ELi4ELc78ELc84ELb0ELb1ELb0EDF16_KPKDF16_KPDF16_EEviiiT16_PT17_ilS9_ilS7_S9_ilPT18_ili26rocblas_geam_ex_operation_ ; -- Begin function _ZN12_GLOBAL__N_120geam_min_plus_kernelIDF16_Dv2_DF16_S1_Li8ELi32ELi64ELi128ELi4ELi64ELi4ELi64ELi4ELc78ELc84ELb0ELb1ELb0EDF16_KPKDF16_KPDF16_EEviiiT16_PT17_ilS9_ilS7_S9_ilPT18_ili26rocblas_geam_ex_operation_
	.p2align	8
	.type	_ZN12_GLOBAL__N_120geam_min_plus_kernelIDF16_Dv2_DF16_S1_Li8ELi32ELi64ELi128ELi4ELi64ELi4ELi64ELi4ELc78ELc84ELb0ELb1ELb0EDF16_KPKDF16_KPDF16_EEviiiT16_PT17_ilS9_ilS7_S9_ilPT18_ili26rocblas_geam_ex_operation_,@function
_ZN12_GLOBAL__N_120geam_min_plus_kernelIDF16_Dv2_DF16_S1_Li8ELi32ELi64ELi128ELi4ELi64ELi4ELi64ELi4ELc78ELc84ELb0ELb1ELb0EDF16_KPKDF16_KPDF16_EEviiiT16_PT17_ilS9_ilS7_S9_ilPT18_ili26rocblas_geam_ex_operation_: ; @_ZN12_GLOBAL__N_120geam_min_plus_kernelIDF16_Dv2_DF16_S1_Li8ELi32ELi64ELi128ELi4ELi64ELi4ELi64ELi4ELc78ELc84ELb0ELb1ELb0EDF16_KPKDF16_KPDF16_EEviiiT16_PT17_ilS9_ilS7_S9_ilPT18_ili26rocblas_geam_ex_operation_
; %bb.0:
	s_load_dwordx4 s[20:23], s[0:1], 0x0
	s_load_dwordx4 s[4:7], s[0:1], 0x20
	s_mov_b32 s12, s3
	s_mov_b32 s13, 0
	s_waitcnt lgkmcnt(0)
	v_cmp_eq_f16_e64 s[8:9], s23, 0
	v_cmp_neq_f16_e64 s[10:11], s23, 0
	s_and_b64 vcc, exec, s[8:9]
	s_cbranch_vccnz .LBB248_3
; %bb.1:
	s_load_dwordx2 s[14:15], s[0:1], 0x10
	s_lshl_b64 s[16:17], s[12:13], 3
	s_waitcnt lgkmcnt(0)
	s_add_u32 s14, s14, s16
	s_addc_u32 s15, s15, s17
	s_load_dwordx2 s[14:15], s[14:15], 0x0
	s_lshl_b64 s[4:5], s[4:5], 1
	s_waitcnt lgkmcnt(0)
	s_add_u32 s18, s14, s4
	s_addc_u32 s19, s15, s5
	s_andn2_b64 vcc, exec, s[8:9]
	s_cbranch_vccnz .LBB248_4
.LBB248_2:
	s_mov_b64 s[14:15], 0
	s_cbranch_execz .LBB248_5
	s_branch .LBB248_6
.LBB248_3:
	s_mov_b64 s[18:19], 0
	s_andn2_b64 vcc, exec, s[8:9]
	s_cbranch_vccz .LBB248_2
.LBB248_4:
                                        ; implicit-def: $sgpr14_sgpr15
.LBB248_5:
	s_lshl_b64 s[8:9], s[12:13], 3
	s_add_u32 s6, s6, s8
	s_load_dwordx2 s[4:5], s[0:1], 0x38
	s_addc_u32 s7, s7, s9
	s_load_dwordx2 s[6:7], s[6:7], 0x0
	s_waitcnt lgkmcnt(0)
	s_lshl_b64 s[4:5], s[4:5], 1
	s_add_u32 s14, s6, s4
	s_addc_u32 s15, s7, s5
.LBB248_6:
	s_load_dword s30, s[0:1], 0x40
	s_load_dwordx4 s[4:7], s[0:1], 0x58
	s_waitcnt lgkmcnt(0)
	v_cmp_eq_f16_e64 s[16:17], s30, 0
	v_cmp_neq_f16_e64 s[8:9], s30, 0
	s_and_b64 vcc, exec, s[16:17]
	s_cbranch_vccnz .LBB248_8
; %bb.7:
	s_load_dwordx2 s[16:17], s[0:1], 0x48
	s_lshl_b64 s[24:25], s[12:13], 3
	s_waitcnt lgkmcnt(0)
	s_add_u32 s16, s16, s24
	s_addc_u32 s17, s17, s25
	s_load_dwordx2 s[16:17], s[16:17], 0x0
	s_lshl_b64 s[4:5], s[4:5], 1
	s_waitcnt lgkmcnt(0)
	s_add_u32 s24, s16, s4
	s_addc_u32 s25, s17, s5
	s_branch .LBB248_9
.LBB248_8:
	s_mov_b64 s[24:25], 0
.LBB248_9:
	s_load_dword s26, s[0:1], 0x18
	s_lshl_b64 s[4:5], s[12:13], 3
	v_and_b32_e32 v34, 0x3ff, v0
	v_bfe_u32 v35, v0, 10, 10
	v_mov_b32_e32 v8, 0
	s_waitcnt lgkmcnt(0)
	s_ashr_i32 s27, s26, 31
	s_add_u32 s6, s6, s4
	s_addc_u32 s7, s7, s5
	s_add_i32 s3, s20, -1
	s_ashr_i32 s4, s3, 31
	s_lshr_b32 s4, s4, 26
	s_add_i32 s3, s3, s4
	s_ashr_i32 s3, s3, 6
	s_add_i32 s16, s3, 1
	v_cvt_f32_u32_e32 v1, s16
	s_load_dwordx2 s[12:13], s[6:7], 0x0
	s_not_b32 s3, s3
	v_mov_b32_e32 v9, 0
	v_rcp_iflag_f32_e32 v0, v1
	v_lshl_add_u32 v1, v35, 3, v34
	v_and_b32_e32 v7, 63, v1
	v_lshrrev_b32_e32 v36, 6, v1
	v_mul_f32_e32 v0, 0x4f7ffffe, v0
	v_cvt_u32_f32_e32 v0, v0
	v_cmp_gt_i32_e64 s[4:5], s22, v36
	v_readfirstlane_b32 s6, v0
	s_mul_i32 s3, s3, s6
	s_mul_hi_u32 s3, s6, s3
	s_add_i32 s6, s6, s3
	s_mul_hi_u32 s3, s2, s6
	s_mul_i32 s6, s3, s16
	s_sub_i32 s6, s2, s6
	s_add_i32 s7, s3, 1
	s_sub_i32 s17, s6, s16
	s_cmp_ge_u32 s6, s16
	s_cselect_b32 s3, s7, s3
	s_cselect_b32 s6, s17, s6
	s_add_i32 s7, s3, 1
	s_cmp_ge_u32 s6, s16
	s_cselect_b32 s6, s7, s3
	s_mul_i32 s3, s6, s16
	s_sub_i32 s2, s2, s3
	s_lshl_b32 s31, s2, 6
	v_or_b32_e32 v0, s31, v7
	v_cmp_gt_i32_e32 vcc, s20, v0
	s_and_b64 s[2:3], s[4:5], vcc
	s_and_b64 s[4:5], s[10:11], s[2:3]
	v_ashrrev_i32_e32 v1, 31, v0
	s_and_saveexec_b64 s[2:3], s[4:5]
	s_cbranch_execz .LBB248_11
; %bb.10:
	v_mad_i64_i32 v[2:3], s[4:5], s26, v36, 0
	v_lshl_add_u64 v[2:3], v[2:3], 1, s[18:19]
	v_lshl_add_u64 v[2:3], v[0:1], 1, v[2:3]
	flat_load_ushort v2, v[2:3]
	s_waitcnt vmcnt(0) lgkmcnt(0)
	v_mul_f16_e32 v9, s23, v2
.LBB248_11:
	s_or_b64 exec, exec, s[2:3]
	s_load_dword s34, s[0:1], 0x30
	s_add_i32 s35, s22, -1
	s_lshl_b32 s33, s6, 7
	v_min_i32_e32 v2, s35, v36
	v_or_b32_e32 v24, s33, v7
	s_waitcnt lgkmcnt(0)
	v_mad_i64_i32 v[2:3], s[2:3], s34, v2, 0
	v_cmp_le_i32_e64 s[6:7], s22, v36
	v_cmp_le_i32_e64 s[2:3], s21, v24
	s_or_b64 s[4:5], s[6:7], s[2:3]
	s_xor_b64 s[16:17], s[10:11], -1
	s_or_b64 s[4:5], s[4:5], s[16:17]
	v_lshl_add_u64 v[2:3], v[2:3], 1, s[14:15]
	s_xor_b64 s[28:29], s[4:5], -1
	v_ashrrev_i32_e32 v25, 31, v24
	s_and_saveexec_b64 s[4:5], s[28:29]
	s_cbranch_execz .LBB248_13
; %bb.12:
	v_lshl_add_u64 v[4:5], v[24:25], 1, v[2:3]
	flat_load_ushort v4, v[4:5]
	s_waitcnt vmcnt(0) lgkmcnt(0)
	v_mul_f16_e32 v8, s23, v4
.LBB248_13:
	s_or_b64 exec, exec, s[4:5]
	v_or_b32_e32 v4, 64, v24
	v_cmp_le_i32_e64 s[4:5], s21, v4
	s_or_b64 s[6:7], s[6:7], s[4:5]
	s_or_b64 s[6:7], s[6:7], s[16:17]
	s_xor_b64 s[28:29], s[6:7], -1
	v_mov_b32_e32 v4, 0
	v_mov_b32_e32 v10, 0
	s_and_saveexec_b64 s[6:7], s[28:29]
	s_cbranch_execz .LBB248_15
; %bb.14:
	v_lshl_add_u64 v[2:3], v[24:25], 1, v[2:3]
	flat_load_ushort v2, v[2:3] offset:128
	s_waitcnt vmcnt(0) lgkmcnt(0)
	v_mul_f16_e32 v10, s23, v2
.LBB248_15:
	s_or_b64 exec, exec, s[6:7]
	v_add_u32_e32 v2, 4, v36
	v_cmp_gt_i32_e64 s[6:7], s22, v2
	s_and_b64 s[6:7], vcc, s[6:7]
	s_and_b64 s[28:29], s[10:11], s[6:7]
	s_and_saveexec_b64 s[6:7], s[28:29]
	s_cbranch_execz .LBB248_17
; %bb.16:
	v_mad_u64_u32 v[4:5], s[28:29], s26, v2, 0
	v_mov_b32_e32 v6, v5
	v_mad_u64_u32 v[12:13], s[28:29], s27, v2, v[6:7]
	v_mov_b32_e32 v5, v12
	v_lshl_add_u64 v[4:5], v[4:5], 1, s[18:19]
	v_lshl_add_u64 v[4:5], v[0:1], 1, v[4:5]
	flat_load_ushort v3, v[4:5]
	s_waitcnt vmcnt(0) lgkmcnt(0)
	v_mul_f16_e32 v4, s23, v3
.LBB248_17:
	s_or_b64 exec, exec, s[6:7]
	v_cmp_le_i32_e64 s[6:7], s22, v2
	v_min_i32_e32 v2, s35, v2
	v_mad_i64_i32 v[2:3], s[28:29], s34, v2, 0
	s_or_b64 s[28:29], s[2:3], s[6:7]
	s_or_b64 s[28:29], s[28:29], s[16:17]
	v_lshl_add_u64 v[2:3], v[2:3], 1, s[14:15]
	s_xor_b64 s[36:37], s[28:29], -1
	v_mov_b32_e32 v5, 0
	v_mov_b32_e32 v6, 0
	s_and_saveexec_b64 s[28:29], s[36:37]
	s_cbranch_execz .LBB248_19
; %bb.18:
	v_lshl_add_u64 v[12:13], v[24:25], 1, v[2:3]
	flat_load_ushort v6, v[12:13]
	s_waitcnt vmcnt(0) lgkmcnt(0)
	v_mul_f16_e32 v6, s23, v6
.LBB248_19:
	s_or_b64 exec, exec, s[28:29]
	s_or_b64 s[6:7], s[4:5], s[6:7]
	s_or_b64 s[6:7], s[6:7], s[16:17]
	s_xor_b64 s[28:29], s[6:7], -1
	s_and_saveexec_b64 s[6:7], s[28:29]
	s_cbranch_execz .LBB248_21
; %bb.20:
	v_lshl_add_u64 v[2:3], v[24:25], 1, v[2:3]
	flat_load_ushort v2, v[2:3] offset:128
	s_waitcnt vmcnt(0) lgkmcnt(0)
	v_mul_f16_e32 v5, s23, v2
.LBB248_21:
	s_or_b64 exec, exec, s[6:7]
	v_lshlrev_b32_e32 v2, 1, v36
	v_lshlrev_b32_e32 v38, 3, v34
	v_lshl_add_u32 v39, v7, 3, v2
	v_lshlrev_b32_e32 v37, 3, v35
	v_add_u32_e32 v40, 0x800, v38
	ds_write_b16 v39, v9 offset:2048
	ds_write_b16 v39, v8
	ds_write_b16 v39, v10 offset:512
	s_waitcnt lgkmcnt(0)
	s_barrier
	ds_read2_b64 v[8:11], v37 offset1:32
	ds_read2_b64 v[12:15], v40 offset0:48 offset1:56
	ds_read2_b64 v[16:19], v37 offset0:64 offset1:96
	ds_read2_b64 v[20:23], v40 offset1:8
	ds_read2_b64 v[26:29], v40 offset0:16 offset1:24
	ds_read2_b64 v[30:33], v40 offset0:32 offset1:40
	s_waitcnt lgkmcnt(5)
	v_pk_max_f16 v2, v8, v8
	s_waitcnt lgkmcnt(4)
	v_pk_max_f16 v3, v14, v14
	v_pk_max_f16 v8, v10, v10
	v_pk_min_f16 v7, v3, v2
	s_waitcnt lgkmcnt(3)
	v_pk_max_f16 v14, v16, v16
	s_waitcnt lgkmcnt(2)
	v_pk_max_f16 v16, v20, v20
	v_pk_max_f16 v18, v18, v18
	;; [unrolled: 1-line block ×3, first 2 shown]
	s_waitcnt lgkmcnt(1)
	v_pk_max_f16 v26, v26, v26
	v_pk_max_f16 v28, v28, v28
	s_waitcnt lgkmcnt(0)
	v_pk_max_f16 v30, v30, v30
	v_pk_max_f16 v9, v9, v9
	;; [unrolled: 1-line block ×5, first 2 shown]
	v_pk_min_f16 v10, v3, v8
	v_pk_min_f16 v20, v16, v2
	;; [unrolled: 1-line block ×18, first 2 shown]
	v_pk_max_f16 v11, v11, v11
	v_pk_min_f16 v56, v30, v8
	v_pk_min_f16 v61, v30, v14
	;; [unrolled: 1-line block ×13, first 2 shown]
	v_pk_add_f16 v7, v7, 0
	v_pk_min_f16 v18, v15, v9
	v_pk_max_f16 v17, v17, v17
	v_pk_add_f16 v68, v7, v18
	v_pk_add_f16 v7, v10, 0
	v_pk_min_f16 v10, v15, v11
	v_pk_max_f16 v21, v21, v21
	v_pk_add_f16 v60, v7, v10
	;; [unrolled: 4-line block ×4, first 2 shown]
	v_pk_add_f16 v7, v41, 0
	v_pk_min_f16 v10, v21, v11
	v_pk_add_f16 v18, v53, 0
	v_pk_add_f16 v67, v7, v10
	;; [unrolled: 1-line block ×3, first 2 shown]
	v_pk_min_f16 v10, v21, v17
	v_pk_add_f16 v41, v64, 0
	v_pk_add_f16 v59, v7, v10
	;; [unrolled: 1-line block ×3, first 2 shown]
	v_pk_min_f16 v10, v21, v19
	v_pk_min_f16 v16, v23, v19
	v_pk_add_f16 v51, v7, v10
	v_pk_add_f16 v7, v43, 0
	v_pk_min_f16 v10, v23, v9
	v_pk_add_f16 v21, v28, 0
	v_pk_add_f16 v75, v7, v10
	v_pk_add_f16 v7, v44, 0
	v_pk_min_f16 v10, v23, v11
	v_pk_add_f16 v20, v54, 0
	;; [unrolled: 4-line block ×3, first 2 shown]
	v_pk_add_f16 v58, v7, v10
	v_pk_add_f16 v7, v22, 0
	;; [unrolled: 1-line block ×4, first 2 shown]
	v_pk_max_f16 v7, v27, v27
	v_pk_add_f16 v22, v55, 0
	v_pk_min_f16 v16, v7, v9
	v_pk_add_f16 v27, v30, 0
	v_pk_add_f16 v74, v10, v16
	;; [unrolled: 1-line block ×3, first 2 shown]
	v_pk_min_f16 v16, v7, v11
	v_pk_add_f16 v30, v63, 0
	v_pk_add_f16 v65, v10, v16
	;; [unrolled: 1-line block ×3, first 2 shown]
	v_pk_min_f16 v16, v7, v17
	v_pk_min_f16 v7, v7, v19
	v_pk_add_f16 v57, v10, v16
	v_pk_add_f16 v10, v26, 0
	;; [unrolled: 1-line block ×4, first 2 shown]
	v_pk_max_f16 v7, v29, v29
	v_pk_add_f16 v26, v61, 0
	v_pk_min_f16 v10, v7, v9
	v_pk_add_f16 v28, v62, 0
	v_pk_add_f16 v73, v16, v10
	v_pk_min_f16 v10, v7, v11
	v_pk_add_f16 v32, v32, 0
	v_pk_add_f16 v64, v18, v10
	v_pk_min_f16 v10, v7, v17
	v_pk_min_f16 v7, v7, v19
	v_pk_add_f16 v56, v20, v10
	v_pk_add_f16 v48, v21, v7
	v_pk_max_f16 v7, v31, v31
	v_pk_add_f16 v2, v2, 0
	v_pk_min_f16 v10, v7, v9
	v_pk_add_f16 v8, v8, 0
	v_pk_add_f16 v72, v22, v10
	v_pk_min_f16 v10, v7, v11
	v_pk_add_f16 v14, v14, 0
	v_pk_add_f16 v63, v23, v10
	v_pk_min_f16 v10, v7, v17
	v_pk_min_f16 v7, v7, v19
	v_pk_add_f16 v55, v26, v10
	v_pk_add_f16 v47, v27, v7
	v_pk_max_f16 v7, v33, v33
	v_pk_add_f16 v12, v12, 0
	v_pk_min_f16 v10, v7, v9
	v_pk_add_f16 v3, v3, 0
	v_pk_add_f16 v71, v28, v10
	v_pk_min_f16 v10, v7, v11
	s_mov_b32 s28, 0
	v_pk_add_f16 v62, v30, v10
	v_pk_min_f16 v10, v7, v17
	v_pk_min_f16 v7, v7, v19
	v_pk_add_f16 v54, v41, v10
	v_pk_add_f16 v46, v32, v7
	v_pk_max_f16 v7, v13, v13
	s_cmp_lt_i32 s22, 9
	v_pk_min_f16 v9, v7, v9
	ds_write_b16 v39, v4 offset:2560
	ds_write_b16 v39, v6 offset:1024
	;; [unrolled: 1-line block ×3, first 2 shown]
	v_pk_add_f16 v70, v2, v9
	v_pk_min_f16 v2, v7, v11
	s_waitcnt lgkmcnt(0)
	v_pk_add_f16 v61, v8, v2
	v_pk_min_f16 v2, v7, v17
	s_barrier
	v_pk_add_f16 v53, v14, v2
	v_pk_min_f16 v2, v7, v19
	s_nop 0
	v_pk_add_f16 v45, v12, v2
	v_pk_min_f16 v2, v15, v19
	s_nop 0
	v_pk_add_f16 v44, v3, v2
	s_cbranch_scc1 .LBB248_36
; %bb.22:
	v_lshl_add_u64 v[26:27], v[0:1], 1, s[18:19]
	v_mov_b32_e32 v0, 0xa00
	v_lshl_add_u32 v69, v34, 3, v0
	v_add_u32_e32 v0, v37, v34
	v_lshrrev_b32_e32 v2, 6, v0
	v_add_u32_e32 v0, 12, v2
	v_mad_i64_i32 v[0:1], s[6:7], v0, s26, 0
	v_lshlrev_b64 v[28:29], 1, v[0:1]
	v_add_u32_e32 v0, 8, v2
	v_mad_i64_i32 v[0:1], s[6:7], v0, s26, 0
	v_or_b32_e32 v41, 0x800, v39
	v_add_u32_e32 v42, 0xa00, v39
	v_or_b32_e32 v43, 0x400, v39
	s_add_i32 s29, s22, -8
	v_add_u32_e32 v77, 0x400, v37
	s_lshl_b64 s[18:19], s[26:27], 4
	v_lshlrev_b64 v[30:31], 1, v[0:1]
	s_branch .LBB248_24
.LBB248_23:                             ;   in Loop: Header=BB248_24 Depth=1
	s_or_b64 exec, exec, s[6:7]
	v_pk_add_f16 v20, v60, v20
	v_pk_add_f16 v12, v52, v12
	;; [unrolled: 1-line block ×19, first 2 shown]
	ds_read2_b64 v[6:9], v40 offset0:48 offset1:56
	ds_read2_b64 v[10:13], v37 offset1:32
	v_pk_add_f16 v2, v68, v2
	v_pk_add_f16 v22, v67, v22
	;; [unrolled: 1-line block ×5, first 2 shown]
	s_waitcnt lgkmcnt(1)
	v_pk_max_f16 v8, v8, v8
	s_waitcnt lgkmcnt(0)
	v_pk_max_f16 v10, v10, v10
	v_pk_add_f16 v16, v76, v16
	v_pk_add_f16 v60, v62, v94
	;; [unrolled: 1-line block ×9, first 2 shown]
	ds_read2_b64 v[0:3], v37 offset0:64 offset1:96
	v_pk_min_f16 v14, v8, v10
	v_pk_add_f16 v59, v63, v91
	v_pk_add_f16 v63, v16, v17
	;; [unrolled: 1-line block ×4, first 2 shown]
	ds_read2_b64 v[14:17], v40 offset1:8
	v_pk_max_f16 v12, v12, v12
	s_waitcnt lgkmcnt(1)
	v_pk_max_f16 v0, v0, v0
	v_pk_min_f16 v62, v8, v12
	v_pk_max_f16 v2, v2, v2
	v_pk_add_f16 v62, v20, v62
	v_pk_min_f16 v20, v8, v0
	s_waitcnt lgkmcnt(0)
	v_pk_max_f16 v14, v14, v14
	v_pk_add_f16 v67, v21, v20
	v_pk_min_f16 v20, v14, v10
	v_pk_max_f16 v16, v16, v16
	v_pk_add_f16 v63, v63, v20
	v_pk_min_f16 v20, v14, v12
	v_pk_add_f16 v50, v50, v84
	v_pk_add_f16 v22, v22, v20
	v_pk_min_f16 v20, v14, v0
	v_pk_min_f16 v14, v14, v2
	v_pk_add_f16 v23, v23, v20
	v_pk_min_f16 v20, v16, v10
	v_pk_add_f16 v14, v32, v14
	v_pk_add_f16 v32, v18, v20
	v_pk_min_f16 v18, v16, v12
	v_pk_add_f16 v50, v50, v104
	v_pk_add_f16 v70, v19, v18
	ds_read2_b64 v[18:21], v40 offset0:16 offset1:24
	v_pk_min_f16 v68, v16, v0
	v_pk_min_f16 v16, v16, v2
	v_pk_add_f16 v49, v49, v87
	v_pk_add_f16 v16, v50, v16
	s_waitcnt lgkmcnt(0)
	v_pk_max_f16 v18, v18, v18
	v_pk_add_f16 v52, v52, v105
	v_pk_min_f16 v50, v18, v10
	ds_read2_b64 v[82:85], v40 offset0:32 offset1:40
	v_pk_add_f16 v71, v51, v50
	v_pk_min_f16 v50, v18, v12
	v_pk_add_f16 v4, v72, v4
	v_pk_add_f16 v49, v49, v107
	;; [unrolled: 1-line block ×3, first 2 shown]
	v_pk_min_f16 v50, v18, v0
	v_pk_min_f16 v18, v18, v2
	v_pk_max_f16 v20, v20, v20
	v_pk_add_f16 v18, v49, v18
	v_pk_min_f16 v49, v20, v10
	v_pk_add_f16 v48, v48, v90
	v_pk_add_f16 v58, v58, v108
	;; [unrolled: 1-line block ×3, first 2 shown]
	v_pk_min_f16 v49, v20, v12
	v_pk_add_f16 v56, v56, v89
	v_pk_add_f16 v48, v48, v110
	v_pk_add_f16 v81, v58, v49
	v_pk_min_f16 v49, v20, v0
	v_pk_min_f16 v20, v20, v2
	v_pk_add_f16 v56, v56, v109
	v_pk_add_f16 v20, v48, v20
	s_waitcnt lgkmcnt(0)
	v_pk_max_f16 v48, v82, v82
	v_pk_add_f16 v4, v4, v111
	v_pk_add_f16 v56, v56, v49
	v_pk_min_f16 v49, v48, v10
	v_pk_add_f16 v47, v47, v93
	v_pk_add_f16 v59, v59, v112
	;; [unrolled: 1-line block ×3, first 2 shown]
	v_pk_min_f16 v49, v48, v12
	v_pk_add_f16 v55, v55, v92
	v_pk_add_f16 v47, v47, v114
	;; [unrolled: 1-line block ×3, first 2 shown]
	v_pk_min_f16 v49, v48, v0
	v_pk_min_f16 v48, v48, v2
	v_pk_add_f16 v55, v55, v113
	v_pk_add_f16 v47, v47, v48
	v_pk_max_f16 v48, v84, v84
	v_pk_add_f16 v55, v55, v49
	v_pk_min_f16 v49, v48, v10
	v_pk_add_f16 v60, v60, v115
	v_pk_add_f16 v84, v65, v49
	v_pk_min_f16 v49, v48, v12
	v_pk_max_f16 v6, v6, v6
	v_pk_add_f16 v57, v57, v86
	v_pk_add_f16 v86, v60, v49
	v_pk_min_f16 v49, v48, v0
	v_pk_min_f16 v48, v48, v2
	v_pk_min_f16 v10, v6, v10
	v_pk_min_f16 v12, v6, v12
	v_pk_min_f16 v0, v6, v0
	v_pk_min_f16 v6, v6, v2
	v_pk_min_f16 v2, v8, v2
	v_pk_max_f16 v8, v11, v11
	v_pk_add_f16 v2, v5, v2
	v_pk_max_f16 v5, v9, v9
	v_pk_add_f16 v33, v33, v68
	v_pk_min_f16 v9, v5, v8
	v_pk_max_f16 v1, v1, v1
	v_pk_add_f16 v68, v44, v9
	v_pk_max_f16 v9, v13, v13
	v_pk_max_f16 v3, v3, v3
	v_pk_min_f16 v11, v5, v9
	v_pk_add_f16 v57, v57, v106
	v_pk_add_f16 v60, v62, v11
	v_pk_min_f16 v11, v5, v1
	v_pk_add_f16 v10, v66, v10
	v_pk_add_f16 v52, v67, v11
	v_pk_max_f16 v11, v15, v15
	v_pk_add_f16 v57, v57, v50
	v_pk_min_f16 v13, v11, v8
	v_pk_add_f16 v54, v54, v95
	v_pk_add_f16 v76, v63, v13
	v_pk_min_f16 v13, v11, v9
	v_pk_add_f16 v54, v54, v116
	v_pk_add_f16 v67, v22, v13
	v_pk_min_f16 v13, v11, v1
	v_pk_min_f16 v11, v11, v3
	v_pk_add_f16 v59, v23, v13
	v_pk_add_f16 v51, v14, v11
	v_pk_max_f16 v11, v17, v17
	v_pk_add_f16 v54, v54, v49
	v_pk_min_f16 v13, v11, v8
	v_pk_add_f16 v46, v46, v96
	v_pk_add_f16 v75, v32, v13
	v_pk_min_f16 v13, v11, v9
	v_pk_add_f16 v46, v46, v117
	v_pk_add_f16 v66, v70, v13
	v_pk_min_f16 v13, v11, v1
	;; [unrolled: 12-line block ×4, first 2 shown]
	v_pk_min_f16 v11, v11, v3
	v_pk_add_f16 v56, v56, v13
	v_pk_add_f16 v48, v20, v11
	v_pk_max_f16 v11, v83, v83
	v_pk_add_f16 v6, v45, v6
	v_pk_min_f16 v13, v11, v8
	v_pk_add_f16 v12, v61, v12
	v_pk_add_f16 v72, v4, v13
	v_pk_min_f16 v4, v11, v9
	s_add_i32 s28, s28, 8
	v_pk_add_f16 v63, v82, v4
	v_pk_min_f16 v4, v11, v1
	s_cmp_ge_i32 s28, s29
	v_pk_add_f16 v55, v55, v4
	v_pk_min_f16 v4, v11, v3
	v_lshl_add_u64 v[26:27], v[26:27], 0, s[18:19]
	v_pk_add_f16 v47, v47, v4
	v_pk_max_f16 v4, v85, v85
	ds_write_b16 v42, v78
	ds_write_b16 v43, v80
	ds_write_b16 v43, v79 offset:512
	v_pk_min_f16 v11, v4, v8
	s_waitcnt lgkmcnt(0)
	v_pk_add_f16 v71, v84, v11
	v_pk_min_f16 v11, v4, v9
	s_barrier
	v_pk_add_f16 v62, v86, v11
	v_pk_min_f16 v11, v4, v1
	v_pk_min_f16 v4, v4, v3
	v_pk_add_f16 v54, v54, v11
	v_pk_add_f16 v46, v46, v4
	v_pk_max_f16 v4, v7, v7
	s_nop 0
	v_pk_min_f16 v1, v4, v1
	v_pk_min_f16 v7, v4, v8
	v_pk_add_f16 v53, v0, v1
	v_pk_min_f16 v0, v4, v3
	v_pk_add_f16 v70, v10, v7
	;; [unrolled: 2-line block ×4, first 2 shown]
	v_pk_add_f16 v44, v2, v0
	s_cbranch_scc1 .LBB248_36
.LBB248_24:                             ; =>This Inner Loop Header: Depth=1
	v_add_u32_e32 v32, s28, v36
	v_add_u32_e32 v0, 8, v32
	v_cmp_gt_i32_e64 s[6:7], s22, v0
	s_and_b64 s[6:7], vcc, s[6:7]
	s_and_b64 s[26:27], s[10:11], s[6:7]
	v_mov_b32_e32 v33, 0
	v_mov_b32_e32 v79, 0
	s_and_saveexec_b64 s[6:7], s[26:27]
	s_cbranch_execz .LBB248_26
; %bb.25:                               ;   in Loop: Header=BB248_24 Depth=1
	v_lshl_add_u64 v[2:3], v[26:27], 0, v[30:31]
	flat_load_ushort v1, v[2:3]
	s_waitcnt vmcnt(0) lgkmcnt(0)
	v_mul_f16_e32 v79, s23, v1
.LBB248_26:                             ;   in Loop: Header=BB248_24 Depth=1
	s_or_b64 exec, exec, s[6:7]
	v_cmp_le_i32_e64 s[6:7], s22, v0
	v_min_i32_e32 v0, s35, v0
	v_mad_i64_i32 v[0:1], s[26:27], v0, s34, 0
	s_or_b64 s[26:27], s[2:3], s[6:7]
	v_lshl_add_u64 v[0:1], v[0:1], 1, s[14:15]
	s_or_b64 s[26:27], s[26:27], s[16:17]
	s_xor_b64 s[36:37], s[26:27], -1
	v_lshl_add_u64 v[0:1], v[24:25], 1, v[0:1]
	s_and_saveexec_b64 s[26:27], s[36:37]
	s_cbranch_execz .LBB248_28
; %bb.27:                               ;   in Loop: Header=BB248_24 Depth=1
	flat_load_ushort v2, v[0:1]
	s_waitcnt vmcnt(0) lgkmcnt(0)
	v_mul_f16_e32 v33, s23, v2
.LBB248_28:                             ;   in Loop: Header=BB248_24 Depth=1
	s_or_b64 exec, exec, s[26:27]
	s_or_b64 s[6:7], s[4:5], s[6:7]
	s_or_b64 s[6:7], s[6:7], s[16:17]
	s_xor_b64 s[26:27], s[6:7], -1
	v_mov_b32_e32 v78, 0
	v_mov_b32_e32 v80, 0
	s_and_saveexec_b64 s[6:7], s[26:27]
	s_cbranch_execz .LBB248_30
; %bb.29:                               ;   in Loop: Header=BB248_24 Depth=1
	flat_load_ushort v0, v[0:1] offset:128
	s_waitcnt vmcnt(0) lgkmcnt(0)
	v_mul_f16_e32 v80, s23, v0
.LBB248_30:                             ;   in Loop: Header=BB248_24 Depth=1
	s_or_b64 exec, exec, s[6:7]
	ds_read2_b64 v[0:3], v69 offset0:48 offset1:56
	ds_read2_b64 v[12:15], v77 offset0:64 offset1:96
	ds_read2_b64 v[20:23], v77 offset1:32
	ds_read2_b64 v[16:19], v69 offset1:8
	ds_read2_b64 v[8:11], v69 offset0:16 offset1:24
	ds_read2_b64 v[4:7], v69 offset0:32 offset1:40
	v_add_u32_e32 v32, 12, v32
	v_cmp_gt_i32_e64 s[6:7], s22, v32
	s_and_b64 s[6:7], vcc, s[6:7]
	s_and_b64 s[26:27], s[10:11], s[6:7]
	ds_write_b16 v41, v79
	ds_write_b16 v39, v33
	ds_write_b16 v39, v80 offset:512
	s_waitcnt lgkmcnt(0)
	s_barrier
	s_and_saveexec_b64 s[6:7], s[26:27]
	s_cbranch_execz .LBB248_32
; %bb.31:                               ;   in Loop: Header=BB248_24 Depth=1
	v_lshl_add_u64 v[78:79], v[26:27], 0, v[28:29]
	flat_load_ushort v33, v[78:79]
	s_waitcnt vmcnt(0) lgkmcnt(0)
	v_mul_f16_e32 v78, s23, v33
.LBB248_32:                             ;   in Loop: Header=BB248_24 Depth=1
	s_or_b64 exec, exec, s[6:7]
	v_cmp_le_i32_e64 s[6:7], s22, v32
	v_min_i32_e32 v32, s35, v32
	v_mad_i64_i32 v[32:33], s[26:27], v32, s34, 0
	s_or_b64 s[26:27], s[2:3], s[6:7]
	v_lshl_add_u64 v[32:33], v[32:33], 1, s[14:15]
	s_or_b64 s[26:27], s[26:27], s[16:17]
	s_xor_b64 s[36:37], s[26:27], -1
	v_mov_b32_e32 v79, 0
	v_lshl_add_u64 v[32:33], v[24:25], 1, v[32:33]
	v_mov_b32_e32 v80, 0
	s_and_saveexec_b64 s[26:27], s[36:37]
	s_cbranch_execz .LBB248_34
; %bb.33:                               ;   in Loop: Header=BB248_24 Depth=1
	flat_load_ushort v80, v[32:33]
	s_waitcnt vmcnt(0) lgkmcnt(0)
	v_mul_f16_e32 v80, s23, v80
.LBB248_34:                             ;   in Loop: Header=BB248_24 Depth=1
	s_or_b64 exec, exec, s[26:27]
	v_pk_max_f16 v100, v2, v2
	v_pk_max_f16 v97, v20, v20
	;; [unrolled: 1-line block ×17, first 2 shown]
	s_or_b64 s[6:7], s[4:5], s[6:7]
	v_pk_min_f16 v2, v100, v97
	v_pk_min_f16 v20, v100, v98
	v_pk_min_f16 v12, v100, v99
	v_pk_min_f16 v16, v82, v97
	v_pk_min_f16 v22, v82, v98
	v_pk_min_f16 v81, v82, v99
	v_pk_min_f16 v14, v82, v101
	v_pk_min_f16 v18, v84, v97
	v_pk_min_f16 v82, v84, v98
	v_pk_min_f16 v83, v84, v99
	v_pk_min_f16 v8, v87, v97
	v_pk_min_f16 v85, v87, v98
	v_pk_min_f16 v86, v87, v99
	v_pk_min_f16 v10, v90, v97
	v_pk_min_f16 v88, v90, v98
	v_pk_min_f16 v89, v90, v99
	v_pk_min_f16 v4, v93, v97
	v_pk_min_f16 v91, v93, v98
	v_pk_min_f16 v92, v93, v99
	v_pk_min_f16 v6, v96, v97
	v_pk_min_f16 v94, v96, v98
	v_pk_min_f16 v95, v96, v99
	v_pk_min_f16 v0, v102, v97
	v_pk_min_f16 v97, v102, v98
	v_pk_min_f16 v98, v102, v99
	v_pk_min_f16 v99, v102, v101
	v_pk_max_f16 v121, v3, v3
	v_pk_max_f16 v102, v17, v17
	;; [unrolled: 1-line block ×5, first 2 shown]
	v_pk_min_f16 v111, v5, v118
	v_pk_min_f16 v112, v5, v119
	;; [unrolled: 1-line block ×4, first 2 shown]
	v_pk_max_f16 v5, v7, v7
	v_pk_max_f16 v1, v1, v1
	s_or_b64 s[6:7], s[6:7], s[16:17]
	v_pk_min_f16 v84, v84, v101
	v_pk_min_f16 v87, v87, v101
	;; [unrolled: 1-line block ×34, first 2 shown]
	s_xor_b64 s[26:27], s[6:7], -1
	s_and_saveexec_b64 s[6:7], s[26:27]
	s_cbranch_execz .LBB248_23
; %bb.35:                               ;   in Loop: Header=BB248_24 Depth=1
	flat_load_ushort v32, v[32:33] offset:128
	s_waitcnt vmcnt(0) lgkmcnt(0)
	v_mul_f16_e32 v79, s23, v32
	s_branch .LBB248_23
.LBB248_36:
	s_load_dwordx2 s[2:3], s[0:1], 0x70
	s_load_dword s29, s[0:1], 0x50
	s_load_dword s28, s[0:1], 0x68
	v_add_u32_e32 v8, 0x800, v38
	ds_read2_b64 v[0:3], v8 offset0:112 offset1:120
	ds_read2_b64 v[4:7], v37 offset0:192 offset1:224
	;; [unrolled: 1-line block ×6, first 2 shown]
	s_waitcnt lgkmcnt(0)
	s_lshl_b64 s[0:1], s[2:3], 1
	s_add_u32 s22, s12, s0
	v_add_u32_e32 v69, s33, v35
	s_addc_u32 s23, s13, s1
	v_mad_i64_i32 v[26:27], s[0:1], v69, s29, 0
	v_add_u32_e32 v24, s31, v34
	v_lshl_add_u64 v[42:43], v[26:27], 1, s[24:25]
	v_mad_i64_i32 v[26:27], s[0:1], v69, s28, 0
	v_cmp_gt_i32_e64 s[18:19], s21, v69
	v_lshl_add_u64 v[40:41], v[26:27], 1, s[22:23]
	v_cmp_gt_i32_e64 s[2:3], s20, v24
	v_cndmask_b32_e64 v26, 0, 1, s[8:9]
	s_and_b64 s[6:7], s[2:3], s[18:19]
	v_ashrrev_i32_e32 v25, 31, v24
	v_cmp_ne_u32_e64 s[0:1], 1, v26
	s_and_saveexec_b64 s[4:5], s[6:7]
	s_cbranch_execz .LBB248_41
; %bb.37:
	s_and_b64 vcc, exec, s[0:1]
	s_cbranch_vccnz .LBB248_39
; %bb.38:
	v_lshl_add_u64 v[26:27], v[24:25], 1, v[42:43]
	flat_load_ushort v26, v[26:27]
	s_waitcnt vmcnt(0) lgkmcnt(0)
	v_mul_f16_e32 v26, s30, v26
	s_branch .LBB248_40
.LBB248_39:
	v_mov_b32_e32 v26, 0
.LBB248_40:
	v_pk_max_f16 v27, v20, v20
	v_pk_max_f16 v28, v16, v16
	v_pk_max_f16 v29, v17, v17
	v_pk_min_f16 v27, v28, v27
	v_pk_max_f16 v28, v21, v21
	v_pk_add_f16 v27, v76, v27
	v_pk_min_f16 v28, v29, v28
	s_nop 0
	v_pk_add_f16 v27, v27, v28
	s_nop 0
	v_add_f16_sdwa v27, v27, v27 dst_sel:DWORD dst_unused:UNUSED_PAD src0_sel:DWORD src1_sel:WORD_1
	v_add_f16_e32 v28, v27, v26
	v_lshl_add_u64 v[26:27], v[24:25], 1, v[40:41]
	global_store_short v[26:27], v28, off
.LBB248_41:
	s_or_b64 exec, exec, s[4:5]
	v_add_u32_e32 v26, 8, v24
	v_cmp_gt_i32_e64 s[4:5], s20, v26
	s_and_b64 s[8:9], s[4:5], s[18:19]
	v_ashrrev_i32_e32 v27, 31, v26
	s_and_saveexec_b64 s[6:7], s[8:9]
	s_cbranch_execz .LBB248_46
; %bb.42:
	s_and_b64 vcc, exec, s[0:1]
	s_cbranch_vccnz .LBB248_44
; %bb.43:
	v_lshl_add_u64 v[28:29], v[26:27], 1, v[42:43]
	flat_load_ushort v28, v[28:29]
	s_waitcnt vmcnt(0) lgkmcnt(0)
	v_mul_f16_e32 v28, s30, v28
	s_branch .LBB248_45
.LBB248_44:
	v_mov_b32_e32 v28, 0
.LBB248_45:
	v_pk_max_f16 v29, v20, v20
	v_pk_max_f16 v30, v18, v18
	v_pk_max_f16 v31, v19, v19
	v_pk_min_f16 v29, v30, v29
	v_pk_max_f16 v30, v21, v21
	v_pk_add_f16 v29, v75, v29
	v_pk_min_f16 v30, v31, v30
	s_nop 0
	v_pk_add_f16 v29, v29, v30
	s_nop 0
	v_add_f16_sdwa v29, v29, v29 dst_sel:DWORD dst_unused:UNUSED_PAD src0_sel:DWORD src1_sel:WORD_1
	v_add_f16_e32 v30, v29, v28
	v_lshl_add_u64 v[28:29], v[26:27], 1, v[40:41]
	global_store_short v[28:29], v30, off
.LBB248_46:
	s_or_b64 exec, exec, s[6:7]
	v_add_u32_e32 v28, 16, v24
	v_cmp_gt_i32_e64 s[6:7], s20, v28
	s_and_b64 s[10:11], s[6:7], s[18:19]
	v_ashrrev_i32_e32 v29, 31, v28
	;; [unrolled: 34-line block ×6, first 2 shown]
	s_and_saveexec_b64 s[16:17], s[26:27]
	s_cbranch_execz .LBB248_71
; %bb.67:
	s_and_b64 vcc, exec, s[0:1]
	s_cbranch_vccnz .LBB248_69
; %bb.68:
	v_lshl_add_u64 v[38:39], v[36:37], 1, v[42:43]
	flat_load_ushort v38, v[38:39]
	s_waitcnt vmcnt(0) lgkmcnt(0)
	v_mul_f16_e32 v38, s30, v38
	s_branch .LBB248_70
.LBB248_69:
	v_mov_b32_e32 v38, 0
.LBB248_70:
	v_pk_max_f16 v39, v20, v20
	v_pk_max_f16 v71, v0, v0
	s_nop 0
	v_pk_min_f16 v39, v71, v39
	v_pk_max_f16 v71, v1, v1
	v_pk_add_f16 v39, v70, v39
	v_pk_max_f16 v70, v21, v21
	s_nop 0
	v_pk_min_f16 v70, v71, v70
	s_nop 0
	v_pk_add_f16 v39, v39, v70
	s_nop 0
	v_add_f16_sdwa v39, v39, v39 dst_sel:DWORD dst_unused:UNUSED_PAD src0_sel:DWORD src1_sel:WORD_1
	v_add_f16_e32 v70, v39, v38
	v_lshl_add_u64 v[38:39], v[36:37], 1, v[40:41]
	global_store_short v[38:39], v70, off
.LBB248_71:
	s_or_b64 exec, exec, s[16:17]
	v_add_u32_e32 v38, 56, v24
	v_cmp_gt_i32_e64 s[16:17], s20, v38
	s_and_b64 s[26:27], s[16:17], s[18:19]
	v_ashrrev_i32_e32 v39, 31, v38
	s_and_saveexec_b64 s[18:19], s[26:27]
	s_cbranch_execz .LBB248_76
; %bb.72:
	s_and_b64 vcc, exec, s[0:1]
	s_cbranch_vccnz .LBB248_74
; %bb.73:
	v_lshl_add_u64 v[42:43], v[38:39], 1, v[42:43]
	flat_load_ushort v42, v[42:43]
	s_waitcnt vmcnt(0) lgkmcnt(0)
	v_mul_f16_e32 v42, s30, v42
	s_branch .LBB248_75
.LBB248_74:
	v_mov_b32_e32 v42, 0
.LBB248_75:
	v_pk_max_f16 v20, v20, v20
	v_pk_max_f16 v43, v2, v2
	;; [unrolled: 1-line block ×3, first 2 shown]
	v_pk_min_f16 v20, v43, v20
	v_pk_max_f16 v43, v3, v3
	v_pk_add_f16 v20, v68, v20
	v_pk_min_f16 v21, v43, v21
	s_nop 0
	v_pk_add_f16 v20, v20, v21
	s_nop 0
	v_add_f16_sdwa v20, v20, v20 dst_sel:DWORD dst_unused:UNUSED_PAD src0_sel:DWORD src1_sel:WORD_1
	v_add_f16_e32 v42, v20, v42
	v_lshl_add_u64 v[20:21], v[38:39], 1, v[40:41]
	global_store_short v[20:21], v42, off
.LBB248_76:
	s_or_b64 exec, exec, s[18:19]
	v_add_u32_e32 v42, 32, v69
	v_mad_i64_i32 v[20:21], s[26:27], v42, s29, 0
	v_cmp_gt_i32_e64 s[18:19], s21, v42
	v_lshl_add_u64 v[40:41], v[20:21], 1, s[24:25]
	v_mad_i64_i32 v[20:21], s[26:27], v42, s28, 0
	v_lshl_add_u64 v[20:21], v[20:21], 1, s[22:23]
	s_and_b64 s[34:35], s[2:3], s[18:19]
	s_and_saveexec_b64 s[26:27], s[34:35]
	s_cbranch_execnz .LBB248_84
; %bb.77:
	s_or_b64 exec, exec, s[26:27]
	s_and_b64 s[34:35], s[4:5], s[18:19]
	s_and_saveexec_b64 s[26:27], s[34:35]
	s_cbranch_execnz .LBB248_88
.LBB248_78:
	s_or_b64 exec, exec, s[26:27]
	s_and_b64 s[34:35], s[6:7], s[18:19]
	s_and_saveexec_b64 s[26:27], s[34:35]
	s_cbranch_execnz .LBB248_92
.LBB248_79:
	s_or_b64 exec, exec, s[26:27]
	s_and_b64 s[34:35], s[8:9], s[18:19]
	s_and_saveexec_b64 s[26:27], s[34:35]
	s_cbranch_execnz .LBB248_96
.LBB248_80:
	s_or_b64 exec, exec, s[26:27]
	s_and_b64 s[34:35], s[10:11], s[18:19]
	s_and_saveexec_b64 s[26:27], s[34:35]
	s_cbranch_execnz .LBB248_100
.LBB248_81:
	s_or_b64 exec, exec, s[26:27]
	s_and_b64 s[34:35], s[12:13], s[18:19]
	s_and_saveexec_b64 s[26:27], s[34:35]
	s_cbranch_execnz .LBB248_104
.LBB248_82:
	s_or_b64 exec, exec, s[26:27]
	s_and_b64 s[34:35], s[14:15], s[18:19]
	s_and_saveexec_b64 s[26:27], s[34:35]
	s_cbranch_execnz .LBB248_108
.LBB248_83:
	s_or_b64 exec, exec, s[26:27]
	s_and_b64 s[26:27], s[16:17], s[18:19]
	s_and_saveexec_b64 s[18:19], s[26:27]
	s_cbranch_execnz .LBB248_112
	s_branch .LBB248_116
.LBB248_84:
	s_and_b64 vcc, exec, s[0:1]
	s_cbranch_vccnz .LBB248_86
; %bb.85:
	v_lshl_add_u64 v[42:43], v[24:25], 1, v[40:41]
	flat_load_ushort v42, v[42:43]
	s_waitcnt vmcnt(0) lgkmcnt(0)
	v_mul_f16_e32 v42, s30, v42
	s_branch .LBB248_87
.LBB248_86:
	v_mov_b32_e32 v42, 0
.LBB248_87:
	v_pk_max_f16 v43, v22, v22
	v_pk_max_f16 v68, v16, v16
	s_nop 0
	v_pk_min_f16 v43, v68, v43
	v_pk_max_f16 v68, v17, v17
	v_pk_add_f16 v43, v67, v43
	v_pk_max_f16 v67, v23, v23
	s_nop 0
	v_pk_min_f16 v67, v68, v67
	s_nop 0
	v_pk_add_f16 v43, v43, v67
	s_nop 0
	v_add_f16_sdwa v43, v43, v43 dst_sel:DWORD dst_unused:UNUSED_PAD src0_sel:DWORD src1_sel:WORD_1
	v_add_f16_e32 v67, v43, v42
	v_lshl_add_u64 v[42:43], v[24:25], 1, v[20:21]
	global_store_short v[42:43], v67, off
	s_or_b64 exec, exec, s[26:27]
	s_and_b64 s[34:35], s[4:5], s[18:19]
	s_and_saveexec_b64 s[26:27], s[34:35]
	s_cbranch_execz .LBB248_78
.LBB248_88:
	s_and_b64 vcc, exec, s[0:1]
	s_cbranch_vccnz .LBB248_90
; %bb.89:
	v_lshl_add_u64 v[42:43], v[26:27], 1, v[40:41]
	flat_load_ushort v42, v[42:43]
	s_waitcnt vmcnt(0) lgkmcnt(0)
	v_mul_f16_e32 v42, s30, v42
	s_branch .LBB248_91
.LBB248_90:
	v_mov_b32_e32 v42, 0
.LBB248_91:
	v_pk_max_f16 v43, v22, v22
	v_pk_max_f16 v67, v18, v18
	s_nop 0
	v_pk_min_f16 v43, v67, v43
	v_pk_max_f16 v67, v19, v19
	v_pk_add_f16 v43, v66, v43
	v_pk_max_f16 v66, v23, v23
	s_nop 0
	v_pk_min_f16 v66, v67, v66
	s_nop 0
	v_pk_add_f16 v43, v43, v66
	s_nop 0
	v_add_f16_sdwa v43, v43, v43 dst_sel:DWORD dst_unused:UNUSED_PAD src0_sel:DWORD src1_sel:WORD_1
	v_add_f16_e32 v66, v43, v42
	v_lshl_add_u64 v[42:43], v[26:27], 1, v[20:21]
	global_store_short v[42:43], v66, off
	s_or_b64 exec, exec, s[26:27]
	s_and_b64 s[34:35], s[6:7], s[18:19]
	s_and_saveexec_b64 s[26:27], s[34:35]
	s_cbranch_execz .LBB248_79
.LBB248_92:
	s_and_b64 vcc, exec, s[0:1]
	s_cbranch_vccnz .LBB248_94
; %bb.93:
	v_lshl_add_u64 v[42:43], v[28:29], 1, v[40:41]
	flat_load_ushort v42, v[42:43]
	s_waitcnt vmcnt(0) lgkmcnt(0)
	v_mul_f16_e32 v42, s30, v42
	s_branch .LBB248_95
.LBB248_94:
	v_mov_b32_e32 v42, 0
.LBB248_95:
	v_pk_max_f16 v43, v22, v22
	v_pk_max_f16 v66, v12, v12
	s_nop 0
	v_pk_min_f16 v43, v66, v43
	v_pk_max_f16 v66, v13, v13
	v_pk_add_f16 v43, v65, v43
	v_pk_max_f16 v65, v23, v23
	s_nop 0
	v_pk_min_f16 v65, v66, v65
	s_nop 0
	v_pk_add_f16 v43, v43, v65
	s_nop 0
	v_add_f16_sdwa v43, v43, v43 dst_sel:DWORD dst_unused:UNUSED_PAD src0_sel:DWORD src1_sel:WORD_1
	v_add_f16_e32 v65, v43, v42
	v_lshl_add_u64 v[42:43], v[28:29], 1, v[20:21]
	global_store_short v[42:43], v65, off
	s_or_b64 exec, exec, s[26:27]
	s_and_b64 s[34:35], s[8:9], s[18:19]
	s_and_saveexec_b64 s[26:27], s[34:35]
	s_cbranch_execz .LBB248_80
.LBB248_96:
	s_and_b64 vcc, exec, s[0:1]
	s_cbranch_vccnz .LBB248_98
; %bb.97:
	v_lshl_add_u64 v[42:43], v[30:31], 1, v[40:41]
	flat_load_ushort v42, v[42:43]
	s_waitcnt vmcnt(0) lgkmcnt(0)
	v_mul_f16_e32 v42, s30, v42
	s_branch .LBB248_99
.LBB248_98:
	v_mov_b32_e32 v42, 0
.LBB248_99:
	v_pk_max_f16 v43, v22, v22
	v_pk_max_f16 v65, v14, v14
	s_nop 0
	v_pk_min_f16 v43, v65, v43
	v_pk_max_f16 v65, v15, v15
	v_pk_add_f16 v43, v64, v43
	v_pk_max_f16 v64, v23, v23
	s_nop 0
	v_pk_min_f16 v64, v65, v64
	s_nop 0
	v_pk_add_f16 v43, v43, v64
	s_nop 0
	v_add_f16_sdwa v43, v43, v43 dst_sel:DWORD dst_unused:UNUSED_PAD src0_sel:DWORD src1_sel:WORD_1
	v_add_f16_e32 v64, v43, v42
	v_lshl_add_u64 v[42:43], v[30:31], 1, v[20:21]
	global_store_short v[42:43], v64, off
	s_or_b64 exec, exec, s[26:27]
	s_and_b64 s[34:35], s[10:11], s[18:19]
	s_and_saveexec_b64 s[26:27], s[34:35]
	s_cbranch_execz .LBB248_81
.LBB248_100:
	s_and_b64 vcc, exec, s[0:1]
	s_cbranch_vccnz .LBB248_102
; %bb.101:
	v_lshl_add_u64 v[42:43], v[32:33], 1, v[40:41]
	flat_load_ushort v42, v[42:43]
	s_waitcnt vmcnt(0) lgkmcnt(0)
	v_mul_f16_e32 v42, s30, v42
	s_branch .LBB248_103
.LBB248_102:
	v_mov_b32_e32 v42, 0
.LBB248_103:
	v_pk_max_f16 v43, v22, v22
	v_pk_max_f16 v64, v8, v8
	s_nop 0
	v_pk_min_f16 v43, v64, v43
	v_pk_max_f16 v64, v9, v9
	v_pk_add_f16 v43, v63, v43
	v_pk_max_f16 v63, v23, v23
	s_nop 0
	v_pk_min_f16 v63, v64, v63
	s_nop 0
	v_pk_add_f16 v43, v43, v63
	s_nop 0
	v_add_f16_sdwa v43, v43, v43 dst_sel:DWORD dst_unused:UNUSED_PAD src0_sel:DWORD src1_sel:WORD_1
	v_add_f16_e32 v63, v43, v42
	v_lshl_add_u64 v[42:43], v[32:33], 1, v[20:21]
	global_store_short v[42:43], v63, off
	s_or_b64 exec, exec, s[26:27]
	s_and_b64 s[34:35], s[12:13], s[18:19]
	s_and_saveexec_b64 s[26:27], s[34:35]
	s_cbranch_execz .LBB248_82
.LBB248_104:
	s_and_b64 vcc, exec, s[0:1]
	s_cbranch_vccnz .LBB248_106
; %bb.105:
	v_lshl_add_u64 v[42:43], v[34:35], 1, v[40:41]
	flat_load_ushort v42, v[42:43]
	s_waitcnt vmcnt(0) lgkmcnt(0)
	v_mul_f16_e32 v42, s30, v42
	s_branch .LBB248_107
.LBB248_106:
	v_mov_b32_e32 v42, 0
.LBB248_107:
	v_pk_max_f16 v43, v22, v22
	v_pk_max_f16 v63, v10, v10
	s_nop 0
	v_pk_min_f16 v43, v63, v43
	v_pk_max_f16 v63, v11, v11
	v_pk_add_f16 v43, v62, v43
	v_pk_max_f16 v62, v23, v23
	s_nop 0
	v_pk_min_f16 v62, v63, v62
	s_nop 0
	v_pk_add_f16 v43, v43, v62
	s_nop 0
	v_add_f16_sdwa v43, v43, v43 dst_sel:DWORD dst_unused:UNUSED_PAD src0_sel:DWORD src1_sel:WORD_1
	v_add_f16_e32 v62, v43, v42
	v_lshl_add_u64 v[42:43], v[34:35], 1, v[20:21]
	global_store_short v[42:43], v62, off
	s_or_b64 exec, exec, s[26:27]
	s_and_b64 s[34:35], s[14:15], s[18:19]
	s_and_saveexec_b64 s[26:27], s[34:35]
	s_cbranch_execz .LBB248_83
.LBB248_108:
	s_and_b64 vcc, exec, s[0:1]
	s_cbranch_vccnz .LBB248_110
; %bb.109:
	v_lshl_add_u64 v[42:43], v[36:37], 1, v[40:41]
	flat_load_ushort v42, v[42:43]
	s_waitcnt vmcnt(0) lgkmcnt(0)
	v_mul_f16_e32 v42, s30, v42
	s_branch .LBB248_111
.LBB248_110:
	v_mov_b32_e32 v42, 0
.LBB248_111:
	v_pk_max_f16 v43, v22, v22
	v_pk_max_f16 v62, v0, v0
	s_nop 0
	v_pk_min_f16 v43, v62, v43
	v_pk_max_f16 v62, v1, v1
	v_pk_add_f16 v43, v61, v43
	v_pk_max_f16 v61, v23, v23
	s_nop 0
	v_pk_min_f16 v61, v62, v61
	s_nop 0
	v_pk_add_f16 v43, v43, v61
	s_nop 0
	v_add_f16_sdwa v43, v43, v43 dst_sel:DWORD dst_unused:UNUSED_PAD src0_sel:DWORD src1_sel:WORD_1
	v_add_f16_e32 v61, v43, v42
	v_lshl_add_u64 v[42:43], v[36:37], 1, v[20:21]
	global_store_short v[42:43], v61, off
	s_or_b64 exec, exec, s[26:27]
	s_and_b64 s[26:27], s[16:17], s[18:19]
	s_and_saveexec_b64 s[18:19], s[26:27]
	s_cbranch_execz .LBB248_116
.LBB248_112:
	s_and_b64 vcc, exec, s[0:1]
	s_cbranch_vccnz .LBB248_114
; %bb.113:
	v_lshl_add_u64 v[40:41], v[38:39], 1, v[40:41]
	flat_load_ushort v40, v[40:41]
	s_waitcnt vmcnt(0) lgkmcnt(0)
	v_mul_f16_e32 v40, s30, v40
	s_branch .LBB248_115
.LBB248_114:
	v_mov_b32_e32 v40, 0
.LBB248_115:
	v_pk_max_f16 v22, v22, v22
	v_pk_max_f16 v41, v2, v2
	;; [unrolled: 1-line block ×3, first 2 shown]
	v_pk_min_f16 v22, v41, v22
	v_pk_max_f16 v41, v3, v3
	v_pk_add_f16 v22, v60, v22
	v_pk_min_f16 v23, v41, v23
	v_lshl_add_u64 v[20:21], v[38:39], 1, v[20:21]
	v_pk_add_f16 v22, v22, v23
	s_nop 0
	v_add_f16_sdwa v22, v22, v22 dst_sel:DWORD dst_unused:UNUSED_PAD src0_sel:DWORD src1_sel:WORD_1
	v_add_f16_e32 v22, v22, v40
	global_store_short v[20:21], v22, off
.LBB248_116:
	s_or_b64 exec, exec, s[18:19]
	v_add_u32_e32 v40, 64, v69
	v_mad_i64_i32 v[20:21], s[26:27], v40, s29, 0
	v_cmp_gt_i32_e64 s[18:19], s21, v40
	v_lshl_add_u64 v[22:23], v[20:21], 1, s[24:25]
	v_mad_i64_i32 v[20:21], s[26:27], v40, s28, 0
	v_lshl_add_u64 v[20:21], v[20:21], 1, s[22:23]
	s_and_b64 s[34:35], s[2:3], s[18:19]
	s_and_saveexec_b64 s[26:27], s[34:35]
	s_cbranch_execnz .LBB248_124
; %bb.117:
	s_or_b64 exec, exec, s[26:27]
	s_and_b64 s[34:35], s[4:5], s[18:19]
	s_and_saveexec_b64 s[26:27], s[34:35]
	s_cbranch_execnz .LBB248_128
.LBB248_118:
	s_or_b64 exec, exec, s[26:27]
	s_and_b64 s[34:35], s[6:7], s[18:19]
	s_and_saveexec_b64 s[26:27], s[34:35]
	s_cbranch_execnz .LBB248_132
.LBB248_119:
	s_or_b64 exec, exec, s[26:27]
	s_and_b64 s[34:35], s[8:9], s[18:19]
	s_and_saveexec_b64 s[26:27], s[34:35]
	s_cbranch_execnz .LBB248_136
.LBB248_120:
	s_or_b64 exec, exec, s[26:27]
	s_and_b64 s[34:35], s[10:11], s[18:19]
	s_and_saveexec_b64 s[26:27], s[34:35]
	s_cbranch_execnz .LBB248_140
.LBB248_121:
	s_or_b64 exec, exec, s[26:27]
	s_and_b64 s[34:35], s[12:13], s[18:19]
	s_and_saveexec_b64 s[26:27], s[34:35]
	s_cbranch_execnz .LBB248_144
.LBB248_122:
	s_or_b64 exec, exec, s[26:27]
	s_and_b64 s[34:35], s[14:15], s[18:19]
	s_and_saveexec_b64 s[26:27], s[34:35]
	s_cbranch_execnz .LBB248_148
.LBB248_123:
	s_or_b64 exec, exec, s[26:27]
	s_and_b64 s[26:27], s[16:17], s[18:19]
	s_and_saveexec_b64 s[18:19], s[26:27]
	s_cbranch_execnz .LBB248_152
	s_branch .LBB248_156
.LBB248_124:
	s_and_b64 vcc, exec, s[0:1]
	s_cbranch_vccnz .LBB248_126
; %bb.125:
	v_lshl_add_u64 v[40:41], v[24:25], 1, v[22:23]
	flat_load_ushort v40, v[40:41]
	s_waitcnt vmcnt(0) lgkmcnt(0)
	v_mul_f16_e32 v40, s30, v40
	s_branch .LBB248_127
.LBB248_126:
	v_mov_b32_e32 v40, 0
.LBB248_127:
	v_pk_max_f16 v41, v4, v4
	v_pk_max_f16 v42, v16, v16
	v_pk_max_f16 v43, v17, v17
	v_pk_min_f16 v41, v42, v41
	v_pk_max_f16 v42, v5, v5
	v_pk_add_f16 v41, v59, v41
	v_pk_min_f16 v42, v43, v42
	s_nop 0
	v_pk_add_f16 v41, v41, v42
	s_nop 0
	v_add_f16_sdwa v41, v41, v41 dst_sel:DWORD dst_unused:UNUSED_PAD src0_sel:DWORD src1_sel:WORD_1
	v_add_f16_e32 v42, v41, v40
	v_lshl_add_u64 v[40:41], v[24:25], 1, v[20:21]
	global_store_short v[40:41], v42, off
	s_or_b64 exec, exec, s[26:27]
	s_and_b64 s[34:35], s[4:5], s[18:19]
	s_and_saveexec_b64 s[26:27], s[34:35]
	s_cbranch_execz .LBB248_118
.LBB248_128:
	s_and_b64 vcc, exec, s[0:1]
	s_cbranch_vccnz .LBB248_130
; %bb.129:
	v_lshl_add_u64 v[40:41], v[26:27], 1, v[22:23]
	flat_load_ushort v40, v[40:41]
	s_waitcnt vmcnt(0) lgkmcnt(0)
	v_mul_f16_e32 v40, s30, v40
	s_branch .LBB248_131
.LBB248_130:
	v_mov_b32_e32 v40, 0
.LBB248_131:
	v_pk_max_f16 v41, v4, v4
	v_pk_max_f16 v42, v18, v18
	;; [unrolled: 1-line block ×3, first 2 shown]
	v_pk_min_f16 v41, v42, v41
	v_pk_max_f16 v42, v5, v5
	v_pk_add_f16 v41, v58, v41
	v_pk_min_f16 v42, v43, v42
	s_nop 0
	v_pk_add_f16 v41, v41, v42
	s_nop 0
	v_add_f16_sdwa v41, v41, v41 dst_sel:DWORD dst_unused:UNUSED_PAD src0_sel:DWORD src1_sel:WORD_1
	v_add_f16_e32 v42, v41, v40
	v_lshl_add_u64 v[40:41], v[26:27], 1, v[20:21]
	global_store_short v[40:41], v42, off
	s_or_b64 exec, exec, s[26:27]
	s_and_b64 s[34:35], s[6:7], s[18:19]
	s_and_saveexec_b64 s[26:27], s[34:35]
	s_cbranch_execz .LBB248_119
.LBB248_132:
	s_and_b64 vcc, exec, s[0:1]
	s_cbranch_vccnz .LBB248_134
; %bb.133:
	v_lshl_add_u64 v[40:41], v[28:29], 1, v[22:23]
	flat_load_ushort v40, v[40:41]
	s_waitcnt vmcnt(0) lgkmcnt(0)
	v_mul_f16_e32 v40, s30, v40
	s_branch .LBB248_135
.LBB248_134:
	v_mov_b32_e32 v40, 0
.LBB248_135:
	v_pk_max_f16 v41, v4, v4
	v_pk_max_f16 v42, v12, v12
	;; [unrolled: 1-line block ×3, first 2 shown]
	v_pk_min_f16 v41, v42, v41
	v_pk_max_f16 v42, v5, v5
	v_pk_add_f16 v41, v57, v41
	v_pk_min_f16 v42, v43, v42
	s_nop 0
	v_pk_add_f16 v41, v41, v42
	s_nop 0
	v_add_f16_sdwa v41, v41, v41 dst_sel:DWORD dst_unused:UNUSED_PAD src0_sel:DWORD src1_sel:WORD_1
	v_add_f16_e32 v42, v41, v40
	v_lshl_add_u64 v[40:41], v[28:29], 1, v[20:21]
	global_store_short v[40:41], v42, off
	s_or_b64 exec, exec, s[26:27]
	s_and_b64 s[34:35], s[8:9], s[18:19]
	s_and_saveexec_b64 s[26:27], s[34:35]
	s_cbranch_execz .LBB248_120
.LBB248_136:
	s_and_b64 vcc, exec, s[0:1]
	s_cbranch_vccnz .LBB248_138
; %bb.137:
	v_lshl_add_u64 v[40:41], v[30:31], 1, v[22:23]
	flat_load_ushort v40, v[40:41]
	s_waitcnt vmcnt(0) lgkmcnt(0)
	v_mul_f16_e32 v40, s30, v40
	s_branch .LBB248_139
.LBB248_138:
	v_mov_b32_e32 v40, 0
.LBB248_139:
	v_pk_max_f16 v41, v4, v4
	v_pk_max_f16 v42, v14, v14
	;; [unrolled: 1-line block ×3, first 2 shown]
	v_pk_min_f16 v41, v42, v41
	v_pk_max_f16 v42, v5, v5
	v_pk_add_f16 v41, v56, v41
	v_pk_min_f16 v42, v43, v42
	s_nop 0
	v_pk_add_f16 v41, v41, v42
	s_nop 0
	v_add_f16_sdwa v41, v41, v41 dst_sel:DWORD dst_unused:UNUSED_PAD src0_sel:DWORD src1_sel:WORD_1
	v_add_f16_e32 v42, v41, v40
	v_lshl_add_u64 v[40:41], v[30:31], 1, v[20:21]
	global_store_short v[40:41], v42, off
	s_or_b64 exec, exec, s[26:27]
	s_and_b64 s[34:35], s[10:11], s[18:19]
	s_and_saveexec_b64 s[26:27], s[34:35]
	s_cbranch_execz .LBB248_121
.LBB248_140:
	s_and_b64 vcc, exec, s[0:1]
	s_cbranch_vccnz .LBB248_142
; %bb.141:
	v_lshl_add_u64 v[40:41], v[32:33], 1, v[22:23]
	flat_load_ushort v40, v[40:41]
	s_waitcnt vmcnt(0) lgkmcnt(0)
	v_mul_f16_e32 v40, s30, v40
	s_branch .LBB248_143
.LBB248_142:
	v_mov_b32_e32 v40, 0
.LBB248_143:
	v_pk_max_f16 v41, v4, v4
	v_pk_max_f16 v42, v8, v8
	;; [unrolled: 1-line block ×3, first 2 shown]
	v_pk_min_f16 v41, v42, v41
	v_pk_max_f16 v42, v5, v5
	v_pk_add_f16 v41, v55, v41
	v_pk_min_f16 v42, v43, v42
	s_nop 0
	v_pk_add_f16 v41, v41, v42
	s_nop 0
	v_add_f16_sdwa v41, v41, v41 dst_sel:DWORD dst_unused:UNUSED_PAD src0_sel:DWORD src1_sel:WORD_1
	v_add_f16_e32 v42, v41, v40
	v_lshl_add_u64 v[40:41], v[32:33], 1, v[20:21]
	global_store_short v[40:41], v42, off
	s_or_b64 exec, exec, s[26:27]
	s_and_b64 s[34:35], s[12:13], s[18:19]
	s_and_saveexec_b64 s[26:27], s[34:35]
	s_cbranch_execz .LBB248_122
.LBB248_144:
	s_and_b64 vcc, exec, s[0:1]
	s_cbranch_vccnz .LBB248_146
; %bb.145:
	v_lshl_add_u64 v[40:41], v[34:35], 1, v[22:23]
	flat_load_ushort v40, v[40:41]
	s_waitcnt vmcnt(0) lgkmcnt(0)
	v_mul_f16_e32 v40, s30, v40
	s_branch .LBB248_147
.LBB248_146:
	v_mov_b32_e32 v40, 0
.LBB248_147:
	v_pk_max_f16 v41, v4, v4
	v_pk_max_f16 v42, v10, v10
	;; [unrolled: 1-line block ×3, first 2 shown]
	v_pk_min_f16 v41, v42, v41
	v_pk_max_f16 v42, v5, v5
	v_pk_add_f16 v41, v54, v41
	v_pk_min_f16 v42, v43, v42
	s_nop 0
	v_pk_add_f16 v41, v41, v42
	s_nop 0
	v_add_f16_sdwa v41, v41, v41 dst_sel:DWORD dst_unused:UNUSED_PAD src0_sel:DWORD src1_sel:WORD_1
	v_add_f16_e32 v42, v41, v40
	v_lshl_add_u64 v[40:41], v[34:35], 1, v[20:21]
	global_store_short v[40:41], v42, off
	s_or_b64 exec, exec, s[26:27]
	s_and_b64 s[34:35], s[14:15], s[18:19]
	s_and_saveexec_b64 s[26:27], s[34:35]
	s_cbranch_execz .LBB248_123
.LBB248_148:
	s_and_b64 vcc, exec, s[0:1]
	s_cbranch_vccnz .LBB248_150
; %bb.149:
	v_lshl_add_u64 v[40:41], v[36:37], 1, v[22:23]
	flat_load_ushort v40, v[40:41]
	s_waitcnt vmcnt(0) lgkmcnt(0)
	v_mul_f16_e32 v40, s30, v40
	s_branch .LBB248_151
.LBB248_150:
	v_mov_b32_e32 v40, 0
.LBB248_151:
	v_pk_max_f16 v41, v4, v4
	v_pk_max_f16 v42, v0, v0
	;; [unrolled: 1-line block ×3, first 2 shown]
	v_pk_min_f16 v41, v42, v41
	v_pk_max_f16 v42, v5, v5
	v_pk_add_f16 v41, v53, v41
	v_pk_min_f16 v42, v43, v42
	s_nop 0
	v_pk_add_f16 v41, v41, v42
	s_nop 0
	v_add_f16_sdwa v41, v41, v41 dst_sel:DWORD dst_unused:UNUSED_PAD src0_sel:DWORD src1_sel:WORD_1
	v_add_f16_e32 v42, v41, v40
	v_lshl_add_u64 v[40:41], v[36:37], 1, v[20:21]
	global_store_short v[40:41], v42, off
	s_or_b64 exec, exec, s[26:27]
	s_and_b64 s[26:27], s[16:17], s[18:19]
	s_and_saveexec_b64 s[18:19], s[26:27]
	s_cbranch_execz .LBB248_156
.LBB248_152:
	s_and_b64 vcc, exec, s[0:1]
	s_cbranch_vccnz .LBB248_154
; %bb.153:
	v_lshl_add_u64 v[22:23], v[38:39], 1, v[22:23]
	flat_load_ushort v22, v[22:23]
	s_waitcnt vmcnt(0) lgkmcnt(0)
	v_mul_f16_e32 v22, s30, v22
	s_branch .LBB248_155
.LBB248_154:
	v_mov_b32_e32 v22, 0
.LBB248_155:
	v_pk_max_f16 v4, v4, v4
	v_pk_max_f16 v23, v2, v2
	;; [unrolled: 1-line block ×3, first 2 shown]
	v_pk_min_f16 v4, v23, v4
	v_pk_max_f16 v23, v3, v3
	v_pk_add_f16 v4, v52, v4
	v_pk_min_f16 v5, v23, v5
	s_nop 0
	v_pk_add_f16 v4, v4, v5
	s_nop 0
	v_add_f16_sdwa v4, v4, v4 dst_sel:DWORD dst_unused:UNUSED_PAD src0_sel:DWORD src1_sel:WORD_1
	v_add_f16_e32 v22, v4, v22
	v_lshl_add_u64 v[4:5], v[38:39], 1, v[20:21]
	global_store_short v[4:5], v22, off
.LBB248_156:
	s_or_b64 exec, exec, s[18:19]
	v_add_u32_e32 v22, 0x60, v69
	v_cmp_gt_i32_e64 s[18:19], s21, v22
	v_mad_i64_i32 v[4:5], s[20:21], v22, s29, 0
	v_lshl_add_u64 v[20:21], v[4:5], 1, s[24:25]
	v_mad_i64_i32 v[4:5], s[20:21], v22, s28, 0
	v_lshl_add_u64 v[4:5], v[4:5], 1, s[22:23]
	s_and_b64 s[20:21], s[2:3], s[18:19]
	s_and_saveexec_b64 s[2:3], s[20:21]
	s_cbranch_execnz .LBB248_165
; %bb.157:
	s_or_b64 exec, exec, s[2:3]
	s_and_b64 s[4:5], s[4:5], s[18:19]
	s_and_saveexec_b64 s[2:3], s[4:5]
	s_cbranch_execnz .LBB248_169
.LBB248_158:
	s_or_b64 exec, exec, s[2:3]
	s_and_b64 s[4:5], s[6:7], s[18:19]
	s_and_saveexec_b64 s[2:3], s[4:5]
	s_cbranch_execnz .LBB248_173
.LBB248_159:
	s_or_b64 exec, exec, s[2:3]
	s_and_b64 s[4:5], s[8:9], s[18:19]
	s_and_saveexec_b64 s[2:3], s[4:5]
	s_cbranch_execnz .LBB248_177
.LBB248_160:
	s_or_b64 exec, exec, s[2:3]
	s_and_b64 s[4:5], s[10:11], s[18:19]
	s_and_saveexec_b64 s[2:3], s[4:5]
	s_cbranch_execnz .LBB248_181
.LBB248_161:
	s_or_b64 exec, exec, s[2:3]
	s_and_b64 s[4:5], s[12:13], s[18:19]
	s_and_saveexec_b64 s[2:3], s[4:5]
	s_cbranch_execnz .LBB248_185
.LBB248_162:
	s_or_b64 exec, exec, s[2:3]
	s_and_b64 s[4:5], s[14:15], s[18:19]
	s_and_saveexec_b64 s[2:3], s[4:5]
	s_cbranch_execnz .LBB248_189
.LBB248_163:
	s_or_b64 exec, exec, s[2:3]
	s_and_b64 s[2:3], s[16:17], s[18:19]
	s_and_saveexec_b64 s[4:5], s[2:3]
	s_cbranch_execnz .LBB248_193
.LBB248_164:
	s_endpgm
.LBB248_165:
	s_and_b64 vcc, exec, s[0:1]
	s_cbranch_vccnz .LBB248_167
; %bb.166:
	v_lshl_add_u64 v[22:23], v[24:25], 1, v[20:21]
	flat_load_ushort v22, v[22:23]
	s_waitcnt vmcnt(0) lgkmcnt(0)
	v_mul_f16_e32 v22, s30, v22
	s_branch .LBB248_168
.LBB248_167:
	v_mov_b32_e32 v22, 0
.LBB248_168:
	v_pk_max_f16 v23, v6, v6
	v_pk_max_f16 v16, v16, v16
	;; [unrolled: 1-line block ×3, first 2 shown]
	v_pk_min_f16 v16, v16, v23
	v_pk_max_f16 v23, v7, v7
	v_pk_add_f16 v16, v51, v16
	v_pk_min_f16 v17, v17, v23
	s_nop 0
	v_pk_add_f16 v16, v16, v17
	s_nop 0
	v_add_f16_sdwa v16, v16, v16 dst_sel:DWORD dst_unused:UNUSED_PAD src0_sel:DWORD src1_sel:WORD_1
	v_add_f16_e32 v22, v16, v22
	v_lshl_add_u64 v[16:17], v[24:25], 1, v[4:5]
	global_store_short v[16:17], v22, off
	s_or_b64 exec, exec, s[2:3]
	s_and_b64 s[4:5], s[4:5], s[18:19]
	s_and_saveexec_b64 s[2:3], s[4:5]
	s_cbranch_execz .LBB248_158
.LBB248_169:
	s_and_b64 vcc, exec, s[0:1]
	s_cbranch_vccnz .LBB248_171
; %bb.170:
	v_lshl_add_u64 v[16:17], v[26:27], 1, v[20:21]
	flat_load_ushort v16, v[16:17]
	s_waitcnt vmcnt(0) lgkmcnt(0)
	v_mul_f16_e32 v16, s30, v16
	s_branch .LBB248_172
.LBB248_171:
	v_mov_b32_e32 v16, 0
.LBB248_172:
	v_pk_max_f16 v17, v6, v6
	v_pk_max_f16 v18, v18, v18
	;; [unrolled: 1-line block ×3, first 2 shown]
	v_pk_min_f16 v17, v18, v17
	v_pk_max_f16 v18, v7, v7
	v_pk_add_f16 v17, v50, v17
	v_pk_min_f16 v18, v19, v18
	s_nop 0
	v_pk_add_f16 v17, v17, v18
	s_nop 0
	v_add_f16_sdwa v17, v17, v17 dst_sel:DWORD dst_unused:UNUSED_PAD src0_sel:DWORD src1_sel:WORD_1
	v_add_f16_e32 v18, v17, v16
	v_lshl_add_u64 v[16:17], v[26:27], 1, v[4:5]
	global_store_short v[16:17], v18, off
	s_or_b64 exec, exec, s[2:3]
	s_and_b64 s[4:5], s[6:7], s[18:19]
	s_and_saveexec_b64 s[2:3], s[4:5]
	s_cbranch_execz .LBB248_159
.LBB248_173:
	s_and_b64 vcc, exec, s[0:1]
	s_cbranch_vccnz .LBB248_175
; %bb.174:
	v_lshl_add_u64 v[16:17], v[28:29], 1, v[20:21]
	flat_load_ushort v16, v[16:17]
	s_waitcnt vmcnt(0) lgkmcnt(0)
	v_mul_f16_e32 v16, s30, v16
	s_branch .LBB248_176
.LBB248_175:
	v_mov_b32_e32 v16, 0
.LBB248_176:
	v_pk_max_f16 v17, v6, v6
	v_pk_max_f16 v12, v12, v12
	;; [unrolled: 1-line block ×3, first 2 shown]
	v_pk_min_f16 v12, v12, v17
	v_pk_max_f16 v17, v7, v7
	v_pk_add_f16 v12, v49, v12
	v_pk_min_f16 v13, v13, v17
	s_nop 0
	v_pk_add_f16 v12, v12, v13
	s_nop 0
	v_add_f16_sdwa v12, v12, v12 dst_sel:DWORD dst_unused:UNUSED_PAD src0_sel:DWORD src1_sel:WORD_1
	v_add_f16_e32 v16, v12, v16
	v_lshl_add_u64 v[12:13], v[28:29], 1, v[4:5]
	global_store_short v[12:13], v16, off
	s_or_b64 exec, exec, s[2:3]
	s_and_b64 s[4:5], s[8:9], s[18:19]
	s_and_saveexec_b64 s[2:3], s[4:5]
	s_cbranch_execz .LBB248_160
.LBB248_177:
	s_and_b64 vcc, exec, s[0:1]
	s_cbranch_vccnz .LBB248_179
; %bb.178:
	v_lshl_add_u64 v[12:13], v[30:31], 1, v[20:21]
	flat_load_ushort v12, v[12:13]
	s_waitcnt vmcnt(0) lgkmcnt(0)
	v_mul_f16_e32 v12, s30, v12
	s_branch .LBB248_180
.LBB248_179:
	v_mov_b32_e32 v12, 0
.LBB248_180:
	v_pk_max_f16 v13, v6, v6
	v_pk_max_f16 v14, v14, v14
	;; [unrolled: 1-line block ×3, first 2 shown]
	v_pk_min_f16 v13, v14, v13
	v_pk_max_f16 v14, v7, v7
	v_pk_add_f16 v13, v48, v13
	v_pk_min_f16 v14, v15, v14
	s_nop 0
	v_pk_add_f16 v13, v13, v14
	s_nop 0
	v_add_f16_sdwa v13, v13, v13 dst_sel:DWORD dst_unused:UNUSED_PAD src0_sel:DWORD src1_sel:WORD_1
	v_add_f16_e32 v14, v13, v12
	v_lshl_add_u64 v[12:13], v[30:31], 1, v[4:5]
	global_store_short v[12:13], v14, off
	s_or_b64 exec, exec, s[2:3]
	s_and_b64 s[4:5], s[10:11], s[18:19]
	s_and_saveexec_b64 s[2:3], s[4:5]
	s_cbranch_execz .LBB248_161
.LBB248_181:
	s_and_b64 vcc, exec, s[0:1]
	s_cbranch_vccnz .LBB248_183
; %bb.182:
	v_lshl_add_u64 v[12:13], v[32:33], 1, v[20:21]
	flat_load_ushort v12, v[12:13]
	s_waitcnt vmcnt(0) lgkmcnt(0)
	v_mul_f16_e32 v12, s30, v12
	s_branch .LBB248_184
.LBB248_183:
	v_mov_b32_e32 v12, 0
.LBB248_184:
	v_pk_max_f16 v13, v6, v6
	v_pk_max_f16 v8, v8, v8
	;; [unrolled: 1-line block ×3, first 2 shown]
	v_pk_min_f16 v8, v8, v13
	v_pk_max_f16 v13, v7, v7
	v_pk_add_f16 v8, v47, v8
	v_pk_min_f16 v9, v9, v13
	s_nop 0
	v_pk_add_f16 v8, v8, v9
	s_nop 0
	v_add_f16_sdwa v8, v8, v8 dst_sel:DWORD dst_unused:UNUSED_PAD src0_sel:DWORD src1_sel:WORD_1
	v_add_f16_e32 v12, v8, v12
	v_lshl_add_u64 v[8:9], v[32:33], 1, v[4:5]
	global_store_short v[8:9], v12, off
	s_or_b64 exec, exec, s[2:3]
	s_and_b64 s[4:5], s[12:13], s[18:19]
	s_and_saveexec_b64 s[2:3], s[4:5]
	s_cbranch_execz .LBB248_162
.LBB248_185:
	s_and_b64 vcc, exec, s[0:1]
	s_cbranch_vccnz .LBB248_187
; %bb.186:
	v_lshl_add_u64 v[8:9], v[34:35], 1, v[20:21]
	flat_load_ushort v8, v[8:9]
	s_waitcnt vmcnt(0) lgkmcnt(0)
	v_mul_f16_e32 v8, s30, v8
	s_branch .LBB248_188
.LBB248_187:
	v_mov_b32_e32 v8, 0
.LBB248_188:
	v_pk_max_f16 v9, v6, v6
	v_pk_max_f16 v10, v10, v10
	;; [unrolled: 1-line block ×3, first 2 shown]
	v_pk_min_f16 v9, v10, v9
	v_pk_max_f16 v10, v7, v7
	v_pk_add_f16 v9, v46, v9
	v_pk_min_f16 v10, v11, v10
	s_nop 0
	v_pk_add_f16 v9, v9, v10
	s_nop 0
	v_add_f16_sdwa v9, v9, v9 dst_sel:DWORD dst_unused:UNUSED_PAD src0_sel:DWORD src1_sel:WORD_1
	v_add_f16_e32 v10, v9, v8
	v_lshl_add_u64 v[8:9], v[34:35], 1, v[4:5]
	global_store_short v[8:9], v10, off
	s_or_b64 exec, exec, s[2:3]
	s_and_b64 s[4:5], s[14:15], s[18:19]
	s_and_saveexec_b64 s[2:3], s[4:5]
	s_cbranch_execz .LBB248_163
.LBB248_189:
	s_and_b64 vcc, exec, s[0:1]
	s_cbranch_vccnz .LBB248_191
; %bb.190:
	v_lshl_add_u64 v[8:9], v[36:37], 1, v[20:21]
	flat_load_ushort v8, v[8:9]
	s_waitcnt vmcnt(0) lgkmcnt(0)
	v_mul_f16_e32 v8, s30, v8
	s_branch .LBB248_192
.LBB248_191:
	v_mov_b32_e32 v8, 0
.LBB248_192:
	v_pk_max_f16 v9, v6, v6
	v_pk_max_f16 v0, v0, v0
	;; [unrolled: 1-line block ×3, first 2 shown]
	v_pk_min_f16 v0, v0, v9
	v_pk_max_f16 v9, v7, v7
	v_pk_add_f16 v0, v45, v0
	v_pk_min_f16 v1, v1, v9
	s_nop 0
	v_pk_add_f16 v0, v0, v1
	s_nop 0
	v_add_f16_sdwa v0, v0, v0 dst_sel:DWORD dst_unused:UNUSED_PAD src0_sel:DWORD src1_sel:WORD_1
	v_add_f16_e32 v8, v0, v8
	v_lshl_add_u64 v[0:1], v[36:37], 1, v[4:5]
	global_store_short v[0:1], v8, off
	s_or_b64 exec, exec, s[2:3]
	s_and_b64 s[2:3], s[16:17], s[18:19]
	s_and_saveexec_b64 s[4:5], s[2:3]
	s_cbranch_execz .LBB248_164
.LBB248_193:
	s_and_b64 vcc, exec, s[0:1]
	s_cbranch_vccnz .LBB248_195
; %bb.194:
	v_lshl_add_u64 v[0:1], v[38:39], 1, v[20:21]
	flat_load_ushort v0, v[0:1]
	s_waitcnt vmcnt(0) lgkmcnt(0)
	v_mul_f16_e32 v0, s30, v0
	s_branch .LBB248_196
.LBB248_195:
	v_mov_b32_e32 v0, 0
.LBB248_196:
	v_pk_max_f16 v1, v6, v6
	v_pk_max_f16 v2, v2, v2
	;; [unrolled: 1-line block ×3, first 2 shown]
	v_pk_min_f16 v1, v2, v1
	v_pk_max_f16 v2, v7, v7
	v_pk_add_f16 v1, v44, v1
	v_pk_min_f16 v2, v3, v2
	s_nop 0
	v_pk_add_f16 v1, v1, v2
	s_nop 0
	v_add_f16_sdwa v1, v1, v1 dst_sel:DWORD dst_unused:UNUSED_PAD src0_sel:DWORD src1_sel:WORD_1
	v_add_f16_e32 v2, v1, v0
	v_lshl_add_u64 v[0:1], v[38:39], 1, v[4:5]
	global_store_short v[0:1], v2, off
	s_endpgm
	.section	.rodata,"a",@progbits
	.p2align	6, 0x0
	.amdhsa_kernel _ZN12_GLOBAL__N_120geam_min_plus_kernelIDF16_Dv2_DF16_S1_Li8ELi32ELi64ELi128ELi4ELi64ELi4ELi64ELi4ELc78ELc84ELb0ELb1ELb0EDF16_KPKDF16_KPDF16_EEviiiT16_PT17_ilS9_ilS7_S9_ilPT18_ili26rocblas_geam_ex_operation_
		.amdhsa_group_segment_fixed_size 3072
		.amdhsa_private_segment_fixed_size 0
		.amdhsa_kernarg_size 128
		.amdhsa_user_sgpr_count 2
		.amdhsa_user_sgpr_dispatch_ptr 0
		.amdhsa_user_sgpr_queue_ptr 0
		.amdhsa_user_sgpr_kernarg_segment_ptr 1
		.amdhsa_user_sgpr_dispatch_id 0
		.amdhsa_user_sgpr_kernarg_preload_length 0
		.amdhsa_user_sgpr_kernarg_preload_offset 0
		.amdhsa_user_sgpr_private_segment_size 0
		.amdhsa_uses_dynamic_stack 0
		.amdhsa_enable_private_segment 0
		.amdhsa_system_sgpr_workgroup_id_x 1
		.amdhsa_system_sgpr_workgroup_id_y 0
		.amdhsa_system_sgpr_workgroup_id_z 1
		.amdhsa_system_sgpr_workgroup_info 0
		.amdhsa_system_vgpr_workitem_id 1
		.amdhsa_next_free_vgpr 123
		.amdhsa_next_free_sgpr 38
		.amdhsa_accum_offset 124
		.amdhsa_reserve_vcc 1
		.amdhsa_float_round_mode_32 0
		.amdhsa_float_round_mode_16_64 0
		.amdhsa_float_denorm_mode_32 3
		.amdhsa_float_denorm_mode_16_64 3
		.amdhsa_dx10_clamp 1
		.amdhsa_ieee_mode 1
		.amdhsa_fp16_overflow 0
		.amdhsa_tg_split 0
		.amdhsa_exception_fp_ieee_invalid_op 0
		.amdhsa_exception_fp_denorm_src 0
		.amdhsa_exception_fp_ieee_div_zero 0
		.amdhsa_exception_fp_ieee_overflow 0
		.amdhsa_exception_fp_ieee_underflow 0
		.amdhsa_exception_fp_ieee_inexact 0
		.amdhsa_exception_int_div_zero 0
	.end_amdhsa_kernel
	.section	.text._ZN12_GLOBAL__N_120geam_min_plus_kernelIDF16_Dv2_DF16_S1_Li8ELi32ELi64ELi128ELi4ELi64ELi4ELi64ELi4ELc78ELc84ELb0ELb1ELb0EDF16_KPKDF16_KPDF16_EEviiiT16_PT17_ilS9_ilS7_S9_ilPT18_ili26rocblas_geam_ex_operation_,"axG",@progbits,_ZN12_GLOBAL__N_120geam_min_plus_kernelIDF16_Dv2_DF16_S1_Li8ELi32ELi64ELi128ELi4ELi64ELi4ELi64ELi4ELc78ELc84ELb0ELb1ELb0EDF16_KPKDF16_KPDF16_EEviiiT16_PT17_ilS9_ilS7_S9_ilPT18_ili26rocblas_geam_ex_operation_,comdat
.Lfunc_end248:
	.size	_ZN12_GLOBAL__N_120geam_min_plus_kernelIDF16_Dv2_DF16_S1_Li8ELi32ELi64ELi128ELi4ELi64ELi4ELi64ELi4ELc78ELc84ELb0ELb1ELb0EDF16_KPKDF16_KPDF16_EEviiiT16_PT17_ilS9_ilS7_S9_ilPT18_ili26rocblas_geam_ex_operation_, .Lfunc_end248-_ZN12_GLOBAL__N_120geam_min_plus_kernelIDF16_Dv2_DF16_S1_Li8ELi32ELi64ELi128ELi4ELi64ELi4ELi64ELi4ELc78ELc84ELb0ELb1ELb0EDF16_KPKDF16_KPDF16_EEviiiT16_PT17_ilS9_ilS7_S9_ilPT18_ili26rocblas_geam_ex_operation_
                                        ; -- End function
	.section	.AMDGPU.csdata,"",@progbits
; Kernel info:
; codeLenInByte = 11308
; NumSgprs: 44
; NumVgprs: 123
; NumAgprs: 0
; TotalNumVgprs: 123
; ScratchSize: 0
; MemoryBound: 0
; FloatMode: 240
; IeeeMode: 1
; LDSByteSize: 3072 bytes/workgroup (compile time only)
; SGPRBlocks: 5
; VGPRBlocks: 15
; NumSGPRsForWavesPerEU: 44
; NumVGPRsForWavesPerEU: 123
; AccumOffset: 124
; Occupancy: 4
; WaveLimiterHint : 1
; COMPUTE_PGM_RSRC2:SCRATCH_EN: 0
; COMPUTE_PGM_RSRC2:USER_SGPR: 2
; COMPUTE_PGM_RSRC2:TRAP_HANDLER: 0
; COMPUTE_PGM_RSRC2:TGID_X_EN: 1
; COMPUTE_PGM_RSRC2:TGID_Y_EN: 0
; COMPUTE_PGM_RSRC2:TGID_Z_EN: 1
; COMPUTE_PGM_RSRC2:TIDIG_COMP_CNT: 1
; COMPUTE_PGM_RSRC3_GFX90A:ACCUM_OFFSET: 30
; COMPUTE_PGM_RSRC3_GFX90A:TG_SPLIT: 0
	.section	.text._ZN12_GLOBAL__N_120geam_min_plus_kernelIDF16_Dv2_DF16_S1_Li8ELi32ELi64ELi128ELi4ELi4ELi64ELi64ELi4ELc84ELc84ELb0ELb0ELb0EPKDF16_KS3_KPDF16_EEviiiT16_PT17_ilS9_ilS7_S9_ilPT18_ili26rocblas_geam_ex_operation_,"axG",@progbits,_ZN12_GLOBAL__N_120geam_min_plus_kernelIDF16_Dv2_DF16_S1_Li8ELi32ELi64ELi128ELi4ELi4ELi64ELi64ELi4ELc84ELc84ELb0ELb0ELb0EPKDF16_KS3_KPDF16_EEviiiT16_PT17_ilS9_ilS7_S9_ilPT18_ili26rocblas_geam_ex_operation_,comdat
	.globl	_ZN12_GLOBAL__N_120geam_min_plus_kernelIDF16_Dv2_DF16_S1_Li8ELi32ELi64ELi128ELi4ELi4ELi64ELi64ELi4ELc84ELc84ELb0ELb0ELb0EPKDF16_KS3_KPDF16_EEviiiT16_PT17_ilS9_ilS7_S9_ilPT18_ili26rocblas_geam_ex_operation_ ; -- Begin function _ZN12_GLOBAL__N_120geam_min_plus_kernelIDF16_Dv2_DF16_S1_Li8ELi32ELi64ELi128ELi4ELi4ELi64ELi64ELi4ELc84ELc84ELb0ELb0ELb0EPKDF16_KS3_KPDF16_EEviiiT16_PT17_ilS9_ilS7_S9_ilPT18_ili26rocblas_geam_ex_operation_
	.p2align	8
	.type	_ZN12_GLOBAL__N_120geam_min_plus_kernelIDF16_Dv2_DF16_S1_Li8ELi32ELi64ELi128ELi4ELi4ELi64ELi64ELi4ELc84ELc84ELb0ELb0ELb0EPKDF16_KS3_KPDF16_EEviiiT16_PT17_ilS9_ilS7_S9_ilPT18_ili26rocblas_geam_ex_operation_,@function
_ZN12_GLOBAL__N_120geam_min_plus_kernelIDF16_Dv2_DF16_S1_Li8ELi32ELi64ELi128ELi4ELi4ELi64ELi64ELi4ELc84ELc84ELb0ELb0ELb0EPKDF16_KS3_KPDF16_EEviiiT16_PT17_ilS9_ilS7_S9_ilPT18_ili26rocblas_geam_ex_operation_: ; @_ZN12_GLOBAL__N_120geam_min_plus_kernelIDF16_Dv2_DF16_S1_Li8ELi32ELi64ELi128ELi4ELi4ELi64ELi64ELi4ELc84ELc84ELb0ELb0ELb0EPKDF16_KS3_KPDF16_EEviiiT16_PT17_ilS9_ilS7_S9_ilPT18_ili26rocblas_geam_ex_operation_
; %bb.0:
	s_load_dwordx4 s[16:19], s[0:1], 0x10
	s_load_dwordx4 s[8:11], s[0:1], 0x28
	s_mov_b32 s20, s3
	s_mov_b32 s21, 0
	s_lshl_b64 s[4:5], s[20:21], 1
	s_waitcnt lgkmcnt(0)
	s_add_u32 s6, s16, s4
	s_addc_u32 s7, s17, s5
	v_mov_b32_e32 v1, 0
	global_load_ushort v42, v1, s[6:7]
	s_load_dwordx4 s[12:15], s[0:1], 0x40
	s_load_dwordx2 s[22:23], s[0:1], 0x50
	s_mov_b64 s[16:17], 0
	s_waitcnt lgkmcnt(0)
	s_add_u32 s4, s14, s4
	s_addc_u32 s5, s15, s5
	s_mov_b64 s[14:15], 0
	s_waitcnt vmcnt(0)
	v_cmp_eq_f16_e32 vcc, 0, v42
	v_cmp_neq_f16_e64 s[6:7], 0, v42
	s_cbranch_vccnz .LBB249_2
; %bb.1:
	s_lshl_b64 s[14:15], s[20:21], 3
	s_add_u32 s14, s18, s14
	s_addc_u32 s15, s19, s15
	s_load_dwordx2 s[14:15], s[14:15], 0x0
	s_lshl_b64 s[8:9], s[8:9], 1
	s_waitcnt lgkmcnt(0)
	s_add_u32 s14, s14, s8
	s_addc_u32 s15, s15, s9
.LBB249_2:
	global_load_ushort v32, v1, s[4:5]
	v_cndmask_b32_e64 v1, 0, 1, s[6:7]
	v_cmp_ne_u32_e64 s[4:5], 1, v1
	s_andn2_b64 vcc, exec, s[6:7]
	s_cbranch_vccnz .LBB249_4
; %bb.3:
	s_lshl_b64 s[6:7], s[20:21], 3
	s_add_u32 s6, s10, s6
	s_addc_u32 s7, s11, s7
	s_load_dwordx2 s[6:7], s[6:7], 0x0
	s_lshl_b64 s[8:9], s[12:13], 1
	s_waitcnt lgkmcnt(0)
	s_add_u32 s16, s6, s8
	s_addc_u32 s17, s7, s9
.LBB249_4:
	s_load_dwordx4 s[8:11], s[0:1], 0x60
	s_waitcnt vmcnt(0)
	v_cmp_eq_f16_e32 vcc, 0, v32
	s_and_b64 s[6:7], exec, vcc
	s_mov_b64 vcc, s[6:7]
	s_cbranch_vccnz .LBB249_6
; %bb.5:
	s_lshl_b64 s[12:13], s[20:21], 3
	s_add_u32 s12, s22, s12
	s_addc_u32 s13, s23, s13
	s_load_dwordx2 s[12:13], s[12:13], 0x0
	s_waitcnt lgkmcnt(0)
	s_lshl_b64 s[8:9], s[8:9], 1
	s_add_u32 s8, s12, s8
	s_addc_u32 s9, s13, s9
	s_branch .LBB249_7
.LBB249_6:
	s_waitcnt lgkmcnt(0)
	s_mov_b64 s[8:9], 0
.LBB249_7:
	s_load_dword s3, s[0:1], 0x0
	s_load_dword s22, s[0:1], 0x20
	s_lshl_b64 s[12:13], s[20:21], 3
	s_add_u32 s10, s10, s12
	s_addc_u32 s11, s11, s13
	s_waitcnt lgkmcnt(0)
	s_add_i32 s3, s3, -1
	s_ashr_i32 s12, s3, 31
	s_lshr_b32 s12, s12, 26
	s_add_i32 s3, s3, s12
	s_ashr_i32 s3, s3, 6
	s_add_i32 s12, s3, 1
	v_cvt_f32_u32_e32 v1, s12
	v_and_b32_e32 v43, 0x3ff, v0
	v_bfe_u32 v44, v0, 10, 10
	s_not_b32 s3, s3
	v_rcp_iflag_f32_e32 v1, v1
	v_lshl_add_u32 v2, v44, 3, v43
	v_lshrrev_b32_e32 v8, 2, v2
	v_mul_f32_e32 v0, 0x4f7ffffe, v1
	v_cvt_u32_f32_e32 v0, v0
	v_and_b32_e32 v1, 3, v43
	v_readfirstlane_b32 s13, v0
	s_mul_i32 s3, s3, s13
	s_mul_hi_u32 s3, s13, s3
	s_add_i32 s13, s13, s3
	s_mul_hi_u32 s3, s2, s13
	s_mul_i32 s13, s3, s12
	s_sub_i32 s13, s2, s13
	s_add_i32 s18, s3, 1
	s_sub_i32 s19, s13, s12
	s_cmp_ge_u32 s13, s12
	s_cselect_b32 s3, s18, s3
	s_cselect_b32 s13, s19, s13
	s_add_i32 s18, s3, 1
	s_cmp_ge_u32 s13, s12
	s_cselect_b32 s3, s18, s3
	s_mul_i32 s12, s3, s12
	s_sub_i32 s2, s2, s12
	s_lshl_b32 s18, s2, 6
	s_and_b64 vcc, exec, s[4:5]
	v_add_u32_e32 v4, s18, v8
	v_lshlrev_b32_e32 v0, 1, v1
	s_cbranch_vccnz .LBB249_9
; %bb.8:
	v_mad_i64_i32 v[6:7], s[12:13], v4, s22, 0
	v_lshl_add_u64 v[6:7], v[6:7], 1, s[14:15]
	v_mov_b32_e32 v1, 0
	v_lshl_add_u64 v[6:7], v[6:7], 0, v[0:1]
	flat_load_ushort v1, v[6:7]
	s_waitcnt vmcnt(0) lgkmcnt(0)
	v_mul_f16_e32 v9, v42, v1
	s_branch .LBB249_10
.LBB249_9:
	v_mov_b32_e32 v9, 0
.LBB249_10:
	s_load_dword s12, s[0:1], 0x38
	v_and_b32_e32 v6, 63, v2
	s_lshl_b32 s19, s3, 7
	v_lshrrev_b32_e32 v5, 6, v2
	v_or_b32_e32 v2, s19, v6
	s_and_b64 vcc, exec, s[4:5]
	s_waitcnt lgkmcnt(0)
	s_ashr_i32 s13, s12, 31
	v_ashrrev_i32_e32 v3, 31, v2
	s_cbranch_vccnz .LBB249_14
; %bb.11:
	v_mad_i64_i32 v[10:11], s[2:3], s12, v5, 0
	v_lshl_add_u64 v[10:11], v[10:11], 1, s[16:17]
	v_lshl_add_u64 v[10:11], v[2:3], 1, v[10:11]
	flat_load_ushort v1, v[10:11]
	flat_load_ushort v7, v[10:11] offset:128
	s_waitcnt vmcnt(0) lgkmcnt(0)
	v_mul_f16_e32 v10, v42, v1
	v_mul_f16_e32 v11, v42, v7
	s_and_b64 vcc, exec, s[4:5]
	s_cbranch_vccnz .LBB249_15
.LBB249_12:
	v_mad_i64_i32 v[12:13], s[2:3], v4, s22, 0
	v_lshl_add_u64 v[12:13], v[12:13], 1, s[14:15]
	v_mov_b32_e32 v1, 0
	v_lshl_add_u64 v[12:13], v[12:13], 0, v[0:1]
	flat_load_ushort v1, v[12:13] offset:8
	s_waitcnt vmcnt(0) lgkmcnt(0)
	v_mul_f16_e32 v1, v42, v1
	s_and_b64 vcc, exec, s[4:5]
	s_cbranch_vccnz .LBB249_16
.LBB249_13:
	v_add_u32_e32 v7, 4, v5
	v_mad_i64_i32 v[12:13], s[2:3], s12, v7, 0
	v_lshl_add_u64 v[12:13], v[12:13], 1, s[16:17]
	v_lshl_add_u64 v[2:3], v[2:3], 1, v[12:13]
	flat_load_ushort v7, v[2:3]
	flat_load_ushort v12, v[2:3] offset:128
	s_waitcnt vmcnt(0) lgkmcnt(0)
	v_mul_f16_e32 v2, v42, v7
	v_mul_f16_e32 v7, v42, v12
	s_branch .LBB249_17
.LBB249_14:
	v_mov_b32_e32 v10, 0
	v_mov_b32_e32 v11, 0
	s_and_b64 vcc, exec, s[4:5]
	s_cbranch_vccz .LBB249_12
.LBB249_15:
	v_mov_b32_e32 v1, 0
	s_and_b64 vcc, exec, s[4:5]
	s_cbranch_vccz .LBB249_13
.LBB249_16:
	v_mov_b32_e32 v2, 0
	v_mov_b32_e32 v7, 0
.LBB249_17:
	v_lshl_or_b32 v3, v8, 3, v0
	v_lshlrev_b32_e32 v8, 1, v5
	v_lshl_add_u32 v62, v6, 3, v8
	v_lshlrev_b32_e32 v53, 3, v43
	v_lshlrev_b32_e32 v54, 3, v44
	s_load_dwordx2 s[2:3], s[10:11], 0x0
	ds_write_b16 v3, v9 offset:2048
	ds_write_b16 v62, v10
	ds_write_b16 v62, v11 offset:512
	s_waitcnt lgkmcnt(0)
	s_barrier
	ds_read2_b64 v[8:11], v54 offset1:32
	v_add_u32_e32 v64, 0x800, v53
	ds_read2_b64 v[12:15], v64 offset0:48 offset1:56
	ds_read2_b64 v[16:19], v54 offset0:64 offset1:96
	ds_read2_b64 v[20:23], v64 offset1:8
	ds_read2_b64 v[24:27], v64 offset0:16 offset1:24
	ds_read2_b64 v[28:31], v64 offset0:32 offset1:40
	s_waitcnt lgkmcnt(5)
	v_pk_max_f16 v8, v8, v8
	s_waitcnt lgkmcnt(4)
	v_pk_max_f16 v14, v14, v14
	v_pk_max_f16 v10, v10, v10
	v_pk_min_f16 v33, v14, v8
	s_waitcnt lgkmcnt(3)
	v_pk_max_f16 v16, v16, v16
	s_waitcnt lgkmcnt(2)
	v_pk_max_f16 v20, v20, v20
	v_pk_max_f16 v18, v18, v18
	v_pk_max_f16 v22, v22, v22
	s_waitcnt lgkmcnt(1)
	v_pk_max_f16 v24, v24, v24
	v_pk_max_f16 v26, v26, v26
	;; [unrolled: 4-line block ×3, first 2 shown]
	v_pk_max_f16 v12, v12, v12
	v_pk_max_f16 v15, v15, v15
	v_pk_min_f16 v34, v20, v8
	v_pk_min_f16 v35, v20, v10
	;; [unrolled: 1-line block ×14, first 2 shown]
	v_pk_max_f16 v11, v11, v11
	v_pk_min_f16 v56, v26, v16
	v_pk_min_f16 v26, v26, v18
	;; [unrolled: 1-line block ×17, first 2 shown]
	v_pk_add_f16 v18, v33, 0
	v_pk_min_f16 v33, v15, v9
	v_pk_max_f16 v17, v17, v17
	v_pk_add_f16 v63, v33, v18
	v_pk_add_f16 v18, v40, 0
	v_pk_min_f16 v33, v15, v11
	v_pk_max_f16 v21, v21, v21
	v_pk_add_f16 v52, v33, v18
	;; [unrolled: 4-line block ×6, first 2 shown]
	v_pk_add_f16 v18, v20, 0
	v_pk_min_f16 v20, v21, v19
	v_pk_min_f16 v21, v27, v19
	v_pk_add_f16 v40, v20, v18
	v_pk_add_f16 v18, v37, 0
	v_pk_min_f16 v20, v23, v9
	v_pk_max_f16 v13, v13, v13
	v_pk_add_f16 v70, v20, v18
	v_pk_add_f16 v18, v38, 0
	v_pk_min_f16 v20, v23, v11
	s_load_dword s20, s[0:1], 0x8
	v_pk_add_f16 v60, v20, v18
	v_pk_add_f16 v18, v39, 0
	v_pk_min_f16 v20, v23, v17
	v_pk_add_f16 v8, v8, 0
	v_pk_add_f16 v50, v20, v18
	v_pk_add_f16 v18, v22, 0
	v_pk_min_f16 v20, v23, v19
	v_pk_add_f16 v10, v10, 0
	;; [unrolled: 4-line block ×8, first 2 shown]
	v_pk_add_f16 v57, v20, v18
	v_pk_add_f16 v18, v56, 0
	v_pk_min_f16 v20, v27, v17
	s_waitcnt lgkmcnt(0)
	s_cmp_lt_i32 s20, 9
	v_pk_add_f16 v47, v20, v18
	v_pk_add_f16 v18, v26, 0
	;; [unrolled: 1-line block ×4, first 2 shown]
	v_pk_max_f16 v18, v29, v29
	ds_write_b16 v3, v1 offset:2560
	ds_write_b16 v62, v2 offset:1024
	;; [unrolled: 1-line block ×3, first 2 shown]
	v_pk_min_f16 v21, v18, v9
	s_waitcnt lgkmcnt(0)
	v_pk_add_f16 v67, v21, v20
	v_pk_add_f16 v20, v65, 0
	v_pk_min_f16 v21, v18, v11
	s_barrier
	v_pk_add_f16 v56, v21, v20
	v_pk_add_f16 v20, v66, 0
	v_pk_min_f16 v21, v18, v17
	v_pk_min_f16 v18, v18, v19
	v_pk_add_f16 v46, v21, v20
	v_pk_add_f16 v20, v28, 0
	;; [unrolled: 1-line block ×4, first 2 shown]
	v_pk_max_f16 v18, v31, v31
	s_nop 0
	v_pk_min_f16 v20, v18, v9
	v_pk_min_f16 v9, v13, v9
	v_pk_add_f16 v66, v20, v21
	v_pk_add_f16 v65, v9, v8
	v_pk_min_f16 v8, v13, v11
	v_pk_min_f16 v20, v18, v11
	v_pk_add_f16 v55, v8, v10
	v_pk_min_f16 v8, v13, v17
	v_pk_add_f16 v59, v20, v22
	v_pk_add_f16 v45, v8, v16
	v_pk_min_f16 v8, v13, v19
	v_pk_min_f16 v20, v18, v17
	;; [unrolled: 1-line block ×3, first 2 shown]
	v_pk_add_f16 v39, v8, v12
	v_pk_min_f16 v8, v15, v19
	v_pk_add_f16 v48, v20, v23
	v_pk_add_f16 v35, v18, v24
	;; [unrolled: 1-line block ×3, first 2 shown]
	s_cbranch_scc1 .LBB249_31
; %bb.18:
	v_mov_b32_e32 v1, 0xa00
	v_lshl_add_u32 v75, v43, 3, v1
	v_mov_b32_e32 v1, 0x400
	v_lshl_add_u32 v76, v44, 3, v1
	v_add_u32_e32 v1, 12, v5
	v_add_u32_e32 v72, 0x800, v3
	;; [unrolled: 1-line block ×3, first 2 shown]
	v_mad_i64_i32 v[2:3], s[10:11], v1, s12, 0
	v_lshlrev_b64 v[24:25], 1, v[2:3]
	v_add_u32_e32 v2, s19, v6
	v_ashrrev_i32_e32 v3, 31, v2
	v_lshl_add_u64 v[26:27], v[2:3], 1, s[16:17]
	v_mad_i64_i32 v[2:3], s[16:17], s22, v4, 0
	v_mov_b32_e32 v1, 0
	v_lshl_add_u64 v[0:1], v[2:3], 1, v[0:1]
	v_lshl_add_u64 v[0:1], v[0:1], 0, s[14:15]
	;; [unrolled: 1-line block ×3, first 2 shown]
	v_add_u32_e32 v0, 8, v5
	s_lshl_b64 s[10:11], s[12:13], 4
	v_mad_i64_i32 v[0:1], s[12:13], v0, s12, 0
	v_or_b32_e32 v74, 0x400, v62
	s_add_i32 s20, s20, -8
	v_lshlrev_b64 v[30:31], 1, v[0:1]
	s_mov_b32 s12, 0
	s_branch .LBB249_21
.LBB249_19:                             ;   in Loop: Header=BB249_21 Depth=1
	v_lshl_add_u64 v[0:1], v[26:27], 0, v[24:25]
	flat_load_ushort v120, v[0:1]
	flat_load_ushort v121, v[0:1] offset:128
	s_waitcnt vmcnt(0) lgkmcnt(0)
	v_mul_f16_e32 v0, v42, v120
	v_mul_f16_e32 v1, v42, v121
.LBB249_20:                             ;   in Loop: Header=BB249_21 Depth=1
	v_pk_add_f16 v20, v20, v52
	v_pk_add_f16 v12, v12, v41
	;; [unrolled: 1-line block ×17, first 2 shown]
	ds_read2_b64 v[8:11], v64 offset0:48 offset1:56
	ds_read2_b64 v[12:15], v54 offset1:32
	v_pk_add_f16 v16, v16, v71
	v_pk_add_f16 v4, v4, v67
	;; [unrolled: 1-line block ×3, first 2 shown]
	s_waitcnt lgkmcnt(1)
	v_pk_max_f16 v10, v10, v10
	s_waitcnt lgkmcnt(0)
	v_pk_max_f16 v12, v12, v12
	v_pk_add_f16 v18, v18, v70
	v_pk_add_f16 v40, v79, v60
	;; [unrolled: 1-line block ×10, first 2 shown]
	ds_read2_b64 v[2:5], v54 offset0:64 offset1:96
	v_pk_min_f16 v16, v10, v12
	v_pk_add_f16 v61, v19, v18
	v_pk_add_f16 v7, v7, v33
	v_pk_add_f16 v33, v16, v59
	ds_read2_b64 v[16:19], v64 offset1:8
	v_pk_max_f16 v14, v14, v14
	s_waitcnt lgkmcnt(1)
	v_pk_max_f16 v2, v2, v2
	v_pk_min_f16 v59, v10, v14
	v_pk_add_f16 v40, v100, v40
	v_pk_add_f16 v59, v59, v20
	v_pk_min_f16 v20, v10, v2
	s_waitcnt lgkmcnt(0)
	v_pk_max_f16 v16, v16, v16
	v_pk_add_f16 v67, v20, v21
	v_pk_min_f16 v20, v16, v12
	v_pk_max_f16 v18, v18, v18
	v_pk_add_f16 v60, v20, v60
	v_pk_min_f16 v20, v16, v14
	v_pk_add_f16 v37, v81, v37
	v_pk_add_f16 v68, v20, v22
	v_pk_min_f16 v20, v16, v2
	v_pk_max_f16 v4, v4, v4
	v_pk_add_f16 v69, v20, v23
	v_pk_min_f16 v20, v18, v12
	v_pk_add_f16 v37, v102, v37
	v_pk_add_f16 v70, v20, v61
	v_pk_min_f16 v20, v18, v14
	v_pk_add_f16 v50, v80, v50
	v_pk_add_f16 v82, v20, v40
	ds_read2_b64 v[20:23], v64 offset0:16 offset1:24
	v_pk_min_f16 v40, v18, v2
	v_pk_min_f16 v18, v18, v4
	v_pk_add_f16 v49, v83, v49
	v_pk_add_f16 v18, v18, v37
	s_waitcnt lgkmcnt(0)
	v_pk_max_f16 v20, v20, v20
	v_pk_add_f16 v36, v84, v36
	v_pk_min_f16 v37, v20, v12
	v_pk_add_f16 v51, v103, v51
	v_pk_add_f16 v83, v37, v63
	v_pk_min_f16 v37, v20, v14
	ds_read2_b64 v[78:81], v64 offset0:32 offset1:40
	v_pk_add_f16 v36, v105, v36
	v_pk_add_f16 v84, v37, v51
	v_pk_min_f16 v37, v20, v2
	v_pk_min_f16 v20, v20, v4
	v_pk_max_f16 v22, v22, v22
	v_pk_add_f16 v20, v20, v36
	v_pk_min_f16 v36, v22, v12
	v_pk_add_f16 v34, v87, v34
	v_pk_add_f16 v52, v106, v52
	;; [unrolled: 1-line block ×3, first 2 shown]
	v_pk_min_f16 v36, v22, v14
	v_pk_add_f16 v47, v86, v47
	v_pk_add_f16 v34, v108, v34
	;; [unrolled: 1-line block ×3, first 2 shown]
	v_pk_min_f16 v36, v22, v2
	v_pk_min_f16 v22, v22, v4
	v_pk_add_f16 v47, v107, v47
	v_pk_add_f16 v22, v22, v34
	s_waitcnt lgkmcnt(0)
	v_pk_max_f16 v34, v78, v78
	v_pk_add_f16 v56, v88, v56
	v_pk_add_f16 v47, v36, v47
	v_pk_min_f16 v36, v34, v12
	v_pk_add_f16 v38, v90, v38
	v_pk_add_f16 v56, v110, v56
	;; [unrolled: 1-line block ×3, first 2 shown]
	v_pk_min_f16 v36, v34, v14
	v_pk_add_f16 v46, v89, v46
	v_pk_add_f16 v38, v112, v38
	;; [unrolled: 1-line block ×3, first 2 shown]
	v_pk_min_f16 v36, v34, v2
	v_pk_min_f16 v34, v34, v4
	v_pk_add_f16 v46, v111, v46
	v_pk_add_f16 v38, v34, v38
	v_pk_max_f16 v34, v80, v80
	v_pk_add_f16 v6, v113, v6
	v_pk_add_f16 v46, v36, v46
	v_pk_min_f16 v36, v34, v12
	v_pk_add_f16 v57, v114, v57
	v_pk_add_f16 v6, v36, v6
	v_pk_min_f16 v36, v34, v14
	v_pk_max_f16 v8, v8, v8
	v_pk_min_f16 v16, v16, v4
	v_pk_add_f16 v78, v36, v57
	v_pk_min_f16 v36, v34, v2
	v_pk_min_f16 v34, v34, v4
	;; [unrolled: 1-line block ×7, first 2 shown]
	v_pk_max_f16 v10, v13, v13
	v_pk_add_f16 v4, v4, v7
	v_pk_max_f16 v7, v11, v11
	v_pk_max_f16 v3, v3, v3
	v_pk_min_f16 v11, v7, v10
	v_pk_add_f16 v16, v16, v41
	v_pk_add_f16 v63, v11, v33
	v_pk_max_f16 v11, v15, v15
	v_pk_max_f16 v5, v5, v5
	v_pk_min_f16 v13, v7, v11
	v_pk_add_f16 v50, v101, v50
	v_pk_add_f16 v52, v13, v59
	v_pk_min_f16 v13, v7, v3
	v_pk_add_f16 v50, v40, v50
	v_pk_add_f16 v41, v13, v67
	v_pk_max_f16 v13, v17, v17
	v_pk_add_f16 v49, v104, v49
	v_pk_min_f16 v15, v13, v10
	v_pk_add_f16 v49, v37, v49
	v_pk_add_f16 v71, v15, v60
	v_pk_min_f16 v15, v13, v11
	v_pk_add_f16 v48, v92, v48
	v_pk_add_f16 v61, v15, v68
	v_pk_min_f16 v15, v13, v3
	v_pk_min_f16 v13, v13, v5
	v_pk_add_f16 v51, v15, v69
	v_pk_add_f16 v40, v13, v16
	v_pk_max_f16 v13, v19, v19
	v_pk_add_f16 v58, v117, v58
	v_pk_min_f16 v15, v13, v10
	v_pk_add_f16 v48, v115, v48
	v_pk_add_f16 v70, v15, v70
	v_pk_min_f16 v15, v13, v11
	v_pk_add_f16 v12, v12, v58
	v_pk_add_f16 v60, v15, v82
	v_pk_min_f16 v15, v13, v3
	;; [unrolled: 12-line block ×5, first 2 shown]
	v_pk_min_f16 v13, v13, v5
	v_pk_add_f16 v46, v15, v46
	v_pk_add_f16 v38, v13, v38
	v_pk_max_f16 v13, v81, v81
	v_pk_add_f16 v8, v8, v39
	v_pk_min_f16 v15, v13, v10
	v_pk_add_f16 v14, v14, v55
	v_pk_add_f16 v66, v15, v6
	v_pk_min_f16 v6, v13, v11
	s_add_i32 s12, s12, 8
	v_pk_add_f16 v59, v6, v78
	v_pk_min_f16 v6, v13, v3
	v_lshl_add_u64 v[26:27], v[26:27], 0, s[10:11]
	v_pk_add_f16 v48, v6, v48
	v_pk_min_f16 v6, v13, v5
	s_cmp_ge_i32 s12, s20
	v_pk_add_f16 v35, v6, v35
	v_pk_max_f16 v6, v9, v9
	v_lshl_add_u64 v[28:29], v[28:29], 0, 16
	v_pk_min_f16 v3, v6, v3
	v_pk_min_f16 v9, v6, v10
	v_pk_add_f16 v45, v3, v2
	v_pk_min_f16 v2, v6, v5
	v_pk_add_f16 v65, v9, v12
	;; [unrolled: 2-line block ×4, first 2 shown]
	v_pk_add_f16 v33, v2, v4
	ds_write_b16 v73, v77
	ds_write_b16 v74, v0
	ds_write_b16 v74, v1 offset:512
	s_waitcnt lgkmcnt(0)
	s_barrier
	s_cbranch_scc1 .LBB249_31
.LBB249_21:                             ; =>This Inner Loop Header: Depth=1
	s_and_b64 vcc, exec, s[4:5]
	v_mov_b32_e32 v77, 0
	s_cbranch_vccnz .LBB249_23
; %bb.22:                               ;   in Loop: Header=BB249_21 Depth=1
	flat_load_ushort v0, v[28:29]
	s_waitcnt vmcnt(0) lgkmcnt(0)
	v_mul_f16_e32 v77, v42, v0
.LBB249_23:                             ;   in Loop: Header=BB249_21 Depth=1
	s_and_b64 vcc, exec, s[4:5]
	s_cbranch_vccnz .LBB249_25
; %bb.24:                               ;   in Loop: Header=BB249_21 Depth=1
	v_lshl_add_u64 v[0:1], v[26:27], 0, v[30:31]
	flat_load_ushort v2, v[0:1]
	flat_load_ushort v3, v[0:1] offset:128
	s_waitcnt vmcnt(0) lgkmcnt(0)
	v_mul_f16_e32 v78, v42, v2
	v_mul_f16_e32 v79, v42, v3
	s_branch .LBB249_26
.LBB249_25:                             ;   in Loop: Header=BB249_21 Depth=1
	v_mov_b32_e32 v78, 0
	v_mov_b32_e32 v79, 0
.LBB249_26:                             ;   in Loop: Header=BB249_21 Depth=1
	ds_read2_b64 v[0:3], v75 offset0:48 offset1:56
	ds_read2_b64 v[12:15], v76 offset0:64 offset1:96
	ds_read2_b64 v[20:23], v76 offset1:32
	ds_read2_b64 v[16:19], v75 offset1:8
	ds_read2_b64 v[8:11], v75 offset0:16 offset1:24
	ds_read2_b64 v[4:7], v75 offset0:32 offset1:40
	s_and_b64 vcc, exec, s[4:5]
	ds_write_b16 v72, v77
	ds_write_b16 v62, v78
	ds_write_b16 v62, v79 offset:512
	s_waitcnt lgkmcnt(0)
	s_barrier
	s_cbranch_vccnz .LBB249_28
; %bb.27:                               ;   in Loop: Header=BB249_21 Depth=1
	flat_load_ushort v77, v[28:29] offset:8
	s_waitcnt vmcnt(0) lgkmcnt(0)
	v_mul_f16_e32 v77, v42, v77
	s_branch .LBB249_29
.LBB249_28:                             ;   in Loop: Header=BB249_21 Depth=1
	v_mov_b32_e32 v77, 0
.LBB249_29:                             ;   in Loop: Header=BB249_21 Depth=1
	v_pk_max_f16 v98, v2, v2
	v_pk_max_f16 v94, v20, v20
	;; [unrolled: 1-line block ×17, first 2 shown]
	v_pk_min_f16 v2, v98, v94
	v_pk_min_f16 v20, v98, v95
	;; [unrolled: 1-line block ×26, first 2 shown]
	v_pk_max_f16 v0, v3, v3
	v_pk_max_f16 v100, v17, v17
	;; [unrolled: 1-line block ×5, first 2 shown]
	v_pk_min_f16 v109, v5, v117
	v_pk_min_f16 v110, v5, v118
	;; [unrolled: 1-line block ×4, first 2 shown]
	v_pk_max_f16 v5, v7, v7
	v_pk_max_f16 v1, v1, v1
	v_pk_min_f16 v81, v81, v99
	v_pk_min_f16 v84, v84, v99
	;; [unrolled: 1-line block ×33, first 2 shown]
	s_and_b64 vcc, exec, s[4:5]
	v_pk_min_f16 v7, v0, v120
	s_cbranch_vccz .LBB249_19
; %bb.30:                               ;   in Loop: Header=BB249_21 Depth=1
	v_mov_b32_e32 v0, 0
	v_mov_b32_e32 v1, 0
	s_branch .LBB249_20
.LBB249_31:
	s_load_dword s10, s[0:1], 0x58
	ds_read_b64 v[20:21], v54 offset:1024
	ds_read_b64 v[26:27], v53 offset:2560
	v_add_u32_e32 v28, s19, v44
	v_cmp_neq_f16_e64 s[4:5], 0, v32
	v_add_u32_e32 v16, s18, v43
	s_waitcnt lgkmcnt(0)
	v_mad_i64_i32 v[0:1], s[12:13], v28, s10, 0
	v_ashrrev_i32_e32 v17, 31, v16
	v_lshl_add_u64 v[22:23], v[0:1], 1, s[8:9]
	s_and_b64 vcc, exec, s[4:5]
	v_mov_b32_e32 v43, 0
	v_mov_b32_e32 v31, 0
	s_cbranch_vccz .LBB249_33
; %bb.32:
	v_lshl_add_u64 v[0:1], v[16:17], 1, v[22:23]
	flat_load_ushort v0, v[0:1]
	s_waitcnt vmcnt(0) lgkmcnt(0)
	v_mul_f16_e32 v31, v32, v0
.LBB249_33:
	ds_read_b64 v[24:25], v53 offset:3008
	ds_read_b64 v[18:19], v54 offset:1792
	ds_read2_b64 v[0:3], v54 offset0:160 offset1:192
	s_load_dword s11, s[0:1], 0x70
	s_load_dwordx2 s[12:13], s[0:1], 0x78
	v_pk_max_f16 v72, v20, v20
	v_pk_max_f16 v29, v26, v26
	v_add_u32_e32 v4, 0x800, v53
	v_pk_min_f16 v20, v29, v72
	ds_read2_b64 v[12:15], v4 offset0:72 offset1:80
	ds_read2_b64 v[8:11], v4 offset0:88 offset1:96
	;; [unrolled: 1-line block ×3, first 2 shown]
	v_pk_add_f16 v20, v20, v71
	v_pk_max_f16 v71, v21, v21
	v_pk_max_f16 v30, v27, v27
	s_waitcnt lgkmcnt(0)
	s_lshl_b64 s[0:1], s[12:13], 1
	v_pk_min_f16 v21, v30, v71
	s_add_u32 s2, s2, s0
	v_pk_add_f16 v42, v21, v20
	s_addc_u32 s3, s3, s1
	v_mad_i64_i32 v[26:27], s[0:1], v28, s11, 0
	v_add_f16_sdwa v42, v42, v42 dst_sel:DWORD dst_unused:UNUSED_PAD src0_sel:DWORD src1_sel:WORD_1
	v_add_u32_e32 v20, 8, v16
	v_lshl_add_u64 v[26:27], v[26:27], 1, s[2:3]
	v_add_f16_e32 v31, v42, v31
	v_cndmask_b32_e64 v42, 0, 1, s[4:5]
	v_ashrrev_i32_e32 v21, 31, v20
	v_lshl_add_u64 v[74:75], v[16:17], 1, v[26:27]
	v_cmp_ne_u32_e64 s[0:1], 1, v42
	s_andn2_b64 vcc, exec, s[4:5]
	global_store_short v[74:75], v31, off
	s_cbranch_vccnz .LBB249_35
; %bb.34:
	v_lshl_add_u64 v[42:43], v[20:21], 1, v[22:23]
	flat_load_ushort v31, v[42:43]
	s_waitcnt vmcnt(0) lgkmcnt(0)
	v_mul_f16_e32 v43, v32, v31
.LBB249_35:
	v_pk_max_f16 v31, v12, v12
	v_pk_max_f16 v42, v13, v13
	v_pk_min_f16 v12, v31, v72
	v_pk_min_f16 v13, v42, v71
	v_pk_add_f16 v12, v12, v70
	v_lshl_add_u64 v[74:75], v[20:21], 1, v[26:27]
	v_pk_add_f16 v12, v13, v12
	s_and_b64 vcc, exec, s[0:1]
	v_add_f16_sdwa v44, v12, v12 dst_sel:DWORD dst_unused:UNUSED_PAD src0_sel:DWORD src1_sel:WORD_1
	v_add_u32_e32 v12, 16, v16
	v_ashrrev_i32_e32 v13, 31, v12
	v_add_f16_e32 v43, v44, v43
	v_mov_b32_e32 v62, 0
	v_mov_b32_e32 v53, 0
	global_store_short v[74:75], v43, off
	s_cbranch_vccnz .LBB249_37
; %bb.36:
	v_lshl_add_u64 v[74:75], v[12:13], 1, v[22:23]
	flat_load_ushort v43, v[74:75]
	s_waitcnt vmcnt(0) lgkmcnt(0)
	v_mul_f16_e32 v53, v32, v43
.LBB249_37:
	v_pk_max_f16 v43, v14, v14
	v_pk_max_f16 v44, v15, v15
	v_pk_min_f16 v14, v43, v72
	v_pk_min_f16 v15, v44, v71
	v_pk_add_f16 v14, v14, v69
	v_lshl_add_u64 v[74:75], v[12:13], 1, v[26:27]
	v_pk_add_f16 v14, v15, v14
	s_and_b64 vcc, exec, s[0:1]
	v_add_f16_sdwa v54, v14, v14 dst_sel:DWORD dst_unused:UNUSED_PAD src0_sel:DWORD src1_sel:WORD_1
	v_add_u32_e32 v14, 24, v16
	v_ashrrev_i32_e32 v15, 31, v14
	v_add_f16_e32 v53, v54, v53
	global_store_short v[74:75], v53, off
	s_cbranch_vccnz .LBB249_39
; %bb.38:
	v_lshl_add_u64 v[74:75], v[14:15], 1, v[22:23]
	flat_load_ushort v53, v[74:75]
	s_waitcnt vmcnt(0) lgkmcnt(0)
	v_mul_f16_e32 v62, v32, v53
.LBB249_39:
	v_pk_max_f16 v53, v8, v8
	v_pk_max_f16 v54, v9, v9
	v_pk_min_f16 v8, v53, v72
	v_pk_min_f16 v9, v54, v71
	v_pk_add_f16 v8, v8, v68
	v_lshl_add_u64 v[68:69], v[14:15], 1, v[26:27]
	v_pk_add_f16 v8, v9, v8
	s_and_b64 vcc, exec, s[0:1]
	v_add_f16_sdwa v64, v8, v8 dst_sel:DWORD dst_unused:UNUSED_PAD src0_sel:DWORD src1_sel:WORD_1
	v_add_u32_e32 v8, 32, v16
	v_add_f16_e32 v62, v64, v62
	v_ashrrev_i32_e32 v9, 31, v8
	global_store_short v[68:69], v62, off
	v_mov_b32_e32 v68, 0
	v_mov_b32_e32 v69, 0
	s_cbranch_vccnz .LBB249_41
; %bb.40:
	v_lshl_add_u64 v[74:75], v[8:9], 1, v[22:23]
	flat_load_ushort v62, v[74:75]
	s_waitcnt vmcnt(0) lgkmcnt(0)
	v_mul_f16_e32 v69, v32, v62
.LBB249_41:
	v_pk_max_f16 v62, v10, v10
	v_pk_max_f16 v64, v11, v11
	v_pk_min_f16 v10, v62, v72
	v_pk_min_f16 v11, v64, v71
	v_pk_add_f16 v10, v10, v67
	v_lshl_add_u64 v[74:75], v[8:9], 1, v[26:27]
	v_pk_add_f16 v10, v11, v10
	s_and_b64 vcc, exec, s[0:1]
	v_add_f16_sdwa v67, v10, v10 dst_sel:DWORD dst_unused:UNUSED_PAD src0_sel:DWORD src1_sel:WORD_1
	v_add_u32_e32 v10, 40, v16
	v_ashrrev_i32_e32 v11, 31, v10
	v_add_f16_e32 v67, v67, v69
	global_store_short v[74:75], v67, off
	s_cbranch_vccnz .LBB249_43
; %bb.42:
	v_lshl_add_u64 v[68:69], v[10:11], 1, v[22:23]
	flat_load_ushort v67, v[68:69]
	s_waitcnt vmcnt(0) lgkmcnt(0)
	v_mul_f16_e32 v68, v32, v67
.LBB249_43:
	v_pk_max_f16 v67, v4, v4
	s_and_b64 vcc, exec, s[0:1]
	v_pk_min_f16 v4, v67, v72
	s_nop 0
	v_pk_add_f16 v4, v4, v66
	v_pk_max_f16 v66, v5, v5
	s_nop 0
	v_pk_min_f16 v5, v66, v71
	s_nop 0
	v_pk_add_f16 v4, v5, v4
	s_nop 0
	v_add_f16_sdwa v69, v4, v4 dst_sel:DWORD dst_unused:UNUSED_PAD src0_sel:DWORD src1_sel:WORD_1
	v_add_u32_e32 v4, 48, v16
	v_add_f16_e32 v70, v69, v68
	v_lshl_add_u64 v[68:69], v[10:11], 1, v[26:27]
	v_ashrrev_i32_e32 v5, 31, v4
	global_store_short v[68:69], v70, off
	v_mov_b32_e32 v69, 0
	v_mov_b32_e32 v70, 0
	s_cbranch_vccnz .LBB249_45
; %bb.44:
	v_lshl_add_u64 v[74:75], v[4:5], 1, v[22:23]
	flat_load_ushort v68, v[74:75]
	s_waitcnt vmcnt(0) lgkmcnt(0)
	v_mul_f16_e32 v70, v32, v68
.LBB249_45:
	v_pk_max_f16 v68, v6, v6
	v_lshl_add_u64 v[74:75], v[4:5], 1, v[26:27]
	v_pk_min_f16 v6, v68, v72
	s_and_b64 vcc, exec, s[0:1]
	v_pk_add_f16 v6, v6, v65
	v_pk_max_f16 v65, v7, v7
	s_nop 0
	v_pk_min_f16 v7, v65, v71
	s_nop 0
	v_pk_add_f16 v6, v7, v6
	s_nop 0
	v_add_f16_sdwa v73, v6, v6 dst_sel:DWORD dst_unused:UNUSED_PAD src0_sel:DWORD src1_sel:WORD_1
	v_add_u32_e32 v6, 56, v16
	v_ashrrev_i32_e32 v7, 31, v6
	v_add_f16_e32 v70, v73, v70
	global_store_short v[74:75], v70, off
	s_cbranch_vccnz .LBB249_47
; %bb.46:
	v_lshl_add_u64 v[22:23], v[6:7], 1, v[22:23]
	flat_load_ushort v22, v[22:23]
	s_waitcnt vmcnt(0) lgkmcnt(0)
	v_mul_f16_e32 v69, v32, v22
.LBB249_47:
	v_pk_max_f16 v24, v24, v24
	v_pk_max_f16 v25, v25, v25
	v_pk_min_f16 v22, v24, v72
	v_pk_min_f16 v23, v25, v71
	v_pk_add_f16 v22, v22, v63
	s_and_b64 vcc, exec, s[0:1]
	v_pk_add_f16 v22, v23, v22
	v_mov_b32_e32 v70, 0
	v_add_f16_sdwa v22, v22, v22 dst_sel:DWORD dst_unused:UNUSED_PAD src0_sel:DWORD src1_sel:WORD_1
	v_add_f16_e32 v63, v22, v69
	v_lshl_add_u64 v[22:23], v[6:7], 1, v[26:27]
	v_add_u32_e32 v69, 32, v28
	global_store_short v[22:23], v63, off
	v_mad_i64_i32 v[22:23], s[4:5], v69, s10, 0
	v_lshl_add_u64 v[22:23], v[22:23], 1, s[8:9]
	v_mov_b32_e32 v63, 0
	s_cbranch_vccnz .LBB249_49
; %bb.48:
	v_lshl_add_u64 v[26:27], v[16:17], 1, v[22:23]
	flat_load_ushort v26, v[26:27]
	s_waitcnt vmcnt(0) lgkmcnt(0)
	v_mul_f16_e32 v70, v32, v26
.LBB249_49:
	v_pk_max_f16 v26, v0, v0
	v_pk_max_f16 v27, v1, v1
	v_pk_min_f16 v0, v29, v26
	v_pk_min_f16 v1, v30, v27
	v_pk_add_f16 v0, v0, v61
	s_and_b64 vcc, exec, s[0:1]
	v_pk_add_f16 v61, v1, v0
	v_mad_i64_i32 v[0:1], s[4:5], v69, s11, 0
	v_lshl_add_u64 v[0:1], v[0:1], 1, s[2:3]
	v_add_f16_sdwa v61, v61, v61 dst_sel:DWORD dst_unused:UNUSED_PAD src0_sel:DWORD src1_sel:WORD_1
	v_add_f16_e32 v61, v61, v70
	v_lshl_add_u64 v[70:71], v[16:17], 1, v[0:1]
	global_store_short v[70:71], v61, off
	s_cbranch_vccnz .LBB249_51
; %bb.50:
	v_lshl_add_u64 v[70:71], v[20:21], 1, v[22:23]
	flat_load_ushort v61, v[70:71]
	s_waitcnt vmcnt(0) lgkmcnt(0)
	v_mul_f16_e32 v63, v32, v61
.LBB249_51:
	v_pk_min_f16 v61, v31, v26
	s_and_b64 vcc, exec, s[0:1]
	v_pk_add_f16 v60, v61, v60
	v_pk_min_f16 v61, v42, v27
	s_nop 0
	v_pk_add_f16 v60, v61, v60
	s_nop 0
	v_add_f16_sdwa v60, v60, v60 dst_sel:DWORD dst_unused:UNUSED_PAD src0_sel:DWORD src1_sel:WORD_1
	v_add_f16_e32 v63, v60, v63
	v_lshl_add_u64 v[60:61], v[20:21], 1, v[0:1]
	global_store_short v[60:61], v63, off
	v_mov_b32_e32 v60, 0
	v_mov_b32_e32 v61, 0
	s_cbranch_vccnz .LBB249_53
; %bb.52:
	v_lshl_add_u64 v[70:71], v[12:13], 1, v[22:23]
	flat_load_ushort v61, v[70:71]
	s_waitcnt vmcnt(0) lgkmcnt(0)
	v_mul_f16_e32 v61, v32, v61
.LBB249_53:
	v_pk_min_f16 v63, v43, v26
	v_lshl_add_u64 v[70:71], v[12:13], 1, v[0:1]
	v_pk_add_f16 v58, v63, v58
	v_pk_min_f16 v63, v44, v27
	s_and_b64 vcc, exec, s[0:1]
	v_pk_add_f16 v58, v63, v58
	s_nop 0
	v_add_f16_sdwa v58, v58, v58 dst_sel:DWORD dst_unused:UNUSED_PAD src0_sel:DWORD src1_sel:WORD_1
	v_add_f16_e32 v58, v58, v61
	global_store_short v[70:71], v58, off
	s_cbranch_vccnz .LBB249_55
; %bb.54:
	v_lshl_add_u64 v[60:61], v[14:15], 1, v[22:23]
	flat_load_ushort v58, v[60:61]
	s_waitcnt vmcnt(0) lgkmcnt(0)
	v_mul_f16_e32 v60, v32, v58
.LBB249_55:
	v_pk_min_f16 v58, v53, v26
	s_and_b64 vcc, exec, s[0:1]
	v_pk_add_f16 v57, v58, v57
	v_pk_min_f16 v58, v54, v27
	s_nop 0
	v_pk_add_f16 v57, v58, v57
	v_mov_b32_e32 v58, 0
	v_add_f16_sdwa v57, v57, v57 dst_sel:DWORD dst_unused:UNUSED_PAD src0_sel:DWORD src1_sel:WORD_1
	v_add_f16_e32 v57, v57, v60
	v_lshl_add_u64 v[60:61], v[14:15], 1, v[0:1]
	global_store_short v[60:61], v57, off
	v_mov_b32_e32 v57, 0
	s_cbranch_vccnz .LBB249_57
; %bb.56:
	v_lshl_add_u64 v[60:61], v[8:9], 1, v[22:23]
	flat_load_ushort v58, v[60:61]
	s_waitcnt vmcnt(0) lgkmcnt(0)
	v_mul_f16_e32 v58, v32, v58
.LBB249_57:
	v_pk_min_f16 v60, v62, v26
	s_and_b64 vcc, exec, s[0:1]
	v_pk_add_f16 v56, v60, v56
	v_pk_min_f16 v60, v64, v27
	s_nop 0
	v_pk_add_f16 v56, v60, v56
	v_lshl_add_u64 v[60:61], v[8:9], 1, v[0:1]
	v_add_f16_sdwa v56, v56, v56 dst_sel:DWORD dst_unused:UNUSED_PAD src0_sel:DWORD src1_sel:WORD_1
	v_add_f16_e32 v56, v56, v58
	global_store_short v[60:61], v56, off
	s_cbranch_vccnz .LBB249_59
; %bb.58:
	v_lshl_add_u64 v[56:57], v[10:11], 1, v[22:23]
	flat_load_ushort v56, v[56:57]
	s_waitcnt vmcnt(0) lgkmcnt(0)
	v_mul_f16_e32 v57, v32, v56
.LBB249_59:
	v_pk_min_f16 v56, v67, v26
	v_pk_min_f16 v58, v66, v27
	v_pk_add_f16 v56, v56, v59
	s_and_b64 vcc, exec, s[0:1]
	v_pk_add_f16 v56, v58, v56
	s_nop 0
	v_add_f16_sdwa v56, v56, v56 dst_sel:DWORD dst_unused:UNUSED_PAD src0_sel:DWORD src1_sel:WORD_1
	v_add_f16_e32 v58, v56, v57
	v_lshl_add_u64 v[56:57], v[10:11], 1, v[0:1]
	global_store_short v[56:57], v58, off
	v_mov_b32_e32 v56, 0
	v_mov_b32_e32 v57, 0
	s_cbranch_vccnz .LBB249_61
; %bb.60:
	v_lshl_add_u64 v[58:59], v[4:5], 1, v[22:23]
	flat_load_ushort v57, v[58:59]
	s_waitcnt vmcnt(0) lgkmcnt(0)
	v_mul_f16_e32 v57, v32, v57
.LBB249_61:
	v_pk_min_f16 v58, v68, v26
	s_and_b64 vcc, exec, s[0:1]
	v_pk_add_f16 v55, v58, v55
	v_pk_min_f16 v58, v65, v27
	s_nop 0
	v_pk_add_f16 v55, v58, v55
	v_lshl_add_u64 v[58:59], v[4:5], 1, v[0:1]
	v_add_f16_sdwa v55, v55, v55 dst_sel:DWORD dst_unused:UNUSED_PAD src0_sel:DWORD src1_sel:WORD_1
	v_add_f16_e32 v55, v55, v57
	global_store_short v[58:59], v55, off
	s_cbranch_vccnz .LBB249_63
; %bb.62:
	v_lshl_add_u64 v[22:23], v[6:7], 1, v[22:23]
	flat_load_ushort v22, v[22:23]
	s_waitcnt vmcnt(0) lgkmcnt(0)
	v_mul_f16_e32 v56, v32, v22
.LBB249_63:
	v_pk_min_f16 v22, v24, v26
	v_pk_min_f16 v23, v25, v27
	v_pk_add_f16 v22, v22, v52
	v_lshl_add_u64 v[0:1], v[6:7], 1, v[0:1]
	v_pk_add_f16 v22, v23, v22
	v_add_u32_e32 v27, 64, v28
	v_add_f16_sdwa v22, v22, v22 dst_sel:DWORD dst_unused:UNUSED_PAD src0_sel:DWORD src1_sel:WORD_1
	v_add_f16_e32 v22, v22, v56
	global_store_short v[0:1], v22, off
	v_mad_i64_i32 v[0:1], s[4:5], v27, s10, 0
	v_lshl_add_u64 v[0:1], v[0:1], 1, s[8:9]
	s_and_b64 vcc, exec, s[0:1]
	v_mov_b32_e32 v26, 0
	v_mov_b32_e32 v52, 0
	s_cbranch_vccnz .LBB249_65
; %bb.64:
	v_lshl_add_u64 v[22:23], v[16:17], 1, v[0:1]
	flat_load_ushort v22, v[22:23]
	s_waitcnt vmcnt(0) lgkmcnt(0)
	v_mul_f16_e32 v52, v32, v22
.LBB249_65:
	v_pk_max_f16 v22, v2, v2
	v_pk_max_f16 v23, v3, v3
	v_pk_min_f16 v2, v29, v22
	v_pk_min_f16 v3, v30, v23
	v_pk_add_f16 v2, v2, v51
	s_and_b64 vcc, exec, s[0:1]
	v_pk_add_f16 v51, v3, v2
	v_mad_i64_i32 v[2:3], s[4:5], v27, s11, 0
	v_lshl_add_u64 v[2:3], v[2:3], 1, s[2:3]
	v_add_f16_sdwa v27, v51, v51 dst_sel:DWORD dst_unused:UNUSED_PAD src0_sel:DWORD src1_sel:WORD_1
	v_add_f16_e32 v27, v27, v52
	v_lshl_add_u64 v[56:57], v[16:17], 1, v[2:3]
	global_store_short v[56:57], v27, off
	s_cbranch_vccnz .LBB249_67
; %bb.66:
	v_lshl_add_u64 v[26:27], v[20:21], 1, v[0:1]
	flat_load_ushort v26, v[26:27]
	s_waitcnt vmcnt(0) lgkmcnt(0)
	v_mul_f16_e32 v26, v32, v26
.LBB249_67:
	v_pk_min_f16 v27, v31, v22
	s_and_b64 vcc, exec, s[0:1]
	v_pk_add_f16 v27, v27, v50
	v_pk_min_f16 v50, v42, v23
	s_nop 0
	v_pk_add_f16 v27, v50, v27
	s_nop 0
	v_add_f16_sdwa v27, v27, v27 dst_sel:DWORD dst_unused:UNUSED_PAD src0_sel:DWORD src1_sel:WORD_1
	v_add_f16_e32 v50, v27, v26
	v_lshl_add_u64 v[26:27], v[20:21], 1, v[2:3]
	global_store_short v[26:27], v50, off
	v_mov_b32_e32 v26, 0
	v_mov_b32_e32 v27, 0
	s_cbranch_vccnz .LBB249_69
; %bb.68:
	v_lshl_add_u64 v[50:51], v[12:13], 1, v[0:1]
	flat_load_ushort v27, v[50:51]
	s_waitcnt vmcnt(0) lgkmcnt(0)
	v_mul_f16_e32 v27, v32, v27
.LBB249_69:
	v_pk_min_f16 v50, v43, v22
	s_and_b64 vcc, exec, s[0:1]
	v_pk_add_f16 v49, v50, v49
	v_pk_min_f16 v50, v44, v23
	s_nop 0
	v_pk_add_f16 v49, v50, v49
	v_lshl_add_u64 v[50:51], v[12:13], 1, v[2:3]
	v_add_f16_sdwa v49, v49, v49 dst_sel:DWORD dst_unused:UNUSED_PAD src0_sel:DWORD src1_sel:WORD_1
	v_add_f16_e32 v27, v49, v27
	global_store_short v[50:51], v27, off
	s_cbranch_vccnz .LBB249_71
; %bb.70:
	v_lshl_add_u64 v[26:27], v[14:15], 1, v[0:1]
	flat_load_ushort v26, v[26:27]
	s_waitcnt vmcnt(0) lgkmcnt(0)
	v_mul_f16_e32 v26, v32, v26
.LBB249_71:
	v_pk_min_f16 v27, v53, v22
	s_and_b64 vcc, exec, s[0:1]
	v_pk_add_f16 v27, v27, v47
	v_pk_min_f16 v47, v54, v23
	s_nop 0
	v_pk_add_f16 v27, v47, v27
	s_nop 0
	v_add_f16_sdwa v27, v27, v27 dst_sel:DWORD dst_unused:UNUSED_PAD src0_sel:DWORD src1_sel:WORD_1
	v_add_f16_e32 v47, v27, v26
	v_lshl_add_u64 v[26:27], v[14:15], 1, v[2:3]
	global_store_short v[26:27], v47, off
	v_mov_b32_e32 v26, 0
	v_mov_b32_e32 v27, 0
	s_cbranch_vccnz .LBB249_73
; %bb.72:
	v_lshl_add_u64 v[50:51], v[8:9], 1, v[0:1]
	flat_load_ushort v27, v[50:51]
	s_waitcnt vmcnt(0) lgkmcnt(0)
	v_mul_f16_e32 v27, v32, v27
.LBB249_73:
	v_pk_min_f16 v47, v62, v22
	s_and_b64 vcc, exec, s[0:1]
	v_pk_add_f16 v46, v47, v46
	v_pk_min_f16 v47, v64, v23
	s_nop 0
	v_pk_add_f16 v46, v47, v46
	s_nop 0
	v_add_f16_sdwa v46, v46, v46 dst_sel:DWORD dst_unused:UNUSED_PAD src0_sel:DWORD src1_sel:WORD_1
	v_add_f16_e32 v27, v46, v27
	v_lshl_add_u64 v[46:47], v[8:9], 1, v[2:3]
	global_store_short v[46:47], v27, off
	s_cbranch_vccnz .LBB249_75
; %bb.74:
	v_lshl_add_u64 v[26:27], v[10:11], 1, v[0:1]
	flat_load_ushort v26, v[26:27]
	s_waitcnt vmcnt(0) lgkmcnt(0)
	v_mul_f16_e32 v26, v32, v26
.LBB249_75:
	v_pk_min_f16 v27, v67, v22
	v_pk_min_f16 v46, v66, v23
	v_pk_add_f16 v27, v27, v48
	s_and_b64 vcc, exec, s[0:1]
	v_pk_add_f16 v27, v46, v27
	s_nop 0
	v_add_f16_sdwa v27, v27, v27 dst_sel:DWORD dst_unused:UNUSED_PAD src0_sel:DWORD src1_sel:WORD_1
	v_add_f16_e32 v46, v27, v26
	v_lshl_add_u64 v[26:27], v[10:11], 1, v[2:3]
	global_store_short v[26:27], v46, off
	v_mov_b32_e32 v26, 0
	v_mov_b32_e32 v27, 0
	s_cbranch_vccnz .LBB249_77
; %bb.76:
	v_lshl_add_u64 v[46:47], v[4:5], 1, v[0:1]
	flat_load_ushort v27, v[46:47]
	s_waitcnt vmcnt(0) lgkmcnt(0)
	v_mul_f16_e32 v27, v32, v27
.LBB249_77:
	v_pk_min_f16 v46, v68, v22
	s_and_b64 vcc, exec, s[0:1]
	v_pk_add_f16 v45, v46, v45
	v_pk_min_f16 v46, v65, v23
	s_nop 0
	v_pk_add_f16 v45, v46, v45
	v_lshl_add_u64 v[46:47], v[4:5], 1, v[2:3]
	v_add_f16_sdwa v45, v45, v45 dst_sel:DWORD dst_unused:UNUSED_PAD src0_sel:DWORD src1_sel:WORD_1
	v_add_f16_e32 v27, v45, v27
	global_store_short v[46:47], v27, off
	s_cbranch_vccnz .LBB249_79
; %bb.78:
	v_lshl_add_u64 v[0:1], v[6:7], 1, v[0:1]
	flat_load_ushort v0, v[0:1]
	s_waitcnt vmcnt(0) lgkmcnt(0)
	v_mul_f16_e32 v26, v32, v0
.LBB249_79:
	v_pk_min_f16 v0, v24, v22
	v_pk_min_f16 v1, v25, v23
	v_pk_add_f16 v0, v0, v41
	s_and_b64 vcc, exec, s[0:1]
	v_pk_add_f16 v0, v1, v0
	v_mov_b32_e32 v23, 0
	v_add_f16_sdwa v0, v0, v0 dst_sel:DWORD dst_unused:UNUSED_PAD src0_sel:DWORD src1_sel:WORD_1
	v_add_f16_e32 v22, v0, v26
	v_lshl_add_u64 v[0:1], v[6:7], 1, v[2:3]
	v_add_u32_e32 v2, 0x60, v28
	global_store_short v[0:1], v22, off
	v_mad_i64_i32 v[0:1], s[4:5], v2, s10, 0
	v_lshl_add_u64 v[0:1], v[0:1], 1, s[8:9]
	v_mov_b32_e32 v22, 0
	s_cbranch_vccnz .LBB249_81
; %bb.80:
	v_lshl_add_u64 v[26:27], v[16:17], 1, v[0:1]
	flat_load_ushort v3, v[26:27]
	s_waitcnt vmcnt(0) lgkmcnt(0)
	v_mul_f16_e32 v23, v32, v3
.LBB249_81:
	v_pk_max_f16 v18, v18, v18
	v_pk_max_f16 v19, v19, v19
	v_pk_min_f16 v3, v29, v18
	v_pk_min_f16 v26, v30, v19
	v_pk_add_f16 v3, v3, v40
	s_and_b64 vcc, exec, s[0:1]
	v_pk_add_f16 v26, v26, v3
	v_mad_i64_i32 v[2:3], s[4:5], v2, s11, 0
	v_lshl_add_u64 v[2:3], v[2:3], 1, s[2:3]
	v_add_f16_sdwa v26, v26, v26 dst_sel:DWORD dst_unused:UNUSED_PAD src0_sel:DWORD src1_sel:WORD_1
	v_add_f16_e32 v23, v26, v23
	v_lshl_add_u64 v[16:17], v[16:17], 1, v[2:3]
	global_store_short v[16:17], v23, off
	s_cbranch_vccnz .LBB249_83
; %bb.82:
	v_lshl_add_u64 v[16:17], v[20:21], 1, v[0:1]
	flat_load_ushort v16, v[16:17]
	s_waitcnt vmcnt(0) lgkmcnt(0)
	v_mul_f16_e32 v22, v32, v16
.LBB249_83:
	v_pk_min_f16 v16, v31, v18
	v_pk_min_f16 v17, v42, v19
	v_pk_add_f16 v16, v16, v37
	s_and_b64 vcc, exec, s[0:1]
	v_pk_add_f16 v16, v17, v16
	s_nop 0
	v_add_f16_sdwa v16, v16, v16 dst_sel:DWORD dst_unused:UNUSED_PAD src0_sel:DWORD src1_sel:WORD_1
	v_add_f16_e32 v22, v16, v22
	v_lshl_add_u64 v[16:17], v[20:21], 1, v[2:3]
	global_store_short v[16:17], v22, off
	v_mov_b32_e32 v16, 0
	v_mov_b32_e32 v17, 0
	s_cbranch_vccnz .LBB249_85
; %bb.84:
	v_lshl_add_u64 v[20:21], v[12:13], 1, v[0:1]
	flat_load_ushort v17, v[20:21]
	s_waitcnt vmcnt(0) lgkmcnt(0)
	v_mul_f16_e32 v17, v32, v17
.LBB249_85:
	v_pk_min_f16 v20, v43, v18
	v_pk_min_f16 v21, v44, v19
	v_pk_add_f16 v20, v20, v36
	v_lshl_add_u64 v[12:13], v[12:13], 1, v[2:3]
	v_pk_add_f16 v20, v21, v20
	s_and_b64 vcc, exec, s[0:1]
	v_add_f16_sdwa v20, v20, v20 dst_sel:DWORD dst_unused:UNUSED_PAD src0_sel:DWORD src1_sel:WORD_1
	v_add_f16_e32 v17, v20, v17
	global_store_short v[12:13], v17, off
	s_cbranch_vccnz .LBB249_87
; %bb.86:
	v_lshl_add_u64 v[12:13], v[14:15], 1, v[0:1]
	flat_load_ushort v12, v[12:13]
	s_waitcnt vmcnt(0) lgkmcnt(0)
	v_mul_f16_e32 v16, v32, v12
.LBB249_87:
	v_pk_min_f16 v12, v53, v18
	v_pk_min_f16 v13, v54, v19
	v_pk_add_f16 v12, v12, v34
	s_and_b64 vcc, exec, s[0:1]
	v_pk_add_f16 v12, v13, v12
	s_nop 0
	v_add_f16_sdwa v12, v12, v12 dst_sel:DWORD dst_unused:UNUSED_PAD src0_sel:DWORD src1_sel:WORD_1
	v_add_f16_e32 v16, v12, v16
	v_lshl_add_u64 v[12:13], v[14:15], 1, v[2:3]
	global_store_short v[12:13], v16, off
	v_mov_b32_e32 v12, 0
	v_mov_b32_e32 v13, 0
	s_cbranch_vccnz .LBB249_89
; %bb.88:
	v_lshl_add_u64 v[14:15], v[8:9], 1, v[0:1]
	flat_load_ushort v13, v[14:15]
	s_waitcnt vmcnt(0) lgkmcnt(0)
	v_mul_f16_e32 v13, v32, v13
.LBB249_89:
	v_pk_min_f16 v14, v62, v18
	v_pk_min_f16 v15, v64, v19
	v_pk_add_f16 v14, v14, v38
	v_lshl_add_u64 v[8:9], v[8:9], 1, v[2:3]
	v_pk_add_f16 v14, v15, v14
	s_and_b64 vcc, exec, s[0:1]
	v_add_f16_sdwa v14, v14, v14 dst_sel:DWORD dst_unused:UNUSED_PAD src0_sel:DWORD src1_sel:WORD_1
	v_add_f16_e32 v13, v14, v13
	global_store_short v[8:9], v13, off
	s_cbranch_vccnz .LBB249_91
; %bb.90:
	v_lshl_add_u64 v[8:9], v[10:11], 1, v[0:1]
	flat_load_ushort v8, v[8:9]
	s_waitcnt vmcnt(0) lgkmcnt(0)
	v_mul_f16_e32 v12, v32, v8
.LBB249_91:
	v_pk_min_f16 v8, v67, v18
	v_pk_min_f16 v9, v66, v19
	v_pk_add_f16 v8, v8, v35
	v_pk_min_f16 v13, v65, v19
	v_pk_add_f16 v8, v9, v8
	v_pk_min_f16 v9, v68, v18
	v_add_f16_sdwa v8, v8, v8 dst_sel:DWORD dst_unused:UNUSED_PAD src0_sel:DWORD src1_sel:WORD_1
	v_pk_add_f16 v9, v9, v39
	v_add_f16_e32 v12, v8, v12
	v_pk_add_f16 v13, v13, v9
	v_lshl_add_u64 v[8:9], v[10:11], 1, v[2:3]
	global_store_short v[8:9], v12, off
	v_add_f16_sdwa v8, v13, v13 dst_sel:DWORD dst_unused:UNUSED_PAD src0_sel:DWORD src1_sel:WORD_1
	s_mov_b64 vcc, s[6:7]
	s_cbranch_vccz .LBB249_94
; %bb.92:
	v_add_f16_e32 v9, 0, v8
	v_lshl_add_u64 v[10:11], v[4:5], 1, v[2:3]
	s_mov_b32 s2, 0
	global_store_short v[10:11], v9, off
	s_cbranch_execz .LBB249_95
; %bb.93:
	v_mov_b32_e32 v0, s2
	s_branch .LBB249_96
.LBB249_94:
                                        ; implicit-def: $sgpr2
.LBB249_95:
	v_lshlrev_b64 v[4:5], 1, v[4:5]
	v_lshl_add_u64 v[10:11], v[0:1], 0, v[4:5]
	flat_load_ushort v9, v[10:11]
	v_lshl_add_u64 v[4:5], v[2:3], 0, v[4:5]
	v_lshl_add_u64 v[0:1], v[6:7], 1, v[0:1]
	s_waitcnt vmcnt(0) lgkmcnt(0)
	v_fma_f16 v8, v32, v9, v8
	global_store_short v[4:5], v8, off
	flat_load_ushort v0, v[0:1]
	s_waitcnt vmcnt(0) lgkmcnt(0)
	v_mul_f16_e32 v0, v32, v0
.LBB249_96:
	v_pk_min_f16 v4, v24, v18
	v_pk_min_f16 v1, v25, v19
	v_pk_add_f16 v4, v4, v33
	s_nop 0
	v_pk_add_f16 v1, v1, v4
	s_nop 0
	v_add_f16_sdwa v1, v1, v1 dst_sel:DWORD dst_unused:UNUSED_PAD src0_sel:DWORD src1_sel:WORD_1
	v_add_f16_e32 v4, v1, v0
	v_lshl_add_u64 v[0:1], v[6:7], 1, v[2:3]
	global_store_short v[0:1], v4, off
	s_endpgm
	.section	.rodata,"a",@progbits
	.p2align	6, 0x0
	.amdhsa_kernel _ZN12_GLOBAL__N_120geam_min_plus_kernelIDF16_Dv2_DF16_S1_Li8ELi32ELi64ELi128ELi4ELi4ELi64ELi64ELi4ELc84ELc84ELb0ELb0ELb0EPKDF16_KS3_KPDF16_EEviiiT16_PT17_ilS9_ilS7_S9_ilPT18_ili26rocblas_geam_ex_operation_
		.amdhsa_group_segment_fixed_size 3072
		.amdhsa_private_segment_fixed_size 0
		.amdhsa_kernarg_size 136
		.amdhsa_user_sgpr_count 2
		.amdhsa_user_sgpr_dispatch_ptr 0
		.amdhsa_user_sgpr_queue_ptr 0
		.amdhsa_user_sgpr_kernarg_segment_ptr 1
		.amdhsa_user_sgpr_dispatch_id 0
		.amdhsa_user_sgpr_kernarg_preload_length 0
		.amdhsa_user_sgpr_kernarg_preload_offset 0
		.amdhsa_user_sgpr_private_segment_size 0
		.amdhsa_uses_dynamic_stack 0
		.amdhsa_enable_private_segment 0
		.amdhsa_system_sgpr_workgroup_id_x 1
		.amdhsa_system_sgpr_workgroup_id_y 0
		.amdhsa_system_sgpr_workgroup_id_z 1
		.amdhsa_system_sgpr_workgroup_info 0
		.amdhsa_system_vgpr_workitem_id 1
		.amdhsa_next_free_vgpr 122
		.amdhsa_next_free_sgpr 24
		.amdhsa_accum_offset 124
		.amdhsa_reserve_vcc 1
		.amdhsa_float_round_mode_32 0
		.amdhsa_float_round_mode_16_64 0
		.amdhsa_float_denorm_mode_32 3
		.amdhsa_float_denorm_mode_16_64 3
		.amdhsa_dx10_clamp 1
		.amdhsa_ieee_mode 1
		.amdhsa_fp16_overflow 0
		.amdhsa_tg_split 0
		.amdhsa_exception_fp_ieee_invalid_op 0
		.amdhsa_exception_fp_denorm_src 0
		.amdhsa_exception_fp_ieee_div_zero 0
		.amdhsa_exception_fp_ieee_overflow 0
		.amdhsa_exception_fp_ieee_underflow 0
		.amdhsa_exception_fp_ieee_inexact 0
		.amdhsa_exception_int_div_zero 0
	.end_amdhsa_kernel
	.section	.text._ZN12_GLOBAL__N_120geam_min_plus_kernelIDF16_Dv2_DF16_S1_Li8ELi32ELi64ELi128ELi4ELi4ELi64ELi64ELi4ELc84ELc84ELb0ELb0ELb0EPKDF16_KS3_KPDF16_EEviiiT16_PT17_ilS9_ilS7_S9_ilPT18_ili26rocblas_geam_ex_operation_,"axG",@progbits,_ZN12_GLOBAL__N_120geam_min_plus_kernelIDF16_Dv2_DF16_S1_Li8ELi32ELi64ELi128ELi4ELi4ELi64ELi64ELi4ELc84ELc84ELb0ELb0ELb0EPKDF16_KS3_KPDF16_EEviiiT16_PT17_ilS9_ilS7_S9_ilPT18_ili26rocblas_geam_ex_operation_,comdat
.Lfunc_end249:
	.size	_ZN12_GLOBAL__N_120geam_min_plus_kernelIDF16_Dv2_DF16_S1_Li8ELi32ELi64ELi128ELi4ELi4ELi64ELi64ELi4ELc84ELc84ELb0ELb0ELb0EPKDF16_KS3_KPDF16_EEviiiT16_PT17_ilS9_ilS7_S9_ilPT18_ili26rocblas_geam_ex_operation_, .Lfunc_end249-_ZN12_GLOBAL__N_120geam_min_plus_kernelIDF16_Dv2_DF16_S1_Li8ELi32ELi64ELi128ELi4ELi4ELi64ELi64ELi4ELc84ELc84ELb0ELb0ELb0EPKDF16_KS3_KPDF16_EEviiiT16_PT17_ilS9_ilS7_S9_ilPT18_ili26rocblas_geam_ex_operation_
                                        ; -- End function
	.section	.AMDGPU.csdata,"",@progbits
; Kernel info:
; codeLenInByte = 8948
; NumSgprs: 30
; NumVgprs: 122
; NumAgprs: 0
; TotalNumVgprs: 122
; ScratchSize: 0
; MemoryBound: 0
; FloatMode: 240
; IeeeMode: 1
; LDSByteSize: 3072 bytes/workgroup (compile time only)
; SGPRBlocks: 3
; VGPRBlocks: 15
; NumSGPRsForWavesPerEU: 30
; NumVGPRsForWavesPerEU: 122
; AccumOffset: 124
; Occupancy: 4
; WaveLimiterHint : 1
; COMPUTE_PGM_RSRC2:SCRATCH_EN: 0
; COMPUTE_PGM_RSRC2:USER_SGPR: 2
; COMPUTE_PGM_RSRC2:TRAP_HANDLER: 0
; COMPUTE_PGM_RSRC2:TGID_X_EN: 1
; COMPUTE_PGM_RSRC2:TGID_Y_EN: 0
; COMPUTE_PGM_RSRC2:TGID_Z_EN: 1
; COMPUTE_PGM_RSRC2:TIDIG_COMP_CNT: 1
; COMPUTE_PGM_RSRC3_GFX90A:ACCUM_OFFSET: 30
; COMPUTE_PGM_RSRC3_GFX90A:TG_SPLIT: 0
	.section	.text._ZN12_GLOBAL__N_120geam_min_plus_kernelIDF16_Dv2_DF16_S1_Li8ELi32ELi64ELi128ELi4ELi4ELi64ELi64ELi4ELc84ELc84ELb1ELb0ELb0EDF16_KPKDF16_KPDF16_EEviiiT16_PT17_ilS9_ilS7_S9_ilPT18_ili26rocblas_geam_ex_operation_,"axG",@progbits,_ZN12_GLOBAL__N_120geam_min_plus_kernelIDF16_Dv2_DF16_S1_Li8ELi32ELi64ELi128ELi4ELi4ELi64ELi64ELi4ELc84ELc84ELb1ELb0ELb0EDF16_KPKDF16_KPDF16_EEviiiT16_PT17_ilS9_ilS7_S9_ilPT18_ili26rocblas_geam_ex_operation_,comdat
	.globl	_ZN12_GLOBAL__N_120geam_min_plus_kernelIDF16_Dv2_DF16_S1_Li8ELi32ELi64ELi128ELi4ELi4ELi64ELi64ELi4ELc84ELc84ELb1ELb0ELb0EDF16_KPKDF16_KPDF16_EEviiiT16_PT17_ilS9_ilS7_S9_ilPT18_ili26rocblas_geam_ex_operation_ ; -- Begin function _ZN12_GLOBAL__N_120geam_min_plus_kernelIDF16_Dv2_DF16_S1_Li8ELi32ELi64ELi128ELi4ELi4ELi64ELi64ELi4ELc84ELc84ELb1ELb0ELb0EDF16_KPKDF16_KPDF16_EEviiiT16_PT17_ilS9_ilS7_S9_ilPT18_ili26rocblas_geam_ex_operation_
	.p2align	8
	.type	_ZN12_GLOBAL__N_120geam_min_plus_kernelIDF16_Dv2_DF16_S1_Li8ELi32ELi64ELi128ELi4ELi4ELi64ELi64ELi4ELc84ELc84ELb1ELb0ELb0EDF16_KPKDF16_KPDF16_EEviiiT16_PT17_ilS9_ilS7_S9_ilPT18_ili26rocblas_geam_ex_operation_,@function
_ZN12_GLOBAL__N_120geam_min_plus_kernelIDF16_Dv2_DF16_S1_Li8ELi32ELi64ELi128ELi4ELi4ELi64ELi64ELi4ELc84ELc84ELb1ELb0ELb0EDF16_KPKDF16_KPDF16_EEviiiT16_PT17_ilS9_ilS7_S9_ilPT18_ili26rocblas_geam_ex_operation_: ; @_ZN12_GLOBAL__N_120geam_min_plus_kernelIDF16_Dv2_DF16_S1_Li8ELi32ELi64ELi128ELi4ELi4ELi64ELi64ELi4ELc84ELc84ELb1ELb0ELb0EDF16_KPKDF16_KPDF16_EEviiiT16_PT17_ilS9_ilS7_S9_ilPT18_ili26rocblas_geam_ex_operation_
; %bb.0:
	s_load_dwordx2 s[12:13], s[0:1], 0x8
	s_load_dwordx4 s[4:7], s[0:1], 0x20
	s_mov_b32 s20, s3
	s_mov_b32 s21, 0
	s_waitcnt lgkmcnt(0)
	v_cmp_eq_f16_e64 s[8:9], s13, 0
	s_and_b64 vcc, exec, s[8:9]
	s_cbranch_vccnz .LBB250_3
; %bb.1:
	s_load_dwordx2 s[10:11], s[0:1], 0x10
	s_lshl_b64 s[14:15], s[20:21], 3
	s_waitcnt lgkmcnt(0)
	s_add_u32 s10, s10, s14
	s_addc_u32 s11, s11, s15
	s_load_dwordx2 s[10:11], s[10:11], 0x0
	s_lshl_b64 s[4:5], s[4:5], 1
	s_waitcnt lgkmcnt(0)
	s_add_u32 s14, s10, s4
	s_addc_u32 s15, s11, s5
	s_andn2_b64 vcc, exec, s[8:9]
	s_cbranch_vccnz .LBB250_4
.LBB250_2:
	s_mov_b64 s[16:17], 0
	s_cbranch_execz .LBB250_5
	s_branch .LBB250_6
.LBB250_3:
	s_mov_b64 s[14:15], 0
	s_andn2_b64 vcc, exec, s[8:9]
	s_cbranch_vccz .LBB250_2
.LBB250_4:
                                        ; implicit-def: $sgpr16_sgpr17
.LBB250_5:
	s_lshl_b64 s[8:9], s[20:21], 3
	s_add_u32 s6, s6, s8
	s_load_dwordx2 s[4:5], s[0:1], 0x38
	s_addc_u32 s7, s7, s9
	s_load_dwordx2 s[6:7], s[6:7], 0x0
	s_waitcnt lgkmcnt(0)
	s_lshl_b64 s[4:5], s[4:5], 1
	s_add_u32 s16, s6, s4
	s_addc_u32 s17, s7, s5
.LBB250_6:
	s_load_dword s13, s[0:1], 0x40
	s_load_dwordx4 s[8:11], s[0:1], 0x58
	s_waitcnt lgkmcnt(0)
	v_cmp_eq_f16_e64 s[4:5], s13, 0
	s_and_b64 s[4:5], exec, s[4:5]
	s_mov_b64 vcc, s[4:5]
	s_cbranch_vccnz .LBB250_8
; %bb.7:
	s_load_dwordx2 s[6:7], s[0:1], 0x48
	s_lshl_b64 s[18:19], s[20:21], 3
	s_waitcnt lgkmcnt(0)
	s_add_u32 s6, s6, s18
	s_addc_u32 s7, s7, s19
	s_load_dwordx2 s[6:7], s[6:7], 0x0
	s_lshl_b64 s[8:9], s[8:9], 1
	s_waitcnt lgkmcnt(0)
	s_add_u32 s6, s6, s8
	s_addc_u32 s7, s7, s9
	s_branch .LBB250_9
.LBB250_8:
	s_mov_b64 s[6:7], 0
.LBB250_9:
	s_load_dword s3, s[0:1], 0x0
	s_load_dword s19, s[0:1], 0x18
	s_load_dword s18, s[0:1], 0x30
	s_lshl_b64 s[8:9], s[20:21], 3
	s_add_u32 s8, s10, s8
	s_addc_u32 s9, s11, s9
	s_waitcnt lgkmcnt(0)
	s_add_i32 s3, s3, -1
	s_ashr_i32 s10, s3, 31
	s_lshr_b32 s10, s10, 26
	s_add_i32 s3, s3, s10
	s_ashr_i32 s3, s3, 6
	s_add_i32 s10, s3, 1
	v_cvt_f32_u32_e32 v1, s10
	v_and_b32_e32 v33, 0x3ff, v0
	v_bfe_u32 v34, v0, 10, 10
	s_not_b32 s3, s3
	v_rcp_iflag_f32_e32 v1, v1
	v_lshlrev_b32_e32 v32, 3, v34
	v_and_b32_e32 v2, 3, v33
	v_lshlrev_b32_e32 v6, 1, v2
	v_mul_f32_e32 v0, 0x4f7ffffe, v1
	v_cvt_u32_f32_e32 v0, v0
	v_add_u32_e32 v1, v32, v33
	v_and_b32_e32 v14, 63, v1
	v_lshrrev_b32_e32 v11, 2, v1
	v_readfirstlane_b32 s11, v0
	s_mul_i32 s3, s3, s11
	s_mul_hi_u32 s3, s11, s3
	s_add_i32 s11, s11, s3
	s_mul_hi_u32 s3, s2, s11
	s_mul_i32 s11, s3, s10
	s_sub_i32 s11, s2, s11
	s_add_i32 s20, s3, 1
	s_sub_i32 s21, s11, s10
	s_cmp_ge_u32 s11, s10
	s_cselect_b32 s3, s20, s3
	s_cselect_b32 s11, s21, s11
	s_add_i32 s20, s3, 1
	s_cmp_ge_u32 s11, s10
	s_cselect_b32 s3, s20, s3
	s_mul_i32 s10, s3, s10
	s_sub_i32 s2, s2, s10
	s_lshl_b32 s11, s3, 7
	v_lshrrev_b32_e32 v10, 6, v1
	s_lshl_b32 s10, s2, 6
	v_or_b32_e32 v8, s11, v14
	v_add_u32_e32 v0, s10, v11
	v_mad_i64_i32 v[2:3], s[2:3], s18, v10, 0
	v_ashrrev_i32_e32 v9, 31, v8
	v_mad_i64_i32 v[4:5], s[2:3], v0, s19, 0
	v_lshl_add_u64 v[2:3], v[2:3], 1, s[16:17]
	v_lshlrev_b64 v[12:13], 1, v[8:9]
	v_lshl_add_u64 v[0:1], v[4:5], 1, s[14:15]
	v_mov_b32_e32 v7, 0
	v_lshl_add_u64 v[2:3], v[2:3], 0, v[12:13]
	v_lshl_add_u64 v[0:1], v[0:1], 0, v[6:7]
	flat_load_ushort v15, v[2:3]
	flat_load_ushort v16, v[2:3] offset:128
	flat_load_ushort v17, v[0:1]
	v_add_u32_e32 v2, 4, v10
	s_load_dwordx2 s[2:3], s[8:9], 0x0
	v_mad_i64_i32 v[2:3], s[8:9], s18, v2, 0
	v_lshl_add_u64 v[2:3], v[2:3], 1, s[16:17]
	v_lshl_add_u64 v[2:3], v[2:3], 0, v[12:13]
	flat_load_ushort v38, v[2:3]
	flat_load_ushort v39, v[2:3] offset:128
	flat_load_ushort v40, v[0:1] offset:8
	v_lshlrev_b32_e32 v35, 3, v33
	v_lshlrev_b32_e32 v18, 1, v10
	v_add_u32_e32 v36, 0x800, v35
	v_lshl_add_u32 v37, v14, 3, v18
	v_lshl_or_b32 v11, v11, 3, v6
	s_cmp_lt_i32 s12, 9
	s_waitcnt vmcnt(0) lgkmcnt(0)
	ds_write_b16 v37, v15
	ds_write_b16 v37, v16 offset:512
	ds_write_b16 v11, v17 offset:2048
	s_waitcnt lgkmcnt(0)
	s_barrier
	ds_read2_b64 v[0:3], v36 offset0:48 offset1:56
	ds_read2_b64 v[12:15], v32 offset1:32
	ds_read2_b64 v[16:19], v32 offset0:64 offset1:96
	ds_read2_b64 v[20:23], v36 offset1:8
	ds_read2_b64 v[24:27], v36 offset0:16 offset1:24
	ds_read2_b64 v[28:31], v36 offset0:32 offset1:40
	s_waitcnt lgkmcnt(4)
	v_pk_max_f16 v12, v12, v12
	v_pk_max_f16 v2, v2, v2
	;; [unrolled: 1-line block ×3, first 2 shown]
	s_waitcnt lgkmcnt(3)
	v_pk_max_f16 v16, v16, v16
	s_waitcnt lgkmcnt(2)
	v_pk_max_f16 v20, v20, v20
	v_pk_max_f16 v18, v18, v18
	;; [unrolled: 1-line block ×3, first 2 shown]
	s_waitcnt lgkmcnt(1)
	v_pk_max_f16 v24, v24, v24
	v_pk_max_f16 v26, v26, v26
	s_waitcnt lgkmcnt(0)
	v_pk_max_f16 v28, v28, v28
	v_pk_max_f16 v30, v30, v30
	;; [unrolled: 1-line block ×3, first 2 shown]
	v_pk_min_f16 v44, v2, v12
	v_pk_max_f16 v0, v0, v0
	v_pk_max_f16 v3, v3, v3
	;; [unrolled: 1-line block ×3, first 2 shown]
	v_pk_min_f16 v41, v20, v12
	v_pk_min_f16 v42, v20, v14
	;; [unrolled: 1-line block ×31, first 2 shown]
	v_pk_add_f16 v18, v44, 0
	v_pk_min_f16 v44, v3, v13
	v_pk_max_f16 v17, v17, v17
	v_pk_add_f16 v58, v44, v18
	v_pk_add_f16 v18, v46, 0
	v_pk_min_f16 v44, v3, v15
	v_pk_max_f16 v21, v21, v21
	v_pk_add_f16 v51, v44, v18
	;; [unrolled: 4-line block ×9, first 2 shown]
	v_pk_add_f16 v18, v48, 0
	v_pk_min_f16 v20, v23, v17
	v_pk_add_f16 v12, v12, 0
	v_pk_add_f16 v53, v20, v18
	v_pk_add_f16 v18, v22, 0
	v_pk_min_f16 v20, v23, v19
	v_pk_add_f16 v21, v72, 0
	v_pk_add_f16 v45, v20, v18
	v_pk_add_f16 v18, v49, 0
	v_pk_min_f16 v20, v25, v13
	v_pk_add_f16 v14, v14, 0
	v_pk_add_f16 v65, v20, v18
	v_pk_add_f16 v18, v52, 0
	v_pk_min_f16 v20, v25, v15
	v_pk_add_f16 v22, v73, 0
	v_pk_add_f16 v59, v20, v18
	v_pk_add_f16 v18, v54, 0
	v_pk_min_f16 v20, v25, v17
	v_pk_add_f16 v0, v0, 0
	v_pk_add_f16 v52, v20, v18
	v_pk_add_f16 v18, v24, 0
	v_pk_min_f16 v20, v25, v19
	v_pk_min_f16 v24, v29, v19
	v_pk_add_f16 v43, v20, v18
	v_pk_add_f16 v18, v55, 0
	v_pk_min_f16 v20, v27, v13
	v_pk_add_f16 v23, v30, 0
	v_pk_add_f16 v67, v20, v18
	v_pk_add_f16 v18, v56, 0
	v_pk_min_f16 v20, v27, v15
	v_pk_add_f16 v16, v16, 0
	;; [unrolled: 4-line block ×3, first 2 shown]
	v_pk_add_f16 v54, v20, v18
	v_pk_add_f16 v18, v26, 0
	v_pk_min_f16 v20, v27, v19
	ds_write_b16 v11, v40 offset:2560
	ds_write_b16 v37, v38 offset:1024
	;; [unrolled: 1-line block ×3, first 2 shown]
	v_pk_add_f16 v47, v20, v18
	v_pk_add_f16 v18, v63, 0
	v_pk_min_f16 v20, v29, v13
	s_waitcnt lgkmcnt(0)
	v_pk_add_f16 v66, v20, v18
	v_pk_add_f16 v18, v69, 0
	v_pk_min_f16 v20, v29, v15
	s_barrier
	v_pk_add_f16 v62, v20, v18
	v_pk_add_f16 v18, v70, 0
	v_pk_min_f16 v20, v29, v17
	s_nop 0
	v_pk_add_f16 v55, v20, v18
	v_pk_add_f16 v18, v28, 0
	;; [unrolled: 1-line block ×4, first 2 shown]
	v_pk_min_f16 v18, v31, v13
	v_pk_min_f16 v13, v1, v13
	v_pk_add_f16 v69, v18, v20
	v_pk_min_f16 v18, v31, v15
	v_pk_add_f16 v77, v13, v12
	;; [unrolled: 2-line block ×4, first 2 shown]
	v_pk_min_f16 v12, v1, v17
	v_pk_min_f16 v1, v1, v19
	v_pk_add_f16 v56, v18, v22
	v_pk_min_f16 v18, v31, v19
	v_pk_add_f16 v71, v1, v0
	v_pk_min_f16 v0, v3, v19
	v_pk_add_f16 v49, v18, v23
	v_pk_add_f16 v72, v12, v16
	v_pk_add_f16 v70, v0, v2
	s_cbranch_scc1 .LBB250_12
; %bb.10:
	v_mov_b32_e32 v0, 0xa00
	v_lshl_add_u32 v41, v33, 3, v0
	v_add_u32_e32 v0, 12, v10
	v_mad_i64_i32 v[0:1], s[8:9], v0, s18, 0
	v_lshlrev_b64 v[26:27], 1, v[0:1]
	v_lshl_add_u64 v[0:1], v[4:5], 1, v[6:7]
	v_lshl_add_u64 v[0:1], v[0:1], 0, s[14:15]
	;; [unrolled: 1-line block ×3, first 2 shown]
	v_add_u32_e32 v0, 8, v10
	s_ashr_i32 s19, s18, 31
	v_mad_i64_i32 v[0:1], s[14:15], v0, s18, 0
	v_add_u32_e32 v38, 0x800, v11
	v_add_u32_e32 v39, 0xa00, v11
	v_or_b32_e32 v40, 0x400, v37
	s_add_i32 s12, s12, -8
	v_add_u32_e32 v42, 0x400, v32
	v_lshl_add_u64 v[24:25], v[8:9], 1, s[16:17]
	s_lshl_b64 s[8:9], s[18:19], 4
	v_lshlrev_b64 v[30:31], 1, v[0:1]
	s_mov_b32 s14, 0
.LBB250_11:                             ; =>This Inner Loop Header: Depth=1
	v_lshl_add_u64 v[0:1], v[24:25], 0, v[30:31]
	flat_load_ushort v73, v[28:29]
	flat_load_ushort v74, v[0:1]
	flat_load_ushort v75, v[0:1] offset:128
	ds_read2_b64 v[0:3], v41 offset0:48 offset1:56
	ds_read2_b64 v[4:7], v42 offset0:64 offset1:96
	ds_read2_b64 v[20:23], v42 offset1:32
	ds_read2_b64 v[16:19], v41 offset1:8
	ds_read2_b64 v[12:15], v41 offset0:16 offset1:24
	s_waitcnt lgkmcnt(0)
	v_pk_max_f16 v2, v2, v2
	v_pk_max_f16 v4, v4, v4
	;; [unrolled: 1-line block ×4, first 2 shown]
	v_pk_min_f16 v8, v2, v20
	v_pk_max_f16 v6, v6, v6
	v_pk_add_f16 v58, v8, v58
	v_pk_min_f16 v8, v2, v22
	v_pk_max_f16 v0, v0, v0
	v_pk_add_f16 v51, v8, v51
	v_pk_min_f16 v8, v2, v4
	v_pk_min_f16 v2, v2, v6
	v_pk_add_f16 v46, v8, v46
	v_pk_max_f16 v8, v16, v16
	v_pk_max_f16 v3, v3, v3
	v_pk_min_f16 v9, v8, v20
	v_pk_max_f16 v5, v5, v5
	v_pk_add_f16 v16, v9, v64
	v_pk_min_f16 v9, v8, v22
	v_pk_max_f16 v17, v17, v17
	v_pk_add_f16 v57, v9, v57
	v_pk_min_f16 v9, v8, v4
	v_pk_min_f16 v8, v8, v6
	v_pk_add_f16 v50, v9, v50
	v_pk_add_f16 v44, v8, v44
	v_pk_max_f16 v8, v18, v18
	v_pk_max_f16 v7, v7, v7
	v_pk_min_f16 v9, v8, v20
	v_pk_max_f16 v13, v13, v13
	v_pk_add_f16 v18, v9, v68
	v_pk_min_f16 v9, v8, v22
	v_pk_max_f16 v1, v1, v1
	v_pk_add_f16 v60, v9, v60
	v_pk_min_f16 v9, v8, v4
	v_pk_min_f16 v8, v8, v6
	v_pk_add_f16 v53, v9, v53
	v_pk_add_f16 v45, v8, v45
	v_pk_max_f16 v8, v12, v12
	v_pk_add_f16 v2, v2, v70
	v_pk_min_f16 v9, v8, v20
	s_add_i32 s14, s14, 8
	v_pk_add_f16 v12, v9, v65
	v_pk_min_f16 v9, v8, v22
	s_cmp_ge_i32 s14, s12
	v_pk_add_f16 v59, v9, v59
	v_pk_min_f16 v9, v8, v4
	v_pk_min_f16 v8, v8, v6
	v_pk_add_f16 v52, v9, v52
	v_pk_add_f16 v43, v8, v43
	v_pk_max_f16 v8, v14, v14
	s_nop 0
	v_pk_min_f16 v9, v8, v20
	s_nop 0
	v_pk_add_f16 v14, v9, v67
	v_pk_min_f16 v9, v8, v22
	s_nop 0
	v_pk_add_f16 v61, v9, v61
	v_pk_min_f16 v9, v8, v4
	v_pk_min_f16 v8, v8, v6
	v_pk_add_f16 v54, v9, v54
	v_pk_add_f16 v47, v8, v47
	ds_read2_b64 v[8:11], v41 offset0:32 offset1:40
	s_waitcnt vmcnt(0)
	ds_write_b16 v38, v73
	ds_write_b16 v37, v74
	ds_write_b16 v37, v75 offset:512
	s_waitcnt lgkmcnt(3)
	v_pk_max_f16 v8, v8, v8
	v_pk_max_f16 v10, v10, v10
	v_pk_min_f16 v65, v8, v22
	v_pk_min_f16 v64, v8, v20
	v_pk_add_f16 v62, v65, v62
	v_pk_min_f16 v65, v8, v4
	v_pk_min_f16 v8, v8, v6
	v_pk_add_f16 v55, v65, v55
	v_pk_min_f16 v65, v10, v22
	v_pk_add_f16 v8, v8, v48
	;; [unrolled: 2-line block ×3, first 2 shown]
	v_pk_min_f16 v65, v10, v4
	v_pk_min_f16 v10, v10, v6
	;; [unrolled: 1-line block ×6, first 2 shown]
	v_pk_max_f16 v6, v21, v21
	v_pk_add_f16 v10, v10, v49
	v_pk_min_f16 v21, v3, v6
	v_pk_add_f16 v56, v65, v56
	v_pk_add_f16 v49, v21, v58
	v_pk_max_f16 v21, v23, v23
	v_pk_add_f16 v64, v64, v66
	v_pk_min_f16 v23, v3, v21
	v_pk_max_f16 v9, v9, v9
	v_pk_add_f16 v51, v23, v51
	v_pk_min_f16 v23, v3, v5
	v_pk_add_f16 v48, v48, v69
	v_pk_add_f16 v46, v23, v46
	v_pk_min_f16 v23, v17, v6
	v_pk_add_f16 v20, v20, v77
	;; [unrolled: 3-line block ×4, first 2 shown]
	v_pk_add_f16 v50, v16, v50
	v_pk_min_f16 v16, v17, v7
	s_waitcnt lgkmcnt(0)
	v_pk_add_f16 v44, v16, v44
	v_pk_max_f16 v16, v19, v19
	s_barrier
	v_pk_min_f16 v17, v16, v6
	s_nop 0
	v_pk_add_f16 v65, v17, v18
	v_pk_min_f16 v17, v16, v21
	flat_load_ushort v73, v[28:29] offset:8
	v_pk_add_f16 v60, v17, v60
	v_pk_min_f16 v17, v16, v5
	v_pk_min_f16 v16, v16, v7
	v_pk_add_f16 v53, v17, v53
	v_pk_add_f16 v45, v16, v45
	v_pk_min_f16 v16, v13, v6
	v_pk_add_f16 v4, v4, v72
	v_pk_add_f16 v66, v16, v12
	v_pk_min_f16 v12, v13, v21
	v_lshl_add_u64 v[28:29], v[28:29], 0, 16
	v_pk_add_f16 v59, v12, v59
	v_pk_min_f16 v12, v13, v5
	s_nop 0
	v_pk_add_f16 v52, v12, v52
	v_pk_min_f16 v12, v13, v7
	s_nop 0
	v_pk_add_f16 v43, v12, v43
	v_pk_max_f16 v12, v15, v15
	s_nop 0
	v_pk_min_f16 v13, v12, v6
	s_nop 0
	v_pk_add_f16 v67, v13, v14
	v_pk_min_f16 v13, v12, v21
	s_nop 0
	v_pk_add_f16 v61, v13, v61
	v_pk_min_f16 v13, v12, v5
	v_pk_min_f16 v12, v12, v7
	v_pk_add_f16 v54, v13, v54
	v_pk_add_f16 v47, v12, v47
	v_pk_min_f16 v12, v9, v6
	s_nop 0
	v_pk_add_f16 v64, v12, v64
	v_pk_min_f16 v12, v9, v21
	s_nop 0
	v_pk_add_f16 v62, v12, v62
	v_pk_min_f16 v12, v9, v5
	v_pk_min_f16 v9, v9, v7
	v_pk_add_f16 v55, v12, v55
	v_pk_add_f16 v68, v9, v8
	v_pk_max_f16 v8, v11, v11
	s_nop 0
	v_pk_min_f16 v9, v8, v6
	v_pk_min_f16 v6, v1, v6
	v_pk_add_f16 v48, v9, v48
	v_pk_min_f16 v9, v8, v21
	v_pk_add_f16 v70, v6, v20
	v_pk_add_f16 v63, v9, v63
	v_pk_min_f16 v9, v8, v5
	v_pk_min_f16 v6, v1, v21
	;; [unrolled: 1-line block ×4, first 2 shown]
	v_pk_add_f16 v71, v6, v22
	v_pk_add_f16 v76, v1, v0
	v_pk_min_f16 v0, v3, v7
	v_pk_add_f16 v72, v5, v4
	v_pk_add_f16 v77, v0, v2
	v_lshl_add_u64 v[0:1], v[24:25], 0, v[26:27]
	flat_load_ushort v74, v[0:1]
	flat_load_ushort v75, v[0:1] offset:128
	ds_read2_b64 v[0:3], v36 offset0:48 offset1:56
	ds_read2_b64 v[12:15], v32 offset0:64 offset1:96
	ds_read2_b64 v[20:23], v32 offset1:32
	ds_read2_b64 v[16:19], v36 offset1:8
	v_pk_min_f16 v8, v8, v7
	s_waitcnt lgkmcnt(0)
	v_pk_max_f16 v78, v2, v2
	v_pk_max_f16 v12, v12, v12
	;; [unrolled: 1-line block ×4, first 2 shown]
	v_pk_min_f16 v2, v78, v20
	v_pk_add_f16 v56, v9, v56
	v_pk_add_f16 v49, v2, v49
	v_pk_max_f16 v2, v22, v22
	v_pk_add_f16 v69, v8, v10
	v_pk_min_f16 v4, v78, v2
	ds_read2_b64 v[8:11], v36 offset0:16 offset1:24
	v_pk_add_f16 v22, v4, v51
	v_pk_min_f16 v4, v78, v12
	v_pk_max_f16 v0, v0, v0
	v_pk_add_f16 v46, v4, v46
	v_pk_max_f16 v4, v16, v16
	v_pk_max_f16 v3, v3, v3
	v_pk_min_f16 v5, v4, v20
	v_pk_max_f16 v13, v13, v13
	v_pk_add_f16 v16, v5, v58
	v_pk_min_f16 v5, v4, v2
	v_pk_max_f16 v17, v17, v17
	v_pk_add_f16 v57, v5, v57
	v_pk_min_f16 v5, v4, v12
	v_pk_min_f16 v4, v4, v14
	v_pk_add_f16 v50, v5, v50
	v_pk_add_f16 v44, v4, v44
	v_pk_max_f16 v4, v18, v18
	s_waitcnt lgkmcnt(0)
	v_pk_max_f16 v9, v9, v9
	v_pk_min_f16 v5, v4, v20
	v_pk_max_f16 v1, v1, v1
	v_pk_add_f16 v18, v5, v65
	v_pk_min_f16 v5, v4, v2
	v_lshl_add_u64 v[24:25], v[24:25], 0, s[8:9]
	v_pk_add_f16 v60, v5, v60
	v_pk_min_f16 v5, v4, v12
	v_pk_min_f16 v4, v4, v14
	v_pk_add_f16 v53, v5, v53
	v_pk_add_f16 v45, v4, v45
	v_pk_max_f16 v4, v8, v8
	s_nop 0
	v_pk_min_f16 v5, v4, v20
	s_nop 0
	v_pk_add_f16 v65, v5, v66
	v_pk_min_f16 v5, v4, v2
	s_nop 0
	v_pk_add_f16 v59, v5, v59
	v_pk_min_f16 v5, v4, v12
	v_pk_min_f16 v4, v4, v14
	v_pk_add_f16 v52, v5, v52
	v_pk_add_f16 v43, v4, v43
	v_pk_max_f16 v4, v10, v10
	v_pk_max_f16 v10, v21, v21
	v_pk_min_f16 v5, v4, v20
	s_nop 0
	v_pk_add_f16 v66, v5, v67
	v_pk_min_f16 v5, v4, v2
	s_nop 0
	v_pk_add_f16 v61, v5, v61
	v_pk_min_f16 v5, v4, v12
	v_pk_min_f16 v4, v4, v14
	v_pk_add_f16 v54, v5, v54
	v_pk_add_f16 v47, v4, v47
	ds_read2_b64 v[4:7], v36 offset0:32 offset1:40
	s_waitcnt vmcnt(0)
	ds_write_b16 v39, v73
	ds_write_b16 v40, v74
	ds_write_b16 v40, v75 offset:512
	s_waitcnt lgkmcnt(3)
	v_pk_max_f16 v4, v4, v4
	v_pk_max_f16 v5, v5, v5
	v_pk_min_f16 v8, v4, v20
	s_waitcnt lgkmcnt(0)
	v_pk_add_f16 v79, v8, v64
	v_pk_min_f16 v8, v4, v2
	s_barrier
	v_pk_add_f16 v62, v8, v62
	v_pk_min_f16 v8, v4, v12
	v_pk_min_f16 v4, v4, v14
	v_pk_add_f16 v55, v8, v55
	v_pk_add_f16 v80, v4, v68
	v_pk_max_f16 v4, v6, v6
	s_nop 0
	v_pk_min_f16 v6, v4, v20
	s_nop 0
	v_pk_add_f16 v81, v6, v48
	v_pk_min_f16 v6, v4, v2
	v_pk_min_f16 v2, v0, v2
	v_pk_add_f16 v63, v6, v63
	v_pk_min_f16 v6, v4, v12
	v_pk_min_f16 v4, v4, v14
	v_pk_add_f16 v56, v6, v56
	v_pk_add_f16 v6, v2, v71
	v_pk_min_f16 v2, v0, v12
	v_pk_min_f16 v12, v3, v10
	v_pk_add_f16 v82, v4, v69
	v_pk_min_f16 v4, v0, v20
	v_pk_min_f16 v0, v0, v14
	v_pk_add_f16 v58, v12, v49
	v_pk_max_f16 v12, v23, v23
	v_pk_add_f16 v8, v4, v70
	v_pk_add_f16 v4, v2, v72
	;; [unrolled: 1-line block ×3, first 2 shown]
	v_pk_min_f16 v0, v78, v14
	v_pk_min_f16 v14, v3, v12
	v_pk_add_f16 v0, v0, v77
	v_pk_add_f16 v51, v14, v22
	v_pk_min_f16 v14, v3, v13
	s_nop 0
	v_pk_add_f16 v46, v14, v46
	v_pk_min_f16 v14, v17, v10
	s_nop 0
	v_pk_add_f16 v64, v14, v16
	v_pk_min_f16 v14, v17, v12
	s_nop 0
	v_pk_add_f16 v57, v14, v57
	v_pk_min_f16 v14, v17, v13
	s_nop 0
	v_pk_add_f16 v50, v14, v50
	v_pk_max_f16 v14, v15, v15
	s_nop 0
	v_pk_min_f16 v15, v17, v14
	s_nop 0
	v_pk_add_f16 v44, v15, v44
	v_pk_max_f16 v15, v19, v19
	s_nop 0
	v_pk_min_f16 v16, v15, v10
	s_nop 0
	v_pk_add_f16 v68, v16, v18
	v_pk_min_f16 v16, v15, v12
	s_nop 0
	v_pk_add_f16 v60, v16, v60
	v_pk_min_f16 v16, v15, v13
	v_pk_min_f16 v15, v15, v14
	v_pk_add_f16 v53, v16, v53
	v_pk_add_f16 v45, v15, v45
	v_pk_min_f16 v15, v9, v10
	s_nop 0
	v_pk_add_f16 v65, v15, v65
	v_pk_min_f16 v15, v9, v12
	s_nop 0
	v_pk_add_f16 v59, v15, v59
	v_pk_min_f16 v15, v9, v13
	v_pk_min_f16 v9, v9, v14
	v_pk_add_f16 v52, v15, v52
	v_pk_add_f16 v43, v9, v43
	v_pk_max_f16 v9, v11, v11
	s_nop 0
	v_pk_min_f16 v11, v9, v10
	s_nop 0
	v_pk_add_f16 v67, v11, v66
	v_pk_min_f16 v11, v9, v12
	s_nop 0
	v_pk_add_f16 v61, v11, v61
	v_pk_min_f16 v11, v9, v13
	v_pk_min_f16 v9, v9, v14
	v_pk_add_f16 v54, v11, v54
	v_pk_add_f16 v47, v9, v47
	v_pk_min_f16 v9, v5, v10
	s_nop 0
	v_pk_add_f16 v66, v9, v79
	v_pk_min_f16 v9, v5, v12
	s_nop 0
	v_pk_add_f16 v62, v9, v62
	v_pk_min_f16 v9, v5, v13
	v_pk_min_f16 v5, v5, v14
	v_pk_add_f16 v55, v9, v55
	;; [unrolled: 22-line block ×3, first 2 shown]
	v_pk_add_f16 v71, v1, v2
	v_pk_min_f16 v1, v3, v14
	s_nop 0
	v_pk_add_f16 v70, v1, v0
	s_cbranch_scc0 .LBB250_11
.LBB250_12:
	s_load_dword s12, s[0:1], 0x50
	ds_read_b64 v[20:21], v32 offset:1024
	ds_read_b64 v[26:27], v35 offset:2560
	v_add_u32_e32 v28, s11, v34
	v_cmp_neq_f16_e64 s[8:9], s13, 0
	v_add_u32_e32 v16, s10, v33
	s_waitcnt lgkmcnt(0)
	v_mad_i64_i32 v[0:1], s[10:11], v28, s12, 0
	v_ashrrev_i32_e32 v17, 31, v16
	v_lshl_add_u64 v[22:23], v[0:1], 1, s[6:7]
	s_and_b64 vcc, exec, s[8:9]
	v_mov_b32_e32 v33, 0
	v_mov_b32_e32 v31, 0
	s_cbranch_vccz .LBB250_14
; %bb.13:
	v_lshl_add_u64 v[0:1], v[16:17], 1, v[22:23]
	flat_load_ushort v0, v[0:1]
	s_waitcnt vmcnt(0) lgkmcnt(0)
	v_mul_f16_e32 v31, s13, v0
.LBB250_14:
	ds_read_b64 v[24:25], v35 offset:3008
	ds_read_b64 v[18:19], v32 offset:1792
	ds_read2_b64 v[0:3], v32 offset0:160 offset1:192
	s_load_dword s10, s[0:1], 0x68
	s_load_dwordx2 s[14:15], s[0:1], 0x70
	v_pk_max_f16 v73, v20, v20
	v_pk_max_f16 v29, v26, v26
	v_add_u32_e32 v4, 0x800, v35
	v_pk_min_f16 v20, v29, v73
	ds_read2_b64 v[12:15], v4 offset0:72 offset1:80
	ds_read2_b64 v[8:11], v4 offset0:88 offset1:96
	;; [unrolled: 1-line block ×3, first 2 shown]
	v_pk_add_f16 v20, v20, v64
	v_pk_max_f16 v64, v21, v21
	v_pk_max_f16 v30, v27, v27
	s_waitcnt lgkmcnt(0)
	s_lshl_b64 s[0:1], s[14:15], 1
	v_pk_min_f16 v21, v30, v64
	s_add_u32 s2, s2, s0
	v_pk_add_f16 v32, v21, v20
	s_addc_u32 s3, s3, s1
	v_mad_i64_i32 v[26:27], s[0:1], v28, s10, 0
	v_add_f16_sdwa v32, v32, v32 dst_sel:DWORD dst_unused:UNUSED_PAD src0_sel:DWORD src1_sel:WORD_1
	v_add_u32_e32 v20, 8, v16
	v_lshl_add_u64 v[26:27], v[26:27], 1, s[2:3]
	v_add_f16_e32 v31, v32, v31
	v_cndmask_b32_e64 v32, 0, 1, s[8:9]
	v_ashrrev_i32_e32 v21, 31, v20
	v_lshl_add_u64 v[34:35], v[16:17], 1, v[26:27]
	v_cmp_ne_u32_e64 s[0:1], 1, v32
	s_andn2_b64 vcc, exec, s[8:9]
	global_store_short v[34:35], v31, off
	s_cbranch_vccnz .LBB250_16
; %bb.15:
	v_lshl_add_u64 v[32:33], v[20:21], 1, v[22:23]
	flat_load_ushort v31, v[32:33]
	s_waitcnt vmcnt(0) lgkmcnt(0)
	v_mul_f16_e32 v33, s13, v31
.LBB250_16:
	v_pk_max_f16 v31, v12, v12
	v_pk_max_f16 v32, v13, v13
	v_pk_min_f16 v12, v31, v73
	v_pk_min_f16 v13, v32, v64
	v_pk_add_f16 v12, v12, v68
	s_and_b64 vcc, exec, s[0:1]
	v_pk_add_f16 v12, v13, v12
	v_mov_b32_e32 v37, 0
	v_add_f16_sdwa v34, v12, v12 dst_sel:DWORD dst_unused:UNUSED_PAD src0_sel:DWORD src1_sel:WORD_1
	v_add_u32_e32 v12, 16, v16
	v_add_f16_e32 v33, v34, v33
	v_lshl_add_u64 v[34:35], v[20:21], 1, v[26:27]
	v_ashrrev_i32_e32 v13, 31, v12
	global_store_short v[34:35], v33, off
	v_mov_b32_e32 v35, 0
	s_cbranch_vccnz .LBB250_18
; %bb.17:
	v_lshl_add_u64 v[34:35], v[12:13], 1, v[22:23]
	flat_load_ushort v33, v[34:35]
	s_waitcnt vmcnt(0) lgkmcnt(0)
	v_mul_f16_e32 v35, s13, v33
.LBB250_18:
	v_pk_max_f16 v33, v14, v14
	v_pk_max_f16 v34, v15, v15
	v_pk_min_f16 v14, v33, v73
	v_pk_min_f16 v15, v34, v64
	v_pk_add_f16 v14, v14, v65
	v_lshl_add_u64 v[38:39], v[12:13], 1, v[26:27]
	v_pk_add_f16 v14, v15, v14
	s_and_b64 vcc, exec, s[0:1]
	v_add_f16_sdwa v36, v14, v14 dst_sel:DWORD dst_unused:UNUSED_PAD src0_sel:DWORD src1_sel:WORD_1
	v_add_u32_e32 v14, 24, v16
	v_ashrrev_i32_e32 v15, 31, v14
	v_add_f16_e32 v35, v36, v35
	global_store_short v[38:39], v35, off
	s_cbranch_vccnz .LBB250_20
; %bb.19:
	v_lshl_add_u64 v[36:37], v[14:15], 1, v[22:23]
	flat_load_ushort v35, v[36:37]
	s_waitcnt vmcnt(0) lgkmcnt(0)
	v_mul_f16_e32 v37, s13, v35
.LBB250_20:
	v_pk_max_f16 v35, v8, v8
	v_pk_max_f16 v36, v9, v9
	v_pk_min_f16 v8, v35, v73
	v_pk_min_f16 v9, v36, v64
	v_pk_add_f16 v8, v8, v67
	s_and_b64 vcc, exec, s[0:1]
	v_pk_add_f16 v8, v9, v8
	v_mov_b32_e32 v41, 0
	v_add_f16_sdwa v38, v8, v8 dst_sel:DWORD dst_unused:UNUSED_PAD src0_sel:DWORD src1_sel:WORD_1
	v_add_u32_e32 v8, 32, v16
	v_add_f16_e32 v37, v38, v37
	v_lshl_add_u64 v[38:39], v[14:15], 1, v[26:27]
	v_ashrrev_i32_e32 v9, 31, v8
	global_store_short v[38:39], v37, off
	v_mov_b32_e32 v39, 0
	s_cbranch_vccnz .LBB250_22
; %bb.21:
	v_lshl_add_u64 v[38:39], v[8:9], 1, v[22:23]
	flat_load_ushort v37, v[38:39]
	s_waitcnt vmcnt(0) lgkmcnt(0)
	v_mul_f16_e32 v39, s13, v37
.LBB250_22:
	v_pk_max_f16 v37, v10, v10
	v_pk_max_f16 v38, v11, v11
	v_pk_min_f16 v10, v37, v73
	v_pk_min_f16 v11, v38, v64
	v_pk_add_f16 v10, v10, v66
	v_lshl_add_u64 v[66:67], v[8:9], 1, v[26:27]
	v_pk_add_f16 v10, v11, v10
	s_and_b64 vcc, exec, s[0:1]
	v_add_f16_sdwa v40, v10, v10 dst_sel:DWORD dst_unused:UNUSED_PAD src0_sel:DWORD src1_sel:WORD_1
	v_add_u32_e32 v10, 40, v16
	v_ashrrev_i32_e32 v11, 31, v10
	v_add_f16_e32 v39, v40, v39
	global_store_short v[66:67], v39, off
	s_cbranch_vccnz .LBB250_24
; %bb.23:
	v_lshl_add_u64 v[40:41], v[10:11], 1, v[22:23]
	flat_load_ushort v39, v[40:41]
	s_waitcnt vmcnt(0) lgkmcnt(0)
	v_mul_f16_e32 v41, s13, v39
.LBB250_24:
	v_pk_max_f16 v39, v4, v4
	v_pk_max_f16 v40, v5, v5
	v_pk_min_f16 v4, v39, v73
	v_pk_min_f16 v5, v40, v64
	v_pk_add_f16 v4, v4, v69
	v_lshl_add_u64 v[66:67], v[10:11], 1, v[26:27]
	v_pk_add_f16 v4, v5, v4
	s_and_b64 vcc, exec, s[0:1]
	v_add_f16_sdwa v42, v4, v4 dst_sel:DWORD dst_unused:UNUSED_PAD src0_sel:DWORD src1_sel:WORD_1
	v_add_u32_e32 v4, 48, v16
	v_add_f16_e32 v41, v42, v41
	v_ashrrev_i32_e32 v5, 31, v4
	global_store_short v[66:67], v41, off
	v_mov_b32_e32 v65, 0
	v_mov_b32_e32 v66, 0
	s_cbranch_vccnz .LBB250_26
; %bb.25:
	v_lshl_add_u64 v[66:67], v[4:5], 1, v[22:23]
	flat_load_ushort v41, v[66:67]
	s_waitcnt vmcnt(0) lgkmcnt(0)
	v_mul_f16_e32 v66, s13, v41
.LBB250_26:
	v_pk_max_f16 v41, v6, v6
	v_pk_max_f16 v42, v7, v7
	v_pk_min_f16 v6, v41, v73
	v_pk_min_f16 v7, v42, v64
	v_pk_add_f16 v6, v6, v77
	s_and_b64 vcc, exec, s[0:1]
	v_pk_add_f16 v6, v7, v6
	s_nop 0
	v_add_f16_sdwa v67, v6, v6 dst_sel:DWORD dst_unused:UNUSED_PAD src0_sel:DWORD src1_sel:WORD_1
	v_add_u32_e32 v6, 56, v16
	v_ashrrev_i32_e32 v7, 31, v6
	v_add_f16_e32 v68, v67, v66
	v_lshl_add_u64 v[66:67], v[4:5], 1, v[26:27]
	global_store_short v[66:67], v68, off
	s_cbranch_vccnz .LBB250_28
; %bb.27:
	v_lshl_add_u64 v[22:23], v[6:7], 1, v[22:23]
	flat_load_ushort v22, v[22:23]
	s_waitcnt vmcnt(0) lgkmcnt(0)
	v_mul_f16_e32 v65, s13, v22
.LBB250_28:
	v_pk_max_f16 v24, v24, v24
	v_pk_max_f16 v25, v25, v25
	v_pk_min_f16 v22, v24, v73
	v_pk_min_f16 v23, v25, v64
	v_pk_add_f16 v22, v22, v58
	v_add_u32_e32 v64, 32, v28
	v_pk_add_f16 v22, v23, v22
	s_and_b64 vcc, exec, s[0:1]
	v_add_f16_sdwa v22, v22, v22 dst_sel:DWORD dst_unused:UNUSED_PAD src0_sel:DWORD src1_sel:WORD_1
	v_add_f16_e32 v58, v22, v65
	v_lshl_add_u64 v[22:23], v[6:7], 1, v[26:27]
	global_store_short v[22:23], v58, off
	v_mad_i64_i32 v[22:23], s[8:9], v64, s12, 0
	v_lshl_add_u64 v[22:23], v[22:23], 1, s[6:7]
	v_mov_b32_e32 v58, 0
	v_mov_b32_e32 v65, 0
	s_cbranch_vccnz .LBB250_30
; %bb.29:
	v_lshl_add_u64 v[26:27], v[16:17], 1, v[22:23]
	flat_load_ushort v26, v[26:27]
	s_waitcnt vmcnt(0) lgkmcnt(0)
	v_mul_f16_e32 v65, s13, v26
.LBB250_30:
	v_pk_max_f16 v26, v0, v0
	v_pk_max_f16 v27, v1, v1
	v_pk_min_f16 v0, v29, v26
	v_pk_min_f16 v1, v30, v27
	v_pk_add_f16 v0, v0, v57
	s_and_b64 vcc, exec, s[0:1]
	v_pk_add_f16 v57, v1, v0
	v_mad_i64_i32 v[0:1], s[8:9], v64, s10, 0
	v_lshl_add_u64 v[0:1], v[0:1], 1, s[2:3]
	v_add_f16_sdwa v57, v57, v57 dst_sel:DWORD dst_unused:UNUSED_PAD src0_sel:DWORD src1_sel:WORD_1
	v_add_f16_e32 v57, v57, v65
	v_lshl_add_u64 v[64:65], v[16:17], 1, v[0:1]
	global_store_short v[64:65], v57, off
	s_cbranch_vccnz .LBB250_32
; %bb.31:
	v_lshl_add_u64 v[64:65], v[20:21], 1, v[22:23]
	flat_load_ushort v57, v[64:65]
	s_waitcnt vmcnt(0) lgkmcnt(0)
	v_mul_f16_e32 v58, s13, v57
.LBB250_32:
	v_pk_min_f16 v57, v31, v26
	v_lshl_add_u64 v[64:65], v[20:21], 1, v[0:1]
	v_pk_add_f16 v57, v57, v60
	v_pk_min_f16 v60, v32, v27
	s_and_b64 vcc, exec, s[0:1]
	v_pk_add_f16 v57, v60, v57
	s_nop 0
	v_add_f16_sdwa v57, v57, v57 dst_sel:DWORD dst_unused:UNUSED_PAD src0_sel:DWORD src1_sel:WORD_1
	v_add_f16_e32 v57, v57, v58
	global_store_short v[64:65], v57, off
	v_mov_b32_e32 v57, 0
	v_mov_b32_e32 v58, 0
	s_cbranch_vccnz .LBB250_34
; %bb.33:
	v_lshl_add_u64 v[64:65], v[12:13], 1, v[22:23]
	flat_load_ushort v58, v[64:65]
	s_waitcnt vmcnt(0) lgkmcnt(0)
	v_mul_f16_e32 v58, s13, v58
.LBB250_34:
	v_pk_min_f16 v60, v33, v26
	s_and_b64 vcc, exec, s[0:1]
	v_pk_add_f16 v59, v60, v59
	v_pk_min_f16 v60, v34, v27
	s_nop 0
	v_pk_add_f16 v59, v60, v59
	s_nop 0
	v_add_f16_sdwa v59, v59, v59 dst_sel:DWORD dst_unused:UNUSED_PAD src0_sel:DWORD src1_sel:WORD_1
	v_add_f16_e32 v60, v59, v58
	v_lshl_add_u64 v[58:59], v[12:13], 1, v[0:1]
	global_store_short v[58:59], v60, off
	s_cbranch_vccnz .LBB250_36
; %bb.35:
	v_lshl_add_u64 v[58:59], v[14:15], 1, v[22:23]
	flat_load_ushort v57, v[58:59]
	s_waitcnt vmcnt(0) lgkmcnt(0)
	v_mul_f16_e32 v57, s13, v57
.LBB250_36:
	v_pk_min_f16 v58, v35, v26
	v_pk_min_f16 v59, v36, v27
	v_pk_add_f16 v58, v58, v61
	s_and_b64 vcc, exec, s[0:1]
	v_pk_add_f16 v58, v59, v58
	s_nop 0
	v_add_f16_sdwa v58, v58, v58 dst_sel:DWORD dst_unused:UNUSED_PAD src0_sel:DWORD src1_sel:WORD_1
	v_add_f16_e32 v57, v58, v57
	v_lshl_add_u64 v[58:59], v[14:15], 1, v[0:1]
	global_store_short v[58:59], v57, off
	v_mov_b32_e32 v57, 0
	v_mov_b32_e32 v58, 0
	s_cbranch_vccnz .LBB250_38
; %bb.37:
	v_lshl_add_u64 v[58:59], v[8:9], 1, v[22:23]
	flat_load_ushort v58, v[58:59]
	s_waitcnt vmcnt(0) lgkmcnt(0)
	v_mul_f16_e32 v58, s13, v58
.LBB250_38:
	v_pk_min_f16 v59, v37, v26
	v_pk_min_f16 v60, v38, v27
	v_pk_add_f16 v59, v59, v62
	s_and_b64 vcc, exec, s[0:1]
	v_pk_add_f16 v59, v60, v59
	s_nop 0
	v_add_f16_sdwa v59, v59, v59 dst_sel:DWORD dst_unused:UNUSED_PAD src0_sel:DWORD src1_sel:WORD_1
	v_add_f16_e32 v60, v59, v58
	v_lshl_add_u64 v[58:59], v[8:9], 1, v[0:1]
	global_store_short v[58:59], v60, off
	s_cbranch_vccnz .LBB250_40
; %bb.39:
	v_lshl_add_u64 v[58:59], v[10:11], 1, v[22:23]
	flat_load_ushort v57, v[58:59]
	s_waitcnt vmcnt(0) lgkmcnt(0)
	v_mul_f16_e32 v57, s13, v57
.LBB250_40:
	v_pk_min_f16 v58, v39, v26
	v_pk_min_f16 v59, v40, v27
	v_pk_add_f16 v58, v58, v63
	s_and_b64 vcc, exec, s[0:1]
	v_pk_add_f16 v58, v59, v58
	s_nop 0
	v_add_f16_sdwa v58, v58, v58 dst_sel:DWORD dst_unused:UNUSED_PAD src0_sel:DWORD src1_sel:WORD_1
	v_add_f16_e32 v57, v58, v57
	v_lshl_add_u64 v[58:59], v[10:11], 1, v[0:1]
	global_store_short v[58:59], v57, off
	v_mov_b32_e32 v57, 0
	v_mov_b32_e32 v58, 0
	s_cbranch_vccnz .LBB250_42
; %bb.41:
	v_lshl_add_u64 v[58:59], v[4:5], 1, v[22:23]
	flat_load_ushort v58, v[58:59]
	s_waitcnt vmcnt(0) lgkmcnt(0)
	v_mul_f16_e32 v58, s13, v58
.LBB250_42:
	v_pk_min_f16 v59, v41, v26
	v_pk_min_f16 v60, v42, v27
	v_pk_add_f16 v59, v59, v76
	s_and_b64 vcc, exec, s[0:1]
	v_pk_add_f16 v59, v60, v59
	s_nop 0
	v_add_f16_sdwa v59, v59, v59 dst_sel:DWORD dst_unused:UNUSED_PAD src0_sel:DWORD src1_sel:WORD_1
	v_add_f16_e32 v60, v59, v58
	v_lshl_add_u64 v[58:59], v[4:5], 1, v[0:1]
	global_store_short v[58:59], v60, off
	s_cbranch_vccnz .LBB250_44
; %bb.43:
	v_lshl_add_u64 v[22:23], v[6:7], 1, v[22:23]
	flat_load_ushort v22, v[22:23]
	s_waitcnt vmcnt(0) lgkmcnt(0)
	v_mul_f16_e32 v57, s13, v22
.LBB250_44:
	v_pk_min_f16 v22, v24, v26
	v_pk_min_f16 v23, v25, v27
	v_pk_add_f16 v22, v22, v51
	v_lshl_add_u64 v[0:1], v[6:7], 1, v[0:1]
	v_pk_add_f16 v22, v23, v22
	v_add_u32_e32 v27, 64, v28
	v_add_f16_sdwa v22, v22, v22 dst_sel:DWORD dst_unused:UNUSED_PAD src0_sel:DWORD src1_sel:WORD_1
	v_add_f16_e32 v22, v22, v57
	global_store_short v[0:1], v22, off
	v_mad_i64_i32 v[0:1], s[8:9], v27, s12, 0
	v_lshl_add_u64 v[0:1], v[0:1], 1, s[6:7]
	s_and_b64 vcc, exec, s[0:1]
	v_mov_b32_e32 v26, 0
	v_mov_b32_e32 v51, 0
	s_cbranch_vccnz .LBB250_46
; %bb.45:
	v_lshl_add_u64 v[22:23], v[16:17], 1, v[0:1]
	flat_load_ushort v22, v[22:23]
	s_waitcnt vmcnt(0) lgkmcnt(0)
	v_mul_f16_e32 v51, s13, v22
.LBB250_46:
	v_pk_max_f16 v22, v2, v2
	v_pk_max_f16 v23, v3, v3
	v_pk_min_f16 v2, v29, v22
	v_pk_min_f16 v3, v30, v23
	v_pk_add_f16 v2, v2, v50
	s_and_b64 vcc, exec, s[0:1]
	v_pk_add_f16 v50, v3, v2
	v_mad_i64_i32 v[2:3], s[8:9], v27, s10, 0
	v_lshl_add_u64 v[2:3], v[2:3], 1, s[2:3]
	v_add_f16_sdwa v27, v50, v50 dst_sel:DWORD dst_unused:UNUSED_PAD src0_sel:DWORD src1_sel:WORD_1
	v_add_f16_e32 v27, v27, v51
	v_lshl_add_u64 v[50:51], v[16:17], 1, v[2:3]
	global_store_short v[50:51], v27, off
	s_cbranch_vccnz .LBB250_48
; %bb.47:
	v_lshl_add_u64 v[26:27], v[20:21], 1, v[0:1]
	flat_load_ushort v26, v[26:27]
	s_waitcnt vmcnt(0) lgkmcnt(0)
	v_mul_f16_e32 v26, s13, v26
.LBB250_48:
	v_pk_min_f16 v27, v31, v22
	v_pk_min_f16 v50, v32, v23
	v_pk_add_f16 v27, v27, v53
	s_and_b64 vcc, exec, s[0:1]
	v_pk_add_f16 v27, v50, v27
	s_nop 0
	v_add_f16_sdwa v27, v27, v27 dst_sel:DWORD dst_unused:UNUSED_PAD src0_sel:DWORD src1_sel:WORD_1
	v_add_f16_e32 v50, v27, v26
	v_lshl_add_u64 v[26:27], v[20:21], 1, v[2:3]
	global_store_short v[26:27], v50, off
	v_mov_b32_e32 v26, 0
	v_mov_b32_e32 v27, 0
	s_cbranch_vccnz .LBB250_50
; %bb.49:
	v_lshl_add_u64 v[50:51], v[12:13], 1, v[0:1]
	flat_load_ushort v27, v[50:51]
	s_waitcnt vmcnt(0) lgkmcnt(0)
	v_mul_f16_e32 v27, s13, v27
.LBB250_50:
	v_pk_min_f16 v50, v33, v22
	v_pk_min_f16 v51, v34, v23
	v_pk_add_f16 v50, v50, v52
	s_and_b64 vcc, exec, s[0:1]
	v_pk_add_f16 v50, v51, v50
	s_nop 0
	v_add_f16_sdwa v50, v50, v50 dst_sel:DWORD dst_unused:UNUSED_PAD src0_sel:DWORD src1_sel:WORD_1
	v_add_f16_e32 v27, v50, v27
	v_lshl_add_u64 v[50:51], v[12:13], 1, v[2:3]
	global_store_short v[50:51], v27, off
	s_cbranch_vccnz .LBB250_52
; %bb.51:
	v_lshl_add_u64 v[26:27], v[14:15], 1, v[0:1]
	flat_load_ushort v26, v[26:27]
	s_waitcnt vmcnt(0) lgkmcnt(0)
	v_mul_f16_e32 v26, s13, v26
.LBB250_52:
	v_pk_min_f16 v27, v35, v22
	v_pk_min_f16 v50, v36, v23
	v_pk_add_f16 v27, v27, v54
	s_and_b64 vcc, exec, s[0:1]
	v_pk_add_f16 v27, v50, v27
	s_nop 0
	v_add_f16_sdwa v27, v27, v27 dst_sel:DWORD dst_unused:UNUSED_PAD src0_sel:DWORD src1_sel:WORD_1
	v_add_f16_e32 v50, v27, v26
	v_lshl_add_u64 v[26:27], v[14:15], 1, v[2:3]
	global_store_short v[26:27], v50, off
	v_mov_b32_e32 v26, 0
	v_mov_b32_e32 v27, 0
	s_cbranch_vccnz .LBB250_54
; %bb.53:
	v_lshl_add_u64 v[50:51], v[8:9], 1, v[0:1]
	flat_load_ushort v27, v[50:51]
	s_waitcnt vmcnt(0) lgkmcnt(0)
	v_mul_f16_e32 v27, s13, v27
.LBB250_54:
	v_pk_min_f16 v50, v37, v22
	v_pk_min_f16 v51, v38, v23
	v_pk_add_f16 v50, v50, v55
	s_and_b64 vcc, exec, s[0:1]
	v_pk_add_f16 v50, v51, v50
	s_nop 0
	;; [unrolled: 36-line block ×3, first 2 shown]
	v_add_f16_sdwa v50, v50, v50 dst_sel:DWORD dst_unused:UNUSED_PAD src0_sel:DWORD src1_sel:WORD_1
	v_add_f16_e32 v27, v50, v27
	v_lshl_add_u64 v[50:51], v[4:5], 1, v[2:3]
	global_store_short v[50:51], v27, off
	s_cbranch_vccnz .LBB250_60
; %bb.59:
	v_lshl_add_u64 v[0:1], v[6:7], 1, v[0:1]
	flat_load_ushort v0, v[0:1]
	s_waitcnt vmcnt(0) lgkmcnt(0)
	v_mul_f16_e32 v26, s13, v0
.LBB250_60:
	v_pk_min_f16 v0, v24, v22
	v_pk_min_f16 v1, v25, v23
	v_pk_add_f16 v0, v0, v46
	s_and_b64 vcc, exec, s[0:1]
	v_pk_add_f16 v0, v1, v0
	v_mov_b32_e32 v23, 0
	v_add_f16_sdwa v0, v0, v0 dst_sel:DWORD dst_unused:UNUSED_PAD src0_sel:DWORD src1_sel:WORD_1
	v_add_f16_e32 v22, v0, v26
	v_lshl_add_u64 v[0:1], v[6:7], 1, v[2:3]
	v_add_u32_e32 v2, 0x60, v28
	global_store_short v[0:1], v22, off
	v_mad_i64_i32 v[0:1], s[8:9], v2, s12, 0
	v_lshl_add_u64 v[0:1], v[0:1], 1, s[6:7]
	v_mov_b32_e32 v22, 0
	s_cbranch_vccnz .LBB250_62
; %bb.61:
	v_lshl_add_u64 v[26:27], v[16:17], 1, v[0:1]
	flat_load_ushort v3, v[26:27]
	s_waitcnt vmcnt(0) lgkmcnt(0)
	v_mul_f16_e32 v23, s13, v3
.LBB250_62:
	v_pk_max_f16 v18, v18, v18
	v_pk_max_f16 v19, v19, v19
	v_pk_min_f16 v3, v29, v18
	v_pk_min_f16 v26, v30, v19
	v_pk_add_f16 v3, v3, v44
	s_and_b64 vcc, exec, s[0:1]
	v_pk_add_f16 v26, v26, v3
	v_mad_i64_i32 v[2:3], s[6:7], v2, s10, 0
	v_lshl_add_u64 v[2:3], v[2:3], 1, s[2:3]
	v_add_f16_sdwa v26, v26, v26 dst_sel:DWORD dst_unused:UNUSED_PAD src0_sel:DWORD src1_sel:WORD_1
	v_add_f16_e32 v23, v26, v23
	v_lshl_add_u64 v[16:17], v[16:17], 1, v[2:3]
	global_store_short v[16:17], v23, off
	s_cbranch_vccnz .LBB250_64
; %bb.63:
	v_lshl_add_u64 v[16:17], v[20:21], 1, v[0:1]
	flat_load_ushort v16, v[16:17]
	s_waitcnt vmcnt(0) lgkmcnt(0)
	v_mul_f16_e32 v22, s13, v16
.LBB250_64:
	v_pk_min_f16 v16, v31, v18
	v_pk_min_f16 v17, v32, v19
	v_pk_add_f16 v16, v16, v45
	s_and_b64 vcc, exec, s[0:1]
	v_pk_add_f16 v16, v17, v16
	s_nop 0
	v_add_f16_sdwa v16, v16, v16 dst_sel:DWORD dst_unused:UNUSED_PAD src0_sel:DWORD src1_sel:WORD_1
	v_add_f16_e32 v22, v16, v22
	v_lshl_add_u64 v[16:17], v[20:21], 1, v[2:3]
	global_store_short v[16:17], v22, off
	v_mov_b32_e32 v16, 0
	v_mov_b32_e32 v17, 0
	s_cbranch_vccnz .LBB250_66
; %bb.65:
	v_lshl_add_u64 v[20:21], v[12:13], 1, v[0:1]
	flat_load_ushort v17, v[20:21]
	s_waitcnt vmcnt(0) lgkmcnt(0)
	v_mul_f16_e32 v17, s13, v17
.LBB250_66:
	v_pk_min_f16 v20, v33, v18
	v_pk_min_f16 v21, v34, v19
	v_pk_add_f16 v20, v20, v43
	v_lshl_add_u64 v[12:13], v[12:13], 1, v[2:3]
	v_pk_add_f16 v20, v21, v20
	s_and_b64 vcc, exec, s[0:1]
	v_add_f16_sdwa v20, v20, v20 dst_sel:DWORD dst_unused:UNUSED_PAD src0_sel:DWORD src1_sel:WORD_1
	v_add_f16_e32 v17, v20, v17
	global_store_short v[12:13], v17, off
	s_cbranch_vccnz .LBB250_68
; %bb.67:
	v_lshl_add_u64 v[12:13], v[14:15], 1, v[0:1]
	flat_load_ushort v12, v[12:13]
	s_waitcnt vmcnt(0) lgkmcnt(0)
	v_mul_f16_e32 v16, s13, v12
.LBB250_68:
	v_pk_min_f16 v12, v35, v18
	v_pk_min_f16 v13, v36, v19
	v_pk_add_f16 v12, v12, v47
	s_and_b64 vcc, exec, s[0:1]
	v_pk_add_f16 v12, v13, v12
	s_nop 0
	v_add_f16_sdwa v12, v12, v12 dst_sel:DWORD dst_unused:UNUSED_PAD src0_sel:DWORD src1_sel:WORD_1
	v_add_f16_e32 v16, v12, v16
	v_lshl_add_u64 v[12:13], v[14:15], 1, v[2:3]
	global_store_short v[12:13], v16, off
	v_mov_b32_e32 v12, 0
	v_mov_b32_e32 v13, 0
	s_cbranch_vccnz .LBB250_70
; %bb.69:
	v_lshl_add_u64 v[14:15], v[8:9], 1, v[0:1]
	flat_load_ushort v13, v[14:15]
	s_waitcnt vmcnt(0) lgkmcnt(0)
	v_mul_f16_e32 v13, s13, v13
.LBB250_70:
	v_pk_min_f16 v14, v37, v18
	v_pk_min_f16 v15, v38, v19
	v_pk_add_f16 v14, v14, v48
	v_lshl_add_u64 v[8:9], v[8:9], 1, v[2:3]
	v_pk_add_f16 v14, v15, v14
	s_and_b64 vcc, exec, s[0:1]
	v_add_f16_sdwa v14, v14, v14 dst_sel:DWORD dst_unused:UNUSED_PAD src0_sel:DWORD src1_sel:WORD_1
	v_add_f16_e32 v13, v14, v13
	global_store_short v[8:9], v13, off
	s_cbranch_vccnz .LBB250_72
; %bb.71:
	v_lshl_add_u64 v[8:9], v[10:11], 1, v[0:1]
	flat_load_ushort v8, v[8:9]
	s_waitcnt vmcnt(0) lgkmcnt(0)
	v_mul_f16_e32 v12, s13, v8
.LBB250_72:
	v_pk_min_f16 v8, v39, v18
	v_pk_min_f16 v9, v40, v19
	v_pk_add_f16 v8, v8, v49
	v_pk_min_f16 v13, v42, v19
	v_pk_add_f16 v8, v9, v8
	v_pk_min_f16 v9, v41, v18
	v_add_f16_sdwa v8, v8, v8 dst_sel:DWORD dst_unused:UNUSED_PAD src0_sel:DWORD src1_sel:WORD_1
	v_pk_add_f16 v9, v9, v71
	v_add_f16_e32 v12, v8, v12
	v_pk_add_f16 v13, v13, v9
	v_lshl_add_u64 v[8:9], v[10:11], 1, v[2:3]
	global_store_short v[8:9], v12, off
	v_add_f16_sdwa v8, v13, v13 dst_sel:DWORD dst_unused:UNUSED_PAD src0_sel:DWORD src1_sel:WORD_1
	s_mov_b64 vcc, s[4:5]
	s_cbranch_vccz .LBB250_75
; %bb.73:
	v_add_f16_e32 v9, 0, v8
	v_lshl_add_u64 v[10:11], v[4:5], 1, v[2:3]
	s_mov_b32 s2, 0
	global_store_short v[10:11], v9, off
	s_cbranch_execz .LBB250_76
; %bb.74:
	v_mov_b32_e32 v0, s2
	s_branch .LBB250_77
.LBB250_75:
                                        ; implicit-def: $sgpr2
.LBB250_76:
	v_lshlrev_b64 v[4:5], 1, v[4:5]
	v_lshl_add_u64 v[10:11], v[0:1], 0, v[4:5]
	flat_load_ushort v9, v[10:11]
	v_lshl_add_u64 v[4:5], v[2:3], 0, v[4:5]
	v_lshl_add_u64 v[0:1], v[6:7], 1, v[0:1]
	s_waitcnt vmcnt(0) lgkmcnt(0)
	v_fma_f16 v8, v9, s13, v8
	global_store_short v[4:5], v8, off
	flat_load_ushort v0, v[0:1]
	s_waitcnt vmcnt(0) lgkmcnt(0)
	v_mul_f16_e32 v0, s13, v0
.LBB250_77:
	v_pk_min_f16 v4, v24, v18
	v_pk_min_f16 v1, v25, v19
	v_pk_add_f16 v4, v4, v70
	s_nop 0
	v_pk_add_f16 v1, v1, v4
	s_nop 0
	v_add_f16_sdwa v1, v1, v1 dst_sel:DWORD dst_unused:UNUSED_PAD src0_sel:DWORD src1_sel:WORD_1
	v_add_f16_e32 v4, v1, v0
	v_lshl_add_u64 v[0:1], v[6:7], 1, v[2:3]
	global_store_short v[0:1], v4, off
	s_endpgm
	.section	.rodata,"a",@progbits
	.p2align	6, 0x0
	.amdhsa_kernel _ZN12_GLOBAL__N_120geam_min_plus_kernelIDF16_Dv2_DF16_S1_Li8ELi32ELi64ELi128ELi4ELi4ELi64ELi64ELi4ELc84ELc84ELb1ELb0ELb0EDF16_KPKDF16_KPDF16_EEviiiT16_PT17_ilS9_ilS7_S9_ilPT18_ili26rocblas_geam_ex_operation_
		.amdhsa_group_segment_fixed_size 3072
		.amdhsa_private_segment_fixed_size 0
		.amdhsa_kernarg_size 128
		.amdhsa_user_sgpr_count 2
		.amdhsa_user_sgpr_dispatch_ptr 0
		.amdhsa_user_sgpr_queue_ptr 0
		.amdhsa_user_sgpr_kernarg_segment_ptr 1
		.amdhsa_user_sgpr_dispatch_id 0
		.amdhsa_user_sgpr_kernarg_preload_length 0
		.amdhsa_user_sgpr_kernarg_preload_offset 0
		.amdhsa_user_sgpr_private_segment_size 0
		.amdhsa_uses_dynamic_stack 0
		.amdhsa_enable_private_segment 0
		.amdhsa_system_sgpr_workgroup_id_x 1
		.amdhsa_system_sgpr_workgroup_id_y 0
		.amdhsa_system_sgpr_workgroup_id_z 1
		.amdhsa_system_sgpr_workgroup_info 0
		.amdhsa_system_vgpr_workitem_id 1
		.amdhsa_next_free_vgpr 83
		.amdhsa_next_free_sgpr 22
		.amdhsa_accum_offset 84
		.amdhsa_reserve_vcc 1
		.amdhsa_float_round_mode_32 0
		.amdhsa_float_round_mode_16_64 0
		.amdhsa_float_denorm_mode_32 3
		.amdhsa_float_denorm_mode_16_64 3
		.amdhsa_dx10_clamp 1
		.amdhsa_ieee_mode 1
		.amdhsa_fp16_overflow 0
		.amdhsa_tg_split 0
		.amdhsa_exception_fp_ieee_invalid_op 0
		.amdhsa_exception_fp_denorm_src 0
		.amdhsa_exception_fp_ieee_div_zero 0
		.amdhsa_exception_fp_ieee_overflow 0
		.amdhsa_exception_fp_ieee_underflow 0
		.amdhsa_exception_fp_ieee_inexact 0
		.amdhsa_exception_int_div_zero 0
	.end_amdhsa_kernel
	.section	.text._ZN12_GLOBAL__N_120geam_min_plus_kernelIDF16_Dv2_DF16_S1_Li8ELi32ELi64ELi128ELi4ELi4ELi64ELi64ELi4ELc84ELc84ELb1ELb0ELb0EDF16_KPKDF16_KPDF16_EEviiiT16_PT17_ilS9_ilS7_S9_ilPT18_ili26rocblas_geam_ex_operation_,"axG",@progbits,_ZN12_GLOBAL__N_120geam_min_plus_kernelIDF16_Dv2_DF16_S1_Li8ELi32ELi64ELi128ELi4ELi4ELi64ELi64ELi4ELc84ELc84ELb1ELb0ELb0EDF16_KPKDF16_KPDF16_EEviiiT16_PT17_ilS9_ilS7_S9_ilPT18_ili26rocblas_geam_ex_operation_,comdat
.Lfunc_end250:
	.size	_ZN12_GLOBAL__N_120geam_min_plus_kernelIDF16_Dv2_DF16_S1_Li8ELi32ELi64ELi128ELi4ELi4ELi64ELi64ELi4ELc84ELc84ELb1ELb0ELb0EDF16_KPKDF16_KPDF16_EEviiiT16_PT17_ilS9_ilS7_S9_ilPT18_ili26rocblas_geam_ex_operation_, .Lfunc_end250-_ZN12_GLOBAL__N_120geam_min_plus_kernelIDF16_Dv2_DF16_S1_Li8ELi32ELi64ELi128ELi4ELi4ELi64ELi64ELi4ELc84ELc84ELb1ELb0ELb0EDF16_KPKDF16_KPDF16_EEviiiT16_PT17_ilS9_ilS7_S9_ilPT18_ili26rocblas_geam_ex_operation_
                                        ; -- End function
	.section	.AMDGPU.csdata,"",@progbits
; Kernel info:
; codeLenInByte = 8756
; NumSgprs: 28
; NumVgprs: 83
; NumAgprs: 0
; TotalNumVgprs: 83
; ScratchSize: 0
; MemoryBound: 0
; FloatMode: 240
; IeeeMode: 1
; LDSByteSize: 3072 bytes/workgroup (compile time only)
; SGPRBlocks: 3
; VGPRBlocks: 10
; NumSGPRsForWavesPerEU: 28
; NumVGPRsForWavesPerEU: 83
; AccumOffset: 84
; Occupancy: 5
; WaveLimiterHint : 1
; COMPUTE_PGM_RSRC2:SCRATCH_EN: 0
; COMPUTE_PGM_RSRC2:USER_SGPR: 2
; COMPUTE_PGM_RSRC2:TRAP_HANDLER: 0
; COMPUTE_PGM_RSRC2:TGID_X_EN: 1
; COMPUTE_PGM_RSRC2:TGID_Y_EN: 0
; COMPUTE_PGM_RSRC2:TGID_Z_EN: 1
; COMPUTE_PGM_RSRC2:TIDIG_COMP_CNT: 1
; COMPUTE_PGM_RSRC3_GFX90A:ACCUM_OFFSET: 20
; COMPUTE_PGM_RSRC3_GFX90A:TG_SPLIT: 0
	.section	.text._ZN12_GLOBAL__N_120geam_min_plus_kernelIDF16_Dv2_DF16_S1_Li8ELi32ELi64ELi128ELi4ELi4ELi64ELi64ELi4ELc84ELc84ELb0ELb0ELb0EDF16_KPKDF16_KPDF16_EEviiiT16_PT17_ilS9_ilS7_S9_ilPT18_ili26rocblas_geam_ex_operation_,"axG",@progbits,_ZN12_GLOBAL__N_120geam_min_plus_kernelIDF16_Dv2_DF16_S1_Li8ELi32ELi64ELi128ELi4ELi4ELi64ELi64ELi4ELc84ELc84ELb0ELb0ELb0EDF16_KPKDF16_KPDF16_EEviiiT16_PT17_ilS9_ilS7_S9_ilPT18_ili26rocblas_geam_ex_operation_,comdat
	.globl	_ZN12_GLOBAL__N_120geam_min_plus_kernelIDF16_Dv2_DF16_S1_Li8ELi32ELi64ELi128ELi4ELi4ELi64ELi64ELi4ELc84ELc84ELb0ELb0ELb0EDF16_KPKDF16_KPDF16_EEviiiT16_PT17_ilS9_ilS7_S9_ilPT18_ili26rocblas_geam_ex_operation_ ; -- Begin function _ZN12_GLOBAL__N_120geam_min_plus_kernelIDF16_Dv2_DF16_S1_Li8ELi32ELi64ELi128ELi4ELi4ELi64ELi64ELi4ELc84ELc84ELb0ELb0ELb0EDF16_KPKDF16_KPDF16_EEviiiT16_PT17_ilS9_ilS7_S9_ilPT18_ili26rocblas_geam_ex_operation_
	.p2align	8
	.type	_ZN12_GLOBAL__N_120geam_min_plus_kernelIDF16_Dv2_DF16_S1_Li8ELi32ELi64ELi128ELi4ELi4ELi64ELi64ELi4ELc84ELc84ELb0ELb0ELb0EDF16_KPKDF16_KPDF16_EEviiiT16_PT17_ilS9_ilS7_S9_ilPT18_ili26rocblas_geam_ex_operation_,@function
_ZN12_GLOBAL__N_120geam_min_plus_kernelIDF16_Dv2_DF16_S1_Li8ELi32ELi64ELi128ELi4ELi4ELi64ELi64ELi4ELc84ELc84ELb0ELb0ELb0EDF16_KPKDF16_KPDF16_EEviiiT16_PT17_ilS9_ilS7_S9_ilPT18_ili26rocblas_geam_ex_operation_: ; @_ZN12_GLOBAL__N_120geam_min_plus_kernelIDF16_Dv2_DF16_S1_Li8ELi32ELi64ELi128ELi4ELi4ELi64ELi64ELi4ELc84ELc84ELb0ELb0ELb0EDF16_KPKDF16_KPDF16_EEviiiT16_PT17_ilS9_ilS7_S9_ilPT18_ili26rocblas_geam_ex_operation_
; %bb.0:
	s_load_dwordx2 s[12:13], s[0:1], 0x8
	s_load_dwordx4 s[4:7], s[0:1], 0x20
	s_mov_b32 s18, s3
	s_mov_b32 s19, 0
	s_waitcnt lgkmcnt(0)
	v_cmp_eq_f16_e64 s[8:9], s13, 0
	s_and_b64 vcc, exec, s[8:9]
	s_cbranch_vccnz .LBB251_3
; %bb.1:
	s_load_dwordx2 s[10:11], s[0:1], 0x10
	s_lshl_b64 s[14:15], s[18:19], 3
	s_waitcnt lgkmcnt(0)
	s_add_u32 s10, s10, s14
	s_addc_u32 s11, s11, s15
	s_load_dwordx2 s[10:11], s[10:11], 0x0
	s_lshl_b64 s[4:5], s[4:5], 1
	s_waitcnt lgkmcnt(0)
	s_add_u32 s14, s10, s4
	s_addc_u32 s15, s11, s5
	s_andn2_b64 vcc, exec, s[8:9]
	s_cbranch_vccnz .LBB251_4
.LBB251_2:
	s_mov_b64 s[16:17], 0
	s_cbranch_execz .LBB251_5
	s_branch .LBB251_6
.LBB251_3:
	s_mov_b64 s[14:15], 0
	s_andn2_b64 vcc, exec, s[8:9]
	s_cbranch_vccz .LBB251_2
.LBB251_4:
                                        ; implicit-def: $sgpr16_sgpr17
.LBB251_5:
	s_lshl_b64 s[8:9], s[18:19], 3
	s_add_u32 s6, s6, s8
	s_load_dwordx2 s[4:5], s[0:1], 0x38
	s_addc_u32 s7, s7, s9
	s_load_dwordx2 s[6:7], s[6:7], 0x0
	s_waitcnt lgkmcnt(0)
	s_lshl_b64 s[4:5], s[4:5], 1
	s_add_u32 s16, s6, s4
	s_addc_u32 s17, s7, s5
.LBB251_6:
	s_load_dword s22, s[0:1], 0x40
	s_load_dwordx4 s[8:11], s[0:1], 0x58
	v_cmp_neq_f16_e64 s[20:21], s13, 0
	s_waitcnt lgkmcnt(0)
	v_cmp_eq_f16_e64 s[4:5], s22, 0
	s_and_b64 s[6:7], exec, s[4:5]
	s_mov_b64 vcc, s[6:7]
	s_cbranch_vccnz .LBB251_8
; %bb.7:
	s_load_dwordx2 s[4:5], s[0:1], 0x48
	s_lshl_b64 s[24:25], s[18:19], 3
	s_waitcnt lgkmcnt(0)
	s_add_u32 s4, s4, s24
	s_addc_u32 s5, s5, s25
	s_load_dwordx2 s[4:5], s[4:5], 0x0
	s_lshl_b64 s[8:9], s[8:9], 1
	s_waitcnt lgkmcnt(0)
	s_add_u32 s8, s4, s8
	s_addc_u32 s9, s5, s9
	s_branch .LBB251_9
.LBB251_8:
	s_mov_b64 s[8:9], 0
.LBB251_9:
	s_load_dword s3, s[0:1], 0x0
	s_load_dword s24, s[0:1], 0x18
	s_lshl_b64 s[4:5], s[18:19], 3
	s_add_u32 s10, s10, s4
	s_addc_u32 s11, s11, s5
	s_waitcnt lgkmcnt(0)
	s_add_i32 s3, s3, -1
	s_ashr_i32 s4, s3, 31
	s_lshr_b32 s4, s4, 26
	s_add_i32 s3, s3, s4
	s_ashr_i32 s3, s3, 6
	s_add_i32 s4, s3, 1
	v_cvt_f32_u32_e32 v1, s4
	s_not_b32 s3, s3
	v_and_b32_e32 v41, 0x3ff, v0
	v_bfe_u32 v42, v0, 10, 10
	v_rcp_iflag_f32_e32 v1, v1
	v_lshl_add_u32 v2, v42, 3, v41
	v_cndmask_b32_e64 v0, 0, 1, s[20:21]
	v_and_b32_e32 v3, 3, v41
	v_mul_f32_e32 v1, 0x4f7ffffe, v1
	v_cvt_u32_f32_e32 v1, v1
	v_lshrrev_b32_e32 v8, 2, v2
	v_readfirstlane_b32 s5, v1
	s_mul_i32 s3, s3, s5
	s_mul_hi_u32 s3, s5, s3
	s_add_i32 s5, s5, s3
	s_mul_hi_u32 s3, s2, s5
	s_mul_i32 s5, s3, s4
	s_sub_i32 s5, s2, s5
	s_add_i32 s18, s3, 1
	s_sub_i32 s19, s5, s4
	s_cmp_ge_u32 s5, s4
	s_cselect_b32 s3, s18, s3
	s_cselect_b32 s5, s19, s5
	s_add_i32 s18, s3, 1
	s_cmp_ge_u32 s5, s4
	s_cselect_b32 s3, s18, s3
	s_mul_i32 s4, s3, s4
	s_sub_i32 s2, s2, s4
	s_lshl_b32 s23, s2, 6
	v_cmp_ne_u32_e64 s[4:5], 1, v0
	s_andn2_b64 vcc, exec, s[20:21]
	v_add_u32_e32 v4, s23, v8
	v_lshlrev_b32_e32 v0, 1, v3
	s_cbranch_vccnz .LBB251_11
; %bb.10:
	v_mad_i64_i32 v[6:7], s[18:19], v4, s24, 0
	v_lshl_add_u64 v[6:7], v[6:7], 1, s[14:15]
	v_mov_b32_e32 v1, 0
	v_lshl_add_u64 v[6:7], v[6:7], 0, v[0:1]
	flat_load_ushort v1, v[6:7]
	s_waitcnt vmcnt(0) lgkmcnt(0)
	v_mul_f16_e32 v9, s13, v1
	s_branch .LBB251_12
.LBB251_11:
	v_mov_b32_e32 v9, 0
.LBB251_12:
	s_load_dword s18, s[0:1], 0x30
	v_and_b32_e32 v6, 63, v2
	s_lshl_b32 s20, s3, 7
	v_lshrrev_b32_e32 v5, 6, v2
	v_or_b32_e32 v2, s20, v6
	s_and_b64 vcc, exec, s[4:5]
	s_waitcnt lgkmcnt(0)
	s_ashr_i32 s19, s18, 31
	v_ashrrev_i32_e32 v3, 31, v2
	s_cbranch_vccnz .LBB251_16
; %bb.13:
	v_mad_i64_i32 v[10:11], s[2:3], s18, v5, 0
	v_lshl_add_u64 v[10:11], v[10:11], 1, s[16:17]
	v_lshl_add_u64 v[10:11], v[2:3], 1, v[10:11]
	flat_load_ushort v1, v[10:11]
	flat_load_ushort v7, v[10:11] offset:128
	s_waitcnt vmcnt(0) lgkmcnt(0)
	v_mul_f16_e32 v10, s13, v1
	v_mul_f16_e32 v11, s13, v7
	s_and_b64 vcc, exec, s[4:5]
	s_cbranch_vccnz .LBB251_17
.LBB251_14:
	v_mad_i64_i32 v[12:13], s[2:3], v4, s24, 0
	v_lshl_add_u64 v[12:13], v[12:13], 1, s[14:15]
	v_mov_b32_e32 v1, 0
	v_lshl_add_u64 v[12:13], v[12:13], 0, v[0:1]
	flat_load_ushort v1, v[12:13] offset:8
	s_waitcnt vmcnt(0) lgkmcnt(0)
	v_mul_f16_e32 v1, s13, v1
	s_and_b64 vcc, exec, s[4:5]
	s_cbranch_vccnz .LBB251_18
.LBB251_15:
	v_add_u32_e32 v7, 4, v5
	v_mad_i64_i32 v[12:13], s[2:3], s18, v7, 0
	v_lshl_add_u64 v[12:13], v[12:13], 1, s[16:17]
	v_lshl_add_u64 v[2:3], v[2:3], 1, v[12:13]
	flat_load_ushort v7, v[2:3]
	flat_load_ushort v12, v[2:3] offset:128
	s_waitcnt vmcnt(0) lgkmcnt(0)
	v_mul_f16_e32 v3, s13, v7
	v_mul_f16_e32 v7, s13, v12
	s_branch .LBB251_19
.LBB251_16:
	v_mov_b32_e32 v10, 0
	v_mov_b32_e32 v11, 0
	s_and_b64 vcc, exec, s[4:5]
	s_cbranch_vccz .LBB251_14
.LBB251_17:
	v_mov_b32_e32 v1, 0
	s_and_b64 vcc, exec, s[4:5]
	s_cbranch_vccz .LBB251_15
.LBB251_18:
	v_mov_b32_e32 v3, 0
	v_mov_b32_e32 v7, 0
.LBB251_19:
	v_lshl_or_b32 v2, v8, 3, v0
	v_lshlrev_b32_e32 v8, 1, v5
	v_lshl_add_u32 v60, v6, 3, v8
	v_lshlrev_b32_e32 v51, 3, v41
	v_lshlrev_b32_e32 v52, 3, v42
	s_load_dwordx2 s[2:3], s[10:11], 0x0
	ds_write_b16 v2, v9 offset:2048
	ds_write_b16 v60, v10
	ds_write_b16 v60, v11 offset:512
	s_waitcnt lgkmcnt(0)
	s_barrier
	ds_read2_b64 v[8:11], v52 offset1:32
	v_add_u32_e32 v62, 0x800, v51
	ds_read2_b64 v[12:15], v62 offset0:48 offset1:56
	ds_read2_b64 v[16:19], v52 offset0:64 offset1:96
	ds_read2_b64 v[20:23], v62 offset1:8
	ds_read2_b64 v[24:27], v62 offset0:16 offset1:24
	ds_read2_b64 v[28:31], v62 offset0:32 offset1:40
	s_waitcnt lgkmcnt(5)
	v_pk_max_f16 v8, v8, v8
	s_waitcnt lgkmcnt(4)
	v_pk_max_f16 v14, v14, v14
	v_pk_max_f16 v10, v10, v10
	v_pk_min_f16 v32, v14, v8
	s_waitcnt lgkmcnt(3)
	v_pk_max_f16 v16, v16, v16
	s_waitcnt lgkmcnt(2)
	v_pk_max_f16 v20, v20, v20
	v_pk_max_f16 v18, v18, v18
	v_pk_max_f16 v22, v22, v22
	s_waitcnt lgkmcnt(1)
	v_pk_max_f16 v24, v24, v24
	v_pk_max_f16 v26, v26, v26
	v_pk_max_f16 v9, v9, v9
	s_waitcnt lgkmcnt(0)
	v_pk_max_f16 v28, v28, v28
	v_pk_max_f16 v30, v30, v30
	v_pk_max_f16 v12, v12, v12
	v_pk_max_f16 v15, v15, v15
	v_pk_min_f16 v33, v20, v8
	v_pk_min_f16 v34, v20, v10
	;; [unrolled: 1-line block ×14, first 2 shown]
	v_pk_max_f16 v11, v11, v11
	v_pk_min_f16 v54, v26, v16
	v_pk_min_f16 v26, v26, v18
	;; [unrolled: 1-line block ×17, first 2 shown]
	v_pk_add_f16 v18, v32, 0
	v_pk_min_f16 v32, v15, v9
	v_pk_max_f16 v17, v17, v17
	v_pk_add_f16 v61, v32, v18
	v_pk_add_f16 v18, v39, 0
	v_pk_min_f16 v32, v15, v11
	v_pk_max_f16 v21, v21, v21
	v_pk_add_f16 v50, v32, v18
	;; [unrolled: 4-line block ×6, first 2 shown]
	v_pk_add_f16 v18, v20, 0
	v_pk_min_f16 v20, v21, v19
	v_pk_min_f16 v21, v27, v19
	v_pk_add_f16 v39, v20, v18
	v_pk_add_f16 v18, v36, 0
	v_pk_min_f16 v20, v23, v9
	v_pk_max_f16 v13, v13, v13
	v_pk_add_f16 v68, v20, v18
	v_pk_add_f16 v18, v37, 0
	v_pk_min_f16 v20, v23, v11
	v_pk_add_f16 v8, v8, 0
	v_pk_add_f16 v58, v20, v18
	v_pk_add_f16 v18, v38, 0
	v_pk_min_f16 v20, v23, v17
	v_pk_add_f16 v10, v10, 0
	;; [unrolled: 4-line block ×8, first 2 shown]
	v_pk_add_f16 v66, v20, v18
	v_pk_add_f16 v18, v53, 0
	v_pk_min_f16 v20, v27, v11
	s_cmp_lt_i32 s12, 9
	v_pk_add_f16 v55, v20, v18
	v_pk_add_f16 v18, v54, 0
	v_pk_min_f16 v20, v27, v17
	ds_write_b16 v2, v1 offset:2560
	ds_write_b16 v60, v3 offset:1024
	;; [unrolled: 1-line block ×3, first 2 shown]
	v_pk_add_f16 v45, v20, v18
	v_pk_add_f16 v18, v26, 0
	;; [unrolled: 1-line block ×4, first 2 shown]
	v_pk_max_f16 v18, v29, v29
	s_waitcnt lgkmcnt(0)
	v_pk_min_f16 v21, v18, v9
	s_barrier
	v_pk_add_f16 v65, v21, v20
	v_pk_add_f16 v20, v63, 0
	v_pk_min_f16 v21, v18, v11
	s_nop 0
	v_pk_add_f16 v54, v21, v20
	v_pk_add_f16 v20, v64, 0
	v_pk_min_f16 v21, v18, v17
	v_pk_min_f16 v18, v18, v19
	v_pk_add_f16 v44, v21, v20
	v_pk_add_f16 v20, v28, 0
	;; [unrolled: 1-line block ×4, first 2 shown]
	v_pk_max_f16 v18, v31, v31
	s_nop 0
	v_pk_min_f16 v20, v18, v9
	v_pk_min_f16 v9, v13, v9
	v_pk_add_f16 v64, v20, v21
	v_pk_add_f16 v63, v9, v8
	v_pk_min_f16 v8, v13, v11
	v_pk_min_f16 v20, v18, v11
	v_pk_add_f16 v53, v8, v10
	v_pk_min_f16 v8, v13, v17
	v_pk_add_f16 v56, v20, v22
	v_pk_add_f16 v43, v8, v16
	v_pk_min_f16 v8, v13, v19
	v_pk_min_f16 v20, v18, v17
	;; [unrolled: 1-line block ×3, first 2 shown]
	v_pk_add_f16 v38, v8, v12
	v_pk_min_f16 v8, v15, v19
	v_pk_add_f16 v46, v20, v23
	v_pk_add_f16 v33, v18, v24
	;; [unrolled: 1-line block ×3, first 2 shown]
	s_cbranch_scc1 .LBB251_33
; %bb.20:
	v_mov_b32_e32 v1, 0xa00
	v_lshl_add_u32 v73, v41, 3, v1
	v_mov_b32_e32 v1, 0x400
	v_lshl_add_u32 v74, v42, 3, v1
	v_add_u32_e32 v1, 12, v5
	v_add_u32_e32 v70, 0x800, v2
	;; [unrolled: 1-line block ×3, first 2 shown]
	v_mad_i64_i32 v[2:3], s[10:11], v1, s18, 0
	v_lshlrev_b64 v[24:25], 1, v[2:3]
	v_add_u32_e32 v2, s20, v6
	v_ashrrev_i32_e32 v3, 31, v2
	v_lshl_add_u64 v[26:27], v[2:3], 1, s[16:17]
	v_mad_i64_i32 v[2:3], s[16:17], s24, v4, 0
	v_mov_b32_e32 v1, 0
	v_lshl_add_u64 v[0:1], v[2:3], 1, v[0:1]
	v_lshl_add_u64 v[0:1], v[0:1], 0, s[14:15]
	;; [unrolled: 1-line block ×3, first 2 shown]
	v_add_u32_e32 v0, 8, v5
	v_mad_i64_i32 v[0:1], s[14:15], v0, s18, 0
	v_or_b32_e32 v72, 0x400, v60
	s_add_i32 s12, s12, -8
	s_lshl_b64 s[10:11], s[18:19], 4
	v_lshlrev_b64 v[30:31], 1, v[0:1]
	s_mov_b32 s14, 0
	s_branch .LBB251_23
.LBB251_21:                             ;   in Loop: Header=BB251_23 Depth=1
	v_lshl_add_u64 v[0:1], v[26:27], 0, v[24:25]
	flat_load_ushort v118, v[0:1]
	flat_load_ushort v119, v[0:1] offset:128
	s_waitcnt vmcnt(0) lgkmcnt(0)
	v_mul_f16_e32 v0, s13, v118
	v_mul_f16_e32 v1, s13, v119
.LBB251_22:                             ;   in Loop: Header=BB251_23 Depth=1
	v_pk_add_f16 v20, v20, v50
	v_pk_add_f16 v12, v12, v40
	;; [unrolled: 1-line block ×18, first 2 shown]
	ds_read2_b64 v[8:11], v62 offset0:48 offset1:56
	ds_read2_b64 v[12:15], v52 offset1:32
	v_pk_add_f16 v16, v16, v69
	v_pk_add_f16 v4, v4, v65
	;; [unrolled: 1-line block ×3, first 2 shown]
	s_waitcnt lgkmcnt(1)
	v_pk_max_f16 v10, v10, v10
	s_waitcnt lgkmcnt(0)
	v_pk_max_f16 v12, v12, v12
	v_pk_add_f16 v18, v18, v68
	v_pk_add_f16 v39, v77, v58
	;; [unrolled: 1-line block ×9, first 2 shown]
	ds_read2_b64 v[2:5], v52 offset0:64 offset1:96
	v_pk_min_f16 v16, v10, v12
	v_pk_add_f16 v59, v19, v18
	v_pk_add_f16 v7, v7, v32
	;; [unrolled: 1-line block ×3, first 2 shown]
	ds_read2_b64 v[16:19], v62 offset1:8
	v_pk_max_f16 v14, v14, v14
	s_waitcnt lgkmcnt(1)
	v_pk_max_f16 v2, v2, v2
	v_pk_min_f16 v57, v10, v14
	v_pk_add_f16 v39, v98, v39
	v_pk_add_f16 v57, v57, v20
	v_pk_min_f16 v20, v10, v2
	s_waitcnt lgkmcnt(0)
	v_pk_max_f16 v16, v16, v16
	v_pk_add_f16 v65, v20, v21
	v_pk_min_f16 v20, v16, v12
	v_pk_max_f16 v18, v18, v18
	v_pk_add_f16 v58, v20, v58
	v_pk_min_f16 v20, v16, v14
	v_pk_add_f16 v36, v79, v36
	v_pk_add_f16 v66, v20, v22
	v_pk_min_f16 v20, v16, v2
	v_pk_max_f16 v4, v4, v4
	v_pk_add_f16 v67, v20, v23
	v_pk_min_f16 v20, v18, v12
	v_pk_add_f16 v36, v100, v36
	v_pk_add_f16 v68, v20, v59
	v_pk_min_f16 v20, v18, v14
	v_pk_add_f16 v48, v78, v48
	v_pk_add_f16 v80, v20, v39
	ds_read2_b64 v[20:23], v62 offset0:16 offset1:24
	v_pk_min_f16 v39, v18, v2
	v_pk_min_f16 v18, v18, v4
	v_pk_add_f16 v47, v81, v47
	v_pk_add_f16 v18, v18, v36
	s_waitcnt lgkmcnt(0)
	v_pk_max_f16 v20, v20, v20
	v_pk_add_f16 v35, v82, v35
	v_pk_min_f16 v36, v20, v12
	v_pk_add_f16 v49, v101, v49
	v_pk_add_f16 v81, v36, v61
	v_pk_min_f16 v36, v20, v14
	ds_read2_b64 v[76:79], v62 offset0:32 offset1:40
	v_pk_add_f16 v35, v103, v35
	v_pk_add_f16 v82, v36, v49
	v_pk_min_f16 v36, v20, v2
	v_pk_min_f16 v20, v20, v4
	v_pk_max_f16 v22, v22, v22
	v_pk_add_f16 v20, v20, v35
	v_pk_min_f16 v35, v22, v12
	v_pk_add_f16 v34, v85, v34
	v_pk_add_f16 v50, v104, v50
	;; [unrolled: 1-line block ×3, first 2 shown]
	v_pk_min_f16 v35, v22, v14
	v_pk_add_f16 v45, v84, v45
	v_pk_add_f16 v34, v106, v34
	;; [unrolled: 1-line block ×3, first 2 shown]
	v_pk_min_f16 v35, v22, v2
	v_pk_min_f16 v22, v22, v4
	v_pk_add_f16 v45, v105, v45
	v_pk_add_f16 v22, v22, v34
	s_waitcnt lgkmcnt(0)
	v_pk_max_f16 v34, v76, v76
	v_pk_add_f16 v54, v86, v54
	v_pk_add_f16 v45, v35, v45
	v_pk_min_f16 v35, v34, v12
	v_pk_add_f16 v37, v88, v37
	v_pk_add_f16 v54, v108, v54
	;; [unrolled: 1-line block ×3, first 2 shown]
	v_pk_min_f16 v35, v34, v14
	v_pk_add_f16 v44, v87, v44
	v_pk_add_f16 v37, v110, v37
	;; [unrolled: 1-line block ×3, first 2 shown]
	v_pk_min_f16 v35, v34, v2
	v_pk_min_f16 v34, v34, v4
	v_pk_add_f16 v44, v109, v44
	v_pk_add_f16 v37, v34, v37
	v_pk_max_f16 v34, v78, v78
	v_pk_add_f16 v6, v111, v6
	v_pk_add_f16 v44, v35, v44
	v_pk_min_f16 v35, v34, v12
	v_pk_add_f16 v55, v112, v55
	v_pk_add_f16 v6, v35, v6
	v_pk_min_f16 v35, v34, v14
	v_pk_max_f16 v8, v8, v8
	v_pk_min_f16 v16, v16, v4
	v_pk_add_f16 v76, v35, v55
	v_pk_min_f16 v35, v34, v2
	v_pk_min_f16 v34, v34, v4
	;; [unrolled: 1-line block ×7, first 2 shown]
	v_pk_max_f16 v10, v13, v13
	v_pk_add_f16 v4, v4, v7
	v_pk_max_f16 v7, v11, v11
	v_pk_max_f16 v3, v3, v3
	v_pk_min_f16 v11, v7, v10
	v_pk_add_f16 v16, v16, v40
	v_pk_add_f16 v61, v11, v32
	v_pk_max_f16 v11, v15, v15
	v_pk_max_f16 v5, v5, v5
	v_pk_min_f16 v13, v7, v11
	v_pk_add_f16 v48, v99, v48
	v_pk_add_f16 v50, v13, v57
	v_pk_min_f16 v13, v7, v3
	v_pk_add_f16 v48, v39, v48
	v_pk_add_f16 v40, v13, v65
	v_pk_max_f16 v13, v17, v17
	v_pk_add_f16 v47, v102, v47
	v_pk_min_f16 v15, v13, v10
	v_pk_add_f16 v47, v36, v47
	v_pk_add_f16 v69, v15, v58
	v_pk_min_f16 v15, v13, v11
	v_pk_add_f16 v46, v90, v46
	v_pk_add_f16 v59, v15, v66
	v_pk_min_f16 v15, v13, v3
	v_pk_min_f16 v13, v13, v5
	v_pk_add_f16 v49, v15, v67
	v_pk_add_f16 v39, v13, v16
	v_pk_max_f16 v13, v19, v19
	v_pk_add_f16 v46, v113, v46
	v_pk_min_f16 v15, v13, v10
	v_pk_add_f16 v46, v35, v46
	v_pk_add_f16 v68, v15, v68
	v_pk_min_f16 v15, v13, v11
	v_pk_add_f16 v33, v91, v33
	v_pk_add_f16 v58, v15, v80
	v_pk_min_f16 v15, v13, v3
	v_pk_min_f16 v13, v13, v5
	v_pk_add_f16 v48, v15, v48
	v_pk_add_f16 v36, v13, v18
	v_pk_max_f16 v13, v21, v21
	v_pk_add_f16 v33, v114, v33
	v_pk_min_f16 v15, v13, v10
	v_pk_add_f16 v33, v34, v33
	v_pk_add_f16 v67, v15, v81
	v_pk_min_f16 v15, v13, v11
	v_pk_add_f16 v56, v115, v56
	v_pk_add_f16 v57, v15, v82
	v_pk_min_f16 v15, v13, v3
	v_pk_min_f16 v13, v13, v5
	v_pk_add_f16 v47, v15, v47
	v_pk_add_f16 v35, v13, v20
	v_pk_max_f16 v13, v23, v23
	v_pk_add_f16 v12, v12, v56
	v_pk_min_f16 v15, v13, v10
	v_pk_add_f16 v43, v94, v43
	v_pk_add_f16 v66, v15, v63
	v_pk_min_f16 v15, v13, v11
	v_pk_add_f16 v43, v117, v43
	v_pk_add_f16 v55, v15, v83
	v_pk_min_f16 v15, v13, v3
	v_pk_min_f16 v13, v13, v5
	v_pk_add_f16 v45, v15, v45
	v_pk_add_f16 v34, v13, v22
	v_pk_max_f16 v13, v77, v77
	v_pk_add_f16 v53, v93, v53
	v_pk_min_f16 v15, v13, v10
	v_pk_add_f16 v2, v2, v43
	v_pk_add_f16 v65, v15, v64
	v_pk_min_f16 v15, v13, v11
	v_pk_add_f16 v53, v116, v53
	v_pk_add_f16 v54, v15, v54
	v_pk_min_f16 v15, v13, v3
	v_pk_min_f16 v13, v13, v5
	v_pk_add_f16 v44, v15, v44
	v_pk_add_f16 v37, v13, v37
	v_pk_max_f16 v13, v79, v79
	v_pk_add_f16 v8, v8, v38
	v_pk_min_f16 v15, v13, v10
	v_pk_add_f16 v14, v14, v53
	v_pk_add_f16 v64, v15, v6
	v_pk_min_f16 v6, v13, v11
	s_add_i32 s14, s14, 8
	v_pk_add_f16 v56, v6, v76
	v_pk_min_f16 v6, v13, v3
	v_lshl_add_u64 v[26:27], v[26:27], 0, s[10:11]
	v_pk_add_f16 v46, v6, v46
	v_pk_min_f16 v6, v13, v5
	s_cmp_ge_i32 s14, s12
	v_pk_add_f16 v33, v6, v33
	v_pk_max_f16 v6, v9, v9
	v_lshl_add_u64 v[28:29], v[28:29], 0, 16
	v_pk_min_f16 v3, v6, v3
	v_pk_min_f16 v9, v6, v10
	v_pk_add_f16 v43, v3, v2
	v_pk_min_f16 v2, v6, v5
	v_pk_add_f16 v63, v9, v12
	;; [unrolled: 2-line block ×4, first 2 shown]
	v_pk_add_f16 v32, v2, v4
	ds_write_b16 v71, v75
	ds_write_b16 v72, v0
	ds_write_b16 v72, v1 offset:512
	s_waitcnt lgkmcnt(0)
	s_barrier
	s_cbranch_scc1 .LBB251_33
.LBB251_23:                             ; =>This Inner Loop Header: Depth=1
	s_and_b64 vcc, exec, s[4:5]
	v_mov_b32_e32 v75, 0
	s_cbranch_vccnz .LBB251_25
; %bb.24:                               ;   in Loop: Header=BB251_23 Depth=1
	flat_load_ushort v0, v[28:29]
	s_waitcnt vmcnt(0) lgkmcnt(0)
	v_mul_f16_e32 v75, s13, v0
.LBB251_25:                             ;   in Loop: Header=BB251_23 Depth=1
	s_and_b64 vcc, exec, s[4:5]
	s_cbranch_vccnz .LBB251_27
; %bb.26:                               ;   in Loop: Header=BB251_23 Depth=1
	v_lshl_add_u64 v[0:1], v[26:27], 0, v[30:31]
	flat_load_ushort v2, v[0:1]
	flat_load_ushort v3, v[0:1] offset:128
	s_waitcnt vmcnt(0) lgkmcnt(0)
	v_mul_f16_e32 v76, s13, v2
	v_mul_f16_e32 v77, s13, v3
	s_branch .LBB251_28
.LBB251_27:                             ;   in Loop: Header=BB251_23 Depth=1
	v_mov_b32_e32 v76, 0
	v_mov_b32_e32 v77, 0
.LBB251_28:                             ;   in Loop: Header=BB251_23 Depth=1
	ds_read2_b64 v[0:3], v73 offset0:48 offset1:56
	ds_read2_b64 v[12:15], v74 offset0:64 offset1:96
	ds_read2_b64 v[20:23], v74 offset1:32
	ds_read2_b64 v[16:19], v73 offset1:8
	ds_read2_b64 v[8:11], v73 offset0:16 offset1:24
	ds_read2_b64 v[4:7], v73 offset0:32 offset1:40
	s_and_b64 vcc, exec, s[4:5]
	ds_write_b16 v70, v75
	ds_write_b16 v60, v76
	ds_write_b16 v60, v77 offset:512
	s_waitcnt lgkmcnt(0)
	s_barrier
	s_cbranch_vccnz .LBB251_30
; %bb.29:                               ;   in Loop: Header=BB251_23 Depth=1
	flat_load_ushort v75, v[28:29] offset:8
	s_waitcnt vmcnt(0) lgkmcnt(0)
	v_mul_f16_e32 v75, s13, v75
	s_branch .LBB251_31
.LBB251_30:                             ;   in Loop: Header=BB251_23 Depth=1
	v_mov_b32_e32 v75, 0
.LBB251_31:                             ;   in Loop: Header=BB251_23 Depth=1
	v_pk_max_f16 v96, v2, v2
	v_pk_max_f16 v92, v20, v20
	;; [unrolled: 1-line block ×17, first 2 shown]
	v_pk_min_f16 v2, v96, v92
	v_pk_min_f16 v20, v96, v93
	;; [unrolled: 1-line block ×26, first 2 shown]
	v_pk_max_f16 v0, v3, v3
	v_pk_max_f16 v98, v17, v17
	;; [unrolled: 1-line block ×5, first 2 shown]
	v_pk_min_f16 v107, v5, v115
	v_pk_min_f16 v108, v5, v116
	;; [unrolled: 1-line block ×4, first 2 shown]
	v_pk_max_f16 v5, v7, v7
	v_pk_max_f16 v1, v1, v1
	v_pk_min_f16 v79, v79, v97
	v_pk_min_f16 v82, v82, v97
	;; [unrolled: 1-line block ×33, first 2 shown]
	s_and_b64 vcc, exec, s[4:5]
	v_pk_min_f16 v7, v0, v118
	s_cbranch_vccz .LBB251_21
; %bb.32:                               ;   in Loop: Header=BB251_23 Depth=1
	v_mov_b32_e32 v0, 0
	v_mov_b32_e32 v1, 0
	s_branch .LBB251_22
.LBB251_33:
	s_load_dword s10, s[0:1], 0x50
	ds_read_b64 v[20:21], v52 offset:1024
	ds_read_b64 v[26:27], v51 offset:2560
	v_add_u32_e32 v28, s20, v42
	v_cmp_neq_f16_e64 s[4:5], s22, 0
	v_add_u32_e32 v16, s23, v41
	s_waitcnt lgkmcnt(0)
	v_mad_i64_i32 v[0:1], s[12:13], v28, s10, 0
	v_ashrrev_i32_e32 v17, 31, v16
	v_lshl_add_u64 v[22:23], v[0:1], 1, s[8:9]
	s_and_b64 vcc, exec, s[4:5]
	v_mov_b32_e32 v42, 0
	v_mov_b32_e32 v31, 0
	s_cbranch_vccz .LBB251_35
; %bb.34:
	v_lshl_add_u64 v[0:1], v[16:17], 1, v[22:23]
	flat_load_ushort v0, v[0:1]
	s_waitcnt vmcnt(0) lgkmcnt(0)
	v_mul_f16_e32 v31, s22, v0
.LBB251_35:
	ds_read_b64 v[24:25], v51 offset:3008
	ds_read_b64 v[18:19], v52 offset:1792
	ds_read2_b64 v[0:3], v52 offset0:160 offset1:192
	s_load_dword s11, s[0:1], 0x68
	s_load_dwordx2 s[12:13], s[0:1], 0x70
	v_pk_max_f16 v70, v20, v20
	v_pk_max_f16 v29, v26, v26
	v_add_u32_e32 v4, 0x800, v51
	v_pk_min_f16 v20, v29, v70
	ds_read2_b64 v[12:15], v4 offset0:72 offset1:80
	ds_read2_b64 v[8:11], v4 offset0:88 offset1:96
	ds_read2_b64 v[4:7], v4 offset0:104 offset1:112
	v_pk_add_f16 v20, v20, v69
	v_pk_max_f16 v69, v21, v21
	v_pk_max_f16 v30, v27, v27
	s_waitcnt lgkmcnt(0)
	s_lshl_b64 s[0:1], s[12:13], 1
	v_pk_min_f16 v21, v30, v69
	s_add_u32 s2, s2, s0
	v_pk_add_f16 v41, v21, v20
	s_addc_u32 s3, s3, s1
	v_mad_i64_i32 v[26:27], s[0:1], v28, s11, 0
	v_add_f16_sdwa v41, v41, v41 dst_sel:DWORD dst_unused:UNUSED_PAD src0_sel:DWORD src1_sel:WORD_1
	v_add_u32_e32 v20, 8, v16
	v_lshl_add_u64 v[26:27], v[26:27], 1, s[2:3]
	v_add_f16_e32 v31, v41, v31
	v_cndmask_b32_e64 v41, 0, 1, s[4:5]
	v_ashrrev_i32_e32 v21, 31, v20
	v_lshl_add_u64 v[72:73], v[16:17], 1, v[26:27]
	v_cmp_ne_u32_e64 s[0:1], 1, v41
	s_andn2_b64 vcc, exec, s[4:5]
	global_store_short v[72:73], v31, off
	s_cbranch_vccnz .LBB251_37
; %bb.36:
	v_lshl_add_u64 v[72:73], v[20:21], 1, v[22:23]
	flat_load_ushort v31, v[72:73]
	s_waitcnt vmcnt(0) lgkmcnt(0)
	v_mul_f16_e32 v42, s22, v31
.LBB251_37:
	v_pk_max_f16 v31, v12, v12
	v_pk_max_f16 v41, v13, v13
	v_pk_min_f16 v12, v31, v70
	v_pk_min_f16 v13, v41, v69
	v_pk_add_f16 v12, v12, v68
	v_lshl_add_u64 v[72:73], v[20:21], 1, v[26:27]
	v_pk_add_f16 v12, v13, v12
	s_and_b64 vcc, exec, s[0:1]
	v_add_f16_sdwa v51, v12, v12 dst_sel:DWORD dst_unused:UNUSED_PAD src0_sel:DWORD src1_sel:WORD_1
	v_add_u32_e32 v12, 16, v16
	v_ashrrev_i32_e32 v13, 31, v12
	v_add_f16_e32 v42, v51, v42
	v_mov_b32_e32 v62, 0
	v_mov_b32_e32 v52, 0
	global_store_short v[72:73], v42, off
	s_cbranch_vccnz .LBB251_39
; %bb.38:
	v_lshl_add_u64 v[72:73], v[12:13], 1, v[22:23]
	flat_load_ushort v42, v[72:73]
	s_waitcnt vmcnt(0) lgkmcnt(0)
	v_mul_f16_e32 v52, s22, v42
.LBB251_39:
	v_pk_max_f16 v42, v14, v14
	v_pk_max_f16 v51, v15, v15
	v_pk_min_f16 v14, v42, v70
	v_pk_min_f16 v15, v51, v69
	v_pk_add_f16 v14, v14, v67
	v_lshl_add_u64 v[72:73], v[12:13], 1, v[26:27]
	v_pk_add_f16 v14, v15, v14
	s_and_b64 vcc, exec, s[0:1]
	v_add_f16_sdwa v60, v14, v14 dst_sel:DWORD dst_unused:UNUSED_PAD src0_sel:DWORD src1_sel:WORD_1
	v_add_u32_e32 v14, 24, v16
	v_ashrrev_i32_e32 v15, 31, v14
	v_add_f16_e32 v52, v60, v52
	global_store_short v[72:73], v52, off
	s_cbranch_vccnz .LBB251_41
; %bb.40:
	v_lshl_add_u64 v[72:73], v[14:15], 1, v[22:23]
	flat_load_ushort v52, v[72:73]
	s_waitcnt vmcnt(0) lgkmcnt(0)
	v_mul_f16_e32 v62, s22, v52
.LBB251_41:
	v_pk_max_f16 v52, v8, v8
	v_pk_max_f16 v60, v9, v9
	v_pk_min_f16 v8, v52, v70
	v_pk_min_f16 v9, v60, v69
	v_pk_add_f16 v8, v8, v66
	s_and_b64 vcc, exec, s[0:1]
	v_pk_add_f16 v8, v9, v8
	s_nop 0
	v_add_f16_sdwa v66, v8, v8 dst_sel:DWORD dst_unused:UNUSED_PAD src0_sel:DWORD src1_sel:WORD_1
	v_add_u32_e32 v8, 32, v16
	v_add_f16_e32 v62, v66, v62
	v_lshl_add_u64 v[66:67], v[14:15], 1, v[26:27]
	v_ashrrev_i32_e32 v9, 31, v8
	global_store_short v[66:67], v62, off
	v_mov_b32_e32 v67, 0
	v_mov_b32_e32 v66, 0
	s_cbranch_vccnz .LBB251_43
; %bb.42:
	v_lshl_add_u64 v[72:73], v[8:9], 1, v[22:23]
	flat_load_ushort v62, v[72:73]
	s_waitcnt vmcnt(0) lgkmcnt(0)
	v_mul_f16_e32 v66, s22, v62
.LBB251_43:
	v_pk_max_f16 v62, v10, v10
	v_lshl_add_u64 v[72:73], v[8:9], 1, v[26:27]
	v_pk_min_f16 v10, v62, v70
	s_and_b64 vcc, exec, s[0:1]
	v_pk_add_f16 v10, v10, v65
	v_pk_max_f16 v65, v11, v11
	s_nop 0
	v_pk_min_f16 v11, v65, v69
	s_nop 0
	v_pk_add_f16 v10, v11, v10
	s_nop 0
	v_add_f16_sdwa v68, v10, v10 dst_sel:DWORD dst_unused:UNUSED_PAD src0_sel:DWORD src1_sel:WORD_1
	v_add_u32_e32 v10, 40, v16
	v_ashrrev_i32_e32 v11, 31, v10
	v_add_f16_e32 v66, v68, v66
	global_store_short v[72:73], v66, off
	s_cbranch_vccnz .LBB251_45
; %bb.44:
	v_lshl_add_u64 v[66:67], v[10:11], 1, v[22:23]
	flat_load_ushort v66, v[66:67]
	s_waitcnt vmcnt(0) lgkmcnt(0)
	v_mul_f16_e32 v67, s22, v66
.LBB251_45:
	v_pk_max_f16 v66, v4, v4
	v_lshl_add_u64 v[72:73], v[10:11], 1, v[26:27]
	v_pk_min_f16 v4, v66, v70
	s_and_b64 vcc, exec, s[0:1]
	v_pk_add_f16 v4, v4, v64
	v_pk_max_f16 v64, v5, v5
	v_mov_b32_e32 v71, 0
	v_pk_min_f16 v5, v64, v69
	s_nop 0
	v_pk_add_f16 v4, v5, v4
	s_nop 0
	v_add_f16_sdwa v68, v4, v4 dst_sel:DWORD dst_unused:UNUSED_PAD src0_sel:DWORD src1_sel:WORD_1
	v_add_u32_e32 v4, 48, v16
	v_ashrrev_i32_e32 v5, 31, v4
	v_add_f16_e32 v67, v68, v67
	v_mov_b32_e32 v68, 0
	global_store_short v[72:73], v67, off
	s_cbranch_vccnz .LBB251_47
; %bb.46:
	v_lshl_add_u64 v[72:73], v[4:5], 1, v[22:23]
	flat_load_ushort v67, v[72:73]
	s_waitcnt vmcnt(0) lgkmcnt(0)
	v_mul_f16_e32 v71, s22, v67
.LBB251_47:
	v_pk_max_f16 v67, v6, v6
	s_and_b64 vcc, exec, s[0:1]
	v_pk_min_f16 v6, v67, v70
	s_nop 0
	v_pk_add_f16 v6, v6, v63
	v_pk_max_f16 v63, v7, v7
	s_nop 0
	v_pk_min_f16 v7, v63, v69
	s_nop 0
	v_pk_add_f16 v6, v7, v6
	s_nop 0
	v_add_f16_sdwa v72, v6, v6 dst_sel:DWORD dst_unused:UNUSED_PAD src0_sel:DWORD src1_sel:WORD_1
	v_add_u32_e32 v6, 56, v16
	v_ashrrev_i32_e32 v7, 31, v6
	v_add_f16_e32 v71, v72, v71
	v_lshl_add_u64 v[72:73], v[4:5], 1, v[26:27]
	global_store_short v[72:73], v71, off
	s_cbranch_vccnz .LBB251_49
; %bb.48:
	v_lshl_add_u64 v[22:23], v[6:7], 1, v[22:23]
	flat_load_ushort v22, v[22:23]
	s_waitcnt vmcnt(0) lgkmcnt(0)
	v_mul_f16_e32 v68, s22, v22
.LBB251_49:
	v_pk_max_f16 v24, v24, v24
	v_pk_max_f16 v25, v25, v25
	v_pk_min_f16 v22, v24, v70
	v_pk_min_f16 v23, v25, v69
	v_pk_add_f16 v22, v22, v61
	s_and_b64 vcc, exec, s[0:1]
	v_pk_add_f16 v22, v23, v22
	v_mov_b32_e32 v69, 0
	v_add_f16_sdwa v22, v22, v22 dst_sel:DWORD dst_unused:UNUSED_PAD src0_sel:DWORD src1_sel:WORD_1
	v_add_f16_e32 v61, v22, v68
	v_lshl_add_u64 v[22:23], v[6:7], 1, v[26:27]
	v_add_u32_e32 v68, 32, v28
	global_store_short v[22:23], v61, off
	v_mad_i64_i32 v[22:23], s[4:5], v68, s10, 0
	v_lshl_add_u64 v[22:23], v[22:23], 1, s[8:9]
	v_mov_b32_e32 v61, 0
	s_cbranch_vccnz .LBB251_51
; %bb.50:
	v_lshl_add_u64 v[26:27], v[16:17], 1, v[22:23]
	flat_load_ushort v26, v[26:27]
	s_waitcnt vmcnt(0) lgkmcnt(0)
	v_mul_f16_e32 v69, s22, v26
.LBB251_51:
	v_pk_max_f16 v26, v0, v0
	v_pk_max_f16 v27, v1, v1
	v_pk_min_f16 v0, v29, v26
	v_pk_min_f16 v1, v30, v27
	v_pk_add_f16 v0, v0, v59
	s_and_b64 vcc, exec, s[0:1]
	v_pk_add_f16 v59, v1, v0
	v_mad_i64_i32 v[0:1], s[4:5], v68, s11, 0
	v_lshl_add_u64 v[0:1], v[0:1], 1, s[2:3]
	v_add_f16_sdwa v59, v59, v59 dst_sel:DWORD dst_unused:UNUSED_PAD src0_sel:DWORD src1_sel:WORD_1
	v_add_f16_e32 v59, v59, v69
	v_lshl_add_u64 v[68:69], v[16:17], 1, v[0:1]
	global_store_short v[68:69], v59, off
	s_cbranch_vccnz .LBB251_53
; %bb.52:
	v_lshl_add_u64 v[68:69], v[20:21], 1, v[22:23]
	flat_load_ushort v59, v[68:69]
	s_waitcnt vmcnt(0) lgkmcnt(0)
	v_mul_f16_e32 v61, s22, v59
.LBB251_53:
	v_pk_min_f16 v59, v31, v26
	s_and_b64 vcc, exec, s[0:1]
	v_pk_add_f16 v58, v59, v58
	v_pk_min_f16 v59, v41, v27
	s_nop 0
	v_pk_add_f16 v58, v59, v58
	s_nop 0
	v_add_f16_sdwa v58, v58, v58 dst_sel:DWORD dst_unused:UNUSED_PAD src0_sel:DWORD src1_sel:WORD_1
	v_add_f16_e32 v61, v58, v61
	v_lshl_add_u64 v[58:59], v[20:21], 1, v[0:1]
	global_store_short v[58:59], v61, off
	v_mov_b32_e32 v58, 0
	v_mov_b32_e32 v59, 0
	s_cbranch_vccnz .LBB251_55
; %bb.54:
	v_lshl_add_u64 v[68:69], v[12:13], 1, v[22:23]
	flat_load_ushort v59, v[68:69]
	s_waitcnt vmcnt(0) lgkmcnt(0)
	v_mul_f16_e32 v59, s22, v59
.LBB251_55:
	v_pk_min_f16 v61, v42, v26
	v_lshl_add_u64 v[68:69], v[12:13], 1, v[0:1]
	v_pk_add_f16 v57, v61, v57
	v_pk_min_f16 v61, v51, v27
	s_and_b64 vcc, exec, s[0:1]
	v_pk_add_f16 v57, v61, v57
	s_nop 0
	v_add_f16_sdwa v57, v57, v57 dst_sel:DWORD dst_unused:UNUSED_PAD src0_sel:DWORD src1_sel:WORD_1
	v_add_f16_e32 v57, v57, v59
	global_store_short v[68:69], v57, off
	s_cbranch_vccnz .LBB251_57
; %bb.56:
	v_lshl_add_u64 v[58:59], v[14:15], 1, v[22:23]
	flat_load_ushort v57, v[58:59]
	s_waitcnt vmcnt(0) lgkmcnt(0)
	v_mul_f16_e32 v58, s22, v57
.LBB251_57:
	v_pk_min_f16 v57, v52, v26
	s_and_b64 vcc, exec, s[0:1]
	v_pk_add_f16 v55, v57, v55
	v_pk_min_f16 v57, v60, v27
	s_nop 0
	v_pk_add_f16 v55, v57, v55
	v_mov_b32_e32 v57, 0
	v_add_f16_sdwa v55, v55, v55 dst_sel:DWORD dst_unused:UNUSED_PAD src0_sel:DWORD src1_sel:WORD_1
	v_add_f16_e32 v55, v55, v58
	v_lshl_add_u64 v[58:59], v[14:15], 1, v[0:1]
	global_store_short v[58:59], v55, off
	v_mov_b32_e32 v55, 0
	s_cbranch_vccnz .LBB251_59
; %bb.58:
	v_lshl_add_u64 v[58:59], v[8:9], 1, v[22:23]
	flat_load_ushort v57, v[58:59]
	s_waitcnt vmcnt(0) lgkmcnt(0)
	v_mul_f16_e32 v57, s22, v57
.LBB251_59:
	v_pk_min_f16 v58, v62, v26
	s_and_b64 vcc, exec, s[0:1]
	v_pk_add_f16 v54, v58, v54
	v_pk_min_f16 v58, v65, v27
	s_nop 0
	v_pk_add_f16 v54, v58, v54
	v_lshl_add_u64 v[58:59], v[8:9], 1, v[0:1]
	v_add_f16_sdwa v54, v54, v54 dst_sel:DWORD dst_unused:UNUSED_PAD src0_sel:DWORD src1_sel:WORD_1
	v_add_f16_e32 v54, v54, v57
	global_store_short v[58:59], v54, off
	s_cbranch_vccnz .LBB251_61
; %bb.60:
	v_lshl_add_u64 v[54:55], v[10:11], 1, v[22:23]
	flat_load_ushort v54, v[54:55]
	s_waitcnt vmcnt(0) lgkmcnt(0)
	v_mul_f16_e32 v55, s22, v54
.LBB251_61:
	v_pk_min_f16 v54, v66, v26
	s_and_b64 vcc, exec, s[0:1]
	v_pk_add_f16 v54, v54, v56
	v_pk_min_f16 v56, v64, v27
	s_nop 0
	v_pk_add_f16 v54, v56, v54
	s_nop 0
	v_add_f16_sdwa v54, v54, v54 dst_sel:DWORD dst_unused:UNUSED_PAD src0_sel:DWORD src1_sel:WORD_1
	v_add_f16_e32 v56, v54, v55
	v_lshl_add_u64 v[54:55], v[10:11], 1, v[0:1]
	global_store_short v[54:55], v56, off
	v_mov_b32_e32 v54, 0
	v_mov_b32_e32 v55, 0
	s_cbranch_vccnz .LBB251_63
; %bb.62:
	v_lshl_add_u64 v[56:57], v[4:5], 1, v[22:23]
	flat_load_ushort v55, v[56:57]
	s_waitcnt vmcnt(0) lgkmcnt(0)
	v_mul_f16_e32 v55, s22, v55
.LBB251_63:
	v_pk_min_f16 v56, v67, v26
	s_and_b64 vcc, exec, s[0:1]
	v_pk_add_f16 v53, v56, v53
	v_pk_min_f16 v56, v63, v27
	s_nop 0
	v_pk_add_f16 v53, v56, v53
	v_lshl_add_u64 v[56:57], v[4:5], 1, v[0:1]
	v_add_f16_sdwa v53, v53, v53 dst_sel:DWORD dst_unused:UNUSED_PAD src0_sel:DWORD src1_sel:WORD_1
	v_add_f16_e32 v53, v53, v55
	global_store_short v[56:57], v53, off
	s_cbranch_vccnz .LBB251_65
; %bb.64:
	v_lshl_add_u64 v[22:23], v[6:7], 1, v[22:23]
	flat_load_ushort v22, v[22:23]
	s_waitcnt vmcnt(0) lgkmcnt(0)
	v_mul_f16_e32 v54, s22, v22
.LBB251_65:
	v_pk_min_f16 v22, v24, v26
	v_pk_min_f16 v23, v25, v27
	v_pk_add_f16 v22, v22, v50
	v_lshl_add_u64 v[0:1], v[6:7], 1, v[0:1]
	v_pk_add_f16 v22, v23, v22
	v_add_u32_e32 v27, 64, v28
	v_add_f16_sdwa v22, v22, v22 dst_sel:DWORD dst_unused:UNUSED_PAD src0_sel:DWORD src1_sel:WORD_1
	v_add_f16_e32 v22, v22, v54
	global_store_short v[0:1], v22, off
	v_mad_i64_i32 v[0:1], s[4:5], v27, s10, 0
	v_lshl_add_u64 v[0:1], v[0:1], 1, s[8:9]
	s_and_b64 vcc, exec, s[0:1]
	v_mov_b32_e32 v26, 0
	v_mov_b32_e32 v50, 0
	s_cbranch_vccnz .LBB251_67
; %bb.66:
	v_lshl_add_u64 v[22:23], v[16:17], 1, v[0:1]
	flat_load_ushort v22, v[22:23]
	s_waitcnt vmcnt(0) lgkmcnt(0)
	v_mul_f16_e32 v50, s22, v22
.LBB251_67:
	v_pk_max_f16 v22, v2, v2
	v_pk_max_f16 v23, v3, v3
	v_pk_min_f16 v2, v29, v22
	v_pk_min_f16 v3, v30, v23
	v_pk_add_f16 v2, v2, v49
	s_and_b64 vcc, exec, s[0:1]
	v_pk_add_f16 v49, v3, v2
	v_mad_i64_i32 v[2:3], s[4:5], v27, s11, 0
	v_lshl_add_u64 v[2:3], v[2:3], 1, s[2:3]
	v_add_f16_sdwa v27, v49, v49 dst_sel:DWORD dst_unused:UNUSED_PAD src0_sel:DWORD src1_sel:WORD_1
	v_add_f16_e32 v27, v27, v50
	v_lshl_add_u64 v[54:55], v[16:17], 1, v[2:3]
	global_store_short v[54:55], v27, off
	s_cbranch_vccnz .LBB251_69
; %bb.68:
	v_lshl_add_u64 v[26:27], v[20:21], 1, v[0:1]
	flat_load_ushort v26, v[26:27]
	s_waitcnt vmcnt(0) lgkmcnt(0)
	v_mul_f16_e32 v26, s22, v26
.LBB251_69:
	v_pk_min_f16 v27, v31, v22
	s_and_b64 vcc, exec, s[0:1]
	v_pk_add_f16 v27, v27, v48
	v_pk_min_f16 v48, v41, v23
	s_nop 0
	v_pk_add_f16 v27, v48, v27
	s_nop 0
	v_add_f16_sdwa v27, v27, v27 dst_sel:DWORD dst_unused:UNUSED_PAD src0_sel:DWORD src1_sel:WORD_1
	v_add_f16_e32 v48, v27, v26
	v_lshl_add_u64 v[26:27], v[20:21], 1, v[2:3]
	global_store_short v[26:27], v48, off
	v_mov_b32_e32 v26, 0
	v_mov_b32_e32 v27, 0
	s_cbranch_vccnz .LBB251_71
; %bb.70:
	v_lshl_add_u64 v[48:49], v[12:13], 1, v[0:1]
	flat_load_ushort v27, v[48:49]
	s_waitcnt vmcnt(0) lgkmcnt(0)
	v_mul_f16_e32 v27, s22, v27
.LBB251_71:
	v_pk_min_f16 v48, v42, v22
	s_and_b64 vcc, exec, s[0:1]
	v_pk_add_f16 v47, v48, v47
	v_pk_min_f16 v48, v51, v23
	s_nop 0
	v_pk_add_f16 v47, v48, v47
	v_lshl_add_u64 v[48:49], v[12:13], 1, v[2:3]
	v_add_f16_sdwa v47, v47, v47 dst_sel:DWORD dst_unused:UNUSED_PAD src0_sel:DWORD src1_sel:WORD_1
	v_add_f16_e32 v27, v47, v27
	global_store_short v[48:49], v27, off
	s_cbranch_vccnz .LBB251_73
; %bb.72:
	v_lshl_add_u64 v[26:27], v[14:15], 1, v[0:1]
	flat_load_ushort v26, v[26:27]
	s_waitcnt vmcnt(0) lgkmcnt(0)
	v_mul_f16_e32 v26, s22, v26
.LBB251_73:
	v_pk_min_f16 v27, v52, v22
	s_and_b64 vcc, exec, s[0:1]
	v_pk_add_f16 v27, v27, v45
	v_pk_min_f16 v45, v60, v23
	s_nop 0
	v_pk_add_f16 v27, v45, v27
	s_nop 0
	v_add_f16_sdwa v27, v27, v27 dst_sel:DWORD dst_unused:UNUSED_PAD src0_sel:DWORD src1_sel:WORD_1
	v_add_f16_e32 v45, v27, v26
	v_lshl_add_u64 v[26:27], v[14:15], 1, v[2:3]
	global_store_short v[26:27], v45, off
	v_mov_b32_e32 v26, 0
	v_mov_b32_e32 v27, 0
	s_cbranch_vccnz .LBB251_75
; %bb.74:
	v_lshl_add_u64 v[48:49], v[8:9], 1, v[0:1]
	flat_load_ushort v27, v[48:49]
	s_waitcnt vmcnt(0) lgkmcnt(0)
	v_mul_f16_e32 v27, s22, v27
.LBB251_75:
	v_pk_min_f16 v45, v62, v22
	s_and_b64 vcc, exec, s[0:1]
	v_pk_add_f16 v44, v45, v44
	v_pk_min_f16 v45, v65, v23
	s_nop 0
	v_pk_add_f16 v44, v45, v44
	s_nop 0
	v_add_f16_sdwa v44, v44, v44 dst_sel:DWORD dst_unused:UNUSED_PAD src0_sel:DWORD src1_sel:WORD_1
	v_add_f16_e32 v27, v44, v27
	v_lshl_add_u64 v[44:45], v[8:9], 1, v[2:3]
	global_store_short v[44:45], v27, off
	s_cbranch_vccnz .LBB251_77
; %bb.76:
	v_lshl_add_u64 v[26:27], v[10:11], 1, v[0:1]
	flat_load_ushort v26, v[26:27]
	s_waitcnt vmcnt(0) lgkmcnt(0)
	v_mul_f16_e32 v26, s22, v26
.LBB251_77:
	v_pk_min_f16 v27, v66, v22
	v_pk_min_f16 v44, v64, v23
	v_pk_add_f16 v27, v27, v46
	s_and_b64 vcc, exec, s[0:1]
	v_pk_add_f16 v27, v44, v27
	s_nop 0
	v_add_f16_sdwa v27, v27, v27 dst_sel:DWORD dst_unused:UNUSED_PAD src0_sel:DWORD src1_sel:WORD_1
	v_add_f16_e32 v44, v27, v26
	v_lshl_add_u64 v[26:27], v[10:11], 1, v[2:3]
	global_store_short v[26:27], v44, off
	v_mov_b32_e32 v26, 0
	v_mov_b32_e32 v27, 0
	s_cbranch_vccnz .LBB251_79
; %bb.78:
	v_lshl_add_u64 v[44:45], v[4:5], 1, v[0:1]
	flat_load_ushort v27, v[44:45]
	s_waitcnt vmcnt(0) lgkmcnt(0)
	v_mul_f16_e32 v27, s22, v27
.LBB251_79:
	v_pk_min_f16 v44, v67, v22
	s_and_b64 vcc, exec, s[0:1]
	v_pk_add_f16 v43, v44, v43
	v_pk_min_f16 v44, v63, v23
	s_nop 0
	v_pk_add_f16 v43, v44, v43
	v_lshl_add_u64 v[44:45], v[4:5], 1, v[2:3]
	v_add_f16_sdwa v43, v43, v43 dst_sel:DWORD dst_unused:UNUSED_PAD src0_sel:DWORD src1_sel:WORD_1
	v_add_f16_e32 v27, v43, v27
	global_store_short v[44:45], v27, off
	s_cbranch_vccnz .LBB251_81
; %bb.80:
	v_lshl_add_u64 v[0:1], v[6:7], 1, v[0:1]
	flat_load_ushort v0, v[0:1]
	s_waitcnt vmcnt(0) lgkmcnt(0)
	v_mul_f16_e32 v26, s22, v0
.LBB251_81:
	v_pk_min_f16 v0, v24, v22
	v_pk_min_f16 v1, v25, v23
	v_pk_add_f16 v0, v0, v40
	s_and_b64 vcc, exec, s[0:1]
	v_pk_add_f16 v0, v1, v0
	v_mov_b32_e32 v23, 0
	v_add_f16_sdwa v0, v0, v0 dst_sel:DWORD dst_unused:UNUSED_PAD src0_sel:DWORD src1_sel:WORD_1
	v_add_f16_e32 v22, v0, v26
	v_lshl_add_u64 v[0:1], v[6:7], 1, v[2:3]
	v_add_u32_e32 v2, 0x60, v28
	global_store_short v[0:1], v22, off
	v_mad_i64_i32 v[0:1], s[4:5], v2, s10, 0
	v_lshl_add_u64 v[0:1], v[0:1], 1, s[8:9]
	v_mov_b32_e32 v22, 0
	s_cbranch_vccnz .LBB251_83
; %bb.82:
	v_lshl_add_u64 v[26:27], v[16:17], 1, v[0:1]
	flat_load_ushort v3, v[26:27]
	s_waitcnt vmcnt(0) lgkmcnt(0)
	v_mul_f16_e32 v23, s22, v3
.LBB251_83:
	v_pk_max_f16 v18, v18, v18
	v_pk_max_f16 v19, v19, v19
	v_pk_min_f16 v3, v29, v18
	v_pk_min_f16 v26, v30, v19
	v_pk_add_f16 v3, v3, v39
	s_and_b64 vcc, exec, s[0:1]
	v_pk_add_f16 v26, v26, v3
	v_mad_i64_i32 v[2:3], s[4:5], v2, s11, 0
	v_lshl_add_u64 v[2:3], v[2:3], 1, s[2:3]
	v_add_f16_sdwa v26, v26, v26 dst_sel:DWORD dst_unused:UNUSED_PAD src0_sel:DWORD src1_sel:WORD_1
	v_add_f16_e32 v23, v26, v23
	v_lshl_add_u64 v[16:17], v[16:17], 1, v[2:3]
	global_store_short v[16:17], v23, off
	s_cbranch_vccnz .LBB251_85
; %bb.84:
	v_lshl_add_u64 v[16:17], v[20:21], 1, v[0:1]
	flat_load_ushort v16, v[16:17]
	s_waitcnt vmcnt(0) lgkmcnt(0)
	v_mul_f16_e32 v22, s22, v16
.LBB251_85:
	v_pk_min_f16 v16, v31, v18
	v_pk_min_f16 v17, v41, v19
	v_pk_add_f16 v16, v16, v36
	s_and_b64 vcc, exec, s[0:1]
	v_pk_add_f16 v16, v17, v16
	s_nop 0
	v_add_f16_sdwa v16, v16, v16 dst_sel:DWORD dst_unused:UNUSED_PAD src0_sel:DWORD src1_sel:WORD_1
	v_add_f16_e32 v22, v16, v22
	v_lshl_add_u64 v[16:17], v[20:21], 1, v[2:3]
	global_store_short v[16:17], v22, off
	v_mov_b32_e32 v16, 0
	v_mov_b32_e32 v17, 0
	s_cbranch_vccnz .LBB251_87
; %bb.86:
	v_lshl_add_u64 v[20:21], v[12:13], 1, v[0:1]
	flat_load_ushort v17, v[20:21]
	s_waitcnt vmcnt(0) lgkmcnt(0)
	v_mul_f16_e32 v17, s22, v17
.LBB251_87:
	v_pk_min_f16 v20, v42, v18
	v_pk_min_f16 v21, v51, v19
	v_pk_add_f16 v20, v20, v35
	v_lshl_add_u64 v[12:13], v[12:13], 1, v[2:3]
	v_pk_add_f16 v20, v21, v20
	s_and_b64 vcc, exec, s[0:1]
	v_add_f16_sdwa v20, v20, v20 dst_sel:DWORD dst_unused:UNUSED_PAD src0_sel:DWORD src1_sel:WORD_1
	v_add_f16_e32 v17, v20, v17
	global_store_short v[12:13], v17, off
	s_cbranch_vccnz .LBB251_89
; %bb.88:
	v_lshl_add_u64 v[12:13], v[14:15], 1, v[0:1]
	flat_load_ushort v12, v[12:13]
	s_waitcnt vmcnt(0) lgkmcnt(0)
	v_mul_f16_e32 v16, s22, v12
.LBB251_89:
	v_pk_min_f16 v12, v52, v18
	v_pk_min_f16 v13, v60, v19
	v_pk_add_f16 v12, v12, v34
	s_and_b64 vcc, exec, s[0:1]
	v_pk_add_f16 v12, v13, v12
	s_nop 0
	v_add_f16_sdwa v12, v12, v12 dst_sel:DWORD dst_unused:UNUSED_PAD src0_sel:DWORD src1_sel:WORD_1
	v_add_f16_e32 v16, v12, v16
	v_lshl_add_u64 v[12:13], v[14:15], 1, v[2:3]
	global_store_short v[12:13], v16, off
	v_mov_b32_e32 v12, 0
	v_mov_b32_e32 v13, 0
	s_cbranch_vccnz .LBB251_91
; %bb.90:
	v_lshl_add_u64 v[14:15], v[8:9], 1, v[0:1]
	flat_load_ushort v13, v[14:15]
	s_waitcnt vmcnt(0) lgkmcnt(0)
	v_mul_f16_e32 v13, s22, v13
.LBB251_91:
	v_pk_min_f16 v14, v62, v18
	v_pk_min_f16 v15, v65, v19
	v_pk_add_f16 v14, v14, v37
	v_lshl_add_u64 v[8:9], v[8:9], 1, v[2:3]
	v_pk_add_f16 v14, v15, v14
	s_and_b64 vcc, exec, s[0:1]
	v_add_f16_sdwa v14, v14, v14 dst_sel:DWORD dst_unused:UNUSED_PAD src0_sel:DWORD src1_sel:WORD_1
	v_add_f16_e32 v13, v14, v13
	global_store_short v[8:9], v13, off
	s_cbranch_vccnz .LBB251_93
; %bb.92:
	v_lshl_add_u64 v[8:9], v[10:11], 1, v[0:1]
	flat_load_ushort v8, v[8:9]
	s_waitcnt vmcnt(0) lgkmcnt(0)
	v_mul_f16_e32 v12, s22, v8
.LBB251_93:
	v_pk_min_f16 v8, v66, v18
	v_pk_min_f16 v9, v64, v19
	v_pk_add_f16 v8, v8, v33
	v_pk_min_f16 v13, v63, v19
	v_pk_add_f16 v8, v9, v8
	v_pk_min_f16 v9, v67, v18
	v_add_f16_sdwa v8, v8, v8 dst_sel:DWORD dst_unused:UNUSED_PAD src0_sel:DWORD src1_sel:WORD_1
	v_pk_add_f16 v9, v9, v38
	v_add_f16_e32 v12, v8, v12
	v_pk_add_f16 v13, v13, v9
	v_lshl_add_u64 v[8:9], v[10:11], 1, v[2:3]
	global_store_short v[8:9], v12, off
	v_add_f16_sdwa v8, v13, v13 dst_sel:DWORD dst_unused:UNUSED_PAD src0_sel:DWORD src1_sel:WORD_1
	s_mov_b64 vcc, s[6:7]
	s_cbranch_vccz .LBB251_96
; %bb.94:
	v_add_f16_e32 v9, 0, v8
	v_lshl_add_u64 v[10:11], v[4:5], 1, v[2:3]
	s_mov_b32 s2, 0
	global_store_short v[10:11], v9, off
	s_cbranch_execz .LBB251_97
; %bb.95:
	v_mov_b32_e32 v0, s2
	s_branch .LBB251_98
.LBB251_96:
                                        ; implicit-def: $sgpr2
.LBB251_97:
	v_lshlrev_b64 v[4:5], 1, v[4:5]
	v_lshl_add_u64 v[10:11], v[0:1], 0, v[4:5]
	flat_load_ushort v9, v[10:11]
	v_lshl_add_u64 v[4:5], v[2:3], 0, v[4:5]
	v_lshl_add_u64 v[0:1], v[6:7], 1, v[0:1]
	s_waitcnt vmcnt(0) lgkmcnt(0)
	v_fma_f16 v8, v9, s22, v8
	global_store_short v[4:5], v8, off
	flat_load_ushort v0, v[0:1]
	s_waitcnt vmcnt(0) lgkmcnt(0)
	v_mul_f16_e32 v0, s22, v0
.LBB251_98:
	v_pk_min_f16 v4, v24, v18
	v_pk_min_f16 v1, v25, v19
	v_pk_add_f16 v4, v4, v32
	s_nop 0
	v_pk_add_f16 v1, v1, v4
	s_nop 0
	v_add_f16_sdwa v1, v1, v1 dst_sel:DWORD dst_unused:UNUSED_PAD src0_sel:DWORD src1_sel:WORD_1
	v_add_f16_e32 v4, v1, v0
	v_lshl_add_u64 v[0:1], v[6:7], 1, v[2:3]
	global_store_short v[0:1], v4, off
	s_endpgm
	.section	.rodata,"a",@progbits
	.p2align	6, 0x0
	.amdhsa_kernel _ZN12_GLOBAL__N_120geam_min_plus_kernelIDF16_Dv2_DF16_S1_Li8ELi32ELi64ELi128ELi4ELi4ELi64ELi64ELi4ELc84ELc84ELb0ELb0ELb0EDF16_KPKDF16_KPDF16_EEviiiT16_PT17_ilS9_ilS7_S9_ilPT18_ili26rocblas_geam_ex_operation_
		.amdhsa_group_segment_fixed_size 3072
		.amdhsa_private_segment_fixed_size 0
		.amdhsa_kernarg_size 128
		.amdhsa_user_sgpr_count 2
		.amdhsa_user_sgpr_dispatch_ptr 0
		.amdhsa_user_sgpr_queue_ptr 0
		.amdhsa_user_sgpr_kernarg_segment_ptr 1
		.amdhsa_user_sgpr_dispatch_id 0
		.amdhsa_user_sgpr_kernarg_preload_length 0
		.amdhsa_user_sgpr_kernarg_preload_offset 0
		.amdhsa_user_sgpr_private_segment_size 0
		.amdhsa_uses_dynamic_stack 0
		.amdhsa_enable_private_segment 0
		.amdhsa_system_sgpr_workgroup_id_x 1
		.amdhsa_system_sgpr_workgroup_id_y 0
		.amdhsa_system_sgpr_workgroup_id_z 1
		.amdhsa_system_sgpr_workgroup_info 0
		.amdhsa_system_vgpr_workitem_id 1
		.amdhsa_next_free_vgpr 120
		.amdhsa_next_free_sgpr 26
		.amdhsa_accum_offset 120
		.amdhsa_reserve_vcc 1
		.amdhsa_float_round_mode_32 0
		.amdhsa_float_round_mode_16_64 0
		.amdhsa_float_denorm_mode_32 3
		.amdhsa_float_denorm_mode_16_64 3
		.amdhsa_dx10_clamp 1
		.amdhsa_ieee_mode 1
		.amdhsa_fp16_overflow 0
		.amdhsa_tg_split 0
		.amdhsa_exception_fp_ieee_invalid_op 0
		.amdhsa_exception_fp_denorm_src 0
		.amdhsa_exception_fp_ieee_div_zero 0
		.amdhsa_exception_fp_ieee_overflow 0
		.amdhsa_exception_fp_ieee_underflow 0
		.amdhsa_exception_fp_ieee_inexact 0
		.amdhsa_exception_int_div_zero 0
	.end_amdhsa_kernel
	.section	.text._ZN12_GLOBAL__N_120geam_min_plus_kernelIDF16_Dv2_DF16_S1_Li8ELi32ELi64ELi128ELi4ELi4ELi64ELi64ELi4ELc84ELc84ELb0ELb0ELb0EDF16_KPKDF16_KPDF16_EEviiiT16_PT17_ilS9_ilS7_S9_ilPT18_ili26rocblas_geam_ex_operation_,"axG",@progbits,_ZN12_GLOBAL__N_120geam_min_plus_kernelIDF16_Dv2_DF16_S1_Li8ELi32ELi64ELi128ELi4ELi4ELi64ELi64ELi4ELc84ELc84ELb0ELb0ELb0EDF16_KPKDF16_KPDF16_EEviiiT16_PT17_ilS9_ilS7_S9_ilPT18_ili26rocblas_geam_ex_operation_,comdat
.Lfunc_end251:
	.size	_ZN12_GLOBAL__N_120geam_min_plus_kernelIDF16_Dv2_DF16_S1_Li8ELi32ELi64ELi128ELi4ELi4ELi64ELi64ELi4ELc84ELc84ELb0ELb0ELb0EDF16_KPKDF16_KPDF16_EEviiiT16_PT17_ilS9_ilS7_S9_ilPT18_ili26rocblas_geam_ex_operation_, .Lfunc_end251-_ZN12_GLOBAL__N_120geam_min_plus_kernelIDF16_Dv2_DF16_S1_Li8ELi32ELi64ELi128ELi4ELi4ELi64ELi64ELi4ELc84ELc84ELb0ELb0ELb0EDF16_KPKDF16_KPDF16_EEviiiT16_PT17_ilS9_ilS7_S9_ilPT18_ili26rocblas_geam_ex_operation_
                                        ; -- End function
	.section	.AMDGPU.csdata,"",@progbits
; Kernel info:
; codeLenInByte = 8956
; NumSgprs: 32
; NumVgprs: 120
; NumAgprs: 0
; TotalNumVgprs: 120
; ScratchSize: 0
; MemoryBound: 0
; FloatMode: 240
; IeeeMode: 1
; LDSByteSize: 3072 bytes/workgroup (compile time only)
; SGPRBlocks: 3
; VGPRBlocks: 14
; NumSGPRsForWavesPerEU: 32
; NumVGPRsForWavesPerEU: 120
; AccumOffset: 120
; Occupancy: 4
; WaveLimiterHint : 1
; COMPUTE_PGM_RSRC2:SCRATCH_EN: 0
; COMPUTE_PGM_RSRC2:USER_SGPR: 2
; COMPUTE_PGM_RSRC2:TRAP_HANDLER: 0
; COMPUTE_PGM_RSRC2:TGID_X_EN: 1
; COMPUTE_PGM_RSRC2:TGID_Y_EN: 0
; COMPUTE_PGM_RSRC2:TGID_Z_EN: 1
; COMPUTE_PGM_RSRC2:TIDIG_COMP_CNT: 1
; COMPUTE_PGM_RSRC3_GFX90A:ACCUM_OFFSET: 29
; COMPUTE_PGM_RSRC3_GFX90A:TG_SPLIT: 0
	.section	.text._ZN12_GLOBAL__N_120geam_min_plus_kernelIDF16_Dv2_DF16_S1_Li8ELi32ELi64ELi128ELi4ELi4ELi64ELi64ELi4ELc84ELc84ELb0ELb1ELb0EPKDF16_KS3_KPDF16_EEviiiT16_PT17_ilS9_ilS7_S9_ilPT18_ili26rocblas_geam_ex_operation_,"axG",@progbits,_ZN12_GLOBAL__N_120geam_min_plus_kernelIDF16_Dv2_DF16_S1_Li8ELi32ELi64ELi128ELi4ELi4ELi64ELi64ELi4ELc84ELc84ELb0ELb1ELb0EPKDF16_KS3_KPDF16_EEviiiT16_PT17_ilS9_ilS7_S9_ilPT18_ili26rocblas_geam_ex_operation_,comdat
	.globl	_ZN12_GLOBAL__N_120geam_min_plus_kernelIDF16_Dv2_DF16_S1_Li8ELi32ELi64ELi128ELi4ELi4ELi64ELi64ELi4ELc84ELc84ELb0ELb1ELb0EPKDF16_KS3_KPDF16_EEviiiT16_PT17_ilS9_ilS7_S9_ilPT18_ili26rocblas_geam_ex_operation_ ; -- Begin function _ZN12_GLOBAL__N_120geam_min_plus_kernelIDF16_Dv2_DF16_S1_Li8ELi32ELi64ELi128ELi4ELi4ELi64ELi64ELi4ELc84ELc84ELb0ELb1ELb0EPKDF16_KS3_KPDF16_EEviiiT16_PT17_ilS9_ilS7_S9_ilPT18_ili26rocblas_geam_ex_operation_
	.p2align	8
	.type	_ZN12_GLOBAL__N_120geam_min_plus_kernelIDF16_Dv2_DF16_S1_Li8ELi32ELi64ELi128ELi4ELi4ELi64ELi64ELi4ELc84ELc84ELb0ELb1ELb0EPKDF16_KS3_KPDF16_EEviiiT16_PT17_ilS9_ilS7_S9_ilPT18_ili26rocblas_geam_ex_operation_,@function
_ZN12_GLOBAL__N_120geam_min_plus_kernelIDF16_Dv2_DF16_S1_Li8ELi32ELi64ELi128ELi4ELi4ELi64ELi64ELi4ELc84ELc84ELb0ELb1ELb0EPKDF16_KS3_KPDF16_EEviiiT16_PT17_ilS9_ilS7_S9_ilPT18_ili26rocblas_geam_ex_operation_: ; @_ZN12_GLOBAL__N_120geam_min_plus_kernelIDF16_Dv2_DF16_S1_Li8ELi32ELi64ELi128ELi4ELi4ELi64ELi64ELi4ELc84ELc84ELb0ELb1ELb0EPKDF16_KS3_KPDF16_EEviiiT16_PT17_ilS9_ilS7_S9_ilPT18_ili26rocblas_geam_ex_operation_
; %bb.0:
	s_load_dwordx4 s[4:7], s[0:1], 0x10
	s_load_dwordx4 s[8:11], s[0:1], 0x28
	;; [unrolled: 1-line block ×3, first 2 shown]
	s_load_dwordx2 s[20:21], s[0:1], 0x50
	s_mov_b32 s18, s3
	s_mov_b32 s19, 0
	s_lshl_b64 s[16:17], s[18:19], 1
	s_waitcnt lgkmcnt(0)
	s_add_u32 s4, s4, s16
	s_addc_u32 s5, s5, s17
	v_mov_b32_e32 v1, 0
	global_load_ushort v32, v1, s[4:5]
	s_add_u32 s4, s14, s16
	s_addc_u32 s5, s15, s17
	global_load_ushort v44, v1, s[4:5]
	s_mov_b64 s[16:17], 0
	s_mov_b64 s[26:27], 0
	s_waitcnt vmcnt(1)
	v_cmp_eq_f16_e32 vcc, 0, v32
	v_cmp_neq_f16_e64 s[4:5], 0, v32
	s_cbranch_vccnz .LBB252_2
; %bb.1:
	s_lshl_b64 s[14:15], s[18:19], 3
	s_add_u32 s6, s6, s14
	s_addc_u32 s7, s7, s15
	s_load_dwordx2 s[6:7], s[6:7], 0x0
	s_lshl_b64 s[8:9], s[8:9], 1
	s_waitcnt lgkmcnt(0)
	s_add_u32 s26, s6, s8
	s_addc_u32 s27, s7, s9
.LBB252_2:
	s_andn2_b64 vcc, exec, s[4:5]
	s_cbranch_vccnz .LBB252_4
; %bb.3:
	s_lshl_b64 s[6:7], s[18:19], 3
	s_add_u32 s6, s10, s6
	s_addc_u32 s7, s11, s7
	s_load_dwordx2 s[6:7], s[6:7], 0x0
	s_lshl_b64 s[8:9], s[12:13], 1
	s_waitcnt lgkmcnt(0)
	s_add_u32 s16, s6, s8
	s_addc_u32 s17, s7, s9
.LBB252_4:
	s_load_dwordx4 s[8:11], s[0:1], 0x60
	s_waitcnt vmcnt(0)
	v_cmp_eq_f16_e32 vcc, 0, v44
	v_cmp_neq_f16_e64 s[12:13], 0, v44
	s_cbranch_vccnz .LBB252_6
; %bb.5:
	s_lshl_b64 s[6:7], s[18:19], 3
	s_add_u32 s6, s20, s6
	s_addc_u32 s7, s21, s7
	s_load_dwordx2 s[6:7], s[6:7], 0x0
	s_waitcnt lgkmcnt(0)
	s_lshl_b64 s[8:9], s[8:9], 1
	s_add_u32 s24, s6, s8
	s_addc_u32 s25, s7, s9
	s_branch .LBB252_7
.LBB252_6:
	s_mov_b64 s[24:25], 0
.LBB252_7:
	s_load_dwordx4 s[20:23], s[0:1], 0x0
	s_load_dword s34, s[0:1], 0x20
	s_lshl_b64 s[6:7], s[18:19], 3
	s_waitcnt lgkmcnt(0)
	s_add_u32 s6, s10, s6
	s_addc_u32 s7, s11, s7
	s_add_i32 s3, s20, -1
	s_ashr_i32 s8, s3, 31
	s_lshr_b32 s8, s8, 26
	s_add_i32 s3, s3, s8
	s_ashr_i32 s3, s3, 6
	s_add_i32 s8, s3, 1
	v_cvt_f32_u32_e32 v1, s8
	v_and_b32_e32 v30, 0x3ff, v0
	v_bfe_u32 v31, v0, 10, 10
	s_load_dwordx2 s[14:15], s[6:7], 0x0
	v_rcp_iflag_f32_e32 v1, v1
	s_not_b32 s3, s3
	v_lshl_add_u32 v2, v31, 3, v30
	v_lshrrev_b32_e32 v7, 2, v2
	v_mul_f32_e32 v0, 0x4f7ffffe, v1
	v_cvt_u32_f32_e32 v0, v0
	v_and_b32_e32 v33, 3, v30
	v_mov_b32_e32 v8, 0
	v_mov_b32_e32 v9, 0
	v_readfirstlane_b32 s6, v0
	s_mul_i32 s3, s3, s6
	s_mul_hi_u32 s3, s6, s3
	s_add_i32 s6, s6, s3
	s_mul_hi_u32 s3, s2, s6
	s_mul_i32 s6, s3, s8
	s_sub_i32 s6, s2, s6
	s_add_i32 s7, s3, 1
	s_sub_i32 s9, s6, s8
	s_cmp_ge_u32 s6, s8
	s_cselect_b32 s3, s7, s3
	s_cselect_b32 s6, s9, s6
	s_add_i32 s7, s3, 1
	s_cmp_ge_u32 s6, s8
	s_cselect_b32 s6, s7, s3
	s_mul_i32 s3, s6, s8
	s_sub_i32 s2, s2, s3
	s_lshl_b32 s28, s2, 6
	v_add_u32_e32 v4, s28, v7
	v_cmp_gt_i32_e64 s[2:3], s22, v33
	v_cmp_gt_i32_e32 vcc, s20, v4
	s_and_b64 s[2:3], s[2:3], vcc
	s_and_b64 s[8:9], s[4:5], s[2:3]
	v_lshlrev_b32_e32 v0, 1, v33
	s_and_saveexec_b64 s[2:3], s[8:9]
	s_cbranch_execz .LBB252_9
; %bb.8:
	v_mad_i64_i32 v[10:11], s[8:9], v4, s34, 0
	v_lshl_add_u64 v[10:11], v[10:11], 1, s[26:27]
	v_mov_b32_e32 v1, 0
	v_lshl_add_u64 v[10:11], v[10:11], 0, v[0:1]
	flat_load_ushort v1, v[10:11]
	s_waitcnt vmcnt(0) lgkmcnt(0)
	v_mul_f16_e32 v9, v32, v1
.LBB252_9:
	s_or_b64 exec, exec, s[2:3]
	s_load_dword s23, s[0:1], 0x38
	v_and_b32_e32 v10, 63, v2
	v_lshrrev_b32_e32 v34, 6, v2
	s_lshl_b32 s29, s6, 7
	s_add_i32 s30, s22, -1
	v_or_b32_e32 v24, s29, v10
	v_min_i32_e32 v1, s30, v34
	v_cmp_le_i32_e64 s[10:11], s22, v34
	s_waitcnt lgkmcnt(0)
	v_mad_i64_i32 v[2:3], s[2:3], s23, v1, 0
	v_cmp_le_i32_e64 s[6:7], s21, v24
	s_or_b64 s[2:3], s[6:7], s[10:11]
	s_xor_b64 s[18:19], s[4:5], -1
	s_or_b64 s[2:3], s[2:3], s[18:19]
	v_lshl_add_u64 v[2:3], v[2:3], 1, s[16:17]
	s_xor_b64 s[8:9], s[2:3], -1
	v_ashrrev_i32_e32 v25, 31, v24
	s_and_saveexec_b64 s[2:3], s[8:9]
	s_cbranch_execz .LBB252_11
; %bb.10:
	v_lshl_add_u64 v[12:13], v[24:25], 1, v[2:3]
	flat_load_ushort v1, v[12:13]
	s_waitcnt vmcnt(0) lgkmcnt(0)
	v_mul_f16_e32 v8, v32, v1
.LBB252_11:
	s_or_b64 exec, exec, s[2:3]
	v_or_b32_e32 v1, 64, v24
	v_cmp_le_i32_e64 s[8:9], s21, v1
	s_or_b64 s[2:3], s[8:9], s[10:11]
	s_or_b64 s[2:3], s[2:3], s[18:19]
	s_xor_b64 s[10:11], s[2:3], -1
	v_mov_b32_e32 v1, 0
	v_mov_b32_e32 v11, 0
	s_and_saveexec_b64 s[2:3], s[10:11]
	s_cbranch_execz .LBB252_13
; %bb.12:
	v_lshl_add_u64 v[2:3], v[24:25], 1, v[2:3]
	flat_load_ushort v2, v[2:3] offset:128
	s_waitcnt vmcnt(0) lgkmcnt(0)
	v_mul_f16_e32 v11, v32, v2
.LBB252_13:
	s_or_b64 exec, exec, s[2:3]
	v_or_b32_e32 v2, 4, v33
	v_cmp_gt_i32_e64 s[2:3], s22, v2
	s_and_b64 s[2:3], s[2:3], vcc
	s_and_b64 s[10:11], s[4:5], s[2:3]
	s_and_saveexec_b64 s[2:3], s[10:11]
	s_cbranch_execz .LBB252_15
; %bb.14:
	v_mad_i64_i32 v[2:3], s[10:11], v4, s34, 0
	v_lshl_add_u64 v[2:3], v[2:3], 1, s[26:27]
	v_mov_b32_e32 v1, 0
	v_lshl_add_u64 v[2:3], v[2:3], 0, v[0:1]
	flat_load_ushort v1, v[2:3] offset:8
	s_waitcnt vmcnt(0) lgkmcnt(0)
	v_mul_f16_e32 v1, v32, v1
.LBB252_15:
	s_or_b64 exec, exec, s[2:3]
	v_add_u32_e32 v2, 4, v34
	v_cmp_le_i32_e64 s[10:11], s22, v2
	v_min_i32_e32 v2, s30, v2
	v_mad_i64_i32 v[2:3], s[2:3], s23, v2, 0
	s_or_b64 s[2:3], s[6:7], s[10:11]
	s_or_b64 s[2:3], s[2:3], s[18:19]
	v_lshl_add_u64 v[2:3], v[2:3], 1, s[16:17]
	s_xor_b64 s[36:37], s[2:3], -1
	v_mov_b32_e32 v5, 0
	v_mov_b32_e32 v6, 0
	s_and_saveexec_b64 s[2:3], s[36:37]
	s_cbranch_execz .LBB252_17
; %bb.16:
	v_lshl_add_u64 v[12:13], v[24:25], 1, v[2:3]
	flat_load_ushort v6, v[12:13]
	s_waitcnt vmcnt(0) lgkmcnt(0)
	v_mul_f16_e32 v6, v32, v6
.LBB252_17:
	s_or_b64 exec, exec, s[2:3]
	s_or_b64 s[2:3], s[8:9], s[10:11]
	s_or_b64 s[2:3], s[2:3], s[18:19]
	s_xor_b64 s[10:11], s[2:3], -1
	s_and_saveexec_b64 s[2:3], s[10:11]
	s_cbranch_execz .LBB252_19
; %bb.18:
	v_lshl_add_u64 v[2:3], v[24:25], 1, v[2:3]
	flat_load_ushort v2, v[2:3] offset:128
	s_waitcnt vmcnt(0) lgkmcnt(0)
	v_mul_f16_e32 v5, v32, v2
.LBB252_19:
	s_or_b64 exec, exec, s[2:3]
	v_lshlrev_b32_e32 v3, 1, v34
	v_lshl_or_b32 v2, v7, 3, v0
	v_lshl_add_u32 v37, v10, 3, v3
	v_lshlrev_b32_e32 v36, 3, v30
	v_lshlrev_b32_e32 v35, 3, v31
	ds_write_b16 v2, v9 offset:2048
	ds_write_b16 v37, v8
	ds_write_b16 v37, v11 offset:512
	s_waitcnt lgkmcnt(0)
	s_barrier
	ds_read2_b64 v[8:11], v35 offset1:32
	v_add_u32_e32 v38, 0x800, v36
	ds_read2_b64 v[12:15], v38 offset0:48 offset1:56
	ds_read2_b64 v[16:19], v35 offset0:64 offset1:96
	ds_read2_b64 v[20:23], v38 offset1:8
	ds_read2_b64 v[26:29], v38 offset0:16 offset1:24
	ds_read2_b64 v[40:43], v38 offset0:32 offset1:40
	s_waitcnt lgkmcnt(5)
	v_pk_max_f16 v3, v8, v8
	s_waitcnt lgkmcnt(4)
	v_pk_max_f16 v7, v14, v14
	v_pk_max_f16 v10, v10, v10
	v_pk_min_f16 v8, v7, v3
	s_waitcnt lgkmcnt(3)
	v_pk_max_f16 v14, v16, v16
	s_waitcnt lgkmcnt(2)
	v_pk_max_f16 v16, v20, v20
	v_pk_max_f16 v18, v18, v18
	v_pk_max_f16 v22, v22, v22
	s_waitcnt lgkmcnt(1)
	v_pk_max_f16 v26, v26, v26
	v_pk_max_f16 v28, v28, v28
	;; [unrolled: 4-line block ×3, first 2 shown]
	v_pk_max_f16 v12, v12, v12
	v_pk_max_f16 v15, v15, v15
	v_pk_min_f16 v20, v16, v3
	v_pk_min_f16 v39, v16, v10
	;; [unrolled: 1-line block ×16, first 2 shown]
	v_pk_max_f16 v11, v11, v11
	v_pk_min_f16 v62, v40, v3
	v_pk_min_f16 v63, v40, v10
	;; [unrolled: 1-line block ×15, first 2 shown]
	v_pk_add_f16 v8, v8, 0
	v_pk_min_f16 v18, v15, v9
	v_pk_max_f16 v17, v17, v17
	v_pk_add_f16 v69, v8, v18
	v_pk_add_f16 v8, v51, 0
	v_pk_min_f16 v18, v15, v11
	v_pk_max_f16 v21, v21, v21
	v_pk_add_f16 v61, v8, v18
	;; [unrolled: 4-line block ×6, first 2 shown]
	v_pk_add_f16 v8, v16, 0
	v_pk_min_f16 v16, v21, v19
	v_pk_add_f16 v18, v56, 0
	v_pk_add_f16 v52, v8, v16
	v_pk_add_f16 v8, v46, 0
	v_pk_min_f16 v16, v23, v9
	v_pk_add_f16 v20, v57, 0
	v_pk_add_f16 v75, v8, v16
	;; [unrolled: 4-line block ×7, first 2 shown]
	v_pk_add_f16 v8, v54, 0
	v_pk_min_f16 v16, v27, v17
	v_pk_min_f16 v27, v27, v19
	v_pk_add_f16 v58, v8, v16
	v_pk_add_f16 v8, v26, 0
	;; [unrolled: 1-line block ×4, first 2 shown]
	v_pk_min_f16 v8, v29, v9
	v_pk_add_f16 v26, v64, 0
	v_pk_add_f16 v73, v16, v8
	v_pk_min_f16 v8, v29, v11
	v_pk_add_f16 v40, v70, 0
	v_pk_add_f16 v65, v18, v8
	;; [unrolled: 3-line block ×4, first 2 shown]
	v_pk_max_f16 v8, v41, v41
	v_pk_add_f16 v3, v3, 0
	v_pk_min_f16 v16, v8, v9
	v_pk_add_f16 v10, v10, 0
	v_pk_add_f16 v72, v22, v16
	v_pk_min_f16 v16, v8, v11
	v_pk_add_f16 v14, v14, 0
	v_pk_add_f16 v64, v23, v16
	v_pk_min_f16 v16, v8, v17
	v_pk_min_f16 v8, v8, v19
	v_pk_add_f16 v56, v26, v16
	v_pk_add_f16 v48, v28, v8
	v_pk_max_f16 v8, v43, v43
	v_pk_add_f16 v12, v12, 0
	v_pk_min_f16 v16, v8, v9
	v_pk_add_f16 v7, v7, 0
	v_pk_add_f16 v71, v39, v16
	v_pk_min_f16 v16, v8, v11
	s_mov_b32 s31, 0
	v_pk_add_f16 v63, v40, v16
	v_pk_min_f16 v16, v8, v17
	v_pk_min_f16 v8, v8, v19
	v_pk_add_f16 v55, v45, v16
	v_pk_add_f16 v47, v42, v8
	v_pk_max_f16 v8, v13, v13
	s_cmp_lt_i32 s22, 9
	v_pk_min_f16 v9, v8, v9
	ds_write_b16 v2, v1 offset:2560
	ds_write_b16 v37, v6 offset:1024
	;; [unrolled: 1-line block ×3, first 2 shown]
	v_pk_add_f16 v39, v3, v9
	v_pk_min_f16 v3, v8, v11
	s_waitcnt lgkmcnt(0)
	v_pk_add_f16 v62, v10, v3
	v_pk_min_f16 v3, v8, v17
	s_barrier
	v_pk_add_f16 v54, v14, v3
	v_pk_min_f16 v3, v8, v19
	s_nop 0
	v_pk_add_f16 v46, v12, v3
	v_pk_min_f16 v3, v15, v19
	s_nop 0
	v_pk_add_f16 v45, v7, v3
	s_cbranch_scc1 .LBB252_34
; %bb.20:
	v_mov_b32_e32 v1, 0xa00
	v_lshl_add_u32 v43, v30, 3, v1
	v_mov_b32_e32 v1, 0x400
	v_add_u32_e32 v40, 0x800, v2
	v_add_u32_e32 v41, 0xa00, v2
	v_lshl_add_u32 v70, v31, 3, v1
	v_mad_i64_i32 v[2:3], s[2:3], s34, v4, 0
	v_mov_b32_e32 v1, 0
	v_lshl_add_u64 v[0:1], v[2:3], 1, v[0:1]
	v_lshl_add_u64 v[0:1], v[0:1], 0, s[26:27]
	v_or_b32_e32 v42, 0x400, v37
	s_add_i32 s33, s22, -8
	v_lshl_add_u64 v[26:27], v[0:1], 0, 24
	s_branch .LBB252_22
.LBB252_21:                             ;   in Loop: Header=BB252_22 Depth=1
	s_or_b64 exec, exec, s[2:3]
	v_pk_add_f16 v20, v61, v20
	v_pk_add_f16 v12, v53, v12
	;; [unrolled: 1-line block ×18, first 2 shown]
	ds_read2_b64 v[6:9], v38 offset0:48 offset1:56
	ds_read2_b64 v[10:13], v35 offset1:32
	v_pk_add_f16 v2, v69, v2
	v_pk_add_f16 v22, v68, v22
	;; [unrolled: 1-line block ×5, first 2 shown]
	s_waitcnt lgkmcnt(1)
	v_pk_max_f16 v8, v8, v8
	s_waitcnt lgkmcnt(0)
	v_pk_max_f16 v10, v10, v10
	v_pk_add_f16 v16, v76, v16
	v_pk_add_f16 v53, v66, v83
	;; [unrolled: 1-line block ×10, first 2 shown]
	ds_read2_b64 v[2:5], v35 offset0:64 offset1:96
	v_pk_min_f16 v14, v8, v10
	v_pk_add_f16 v60, v64, v89
	v_pk_add_f16 v64, v16, v17
	;; [unrolled: 1-line block ×4, first 2 shown]
	ds_read2_b64 v[14:17], v38 offset1:8
	v_pk_max_f16 v12, v12, v12
	s_waitcnt lgkmcnt(1)
	v_pk_max_f16 v2, v2, v2
	v_pk_min_f16 v63, v8, v12
	v_pk_max_f16 v4, v4, v4
	v_pk_add_f16 v63, v20, v63
	v_pk_min_f16 v20, v8, v2
	s_waitcnt lgkmcnt(0)
	v_pk_max_f16 v14, v14, v14
	v_pk_add_f16 v68, v21, v20
	v_pk_min_f16 v20, v14, v10
	v_pk_max_f16 v16, v16, v16
	v_pk_add_f16 v64, v64, v20
	v_pk_min_f16 v20, v14, v12
	v_pk_add_f16 v51, v51, v82
	v_pk_add_f16 v22, v22, v20
	v_pk_min_f16 v20, v14, v2
	v_pk_min_f16 v14, v14, v4
	v_pk_add_f16 v23, v23, v20
	v_pk_min_f16 v20, v16, v10
	v_pk_add_f16 v14, v28, v14
	v_pk_add_f16 v28, v18, v20
	v_pk_min_f16 v18, v16, v12
	v_pk_add_f16 v51, v51, v103
	v_pk_add_f16 v71, v19, v18
	ds_read2_b64 v[18:21], v38 offset0:16 offset1:24
	v_pk_min_f16 v69, v16, v2
	v_pk_min_f16 v16, v16, v4
	v_pk_add_f16 v50, v50, v85
	v_pk_add_f16 v16, v51, v16
	s_waitcnt lgkmcnt(0)
	v_pk_max_f16 v18, v18, v18
	v_pk_add_f16 v53, v53, v104
	v_pk_min_f16 v51, v18, v10
	ds_read2_b64 v[80:83], v38 offset0:32 offset1:40
	v_pk_add_f16 v72, v52, v51
	v_pk_min_f16 v51, v18, v12
	v_pk_add_f16 v50, v50, v106
	v_pk_add_f16 v73, v53, v51
	v_pk_min_f16 v51, v18, v2
	v_pk_min_f16 v18, v18, v4
	v_pk_max_f16 v20, v20, v20
	v_pk_add_f16 v18, v50, v18
	v_pk_min_f16 v50, v20, v10
	v_pk_add_f16 v49, v49, v88
	v_pk_add_f16 v59, v59, v107
	;; [unrolled: 1-line block ×3, first 2 shown]
	v_pk_min_f16 v50, v20, v12
	v_pk_add_f16 v57, v57, v87
	v_pk_add_f16 v49, v49, v109
	;; [unrolled: 1-line block ×3, first 2 shown]
	v_pk_min_f16 v50, v20, v2
	v_pk_min_f16 v20, v20, v4
	v_pk_add_f16 v57, v57, v108
	v_pk_add_f16 v20, v49, v20
	s_waitcnt lgkmcnt(0)
	v_pk_max_f16 v49, v80, v80
	v_pk_add_f16 v57, v57, v50
	v_pk_min_f16 v50, v49, v10
	v_pk_add_f16 v48, v48, v91
	v_pk_add_f16 v60, v60, v111
	;; [unrolled: 1-line block ×3, first 2 shown]
	v_pk_min_f16 v50, v49, v12
	v_pk_add_f16 v58, v58, v84
	v_pk_add_f16 v56, v56, v90
	;; [unrolled: 1-line block ×4, first 2 shown]
	v_pk_min_f16 v50, v49, v2
	v_pk_min_f16 v49, v49, v4
	v_pk_add_f16 v56, v56, v112
	v_pk_add_f16 v48, v48, v49
	v_pk_max_f16 v49, v82, v82
	v_pk_add_f16 v56, v56, v50
	v_pk_min_f16 v50, v49, v10
	v_pk_add_f16 v61, v61, v114
	v_pk_add_f16 v82, v67, v50
	v_pk_min_f16 v50, v49, v12
	v_pk_max_f16 v6, v6, v6
	v_pk_add_f16 v85, v61, v50
	v_pk_min_f16 v50, v49, v2
	v_pk_min_f16 v10, v6, v10
	;; [unrolled: 1-line block ×6, first 2 shown]
	v_pk_add_f16 v1, v1, v6
	v_pk_min_f16 v4, v8, v4
	v_pk_max_f16 v6, v9, v9
	v_pk_max_f16 v8, v11, v11
	v_pk_add_f16 v29, v29, v69
	v_pk_min_f16 v9, v6, v8
	v_pk_max_f16 v3, v3, v3
	v_pk_add_f16 v69, v46, v9
	v_pk_max_f16 v9, v13, v13
	v_pk_max_f16 v5, v5, v5
	v_pk_min_f16 v11, v6, v9
	v_pk_add_f16 v58, v58, v105
	v_pk_add_f16 v61, v63, v11
	v_pk_min_f16 v11, v6, v3
	v_pk_add_f16 v58, v58, v51
	v_pk_add_f16 v53, v68, v11
	v_pk_max_f16 v11, v15, v15
	v_pk_add_f16 v55, v55, v93
	v_pk_min_f16 v13, v11, v8
	v_pk_add_f16 v55, v55, v115
	v_pk_add_f16 v76, v64, v13
	v_pk_min_f16 v13, v11, v9
	v_pk_add_f16 v55, v55, v50
	v_pk_add_f16 v68, v22, v13
	v_pk_min_f16 v13, v11, v3
	v_pk_min_f16 v11, v11, v5
	v_pk_add_f16 v60, v23, v13
	v_pk_add_f16 v52, v14, v11
	v_pk_max_f16 v11, v17, v17
	v_pk_add_f16 v47, v47, v94
	v_pk_min_f16 v13, v11, v8
	v_pk_add_f16 v47, v47, v116
	v_pk_add_f16 v75, v28, v13
	v_pk_min_f16 v13, v11, v9
	v_pk_add_f16 v47, v47, v49
	v_pk_add_f16 v67, v71, v13
	v_pk_min_f16 v13, v11, v3
	;; [unrolled: 12-line block ×3, first 2 shown]
	v_pk_min_f16 v11, v11, v5
	v_pk_add_f16 v58, v58, v13
	v_pk_add_f16 v50, v18, v11
	v_pk_max_f16 v11, v21, v21
	v_pk_max_f16 v7, v7, v7
	v_pk_min_f16 v13, v11, v8
	v_pk_add_f16 v62, v62, v96
	v_pk_add_f16 v73, v65, v13
	v_pk_min_f16 v13, v11, v9
	v_pk_add_f16 v39, v39, v117
	v_pk_add_f16 v65, v79, v13
	v_pk_min_f16 v13, v11, v3
	v_pk_min_f16 v11, v11, v5
	v_pk_add_f16 v57, v57, v13
	v_pk_add_f16 v49, v20, v11
	v_pk_max_f16 v11, v81, v81
	v_pk_add_f16 v2, v54, v2
	v_pk_min_f16 v13, v11, v8
	v_pk_add_f16 v62, v62, v118
	v_pk_add_f16 v72, v80, v13
	v_pk_min_f16 v13, v11, v9
	v_pk_add_f16 v10, v39, v10
	v_pk_add_f16 v64, v84, v13
	v_pk_min_f16 v13, v11, v3
	v_pk_min_f16 v11, v11, v5
	v_pk_add_f16 v56, v56, v13
	v_pk_add_f16 v48, v48, v11
	v_pk_max_f16 v11, v83, v83
	v_pk_add_f16 v12, v62, v12
	v_pk_min_f16 v13, v11, v8
	v_pk_min_f16 v8, v7, v8
	v_pk_add_f16 v71, v82, v13
	v_pk_min_f16 v13, v11, v9
	v_pk_add_f16 v4, v45, v4
	v_pk_add_f16 v63, v85, v13
	v_pk_min_f16 v13, v11, v3
	v_pk_min_f16 v3, v7, v3
	;; [unrolled: 1-line block ×3, first 2 shown]
	v_pk_add_f16 v54, v2, v3
	v_pk_min_f16 v2, v7, v5
	v_pk_add_f16 v39, v10, v8
	v_pk_min_f16 v8, v7, v9
	;; [unrolled: 2-line block ×3, first 2 shown]
	s_add_i32 s31, s31, 8
	v_pk_add_f16 v55, v55, v13
	v_pk_add_f16 v47, v47, v11
	v_pk_add_f16 v62, v12, v8
	v_pk_add_f16 v45, v4, v1
	s_cmp_ge_i32 s31, s33
	v_lshl_add_u64 v[26:27], v[26:27], 0, 16
	ds_write_b16 v41, v78
	ds_write_b16 v42, v77
	ds_write_b16 v42, v0 offset:512
	s_waitcnt lgkmcnt(0)
	s_barrier
	s_cbranch_scc1 .LBB252_34
.LBB252_22:                             ; =>This Inner Loop Header: Depth=1
	v_add_u32_e32 v28, s31, v33
	v_add_u32_e32 v0, 8, v28
	v_cmp_gt_i32_e64 s[2:3], s22, v0
	s_and_b64 s[2:3], s[2:3], vcc
	s_and_b64 s[2:3], s[4:5], s[2:3]
	v_mov_b32_e32 v77, 0
	s_and_saveexec_b64 s[10:11], s[2:3]
	s_cbranch_execz .LBB252_24
; %bb.23:                               ;   in Loop: Header=BB252_22 Depth=1
	v_add_co_u32_e64 v0, s[2:3], -8, v26
	s_nop 1
	v_addc_co_u32_e64 v1, s[2:3], -1, v27, s[2:3]
	flat_load_ushort v0, v[0:1]
	s_waitcnt vmcnt(0) lgkmcnt(0)
	v_mul_f16_e32 v77, v32, v0
.LBB252_24:                             ;   in Loop: Header=BB252_22 Depth=1
	s_or_b64 exec, exec, s[10:11]
	v_add_u32_e32 v29, s31, v34
	v_add_u32_e32 v0, 8, v29
	v_cmp_le_i32_e64 s[10:11], s22, v0
	v_min_i32_e32 v0, s30, v0
	v_mad_i64_i32 v[0:1], s[2:3], v0, s23, 0
	s_or_b64 s[2:3], s[6:7], s[10:11]
	v_lshl_add_u64 v[0:1], v[0:1], 1, s[16:17]
	s_or_b64 s[2:3], s[2:3], s[18:19]
	s_xor_b64 s[26:27], s[2:3], -1
	v_mov_b32_e32 v78, 0
	v_lshl_add_u64 v[0:1], v[24:25], 1, v[0:1]
	v_mov_b32_e32 v79, 0
	s_and_saveexec_b64 s[2:3], s[26:27]
	s_cbranch_execz .LBB252_26
; %bb.25:                               ;   in Loop: Header=BB252_22 Depth=1
	flat_load_ushort v2, v[0:1]
	s_waitcnt vmcnt(0) lgkmcnt(0)
	v_mul_f16_e32 v79, v32, v2
.LBB252_26:                             ;   in Loop: Header=BB252_22 Depth=1
	s_or_b64 exec, exec, s[2:3]
	s_or_b64 s[2:3], s[8:9], s[10:11]
	s_or_b64 s[2:3], s[2:3], s[18:19]
	s_xor_b64 s[10:11], s[2:3], -1
	s_and_saveexec_b64 s[2:3], s[10:11]
	s_cbranch_execz .LBB252_28
; %bb.27:                               ;   in Loop: Header=BB252_22 Depth=1
	flat_load_ushort v0, v[0:1] offset:128
	s_waitcnt vmcnt(0) lgkmcnt(0)
	v_mul_f16_e32 v78, v32, v0
.LBB252_28:                             ;   in Loop: Header=BB252_22 Depth=1
	s_or_b64 exec, exec, s[2:3]
	ds_read2_b64 v[0:3], v43 offset0:48 offset1:56
	ds_read2_b64 v[12:15], v70 offset0:64 offset1:96
	ds_read2_b64 v[20:23], v70 offset1:32
	ds_read2_b64 v[16:19], v43 offset1:8
	ds_read2_b64 v[8:11], v43 offset0:16 offset1:24
	ds_read2_b64 v[4:7], v43 offset0:32 offset1:40
	v_add_u32_e32 v28, 12, v28
	v_cmp_gt_i32_e64 s[2:3], s22, v28
	s_and_b64 s[2:3], s[2:3], vcc
	ds_write_b16 v40, v77
	ds_write_b16 v37, v79
	ds_write_b16 v37, v78 offset:512
	s_and_b64 s[10:11], s[4:5], s[2:3]
	v_mov_b32_e32 v77, 0
	v_mov_b32_e32 v78, 0
	s_waitcnt lgkmcnt(0)
	s_barrier
	s_and_saveexec_b64 s[2:3], s[10:11]
	s_cbranch_execz .LBB252_30
; %bb.29:                               ;   in Loop: Header=BB252_22 Depth=1
	flat_load_ushort v28, v[26:27]
	s_waitcnt vmcnt(0) lgkmcnt(0)
	v_mul_f16_e32 v78, v32, v28
.LBB252_30:                             ;   in Loop: Header=BB252_22 Depth=1
	s_or_b64 exec, exec, s[2:3]
	v_add_u32_e32 v28, 12, v29
	v_cmp_le_i32_e64 s[10:11], s22, v28
	v_min_i32_e32 v28, s30, v28
	v_mad_i64_i32 v[28:29], s[2:3], v28, s23, 0
	s_or_b64 s[2:3], s[6:7], s[10:11]
	v_lshl_add_u64 v[28:29], v[28:29], 1, s[16:17]
	s_or_b64 s[2:3], s[2:3], s[18:19]
	s_xor_b64 s[26:27], s[2:3], -1
	v_lshl_add_u64 v[28:29], v[24:25], 1, v[28:29]
	s_and_saveexec_b64 s[2:3], s[26:27]
	s_cbranch_execz .LBB252_32
; %bb.31:                               ;   in Loop: Header=BB252_22 Depth=1
	flat_load_ushort v77, v[28:29]
	s_waitcnt vmcnt(0) lgkmcnt(0)
	v_mul_f16_e32 v77, v32, v77
.LBB252_32:                             ;   in Loop: Header=BB252_22 Depth=1
	s_or_b64 exec, exec, s[2:3]
	v_pk_max_f16 v99, v2, v2
	v_pk_max_f16 v95, v20, v20
	;; [unrolled: 1-line block ×17, first 2 shown]
	s_or_b64 s[2:3], s[8:9], s[10:11]
	v_pk_min_f16 v2, v99, v95
	v_pk_min_f16 v20, v99, v96
	;; [unrolled: 1-line block ×26, first 2 shown]
	v_pk_max_f16 v0, v3, v3
	v_pk_max_f16 v101, v17, v17
	;; [unrolled: 1-line block ×5, first 2 shown]
	v_pk_min_f16 v110, v5, v117
	v_pk_min_f16 v111, v5, v118
	v_pk_min_f16 v112, v5, v119
	v_pk_min_f16 v113, v5, v120
	v_pk_max_f16 v5, v7, v7
	v_pk_max_f16 v1, v1, v1
	s_or_b64 s[2:3], s[2:3], s[18:19]
	v_pk_min_f16 v82, v82, v100
	v_pk_min_f16 v85, v85, v100
	;; [unrolled: 1-line block ×34, first 2 shown]
	s_xor_b64 s[10:11], s[2:3], -1
	v_mov_b32_e32 v0, 0
	s_and_saveexec_b64 s[2:3], s[10:11]
	s_cbranch_execz .LBB252_21
; %bb.33:                               ;   in Loop: Header=BB252_22 Depth=1
	flat_load_ushort v0, v[28:29] offset:128
	s_waitcnt vmcnt(0) lgkmcnt(0)
	v_mul_f16_e32 v0, v32, v0
	s_branch .LBB252_21
.LBB252_34:
	s_load_dwordx2 s[2:3], s[0:1], 0x78
	s_load_dword s31, s[0:1], 0x58
	s_load_dword s30, s[0:1], 0x70
	v_add_u32_e32 v8, 0x800, v36
	ds_read2_b64 v[0:3], v8 offset0:112 offset1:120
	ds_read2_b64 v[4:7], v35 offset0:192 offset1:224
	;; [unrolled: 1-line block ×6, first 2 shown]
	s_waitcnt lgkmcnt(0)
	s_lshl_b64 s[0:1], s[2:3], 1
	s_add_u32 s22, s14, s0
	v_add_u32_e32 v70, s29, v31
	s_addc_u32 s23, s15, s1
	v_mad_i64_i32 v[26:27], s[0:1], v70, s31, 0
	v_add_u32_e32 v24, s28, v30
	v_lshl_add_u64 v[42:43], v[26:27], 1, s[24:25]
	v_mad_i64_i32 v[26:27], s[0:1], v70, s30, 0
	v_cmp_gt_i32_e64 s[18:19], s21, v70
	v_lshl_add_u64 v[40:41], v[26:27], 1, s[22:23]
	v_cmp_gt_i32_e64 s[4:5], s20, v24
	v_cndmask_b32_e64 v26, 0, 1, s[12:13]
	s_and_b64 s[6:7], s[4:5], s[18:19]
	v_ashrrev_i32_e32 v25, 31, v24
	v_cmp_ne_u32_e64 s[0:1], 1, v26
	s_and_saveexec_b64 s[2:3], s[6:7]
	s_cbranch_execz .LBB252_39
; %bb.35:
	s_and_b64 vcc, exec, s[0:1]
	s_cbranch_vccnz .LBB252_37
; %bb.36:
	v_lshl_add_u64 v[26:27], v[24:25], 1, v[42:43]
	flat_load_ushort v26, v[26:27]
	s_waitcnt vmcnt(0) lgkmcnt(0)
	v_mul_f16_e32 v26, v44, v26
	s_branch .LBB252_38
.LBB252_37:
	v_mov_b32_e32 v26, 0
.LBB252_38:
	v_pk_max_f16 v27, v20, v20
	v_pk_max_f16 v28, v16, v16
	v_pk_max_f16 v29, v17, v17
	v_pk_min_f16 v27, v28, v27
	v_pk_max_f16 v28, v21, v21
	v_pk_add_f16 v27, v76, v27
	v_pk_min_f16 v28, v29, v28
	s_nop 0
	v_pk_add_f16 v27, v27, v28
	s_nop 0
	v_add_f16_sdwa v27, v27, v27 dst_sel:DWORD dst_unused:UNUSED_PAD src0_sel:DWORD src1_sel:WORD_1
	v_add_f16_e32 v28, v27, v26
	v_lshl_add_u64 v[26:27], v[24:25], 1, v[40:41]
	global_store_short v[26:27], v28, off
.LBB252_39:
	s_or_b64 exec, exec, s[2:3]
	v_add_u32_e32 v26, 8, v24
	v_cmp_gt_i32_e64 s[2:3], s20, v26
	s_and_b64 s[8:9], s[2:3], s[18:19]
	v_ashrrev_i32_e32 v27, 31, v26
	s_and_saveexec_b64 s[6:7], s[8:9]
	s_cbranch_execz .LBB252_44
; %bb.40:
	s_and_b64 vcc, exec, s[0:1]
	s_cbranch_vccnz .LBB252_42
; %bb.41:
	v_lshl_add_u64 v[28:29], v[26:27], 1, v[42:43]
	flat_load_ushort v28, v[28:29]
	s_waitcnt vmcnt(0) lgkmcnt(0)
	v_mul_f16_e32 v28, v44, v28
	s_branch .LBB252_43
.LBB252_42:
	v_mov_b32_e32 v28, 0
.LBB252_43:
	v_pk_max_f16 v29, v20, v20
	v_pk_max_f16 v30, v18, v18
	v_pk_max_f16 v31, v19, v19
	v_pk_min_f16 v29, v30, v29
	v_pk_max_f16 v30, v21, v21
	v_pk_add_f16 v29, v75, v29
	v_pk_min_f16 v30, v31, v30
	s_nop 0
	v_pk_add_f16 v29, v29, v30
	s_nop 0
	v_add_f16_sdwa v29, v29, v29 dst_sel:DWORD dst_unused:UNUSED_PAD src0_sel:DWORD src1_sel:WORD_1
	v_add_f16_e32 v30, v29, v28
	v_lshl_add_u64 v[28:29], v[26:27], 1, v[40:41]
	global_store_short v[28:29], v30, off
.LBB252_44:
	s_or_b64 exec, exec, s[6:7]
	v_add_u32_e32 v28, 16, v24
	v_cmp_gt_i32_e64 s[6:7], s20, v28
	s_and_b64 s[10:11], s[6:7], s[18:19]
	v_ashrrev_i32_e32 v29, 31, v28
	;; [unrolled: 34-line block ×5, first 2 shown]
	s_and_saveexec_b64 s[14:15], s[16:17]
	s_cbranch_execz .LBB252_64
; %bb.60:
	s_and_b64 vcc, exec, s[0:1]
	s_cbranch_vccnz .LBB252_62
; %bb.61:
	v_lshl_add_u64 v[36:37], v[34:35], 1, v[42:43]
	flat_load_ushort v36, v[36:37]
	s_waitcnt vmcnt(0) lgkmcnt(0)
	v_mul_f16_e32 v36, v44, v36
	s_branch .LBB252_63
.LBB252_62:
	v_mov_b32_e32 v36, 0
.LBB252_63:
	v_pk_max_f16 v37, v20, v20
	v_pk_max_f16 v38, v10, v10
	s_nop 0
	v_pk_min_f16 v37, v38, v37
	v_pk_max_f16 v38, v21, v21
	v_pk_add_f16 v37, v71, v37
	v_pk_max_f16 v71, v11, v11
	s_nop 0
	v_pk_min_f16 v38, v71, v38
	s_nop 0
	v_pk_add_f16 v37, v37, v38
	s_nop 0
	v_add_f16_sdwa v37, v37, v37 dst_sel:DWORD dst_unused:UNUSED_PAD src0_sel:DWORD src1_sel:WORD_1
	v_add_f16_e32 v38, v37, v36
	v_lshl_add_u64 v[36:37], v[34:35], 1, v[40:41]
	global_store_short v[36:37], v38, off
.LBB252_64:
	s_or_b64 exec, exec, s[14:15]
	v_add_u32_e32 v36, 48, v24
	v_cmp_gt_i32_e64 s[14:15], s20, v36
	s_and_b64 s[26:27], s[14:15], s[18:19]
	v_ashrrev_i32_e32 v37, 31, v36
	s_and_saveexec_b64 s[16:17], s[26:27]
	s_cbranch_execz .LBB252_69
; %bb.65:
	s_and_b64 vcc, exec, s[0:1]
	s_cbranch_vccnz .LBB252_67
; %bb.66:
	v_lshl_add_u64 v[72:73], v[36:37], 1, v[42:43]
	flat_load_ushort v38, v[72:73]
	s_waitcnt vmcnt(0) lgkmcnt(0)
	v_mul_f16_e32 v38, v44, v38
	s_branch .LBB252_68
.LBB252_67:
	v_mov_b32_e32 v38, 0
.LBB252_68:
	v_pk_max_f16 v71, v20, v20
	v_pk_max_f16 v72, v0, v0
	s_nop 0
	v_pk_min_f16 v71, v72, v71
	v_pk_max_f16 v72, v1, v1
	v_pk_add_f16 v39, v39, v71
	v_pk_max_f16 v71, v21, v21
	s_nop 0
	v_pk_min_f16 v71, v72, v71
	s_nop 0
	v_pk_add_f16 v39, v39, v71
	s_nop 0
	v_add_f16_sdwa v39, v39, v39 dst_sel:DWORD dst_unused:UNUSED_PAD src0_sel:DWORD src1_sel:WORD_1
	v_add_f16_e32 v71, v39, v38
	v_lshl_add_u64 v[38:39], v[36:37], 1, v[40:41]
	global_store_short v[38:39], v71, off
.LBB252_69:
	s_or_b64 exec, exec, s[16:17]
	v_add_u32_e32 v38, 56, v24
	v_cmp_gt_i32_e64 s[16:17], s20, v38
	s_and_b64 s[26:27], s[16:17], s[18:19]
	v_ashrrev_i32_e32 v39, 31, v38
	s_and_saveexec_b64 s[18:19], s[26:27]
	s_cbranch_execz .LBB252_74
; %bb.70:
	s_and_b64 vcc, exec, s[0:1]
	s_cbranch_vccnz .LBB252_72
; %bb.71:
	v_lshl_add_u64 v[42:43], v[38:39], 1, v[42:43]
	flat_load_ushort v42, v[42:43]
	s_waitcnt vmcnt(0) lgkmcnt(0)
	v_mul_f16_e32 v42, v44, v42
	s_branch .LBB252_73
.LBB252_72:
	v_mov_b32_e32 v42, 0
.LBB252_73:
	v_pk_max_f16 v20, v20, v20
	v_pk_max_f16 v43, v2, v2
	;; [unrolled: 1-line block ×3, first 2 shown]
	v_pk_min_f16 v20, v43, v20
	v_pk_max_f16 v43, v3, v3
	v_pk_add_f16 v20, v69, v20
	v_pk_min_f16 v21, v43, v21
	s_nop 0
	v_pk_add_f16 v20, v20, v21
	s_nop 0
	v_add_f16_sdwa v20, v20, v20 dst_sel:DWORD dst_unused:UNUSED_PAD src0_sel:DWORD src1_sel:WORD_1
	v_add_f16_e32 v42, v20, v42
	v_lshl_add_u64 v[20:21], v[38:39], 1, v[40:41]
	global_store_short v[20:21], v42, off
.LBB252_74:
	s_or_b64 exec, exec, s[18:19]
	v_add_u32_e32 v42, 32, v70
	v_mad_i64_i32 v[20:21], s[26:27], v42, s31, 0
	v_cmp_gt_i32_e64 s[18:19], s21, v42
	v_lshl_add_u64 v[40:41], v[20:21], 1, s[24:25]
	v_mad_i64_i32 v[20:21], s[26:27], v42, s30, 0
	v_lshl_add_u64 v[20:21], v[20:21], 1, s[22:23]
	s_and_b64 s[28:29], s[4:5], s[18:19]
	s_and_saveexec_b64 s[26:27], s[28:29]
	s_cbranch_execnz .LBB252_82
; %bb.75:
	s_or_b64 exec, exec, s[26:27]
	s_and_b64 s[28:29], s[2:3], s[18:19]
	s_and_saveexec_b64 s[26:27], s[28:29]
	s_cbranch_execnz .LBB252_86
.LBB252_76:
	s_or_b64 exec, exec, s[26:27]
	s_and_b64 s[28:29], s[6:7], s[18:19]
	s_and_saveexec_b64 s[26:27], s[28:29]
	s_cbranch_execnz .LBB252_90
.LBB252_77:
	s_or_b64 exec, exec, s[26:27]
	s_and_b64 s[28:29], s[8:9], s[18:19]
	s_and_saveexec_b64 s[26:27], s[28:29]
	s_cbranch_execnz .LBB252_94
.LBB252_78:
	s_or_b64 exec, exec, s[26:27]
	s_and_b64 s[28:29], s[10:11], s[18:19]
	s_and_saveexec_b64 s[26:27], s[28:29]
	s_cbranch_execnz .LBB252_98
.LBB252_79:
	s_or_b64 exec, exec, s[26:27]
	s_and_b64 s[28:29], s[12:13], s[18:19]
	s_and_saveexec_b64 s[26:27], s[28:29]
	s_cbranch_execnz .LBB252_102
.LBB252_80:
	s_or_b64 exec, exec, s[26:27]
	s_and_b64 s[28:29], s[14:15], s[18:19]
	s_and_saveexec_b64 s[26:27], s[28:29]
	s_cbranch_execnz .LBB252_106
.LBB252_81:
	s_or_b64 exec, exec, s[26:27]
	s_and_b64 s[26:27], s[16:17], s[18:19]
	s_and_saveexec_b64 s[18:19], s[26:27]
	s_cbranch_execnz .LBB252_110
	s_branch .LBB252_114
.LBB252_82:
	s_and_b64 vcc, exec, s[0:1]
	s_cbranch_vccnz .LBB252_84
; %bb.83:
	v_lshl_add_u64 v[42:43], v[24:25], 1, v[40:41]
	flat_load_ushort v42, v[42:43]
	s_waitcnt vmcnt(0) lgkmcnt(0)
	v_mul_f16_e32 v42, v44, v42
	s_branch .LBB252_85
.LBB252_84:
	v_mov_b32_e32 v42, 0
.LBB252_85:
	v_pk_max_f16 v43, v22, v22
	v_pk_max_f16 v69, v16, v16
	s_nop 0
	v_pk_min_f16 v43, v69, v43
	v_pk_max_f16 v69, v17, v17
	v_pk_add_f16 v43, v68, v43
	v_pk_max_f16 v68, v23, v23
	s_nop 0
	v_pk_min_f16 v68, v69, v68
	s_nop 0
	v_pk_add_f16 v43, v43, v68
	s_nop 0
	v_add_f16_sdwa v43, v43, v43 dst_sel:DWORD dst_unused:UNUSED_PAD src0_sel:DWORD src1_sel:WORD_1
	v_add_f16_e32 v68, v43, v42
	v_lshl_add_u64 v[42:43], v[24:25], 1, v[20:21]
	global_store_short v[42:43], v68, off
	s_or_b64 exec, exec, s[26:27]
	s_and_b64 s[28:29], s[2:3], s[18:19]
	s_and_saveexec_b64 s[26:27], s[28:29]
	s_cbranch_execz .LBB252_76
.LBB252_86:
	s_and_b64 vcc, exec, s[0:1]
	s_cbranch_vccnz .LBB252_88
; %bb.87:
	v_lshl_add_u64 v[42:43], v[26:27], 1, v[40:41]
	flat_load_ushort v42, v[42:43]
	s_waitcnt vmcnt(0) lgkmcnt(0)
	v_mul_f16_e32 v42, v44, v42
	s_branch .LBB252_89
.LBB252_88:
	v_mov_b32_e32 v42, 0
.LBB252_89:
	v_pk_max_f16 v43, v22, v22
	v_pk_max_f16 v68, v18, v18
	s_nop 0
	v_pk_min_f16 v43, v68, v43
	v_pk_max_f16 v68, v19, v19
	v_pk_add_f16 v43, v67, v43
	v_pk_max_f16 v67, v23, v23
	s_nop 0
	v_pk_min_f16 v67, v68, v67
	s_nop 0
	v_pk_add_f16 v43, v43, v67
	s_nop 0
	v_add_f16_sdwa v43, v43, v43 dst_sel:DWORD dst_unused:UNUSED_PAD src0_sel:DWORD src1_sel:WORD_1
	v_add_f16_e32 v67, v43, v42
	v_lshl_add_u64 v[42:43], v[26:27], 1, v[20:21]
	global_store_short v[42:43], v67, off
	s_or_b64 exec, exec, s[26:27]
	s_and_b64 s[28:29], s[6:7], s[18:19]
	s_and_saveexec_b64 s[26:27], s[28:29]
	s_cbranch_execz .LBB252_77
.LBB252_90:
	s_and_b64 vcc, exec, s[0:1]
	s_cbranch_vccnz .LBB252_92
; %bb.91:
	v_lshl_add_u64 v[42:43], v[28:29], 1, v[40:41]
	flat_load_ushort v42, v[42:43]
	s_waitcnt vmcnt(0) lgkmcnt(0)
	v_mul_f16_e32 v42, v44, v42
	s_branch .LBB252_93
.LBB252_92:
	v_mov_b32_e32 v42, 0
.LBB252_93:
	v_pk_max_f16 v43, v22, v22
	v_pk_max_f16 v67, v12, v12
	s_nop 0
	v_pk_min_f16 v43, v67, v43
	v_pk_max_f16 v67, v13, v13
	v_pk_add_f16 v43, v66, v43
	v_pk_max_f16 v66, v23, v23
	s_nop 0
	v_pk_min_f16 v66, v67, v66
	s_nop 0
	v_pk_add_f16 v43, v43, v66
	s_nop 0
	v_add_f16_sdwa v43, v43, v43 dst_sel:DWORD dst_unused:UNUSED_PAD src0_sel:DWORD src1_sel:WORD_1
	v_add_f16_e32 v66, v43, v42
	v_lshl_add_u64 v[42:43], v[28:29], 1, v[20:21]
	global_store_short v[42:43], v66, off
	s_or_b64 exec, exec, s[26:27]
	s_and_b64 s[28:29], s[8:9], s[18:19]
	s_and_saveexec_b64 s[26:27], s[28:29]
	s_cbranch_execz .LBB252_78
.LBB252_94:
	s_and_b64 vcc, exec, s[0:1]
	s_cbranch_vccnz .LBB252_96
; %bb.95:
	v_lshl_add_u64 v[42:43], v[30:31], 1, v[40:41]
	flat_load_ushort v42, v[42:43]
	s_waitcnt vmcnt(0) lgkmcnt(0)
	v_mul_f16_e32 v42, v44, v42
	s_branch .LBB252_97
.LBB252_96:
	v_mov_b32_e32 v42, 0
.LBB252_97:
	v_pk_max_f16 v43, v22, v22
	v_pk_max_f16 v66, v14, v14
	s_nop 0
	v_pk_min_f16 v43, v66, v43
	v_pk_max_f16 v66, v15, v15
	v_pk_add_f16 v43, v65, v43
	v_pk_max_f16 v65, v23, v23
	s_nop 0
	v_pk_min_f16 v65, v66, v65
	s_nop 0
	v_pk_add_f16 v43, v43, v65
	s_nop 0
	v_add_f16_sdwa v43, v43, v43 dst_sel:DWORD dst_unused:UNUSED_PAD src0_sel:DWORD src1_sel:WORD_1
	v_add_f16_e32 v65, v43, v42
	v_lshl_add_u64 v[42:43], v[30:31], 1, v[20:21]
	global_store_short v[42:43], v65, off
	s_or_b64 exec, exec, s[26:27]
	s_and_b64 s[28:29], s[10:11], s[18:19]
	s_and_saveexec_b64 s[26:27], s[28:29]
	s_cbranch_execz .LBB252_79
.LBB252_98:
	s_and_b64 vcc, exec, s[0:1]
	s_cbranch_vccnz .LBB252_100
; %bb.99:
	v_lshl_add_u64 v[42:43], v[32:33], 1, v[40:41]
	flat_load_ushort v42, v[42:43]
	s_waitcnt vmcnt(0) lgkmcnt(0)
	v_mul_f16_e32 v42, v44, v42
	s_branch .LBB252_101
.LBB252_100:
	v_mov_b32_e32 v42, 0
.LBB252_101:
	v_pk_max_f16 v43, v22, v22
	v_pk_max_f16 v65, v8, v8
	s_nop 0
	v_pk_min_f16 v43, v65, v43
	v_pk_max_f16 v65, v9, v9
	v_pk_add_f16 v43, v64, v43
	v_pk_max_f16 v64, v23, v23
	s_nop 0
	v_pk_min_f16 v64, v65, v64
	s_nop 0
	v_pk_add_f16 v43, v43, v64
	s_nop 0
	v_add_f16_sdwa v43, v43, v43 dst_sel:DWORD dst_unused:UNUSED_PAD src0_sel:DWORD src1_sel:WORD_1
	v_add_f16_e32 v64, v43, v42
	v_lshl_add_u64 v[42:43], v[32:33], 1, v[20:21]
	global_store_short v[42:43], v64, off
	s_or_b64 exec, exec, s[26:27]
	s_and_b64 s[28:29], s[12:13], s[18:19]
	s_and_saveexec_b64 s[26:27], s[28:29]
	s_cbranch_execz .LBB252_80
.LBB252_102:
	s_and_b64 vcc, exec, s[0:1]
	s_cbranch_vccnz .LBB252_104
; %bb.103:
	v_lshl_add_u64 v[42:43], v[34:35], 1, v[40:41]
	flat_load_ushort v42, v[42:43]
	s_waitcnt vmcnt(0) lgkmcnt(0)
	v_mul_f16_e32 v42, v44, v42
	s_branch .LBB252_105
.LBB252_104:
	v_mov_b32_e32 v42, 0
.LBB252_105:
	v_pk_max_f16 v43, v22, v22
	v_pk_max_f16 v64, v10, v10
	s_nop 0
	v_pk_min_f16 v43, v64, v43
	v_pk_max_f16 v64, v11, v11
	v_pk_add_f16 v43, v63, v43
	v_pk_max_f16 v63, v23, v23
	s_nop 0
	v_pk_min_f16 v63, v64, v63
	s_nop 0
	v_pk_add_f16 v43, v43, v63
	s_nop 0
	v_add_f16_sdwa v43, v43, v43 dst_sel:DWORD dst_unused:UNUSED_PAD src0_sel:DWORD src1_sel:WORD_1
	v_add_f16_e32 v63, v43, v42
	v_lshl_add_u64 v[42:43], v[34:35], 1, v[20:21]
	global_store_short v[42:43], v63, off
	s_or_b64 exec, exec, s[26:27]
	s_and_b64 s[28:29], s[14:15], s[18:19]
	s_and_saveexec_b64 s[26:27], s[28:29]
	s_cbranch_execz .LBB252_81
.LBB252_106:
	s_and_b64 vcc, exec, s[0:1]
	s_cbranch_vccnz .LBB252_108
; %bb.107:
	v_lshl_add_u64 v[42:43], v[36:37], 1, v[40:41]
	flat_load_ushort v42, v[42:43]
	s_waitcnt vmcnt(0) lgkmcnt(0)
	v_mul_f16_e32 v42, v44, v42
	s_branch .LBB252_109
.LBB252_108:
	v_mov_b32_e32 v42, 0
.LBB252_109:
	v_pk_max_f16 v43, v22, v22
	v_pk_max_f16 v63, v0, v0
	s_nop 0
	v_pk_min_f16 v43, v63, v43
	v_pk_max_f16 v63, v1, v1
	v_pk_add_f16 v43, v62, v43
	v_pk_max_f16 v62, v23, v23
	s_nop 0
	v_pk_min_f16 v62, v63, v62
	s_nop 0
	v_pk_add_f16 v43, v43, v62
	s_nop 0
	v_add_f16_sdwa v43, v43, v43 dst_sel:DWORD dst_unused:UNUSED_PAD src0_sel:DWORD src1_sel:WORD_1
	v_add_f16_e32 v62, v43, v42
	v_lshl_add_u64 v[42:43], v[36:37], 1, v[20:21]
	global_store_short v[42:43], v62, off
	s_or_b64 exec, exec, s[26:27]
	s_and_b64 s[26:27], s[16:17], s[18:19]
	s_and_saveexec_b64 s[18:19], s[26:27]
	s_cbranch_execz .LBB252_114
.LBB252_110:
	s_and_b64 vcc, exec, s[0:1]
	s_cbranch_vccnz .LBB252_112
; %bb.111:
	v_lshl_add_u64 v[40:41], v[38:39], 1, v[40:41]
	flat_load_ushort v40, v[40:41]
	s_waitcnt vmcnt(0) lgkmcnt(0)
	v_mul_f16_e32 v40, v44, v40
	s_branch .LBB252_113
.LBB252_112:
	v_mov_b32_e32 v40, 0
.LBB252_113:
	v_pk_max_f16 v22, v22, v22
	v_pk_max_f16 v41, v2, v2
	;; [unrolled: 1-line block ×3, first 2 shown]
	v_pk_min_f16 v22, v41, v22
	v_pk_max_f16 v41, v3, v3
	v_pk_add_f16 v22, v61, v22
	v_pk_min_f16 v23, v41, v23
	v_lshl_add_u64 v[20:21], v[38:39], 1, v[20:21]
	v_pk_add_f16 v22, v22, v23
	s_nop 0
	v_add_f16_sdwa v22, v22, v22 dst_sel:DWORD dst_unused:UNUSED_PAD src0_sel:DWORD src1_sel:WORD_1
	v_add_f16_e32 v22, v22, v40
	global_store_short v[20:21], v22, off
.LBB252_114:
	s_or_b64 exec, exec, s[18:19]
	v_add_u32_e32 v40, 64, v70
	v_mad_i64_i32 v[20:21], s[26:27], v40, s31, 0
	v_cmp_gt_i32_e64 s[18:19], s21, v40
	v_lshl_add_u64 v[22:23], v[20:21], 1, s[24:25]
	v_mad_i64_i32 v[20:21], s[26:27], v40, s30, 0
	v_lshl_add_u64 v[20:21], v[20:21], 1, s[22:23]
	s_and_b64 s[28:29], s[4:5], s[18:19]
	s_and_saveexec_b64 s[26:27], s[28:29]
	s_cbranch_execnz .LBB252_122
; %bb.115:
	s_or_b64 exec, exec, s[26:27]
	s_and_b64 s[28:29], s[2:3], s[18:19]
	s_and_saveexec_b64 s[26:27], s[28:29]
	s_cbranch_execnz .LBB252_126
.LBB252_116:
	s_or_b64 exec, exec, s[26:27]
	s_and_b64 s[28:29], s[6:7], s[18:19]
	s_and_saveexec_b64 s[26:27], s[28:29]
	s_cbranch_execnz .LBB252_130
.LBB252_117:
	s_or_b64 exec, exec, s[26:27]
	s_and_b64 s[28:29], s[8:9], s[18:19]
	s_and_saveexec_b64 s[26:27], s[28:29]
	s_cbranch_execnz .LBB252_134
.LBB252_118:
	s_or_b64 exec, exec, s[26:27]
	s_and_b64 s[28:29], s[10:11], s[18:19]
	s_and_saveexec_b64 s[26:27], s[28:29]
	s_cbranch_execnz .LBB252_138
.LBB252_119:
	s_or_b64 exec, exec, s[26:27]
	s_and_b64 s[28:29], s[12:13], s[18:19]
	s_and_saveexec_b64 s[26:27], s[28:29]
	s_cbranch_execnz .LBB252_142
.LBB252_120:
	s_or_b64 exec, exec, s[26:27]
	s_and_b64 s[28:29], s[14:15], s[18:19]
	s_and_saveexec_b64 s[26:27], s[28:29]
	s_cbranch_execnz .LBB252_146
.LBB252_121:
	s_or_b64 exec, exec, s[26:27]
	s_and_b64 s[26:27], s[16:17], s[18:19]
	s_and_saveexec_b64 s[18:19], s[26:27]
	s_cbranch_execnz .LBB252_150
	s_branch .LBB252_154
.LBB252_122:
	s_and_b64 vcc, exec, s[0:1]
	s_cbranch_vccnz .LBB252_124
; %bb.123:
	v_lshl_add_u64 v[40:41], v[24:25], 1, v[22:23]
	flat_load_ushort v40, v[40:41]
	s_waitcnt vmcnt(0) lgkmcnt(0)
	v_mul_f16_e32 v40, v44, v40
	s_branch .LBB252_125
.LBB252_124:
	v_mov_b32_e32 v40, 0
.LBB252_125:
	v_pk_max_f16 v41, v4, v4
	v_pk_max_f16 v42, v16, v16
	;; [unrolled: 1-line block ×3, first 2 shown]
	v_pk_min_f16 v41, v42, v41
	v_pk_max_f16 v42, v5, v5
	v_pk_add_f16 v41, v60, v41
	v_pk_min_f16 v42, v43, v42
	s_nop 0
	v_pk_add_f16 v41, v41, v42
	s_nop 0
	v_add_f16_sdwa v41, v41, v41 dst_sel:DWORD dst_unused:UNUSED_PAD src0_sel:DWORD src1_sel:WORD_1
	v_add_f16_e32 v42, v41, v40
	v_lshl_add_u64 v[40:41], v[24:25], 1, v[20:21]
	global_store_short v[40:41], v42, off
	s_or_b64 exec, exec, s[26:27]
	s_and_b64 s[28:29], s[2:3], s[18:19]
	s_and_saveexec_b64 s[26:27], s[28:29]
	s_cbranch_execz .LBB252_116
.LBB252_126:
	s_and_b64 vcc, exec, s[0:1]
	s_cbranch_vccnz .LBB252_128
; %bb.127:
	v_lshl_add_u64 v[40:41], v[26:27], 1, v[22:23]
	flat_load_ushort v40, v[40:41]
	s_waitcnt vmcnt(0) lgkmcnt(0)
	v_mul_f16_e32 v40, v44, v40
	s_branch .LBB252_129
.LBB252_128:
	v_mov_b32_e32 v40, 0
.LBB252_129:
	v_pk_max_f16 v41, v4, v4
	v_pk_max_f16 v42, v18, v18
	;; [unrolled: 1-line block ×3, first 2 shown]
	v_pk_min_f16 v41, v42, v41
	v_pk_max_f16 v42, v5, v5
	v_pk_add_f16 v41, v59, v41
	v_pk_min_f16 v42, v43, v42
	s_nop 0
	v_pk_add_f16 v41, v41, v42
	s_nop 0
	v_add_f16_sdwa v41, v41, v41 dst_sel:DWORD dst_unused:UNUSED_PAD src0_sel:DWORD src1_sel:WORD_1
	v_add_f16_e32 v42, v41, v40
	v_lshl_add_u64 v[40:41], v[26:27], 1, v[20:21]
	global_store_short v[40:41], v42, off
	s_or_b64 exec, exec, s[26:27]
	s_and_b64 s[28:29], s[6:7], s[18:19]
	s_and_saveexec_b64 s[26:27], s[28:29]
	s_cbranch_execz .LBB252_117
.LBB252_130:
	s_and_b64 vcc, exec, s[0:1]
	s_cbranch_vccnz .LBB252_132
; %bb.131:
	v_lshl_add_u64 v[40:41], v[28:29], 1, v[22:23]
	flat_load_ushort v40, v[40:41]
	s_waitcnt vmcnt(0) lgkmcnt(0)
	v_mul_f16_e32 v40, v44, v40
	s_branch .LBB252_133
.LBB252_132:
	v_mov_b32_e32 v40, 0
.LBB252_133:
	v_pk_max_f16 v41, v4, v4
	v_pk_max_f16 v42, v12, v12
	;; [unrolled: 1-line block ×3, first 2 shown]
	v_pk_min_f16 v41, v42, v41
	v_pk_max_f16 v42, v5, v5
	v_pk_add_f16 v41, v58, v41
	v_pk_min_f16 v42, v43, v42
	s_nop 0
	v_pk_add_f16 v41, v41, v42
	s_nop 0
	v_add_f16_sdwa v41, v41, v41 dst_sel:DWORD dst_unused:UNUSED_PAD src0_sel:DWORD src1_sel:WORD_1
	v_add_f16_e32 v42, v41, v40
	v_lshl_add_u64 v[40:41], v[28:29], 1, v[20:21]
	global_store_short v[40:41], v42, off
	s_or_b64 exec, exec, s[26:27]
	s_and_b64 s[28:29], s[8:9], s[18:19]
	s_and_saveexec_b64 s[26:27], s[28:29]
	s_cbranch_execz .LBB252_118
.LBB252_134:
	s_and_b64 vcc, exec, s[0:1]
	s_cbranch_vccnz .LBB252_136
; %bb.135:
	v_lshl_add_u64 v[40:41], v[30:31], 1, v[22:23]
	flat_load_ushort v40, v[40:41]
	s_waitcnt vmcnt(0) lgkmcnt(0)
	v_mul_f16_e32 v40, v44, v40
	s_branch .LBB252_137
.LBB252_136:
	v_mov_b32_e32 v40, 0
.LBB252_137:
	v_pk_max_f16 v41, v4, v4
	v_pk_max_f16 v42, v14, v14
	;; [unrolled: 1-line block ×3, first 2 shown]
	v_pk_min_f16 v41, v42, v41
	v_pk_max_f16 v42, v5, v5
	v_pk_add_f16 v41, v57, v41
	v_pk_min_f16 v42, v43, v42
	s_nop 0
	v_pk_add_f16 v41, v41, v42
	s_nop 0
	v_add_f16_sdwa v41, v41, v41 dst_sel:DWORD dst_unused:UNUSED_PAD src0_sel:DWORD src1_sel:WORD_1
	v_add_f16_e32 v42, v41, v40
	v_lshl_add_u64 v[40:41], v[30:31], 1, v[20:21]
	global_store_short v[40:41], v42, off
	s_or_b64 exec, exec, s[26:27]
	s_and_b64 s[28:29], s[10:11], s[18:19]
	s_and_saveexec_b64 s[26:27], s[28:29]
	s_cbranch_execz .LBB252_119
.LBB252_138:
	s_and_b64 vcc, exec, s[0:1]
	s_cbranch_vccnz .LBB252_140
; %bb.139:
	v_lshl_add_u64 v[40:41], v[32:33], 1, v[22:23]
	flat_load_ushort v40, v[40:41]
	s_waitcnt vmcnt(0) lgkmcnt(0)
	v_mul_f16_e32 v40, v44, v40
	s_branch .LBB252_141
.LBB252_140:
	v_mov_b32_e32 v40, 0
.LBB252_141:
	v_pk_max_f16 v41, v4, v4
	v_pk_max_f16 v42, v8, v8
	;; [unrolled: 1-line block ×3, first 2 shown]
	v_pk_min_f16 v41, v42, v41
	v_pk_max_f16 v42, v5, v5
	v_pk_add_f16 v41, v56, v41
	v_pk_min_f16 v42, v43, v42
	s_nop 0
	v_pk_add_f16 v41, v41, v42
	s_nop 0
	v_add_f16_sdwa v41, v41, v41 dst_sel:DWORD dst_unused:UNUSED_PAD src0_sel:DWORD src1_sel:WORD_1
	v_add_f16_e32 v42, v41, v40
	v_lshl_add_u64 v[40:41], v[32:33], 1, v[20:21]
	global_store_short v[40:41], v42, off
	s_or_b64 exec, exec, s[26:27]
	s_and_b64 s[28:29], s[12:13], s[18:19]
	s_and_saveexec_b64 s[26:27], s[28:29]
	s_cbranch_execz .LBB252_120
.LBB252_142:
	s_and_b64 vcc, exec, s[0:1]
	s_cbranch_vccnz .LBB252_144
; %bb.143:
	v_lshl_add_u64 v[40:41], v[34:35], 1, v[22:23]
	flat_load_ushort v40, v[40:41]
	s_waitcnt vmcnt(0) lgkmcnt(0)
	v_mul_f16_e32 v40, v44, v40
	s_branch .LBB252_145
.LBB252_144:
	v_mov_b32_e32 v40, 0
.LBB252_145:
	v_pk_max_f16 v41, v4, v4
	v_pk_max_f16 v42, v10, v10
	;; [unrolled: 1-line block ×3, first 2 shown]
	v_pk_min_f16 v41, v42, v41
	v_pk_max_f16 v42, v5, v5
	v_pk_add_f16 v41, v55, v41
	v_pk_min_f16 v42, v43, v42
	s_nop 0
	v_pk_add_f16 v41, v41, v42
	s_nop 0
	v_add_f16_sdwa v41, v41, v41 dst_sel:DWORD dst_unused:UNUSED_PAD src0_sel:DWORD src1_sel:WORD_1
	v_add_f16_e32 v42, v41, v40
	v_lshl_add_u64 v[40:41], v[34:35], 1, v[20:21]
	global_store_short v[40:41], v42, off
	s_or_b64 exec, exec, s[26:27]
	s_and_b64 s[28:29], s[14:15], s[18:19]
	s_and_saveexec_b64 s[26:27], s[28:29]
	s_cbranch_execz .LBB252_121
.LBB252_146:
	s_and_b64 vcc, exec, s[0:1]
	s_cbranch_vccnz .LBB252_148
; %bb.147:
	v_lshl_add_u64 v[40:41], v[36:37], 1, v[22:23]
	flat_load_ushort v40, v[40:41]
	s_waitcnt vmcnt(0) lgkmcnt(0)
	v_mul_f16_e32 v40, v44, v40
	s_branch .LBB252_149
.LBB252_148:
	v_mov_b32_e32 v40, 0
.LBB252_149:
	v_pk_max_f16 v41, v4, v4
	v_pk_max_f16 v42, v0, v0
	;; [unrolled: 1-line block ×3, first 2 shown]
	v_pk_min_f16 v41, v42, v41
	v_pk_max_f16 v42, v5, v5
	v_pk_add_f16 v41, v54, v41
	v_pk_min_f16 v42, v43, v42
	s_nop 0
	v_pk_add_f16 v41, v41, v42
	s_nop 0
	v_add_f16_sdwa v41, v41, v41 dst_sel:DWORD dst_unused:UNUSED_PAD src0_sel:DWORD src1_sel:WORD_1
	v_add_f16_e32 v42, v41, v40
	v_lshl_add_u64 v[40:41], v[36:37], 1, v[20:21]
	global_store_short v[40:41], v42, off
	s_or_b64 exec, exec, s[26:27]
	s_and_b64 s[26:27], s[16:17], s[18:19]
	s_and_saveexec_b64 s[18:19], s[26:27]
	s_cbranch_execz .LBB252_154
.LBB252_150:
	s_and_b64 vcc, exec, s[0:1]
	s_cbranch_vccnz .LBB252_152
; %bb.151:
	v_lshl_add_u64 v[22:23], v[38:39], 1, v[22:23]
	flat_load_ushort v22, v[22:23]
	s_waitcnt vmcnt(0) lgkmcnt(0)
	v_mul_f16_e32 v22, v44, v22
	s_branch .LBB252_153
.LBB252_152:
	v_mov_b32_e32 v22, 0
.LBB252_153:
	v_pk_max_f16 v4, v4, v4
	v_pk_max_f16 v23, v2, v2
	v_pk_max_f16 v5, v5, v5
	v_pk_min_f16 v4, v23, v4
	v_pk_max_f16 v23, v3, v3
	v_pk_add_f16 v4, v53, v4
	v_pk_min_f16 v5, v23, v5
	s_nop 0
	v_pk_add_f16 v4, v4, v5
	s_nop 0
	v_add_f16_sdwa v4, v4, v4 dst_sel:DWORD dst_unused:UNUSED_PAD src0_sel:DWORD src1_sel:WORD_1
	v_add_f16_e32 v22, v4, v22
	v_lshl_add_u64 v[4:5], v[38:39], 1, v[20:21]
	global_store_short v[4:5], v22, off
.LBB252_154:
	s_or_b64 exec, exec, s[18:19]
	v_add_u32_e32 v22, 0x60, v70
	v_cmp_gt_i32_e64 s[18:19], s21, v22
	v_mad_i64_i32 v[4:5], s[20:21], v22, s31, 0
	v_lshl_add_u64 v[20:21], v[4:5], 1, s[24:25]
	v_mad_i64_i32 v[4:5], s[20:21], v22, s30, 0
	v_lshl_add_u64 v[4:5], v[4:5], 1, s[22:23]
	s_and_b64 s[20:21], s[4:5], s[18:19]
	s_and_saveexec_b64 s[4:5], s[20:21]
	s_cbranch_execnz .LBB252_163
; %bb.155:
	s_or_b64 exec, exec, s[4:5]
	s_and_b64 s[4:5], s[2:3], s[18:19]
	s_and_saveexec_b64 s[2:3], s[4:5]
	s_cbranch_execnz .LBB252_167
.LBB252_156:
	s_or_b64 exec, exec, s[2:3]
	s_and_b64 s[4:5], s[6:7], s[18:19]
	s_and_saveexec_b64 s[2:3], s[4:5]
	s_cbranch_execnz .LBB252_171
.LBB252_157:
	s_or_b64 exec, exec, s[2:3]
	s_and_b64 s[4:5], s[8:9], s[18:19]
	s_and_saveexec_b64 s[2:3], s[4:5]
	s_cbranch_execnz .LBB252_175
.LBB252_158:
	s_or_b64 exec, exec, s[2:3]
	s_and_b64 s[4:5], s[10:11], s[18:19]
	s_and_saveexec_b64 s[2:3], s[4:5]
	s_cbranch_execnz .LBB252_179
.LBB252_159:
	s_or_b64 exec, exec, s[2:3]
	s_and_b64 s[4:5], s[12:13], s[18:19]
	s_and_saveexec_b64 s[2:3], s[4:5]
	s_cbranch_execnz .LBB252_183
.LBB252_160:
	s_or_b64 exec, exec, s[2:3]
	s_and_b64 s[4:5], s[14:15], s[18:19]
	s_and_saveexec_b64 s[2:3], s[4:5]
	s_cbranch_execnz .LBB252_187
.LBB252_161:
	s_or_b64 exec, exec, s[2:3]
	s_and_b64 s[2:3], s[16:17], s[18:19]
	s_and_saveexec_b64 s[4:5], s[2:3]
	s_cbranch_execnz .LBB252_191
.LBB252_162:
	s_endpgm
.LBB252_163:
	s_and_b64 vcc, exec, s[0:1]
	s_cbranch_vccnz .LBB252_165
; %bb.164:
	v_lshl_add_u64 v[22:23], v[24:25], 1, v[20:21]
	flat_load_ushort v22, v[22:23]
	s_waitcnt vmcnt(0) lgkmcnt(0)
	v_mul_f16_e32 v22, v44, v22
	s_branch .LBB252_166
.LBB252_165:
	v_mov_b32_e32 v22, 0
.LBB252_166:
	v_pk_max_f16 v23, v6, v6
	v_pk_max_f16 v16, v16, v16
	;; [unrolled: 1-line block ×3, first 2 shown]
	v_pk_min_f16 v16, v16, v23
	v_pk_max_f16 v23, v7, v7
	v_pk_add_f16 v16, v52, v16
	v_pk_min_f16 v17, v17, v23
	s_nop 0
	v_pk_add_f16 v16, v16, v17
	s_nop 0
	v_add_f16_sdwa v16, v16, v16 dst_sel:DWORD dst_unused:UNUSED_PAD src0_sel:DWORD src1_sel:WORD_1
	v_add_f16_e32 v22, v16, v22
	v_lshl_add_u64 v[16:17], v[24:25], 1, v[4:5]
	global_store_short v[16:17], v22, off
	s_or_b64 exec, exec, s[4:5]
	s_and_b64 s[4:5], s[2:3], s[18:19]
	s_and_saveexec_b64 s[2:3], s[4:5]
	s_cbranch_execz .LBB252_156
.LBB252_167:
	s_and_b64 vcc, exec, s[0:1]
	s_cbranch_vccnz .LBB252_169
; %bb.168:
	v_lshl_add_u64 v[16:17], v[26:27], 1, v[20:21]
	flat_load_ushort v16, v[16:17]
	s_waitcnt vmcnt(0) lgkmcnt(0)
	v_mul_f16_e32 v16, v44, v16
	s_branch .LBB252_170
.LBB252_169:
	v_mov_b32_e32 v16, 0
.LBB252_170:
	v_pk_max_f16 v17, v6, v6
	v_pk_max_f16 v18, v18, v18
	;; [unrolled: 1-line block ×3, first 2 shown]
	v_pk_min_f16 v17, v18, v17
	v_pk_max_f16 v18, v7, v7
	v_pk_add_f16 v17, v51, v17
	v_pk_min_f16 v18, v19, v18
	s_nop 0
	v_pk_add_f16 v17, v17, v18
	s_nop 0
	v_add_f16_sdwa v17, v17, v17 dst_sel:DWORD dst_unused:UNUSED_PAD src0_sel:DWORD src1_sel:WORD_1
	v_add_f16_e32 v18, v17, v16
	v_lshl_add_u64 v[16:17], v[26:27], 1, v[4:5]
	global_store_short v[16:17], v18, off
	s_or_b64 exec, exec, s[2:3]
	s_and_b64 s[4:5], s[6:7], s[18:19]
	s_and_saveexec_b64 s[2:3], s[4:5]
	s_cbranch_execz .LBB252_157
.LBB252_171:
	s_and_b64 vcc, exec, s[0:1]
	s_cbranch_vccnz .LBB252_173
; %bb.172:
	v_lshl_add_u64 v[16:17], v[28:29], 1, v[20:21]
	flat_load_ushort v16, v[16:17]
	s_waitcnt vmcnt(0) lgkmcnt(0)
	v_mul_f16_e32 v16, v44, v16
	s_branch .LBB252_174
.LBB252_173:
	v_mov_b32_e32 v16, 0
.LBB252_174:
	v_pk_max_f16 v17, v6, v6
	v_pk_max_f16 v12, v12, v12
	;; [unrolled: 1-line block ×3, first 2 shown]
	v_pk_min_f16 v12, v12, v17
	v_pk_max_f16 v17, v7, v7
	v_pk_add_f16 v12, v50, v12
	v_pk_min_f16 v13, v13, v17
	s_nop 0
	v_pk_add_f16 v12, v12, v13
	s_nop 0
	v_add_f16_sdwa v12, v12, v12 dst_sel:DWORD dst_unused:UNUSED_PAD src0_sel:DWORD src1_sel:WORD_1
	v_add_f16_e32 v16, v12, v16
	v_lshl_add_u64 v[12:13], v[28:29], 1, v[4:5]
	global_store_short v[12:13], v16, off
	s_or_b64 exec, exec, s[2:3]
	s_and_b64 s[4:5], s[8:9], s[18:19]
	s_and_saveexec_b64 s[2:3], s[4:5]
	s_cbranch_execz .LBB252_158
.LBB252_175:
	s_and_b64 vcc, exec, s[0:1]
	s_cbranch_vccnz .LBB252_177
; %bb.176:
	v_lshl_add_u64 v[12:13], v[30:31], 1, v[20:21]
	flat_load_ushort v12, v[12:13]
	s_waitcnt vmcnt(0) lgkmcnt(0)
	v_mul_f16_e32 v12, v44, v12
	s_branch .LBB252_178
.LBB252_177:
	v_mov_b32_e32 v12, 0
.LBB252_178:
	v_pk_max_f16 v13, v6, v6
	v_pk_max_f16 v14, v14, v14
	;; [unrolled: 1-line block ×3, first 2 shown]
	v_pk_min_f16 v13, v14, v13
	v_pk_max_f16 v14, v7, v7
	v_pk_add_f16 v13, v49, v13
	v_pk_min_f16 v14, v15, v14
	s_nop 0
	v_pk_add_f16 v13, v13, v14
	s_nop 0
	v_add_f16_sdwa v13, v13, v13 dst_sel:DWORD dst_unused:UNUSED_PAD src0_sel:DWORD src1_sel:WORD_1
	v_add_f16_e32 v14, v13, v12
	v_lshl_add_u64 v[12:13], v[30:31], 1, v[4:5]
	global_store_short v[12:13], v14, off
	s_or_b64 exec, exec, s[2:3]
	s_and_b64 s[4:5], s[10:11], s[18:19]
	s_and_saveexec_b64 s[2:3], s[4:5]
	s_cbranch_execz .LBB252_159
.LBB252_179:
	s_and_b64 vcc, exec, s[0:1]
	s_cbranch_vccnz .LBB252_181
; %bb.180:
	v_lshl_add_u64 v[12:13], v[32:33], 1, v[20:21]
	flat_load_ushort v12, v[12:13]
	s_waitcnt vmcnt(0) lgkmcnt(0)
	v_mul_f16_e32 v12, v44, v12
	s_branch .LBB252_182
.LBB252_181:
	v_mov_b32_e32 v12, 0
.LBB252_182:
	v_pk_max_f16 v13, v6, v6
	v_pk_max_f16 v8, v8, v8
	v_pk_max_f16 v9, v9, v9
	v_pk_min_f16 v8, v8, v13
	v_pk_max_f16 v13, v7, v7
	v_pk_add_f16 v8, v48, v8
	v_pk_min_f16 v9, v9, v13
	s_nop 0
	v_pk_add_f16 v8, v8, v9
	s_nop 0
	v_add_f16_sdwa v8, v8, v8 dst_sel:DWORD dst_unused:UNUSED_PAD src0_sel:DWORD src1_sel:WORD_1
	v_add_f16_e32 v12, v8, v12
	v_lshl_add_u64 v[8:9], v[32:33], 1, v[4:5]
	global_store_short v[8:9], v12, off
	s_or_b64 exec, exec, s[2:3]
	s_and_b64 s[4:5], s[12:13], s[18:19]
	s_and_saveexec_b64 s[2:3], s[4:5]
	s_cbranch_execz .LBB252_160
.LBB252_183:
	s_and_b64 vcc, exec, s[0:1]
	s_cbranch_vccnz .LBB252_185
; %bb.184:
	v_lshl_add_u64 v[8:9], v[34:35], 1, v[20:21]
	flat_load_ushort v8, v[8:9]
	s_waitcnt vmcnt(0) lgkmcnt(0)
	v_mul_f16_e32 v8, v44, v8
	s_branch .LBB252_186
.LBB252_185:
	v_mov_b32_e32 v8, 0
.LBB252_186:
	v_pk_max_f16 v9, v6, v6
	v_pk_max_f16 v10, v10, v10
	;; [unrolled: 1-line block ×3, first 2 shown]
	v_pk_min_f16 v9, v10, v9
	v_pk_max_f16 v10, v7, v7
	v_pk_add_f16 v9, v47, v9
	v_pk_min_f16 v10, v11, v10
	s_nop 0
	v_pk_add_f16 v9, v9, v10
	s_nop 0
	v_add_f16_sdwa v9, v9, v9 dst_sel:DWORD dst_unused:UNUSED_PAD src0_sel:DWORD src1_sel:WORD_1
	v_add_f16_e32 v10, v9, v8
	v_lshl_add_u64 v[8:9], v[34:35], 1, v[4:5]
	global_store_short v[8:9], v10, off
	s_or_b64 exec, exec, s[2:3]
	s_and_b64 s[4:5], s[14:15], s[18:19]
	s_and_saveexec_b64 s[2:3], s[4:5]
	s_cbranch_execz .LBB252_161
.LBB252_187:
	s_and_b64 vcc, exec, s[0:1]
	s_cbranch_vccnz .LBB252_189
; %bb.188:
	v_lshl_add_u64 v[8:9], v[36:37], 1, v[20:21]
	flat_load_ushort v8, v[8:9]
	s_waitcnt vmcnt(0) lgkmcnt(0)
	v_mul_f16_e32 v8, v44, v8
	s_branch .LBB252_190
.LBB252_189:
	v_mov_b32_e32 v8, 0
.LBB252_190:
	v_pk_max_f16 v9, v6, v6
	v_pk_max_f16 v0, v0, v0
	;; [unrolled: 1-line block ×3, first 2 shown]
	v_pk_min_f16 v0, v0, v9
	v_pk_max_f16 v9, v7, v7
	v_pk_add_f16 v0, v46, v0
	v_pk_min_f16 v1, v1, v9
	s_nop 0
	v_pk_add_f16 v0, v0, v1
	s_nop 0
	v_add_f16_sdwa v0, v0, v0 dst_sel:DWORD dst_unused:UNUSED_PAD src0_sel:DWORD src1_sel:WORD_1
	v_add_f16_e32 v8, v0, v8
	v_lshl_add_u64 v[0:1], v[36:37], 1, v[4:5]
	global_store_short v[0:1], v8, off
	s_or_b64 exec, exec, s[2:3]
	s_and_b64 s[2:3], s[16:17], s[18:19]
	s_and_saveexec_b64 s[4:5], s[2:3]
	s_cbranch_execz .LBB252_162
.LBB252_191:
	s_and_b64 vcc, exec, s[0:1]
	s_cbranch_vccnz .LBB252_193
; %bb.192:
	v_lshl_add_u64 v[0:1], v[38:39], 1, v[20:21]
	flat_load_ushort v0, v[0:1]
	s_waitcnt vmcnt(0) lgkmcnt(0)
	v_mul_f16_e32 v0, v44, v0
	s_branch .LBB252_194
.LBB252_193:
	v_mov_b32_e32 v0, 0
.LBB252_194:
	v_pk_max_f16 v1, v6, v6
	v_pk_max_f16 v2, v2, v2
	;; [unrolled: 1-line block ×3, first 2 shown]
	v_pk_min_f16 v1, v2, v1
	v_pk_max_f16 v2, v7, v7
	v_pk_add_f16 v1, v45, v1
	v_pk_min_f16 v2, v3, v2
	s_nop 0
	v_pk_add_f16 v1, v1, v2
	s_nop 0
	v_add_f16_sdwa v1, v1, v1 dst_sel:DWORD dst_unused:UNUSED_PAD src0_sel:DWORD src1_sel:WORD_1
	v_add_f16_e32 v2, v1, v0
	v_lshl_add_u64 v[0:1], v[38:39], 1, v[4:5]
	global_store_short v[0:1], v2, off
	s_endpgm
	.section	.rodata,"a",@progbits
	.p2align	6, 0x0
	.amdhsa_kernel _ZN12_GLOBAL__N_120geam_min_plus_kernelIDF16_Dv2_DF16_S1_Li8ELi32ELi64ELi128ELi4ELi4ELi64ELi64ELi4ELc84ELc84ELb0ELb1ELb0EPKDF16_KS3_KPDF16_EEviiiT16_PT17_ilS9_ilS7_S9_ilPT18_ili26rocblas_geam_ex_operation_
		.amdhsa_group_segment_fixed_size 3072
		.amdhsa_private_segment_fixed_size 0
		.amdhsa_kernarg_size 136
		.amdhsa_user_sgpr_count 2
		.amdhsa_user_sgpr_dispatch_ptr 0
		.amdhsa_user_sgpr_queue_ptr 0
		.amdhsa_user_sgpr_kernarg_segment_ptr 1
		.amdhsa_user_sgpr_dispatch_id 0
		.amdhsa_user_sgpr_kernarg_preload_length 0
		.amdhsa_user_sgpr_kernarg_preload_offset 0
		.amdhsa_user_sgpr_private_segment_size 0
		.amdhsa_uses_dynamic_stack 0
		.amdhsa_enable_private_segment 0
		.amdhsa_system_sgpr_workgroup_id_x 1
		.amdhsa_system_sgpr_workgroup_id_y 0
		.amdhsa_system_sgpr_workgroup_id_z 1
		.amdhsa_system_sgpr_workgroup_info 0
		.amdhsa_system_vgpr_workitem_id 1
		.amdhsa_next_free_vgpr 121
		.amdhsa_next_free_sgpr 38
		.amdhsa_accum_offset 124
		.amdhsa_reserve_vcc 1
		.amdhsa_float_round_mode_32 0
		.amdhsa_float_round_mode_16_64 0
		.amdhsa_float_denorm_mode_32 3
		.amdhsa_float_denorm_mode_16_64 3
		.amdhsa_dx10_clamp 1
		.amdhsa_ieee_mode 1
		.amdhsa_fp16_overflow 0
		.amdhsa_tg_split 0
		.amdhsa_exception_fp_ieee_invalid_op 0
		.amdhsa_exception_fp_denorm_src 0
		.amdhsa_exception_fp_ieee_div_zero 0
		.amdhsa_exception_fp_ieee_overflow 0
		.amdhsa_exception_fp_ieee_underflow 0
		.amdhsa_exception_fp_ieee_inexact 0
		.amdhsa_exception_int_div_zero 0
	.end_amdhsa_kernel
	.section	.text._ZN12_GLOBAL__N_120geam_min_plus_kernelIDF16_Dv2_DF16_S1_Li8ELi32ELi64ELi128ELi4ELi4ELi64ELi64ELi4ELc84ELc84ELb0ELb1ELb0EPKDF16_KS3_KPDF16_EEviiiT16_PT17_ilS9_ilS7_S9_ilPT18_ili26rocblas_geam_ex_operation_,"axG",@progbits,_ZN12_GLOBAL__N_120geam_min_plus_kernelIDF16_Dv2_DF16_S1_Li8ELi32ELi64ELi128ELi4ELi4ELi64ELi64ELi4ELc84ELc84ELb0ELb1ELb0EPKDF16_KS3_KPDF16_EEviiiT16_PT17_ilS9_ilS7_S9_ilPT18_ili26rocblas_geam_ex_operation_,comdat
.Lfunc_end252:
	.size	_ZN12_GLOBAL__N_120geam_min_plus_kernelIDF16_Dv2_DF16_S1_Li8ELi32ELi64ELi128ELi4ELi4ELi64ELi64ELi4ELc84ELc84ELb0ELb1ELb0EPKDF16_KS3_KPDF16_EEviiiT16_PT17_ilS9_ilS7_S9_ilPT18_ili26rocblas_geam_ex_operation_, .Lfunc_end252-_ZN12_GLOBAL__N_120geam_min_plus_kernelIDF16_Dv2_DF16_S1_Li8ELi32ELi64ELi128ELi4ELi4ELi64ELi64ELi4ELc84ELc84ELb0ELb1ELb0EPKDF16_KS3_KPDF16_EEviiiT16_PT17_ilS9_ilS7_S9_ilPT18_ili26rocblas_geam_ex_operation_
                                        ; -- End function
	.section	.AMDGPU.csdata,"",@progbits
; Kernel info:
; codeLenInByte = 11316
; NumSgprs: 44
; NumVgprs: 121
; NumAgprs: 0
; TotalNumVgprs: 121
; ScratchSize: 0
; MemoryBound: 0
; FloatMode: 240
; IeeeMode: 1
; LDSByteSize: 3072 bytes/workgroup (compile time only)
; SGPRBlocks: 5
; VGPRBlocks: 15
; NumSGPRsForWavesPerEU: 44
; NumVGPRsForWavesPerEU: 121
; AccumOffset: 124
; Occupancy: 4
; WaveLimiterHint : 1
; COMPUTE_PGM_RSRC2:SCRATCH_EN: 0
; COMPUTE_PGM_RSRC2:USER_SGPR: 2
; COMPUTE_PGM_RSRC2:TRAP_HANDLER: 0
; COMPUTE_PGM_RSRC2:TGID_X_EN: 1
; COMPUTE_PGM_RSRC2:TGID_Y_EN: 0
; COMPUTE_PGM_RSRC2:TGID_Z_EN: 1
; COMPUTE_PGM_RSRC2:TIDIG_COMP_CNT: 1
; COMPUTE_PGM_RSRC3_GFX90A:ACCUM_OFFSET: 30
; COMPUTE_PGM_RSRC3_GFX90A:TG_SPLIT: 0
	.section	.text._ZN12_GLOBAL__N_120geam_min_plus_kernelIDF16_Dv2_DF16_S1_Li8ELi32ELi64ELi128ELi4ELi4ELi64ELi64ELi4ELc84ELc84ELb1ELb1ELb0EDF16_KPKDF16_KPDF16_EEviiiT16_PT17_ilS9_ilS7_S9_ilPT18_ili26rocblas_geam_ex_operation_,"axG",@progbits,_ZN12_GLOBAL__N_120geam_min_plus_kernelIDF16_Dv2_DF16_S1_Li8ELi32ELi64ELi128ELi4ELi4ELi64ELi64ELi4ELc84ELc84ELb1ELb1ELb0EDF16_KPKDF16_KPDF16_EEviiiT16_PT17_ilS9_ilS7_S9_ilPT18_ili26rocblas_geam_ex_operation_,comdat
	.globl	_ZN12_GLOBAL__N_120geam_min_plus_kernelIDF16_Dv2_DF16_S1_Li8ELi32ELi64ELi128ELi4ELi4ELi64ELi64ELi4ELc84ELc84ELb1ELb1ELb0EDF16_KPKDF16_KPDF16_EEviiiT16_PT17_ilS9_ilS7_S9_ilPT18_ili26rocblas_geam_ex_operation_ ; -- Begin function _ZN12_GLOBAL__N_120geam_min_plus_kernelIDF16_Dv2_DF16_S1_Li8ELi32ELi64ELi128ELi4ELi4ELi64ELi64ELi4ELc84ELc84ELb1ELb1ELb0EDF16_KPKDF16_KPDF16_EEviiiT16_PT17_ilS9_ilS7_S9_ilPT18_ili26rocblas_geam_ex_operation_
	.p2align	8
	.type	_ZN12_GLOBAL__N_120geam_min_plus_kernelIDF16_Dv2_DF16_S1_Li8ELi32ELi64ELi128ELi4ELi4ELi64ELi64ELi4ELc84ELc84ELb1ELb1ELb0EDF16_KPKDF16_KPDF16_EEviiiT16_PT17_ilS9_ilS7_S9_ilPT18_ili26rocblas_geam_ex_operation_,@function
_ZN12_GLOBAL__N_120geam_min_plus_kernelIDF16_Dv2_DF16_S1_Li8ELi32ELi64ELi128ELi4ELi4ELi64ELi64ELi4ELc84ELc84ELb1ELb1ELb0EDF16_KPKDF16_KPDF16_EEviiiT16_PT17_ilS9_ilS7_S9_ilPT18_ili26rocblas_geam_ex_operation_: ; @_ZN12_GLOBAL__N_120geam_min_plus_kernelIDF16_Dv2_DF16_S1_Li8ELi32ELi64ELi128ELi4ELi4ELi64ELi64ELi4ELc84ELc84ELb1ELb1ELb0EDF16_KPKDF16_KPDF16_EEviiiT16_PT17_ilS9_ilS7_S9_ilPT18_ili26rocblas_geam_ex_operation_
; %bb.0:
	s_load_dwordx4 s[20:23], s[0:1], 0x0
	s_load_dwordx4 s[4:7], s[0:1], 0x20
	s_mov_b32 s10, s3
	s_mov_b32 s11, 0
	s_waitcnt lgkmcnt(0)
	v_cmp_eq_f16_e64 s[8:9], s23, 0
	s_and_b64 vcc, exec, s[8:9]
	s_cbranch_vccnz .LBB253_3
; %bb.1:
	s_load_dwordx2 s[12:13], s[0:1], 0x10
	s_lshl_b64 s[14:15], s[10:11], 3
	s_waitcnt lgkmcnt(0)
	s_add_u32 s12, s12, s14
	s_addc_u32 s13, s13, s15
	s_load_dwordx2 s[12:13], s[12:13], 0x0
	s_lshl_b64 s[4:5], s[4:5], 1
	s_waitcnt lgkmcnt(0)
	s_add_u32 s12, s12, s4
	s_addc_u32 s13, s13, s5
	s_andn2_b64 vcc, exec, s[8:9]
	s_cbranch_vccnz .LBB253_4
.LBB253_2:
	s_mov_b64 s[14:15], 0
	s_cbranch_execz .LBB253_5
	s_branch .LBB253_6
.LBB253_3:
	s_mov_b64 s[12:13], 0
	s_andn2_b64 vcc, exec, s[8:9]
	s_cbranch_vccz .LBB253_2
.LBB253_4:
                                        ; implicit-def: $sgpr14_sgpr15
.LBB253_5:
	s_lshl_b64 s[8:9], s[10:11], 3
	s_add_u32 s6, s6, s8
	s_load_dwordx2 s[4:5], s[0:1], 0x38
	s_addc_u32 s7, s7, s9
	s_load_dwordx2 s[6:7], s[6:7], 0x0
	s_waitcnt lgkmcnt(0)
	s_lshl_b64 s[4:5], s[4:5], 1
	s_add_u32 s14, s6, s4
	s_addc_u32 s15, s7, s5
.LBB253_6:
	s_load_dword s28, s[0:1], 0x40
	s_load_dwordx4 s[4:7], s[0:1], 0x58
	s_waitcnt lgkmcnt(0)
	v_cmp_eq_f16_e64 s[16:17], s28, 0
	v_cmp_neq_f16_e64 s[8:9], s28, 0
	s_and_b64 vcc, exec, s[16:17]
	s_cbranch_vccnz .LBB253_8
; %bb.7:
	s_load_dwordx2 s[16:17], s[0:1], 0x48
	s_lshl_b64 s[18:19], s[10:11], 3
	s_waitcnt lgkmcnt(0)
	s_add_u32 s16, s16, s18
	s_addc_u32 s17, s17, s19
	s_load_dwordx2 s[16:17], s[16:17], 0x0
	s_lshl_b64 s[4:5], s[4:5], 1
	s_waitcnt lgkmcnt(0)
	s_add_u32 s24, s16, s4
	s_addc_u32 s25, s17, s5
	s_branch .LBB253_9
.LBB253_8:
	s_mov_b64 s[24:25], 0
.LBB253_9:
	s_lshl_b64 s[4:5], s[10:11], 3
	s_add_u32 s4, s6, s4
	s_addc_u32 s5, s7, s5
	s_add_i32 s3, s20, -1
	s_ashr_i32 s6, s3, 31
	s_lshr_b32 s6, s6, 26
	s_add_i32 s3, s3, s6
	s_ashr_i32 s3, s3, 6
	s_add_i32 s10, s3, 1
	v_cvt_f32_u32_e32 v1, s10
	v_and_b32_e32 v34, 0x3ff, v0
	v_bfe_u32 v35, v0, 10, 10
	s_load_dwordx2 s[6:7], s[4:5], 0x0
	v_rcp_iflag_f32_e32 v1, v1
	s_not_b32 s3, s3
	v_lshl_add_u32 v2, v35, 3, v34
	s_load_dword s23, s[0:1], 0x18
	v_mul_f32_e32 v0, 0x4f7ffffe, v1
	v_cvt_u32_f32_e32 v0, v0
	v_lshrrev_b32_e32 v9, 2, v2
	v_and_b32_e32 v36, 3, v34
	v_cmp_gt_i32_e32 vcc, s22, v36
	v_readfirstlane_b32 s4, v0
	s_mul_i32 s3, s3, s4
	s_mul_hi_u32 s3, s4, s3
	s_add_i32 s4, s4, s3
	s_mul_hi_u32 s3, s2, s4
	s_mul_i32 s4, s3, s10
	s_sub_i32 s4, s2, s4
	s_add_i32 s5, s3, 1
	s_sub_i32 s11, s4, s10
	s_cmp_ge_u32 s4, s10
	s_cselect_b32 s3, s5, s3
	s_cselect_b32 s4, s11, s4
	s_add_i32 s5, s3, 1
	s_cmp_ge_u32 s4, s10
	s_cselect_b32 s4, s5, s3
	s_mul_i32 s3, s4, s10
	s_sub_i32 s2, s2, s3
	s_lshl_b32 s26, s2, 6
	v_add_u32_e32 v6, s26, v9
	v_cmp_le_i32_e64 s[2:3], s20, v6
	s_xor_b64 s[10:11], s[2:3], -1
	s_and_b64 s[16:17], vcc, s[10:11]
	v_mov_b32_e32 v10, 0
	v_lshlrev_b32_e32 v0, 1, v36
	v_mov_b32_e32 v11, 0
	s_and_saveexec_b64 s[2:3], s[16:17]
	s_cbranch_execz .LBB253_11
; %bb.10:
	s_waitcnt lgkmcnt(0)
	v_mad_i64_i32 v[4:5], s[16:17], v6, s23, 0
	v_lshl_add_u64 v[4:5], v[4:5], 1, s[12:13]
	v_mov_b32_e32 v1, 0
	v_lshl_add_u64 v[4:5], v[4:5], 0, v[0:1]
	flat_load_ushort v11, v[4:5]
.LBB253_11:
	s_or_b64 exec, exec, s[2:3]
	s_load_dword s16, s[0:1], 0x30
	v_and_b32_e32 v12, 63, v2
	s_lshl_b32 s27, s4, 7
	v_lshrrev_b32_e32 v38, 6, v2
	v_or_b32_e32 v2, s27, v12
	v_cmp_le_i32_e64 s[4:5], s22, v38
	s_waitcnt lgkmcnt(0)
	v_mad_i64_i32 v[4:5], s[2:3], s16, v38, 0
	v_cmp_le_i32_e32 vcc, s21, v2
	s_or_b64 s[2:3], vcc, s[4:5]
	s_ashr_i32 s17, s16, 31
	v_lshl_add_u64 v[4:5], v[4:5], 1, s[14:15]
	s_xor_b64 s[18:19], s[2:3], -1
	v_ashrrev_i32_e32 v3, 31, v2
	s_and_saveexec_b64 s[2:3], s[18:19]
	s_cbranch_execz .LBB253_13
; %bb.12:
	v_lshl_add_u64 v[14:15], v[2:3], 1, v[4:5]
	flat_load_ushort v10, v[14:15]
.LBB253_13:
	s_or_b64 exec, exec, s[2:3]
	v_or_b32_e32 v1, 64, v2
	v_cmp_le_i32_e64 s[2:3], s21, v1
	s_or_b64 s[4:5], s[2:3], s[4:5]
	s_xor_b64 s[18:19], s[4:5], -1
	v_mov_b32_e32 v1, 0
	v_mov_b32_e32 v13, 0
	s_and_saveexec_b64 s[4:5], s[18:19]
	s_cbranch_execz .LBB253_15
; %bb.14:
	v_lshl_add_u64 v[4:5], v[2:3], 1, v[4:5]
	flat_load_ushort v13, v[4:5] offset:128
.LBB253_15:
	s_or_b64 exec, exec, s[4:5]
	v_or_b32_e32 v4, 4, v36
	v_cmp_gt_i32_e64 s[4:5], s22, v4
	s_and_b64 s[18:19], s[4:5], s[10:11]
	s_and_saveexec_b64 s[4:5], s[18:19]
	s_cbranch_execz .LBB253_17
; %bb.16:
	v_mad_i64_i32 v[4:5], s[18:19], v6, s23, 0
	v_lshl_add_u64 v[4:5], v[4:5], 1, s[12:13]
	v_mov_b32_e32 v1, 0
	v_lshl_add_u64 v[4:5], v[4:5], 0, v[0:1]
	flat_load_ushort v1, v[4:5] offset:8
.LBB253_17:
	s_or_b64 exec, exec, s[4:5]
	v_add_u32_e32 v4, 4, v38
	v_cmp_le_i32_e64 s[4:5], s22, v4
	v_mad_i64_i32 v[4:5], s[18:19], s16, v4, 0
	s_or_b64 s[18:19], vcc, s[4:5]
	v_lshl_add_u64 v[4:5], v[4:5], 1, s[14:15]
	s_xor_b64 s[30:31], s[18:19], -1
	v_mov_b32_e32 v7, 0
	v_mov_b32_e32 v8, 0
	s_and_saveexec_b64 s[18:19], s[30:31]
	s_cbranch_execz .LBB253_19
; %bb.18:
	v_lshl_add_u64 v[14:15], v[2:3], 1, v[4:5]
	flat_load_ushort v8, v[14:15]
.LBB253_19:
	s_or_b64 exec, exec, s[18:19]
	s_or_b64 s[4:5], s[2:3], s[4:5]
	s_xor_b64 s[18:19], s[4:5], -1
	s_and_saveexec_b64 s[4:5], s[18:19]
	s_cbranch_execz .LBB253_21
; %bb.20:
	v_lshl_add_u64 v[4:5], v[2:3], 1, v[4:5]
	flat_load_ushort v7, v[4:5] offset:128
.LBB253_21:
	s_or_b64 exec, exec, s[4:5]
	v_lshlrev_b32_e32 v5, 1, v38
	v_lshl_or_b32 v4, v9, 3, v0
	v_lshl_add_u32 v40, v12, 3, v5
	v_lshlrev_b32_e32 v39, 3, v34
	v_lshlrev_b32_e32 v37, 3, v35
	s_waitcnt vmcnt(0)
	ds_write_b16 v4, v11 offset:2048
	s_waitcnt lgkmcnt(0)
	ds_write_b16 v40, v10
	ds_write_b16 v40, v13 offset:512
	s_waitcnt lgkmcnt(0)
	s_barrier
	ds_read2_b64 v[10:13], v37 offset1:32
	v_add_u32_e32 v41, 0x800, v39
	ds_read2_b64 v[14:17], v41 offset0:48 offset1:56
	ds_read2_b64 v[18:21], v37 offset0:64 offset1:96
	ds_read2_b64 v[22:25], v41 offset1:8
	ds_read2_b64 v[26:29], v41 offset0:16 offset1:24
	ds_read2_b64 v[30:33], v41 offset0:32 offset1:40
	s_waitcnt lgkmcnt(5)
	v_pk_max_f16 v5, v10, v10
	s_waitcnt lgkmcnt(4)
	v_pk_max_f16 v9, v16, v16
	v_pk_max_f16 v12, v12, v12
	v_pk_min_f16 v10, v9, v5
	s_waitcnt lgkmcnt(3)
	v_pk_max_f16 v16, v18, v18
	s_waitcnt lgkmcnt(2)
	v_pk_max_f16 v18, v22, v22
	v_pk_max_f16 v20, v20, v20
	v_pk_max_f16 v24, v24, v24
	s_waitcnt lgkmcnt(1)
	v_pk_max_f16 v26, v26, v26
	v_pk_max_f16 v28, v28, v28
	;; [unrolled: 4-line block ×3, first 2 shown]
	v_pk_max_f16 v14, v14, v14
	v_pk_max_f16 v17, v17, v17
	v_pk_min_f16 v22, v18, v5
	v_pk_min_f16 v42, v18, v12
	;; [unrolled: 1-line block ×16, first 2 shown]
	v_pk_max_f16 v13, v13, v13
	v_pk_min_f16 v56, v30, v5
	v_pk_min_f16 v61, v30, v12
	;; [unrolled: 1-line block ×15, first 2 shown]
	v_pk_add_f16 v10, v10, 0
	v_pk_min_f16 v20, v17, v11
	v_pk_max_f16 v19, v19, v19
	v_pk_add_f16 v68, v10, v20
	v_pk_add_f16 v10, v50, 0
	v_pk_min_f16 v20, v17, v13
	v_pk_max_f16 v23, v23, v23
	v_pk_add_f16 v60, v10, v20
	;; [unrolled: 4-line block ×6, first 2 shown]
	v_pk_add_f16 v10, v18, 0
	v_pk_min_f16 v18, v23, v21
	v_pk_add_f16 v20, v54, 0
	v_pk_add_f16 v51, v10, v18
	v_pk_add_f16 v10, v44, 0
	v_pk_min_f16 v18, v25, v11
	v_pk_add_f16 v22, v55, 0
	v_pk_add_f16 v75, v10, v18
	;; [unrolled: 4-line block ×7, first 2 shown]
	v_pk_add_f16 v10, v49, 0
	v_pk_min_f16 v18, v27, v19
	v_pk_min_f16 v27, v27, v21
	v_pk_add_f16 v57, v10, v18
	v_pk_add_f16 v10, v26, 0
	;; [unrolled: 1-line block ×4, first 2 shown]
	v_pk_min_f16 v10, v29, v11
	v_pk_add_f16 v30, v63, 0
	v_pk_add_f16 v73, v18, v10
	v_pk_min_f16 v10, v29, v13
	v_pk_add_f16 v26, v62, 0
	v_pk_add_f16 v64, v20, v10
	;; [unrolled: 3-line block ×4, first 2 shown]
	v_pk_max_f16 v10, v31, v31
	v_pk_add_f16 v12, v12, 0
	v_pk_min_f16 v18, v10, v11
	v_pk_add_f16 v16, v16, 0
	v_pk_add_f16 v72, v24, v18
	v_pk_min_f16 v18, v10, v13
	v_pk_add_f16 v14, v14, 0
	v_pk_add_f16 v63, v25, v18
	v_pk_min_f16 v18, v10, v19
	v_pk_min_f16 v10, v10, v21
	v_pk_add_f16 v55, v26, v18
	v_pk_add_f16 v47, v28, v10
	v_pk_max_f16 v10, v33, v33
	v_pk_add_f16 v43, v69, 0
	v_pk_min_f16 v18, v10, v11
	v_pk_add_f16 v9, v9, 0
	v_pk_add_f16 v71, v30, v18
	v_pk_min_f16 v18, v10, v13
	s_mov_b32 s18, 0
	v_pk_add_f16 v62, v42, v18
	v_pk_min_f16 v18, v10, v19
	v_pk_min_f16 v10, v10, v21
	v_pk_add_f16 v54, v43, v18
	v_pk_add_f16 v46, v32, v10
	v_pk_max_f16 v10, v15, v15
	s_cmp_lt_i32 s22, 9
	v_pk_min_f16 v11, v10, v11
	ds_write_b16 v4, v1 offset:2560
	ds_write_b16 v40, v8 offset:1024
	;; [unrolled: 1-line block ×3, first 2 shown]
	v_pk_add_f16 v70, v5, v11
	v_pk_min_f16 v5, v10, v13
	s_waitcnt lgkmcnt(0)
	v_pk_add_f16 v61, v12, v5
	v_pk_min_f16 v5, v10, v19
	s_barrier
	v_pk_add_f16 v53, v16, v5
	v_pk_min_f16 v5, v10, v21
	s_nop 0
	v_pk_add_f16 v45, v14, v5
	v_pk_min_f16 v5, v17, v21
	s_nop 0
	v_pk_add_f16 v44, v9, v5
	s_cbranch_scc1 .LBB253_36
; %bb.22:
	v_mov_b32_e32 v1, 0xa00
	v_lshl_add_u32 v77, v34, 3, v1
	v_mov_b32_e32 v1, 0x400
	v_lshl_add_u32 v78, v35, 3, v1
	v_add_u32_e32 v1, 8, v38
	v_add_u32_e32 v42, 0x800, v4
	;; [unrolled: 1-line block ×3, first 2 shown]
	v_mad_i64_i32 v[4:5], s[4:5], v1, s16, 0
	v_lshl_add_u64 v[26:27], v[2:3], 1, s[14:15]
	v_mad_i64_i32 v[2:3], s[4:5], s23, v6, 0
	v_mov_b32_e32 v1, 0
	v_lshl_add_u64 v[0:1], v[2:3], 1, v[0:1]
	v_lshl_add_u64 v[0:1], v[0:1], 0, s[12:13]
	;; [unrolled: 1-line block ×3, first 2 shown]
	v_add_u32_e32 v0, 12, v38
	v_mad_i64_i32 v[0:1], s[4:5], v0, s16, 0
	v_or_b32_e32 v69, 0x400, v40
	s_add_i32 s19, s22, -8
	v_lshlrev_b64 v[24:25], 1, v[4:5]
	s_lshl_b64 s[14:15], s[16:17], 4
	v_lshlrev_b64 v[30:31], 1, v[0:1]
	s_branch .LBB253_24
.LBB253_23:                             ;   in Loop: Header=BB253_24 Depth=1
	s_or_b64 exec, exec, s[4:5]
	v_pk_add_f16 v20, v60, v20
	v_pk_add_f16 v12, v52, v12
	;; [unrolled: 1-line block ×19, first 2 shown]
	ds_read2_b64 v[6:9], v41 offset0:48 offset1:56
	ds_read2_b64 v[10:13], v37 offset1:32
	v_pk_add_f16 v2, v68, v2
	v_pk_add_f16 v32, v59, v81
	;; [unrolled: 1-line block ×4, first 2 shown]
	s_waitcnt lgkmcnt(0)
	v_pk_max_f16 v8, v8, v8
	v_pk_max_f16 v10, v10, v10
	v_pk_add_f16 v16, v76, v16
	v_pk_add_f16 v59, v63, v91
	;; [unrolled: 1-line block ×9, first 2 shown]
	ds_read2_b64 v[2:5], v37 offset0:64 offset1:96
	v_pk_min_f16 v14, v8, v10
	v_pk_add_f16 v58, v64, v88
	v_pk_add_f16 v64, v16, v17
	;; [unrolled: 1-line block ×4, first 2 shown]
	ds_read2_b64 v[14:17], v41 offset1:8
	v_pk_max_f16 v12, v12, v12
	s_waitcnt lgkmcnt(0)
	v_pk_max_f16 v2, v2, v2
	v_pk_min_f16 v63, v8, v12
	v_pk_add_f16 v60, v62, v94
	v_pk_add_f16 v63, v20, v63
	v_pk_min_f16 v20, v8, v2
	v_pk_max_f16 v14, v14, v14
	v_pk_add_f16 v62, v70, v97
	v_pk_add_f16 v70, v21, v20
	v_pk_min_f16 v20, v14, v10
	v_pk_max_f16 v4, v4, v4
	v_pk_add_f16 v64, v64, v20
	v_pk_min_f16 v20, v14, v12
	v_pk_max_f16 v16, v16, v16
	v_pk_add_f16 v22, v22, v20
	v_pk_min_f16 v20, v14, v2
	v_pk_min_f16 v14, v14, v4
	v_pk_add_f16 v23, v23, v20
	v_pk_min_f16 v20, v16, v10
	v_pk_add_f16 v14, v32, v14
	v_pk_add_f16 v32, v18, v20
	v_pk_min_f16 v18, v16, v12
	v_pk_add_f16 v50, v50, v84
	v_pk_add_f16 v71, v19, v18
	ds_read2_b64 v[18:21], v41 offset0:16 offset1:24
	v_pk_add_f16 v50, v50, v105
	v_pk_min_f16 v68, v16, v2
	v_pk_min_f16 v16, v16, v4
	v_pk_add_f16 v49, v49, v87
	s_waitcnt lgkmcnt(0)
	v_pk_max_f16 v18, v18, v18
	v_pk_add_f16 v16, v50, v16
	v_pk_min_f16 v50, v18, v10
	v_pk_add_f16 v52, v52, v106
	v_pk_add_f16 v72, v51, v50
	v_pk_min_f16 v50, v18, v12
	ds_read2_b64 v[82:85], v41 offset0:32 offset1:40
	v_pk_add_f16 v49, v49, v108
	v_pk_add_f16 v73, v52, v50
	v_pk_min_f16 v50, v18, v2
	v_pk_min_f16 v18, v18, v4
	v_pk_max_f16 v20, v20, v20
	v_pk_add_f16 v18, v49, v18
	v_pk_min_f16 v49, v20, v10
	v_pk_add_f16 v48, v48, v90
	v_pk_add_f16 v58, v58, v109
	;; [unrolled: 1-line block ×3, first 2 shown]
	v_pk_min_f16 v49, v20, v12
	v_pk_add_f16 v57, v57, v86
	v_pk_add_f16 v56, v56, v89
	;; [unrolled: 1-line block ×4, first 2 shown]
	v_pk_min_f16 v49, v20, v2
	v_pk_min_f16 v20, v20, v4
	v_pk_add_f16 v56, v56, v110
	v_pk_add_f16 v20, v48, v20
	s_waitcnt lgkmcnt(0)
	v_pk_max_f16 v48, v82, v82
	v_pk_add_f16 v56, v56, v49
	v_pk_min_f16 v49, v48, v10
	v_pk_add_f16 v47, v47, v93
	v_pk_add_f16 v59, v59, v113
	;; [unrolled: 1-line block ×3, first 2 shown]
	v_pk_min_f16 v49, v48, v12
	v_pk_add_f16 v55, v55, v92
	v_pk_add_f16 v47, v47, v115
	;; [unrolled: 1-line block ×3, first 2 shown]
	v_pk_min_f16 v49, v48, v2
	v_pk_min_f16 v48, v48, v4
	v_pk_add_f16 v55, v55, v114
	v_pk_add_f16 v47, v47, v48
	v_pk_max_f16 v48, v84, v84
	v_pk_add_f16 v55, v55, v49
	v_pk_min_f16 v49, v48, v10
	v_pk_add_f16 v60, v60, v116
	v_pk_add_f16 v84, v67, v49
	v_pk_min_f16 v49, v48, v12
	v_pk_max_f16 v6, v6, v6
	v_pk_add_f16 v88, v60, v49
	v_pk_min_f16 v49, v48, v2
	v_pk_min_f16 v10, v6, v10
	;; [unrolled: 1-line block ×6, first 2 shown]
	v_pk_add_f16 v1, v1, v6
	v_pk_min_f16 v4, v8, v4
	v_pk_max_f16 v6, v9, v9
	v_pk_max_f16 v8, v11, v11
	v_pk_add_f16 v33, v33, v68
	v_pk_min_f16 v9, v6, v8
	v_pk_max_f16 v3, v3, v3
	v_pk_add_f16 v68, v45, v9
	v_pk_max_f16 v9, v13, v13
	v_pk_max_f16 v5, v5, v5
	v_pk_min_f16 v11, v6, v9
	v_pk_add_f16 v57, v57, v107
	v_pk_add_f16 v60, v63, v11
	v_pk_min_f16 v11, v6, v3
	v_pk_add_f16 v57, v57, v50
	v_pk_add_f16 v52, v70, v11
	v_pk_max_f16 v11, v15, v15
	v_pk_add_f16 v54, v54, v95
	v_pk_min_f16 v13, v11, v8
	v_pk_add_f16 v54, v54, v117
	v_pk_add_f16 v76, v64, v13
	v_pk_min_f16 v13, v11, v9
	v_pk_add_f16 v54, v54, v49
	v_pk_add_f16 v67, v22, v13
	v_pk_min_f16 v13, v11, v3
	v_pk_min_f16 v11, v11, v5
	v_pk_add_f16 v59, v23, v13
	v_pk_add_f16 v51, v14, v11
	v_pk_max_f16 v11, v17, v17
	v_pk_add_f16 v46, v46, v96
	v_pk_min_f16 v13, v11, v8
	v_pk_add_f16 v46, v46, v118
	v_pk_add_f16 v75, v32, v13
	v_pk_min_f16 v13, v11, v9
	v_pk_add_f16 v46, v46, v48
	v_pk_add_f16 v66, v71, v13
	v_pk_min_f16 v13, v11, v3
	;; [unrolled: 12-line block ×3, first 2 shown]
	v_pk_min_f16 v11, v11, v5
	v_pk_add_f16 v57, v57, v13
	v_pk_add_f16 v49, v18, v11
	v_pk_max_f16 v11, v21, v21
	v_pk_max_f16 v7, v7, v7
	v_pk_min_f16 v13, v11, v8
	v_pk_add_f16 v61, v61, v98
	v_pk_add_f16 v73, v81, v13
	v_pk_min_f16 v13, v11, v9
	v_pk_add_f16 v10, v62, v10
	v_pk_add_f16 v64, v86, v13
	v_pk_min_f16 v13, v11, v3
	v_pk_min_f16 v11, v11, v5
	v_pk_add_f16 v56, v56, v13
	v_pk_add_f16 v48, v20, v11
	v_pk_max_f16 v11, v83, v83
	v_pk_add_f16 v2, v53, v2
	v_pk_min_f16 v13, v11, v8
	v_pk_add_f16 v61, v61, v120
	v_pk_add_f16 v72, v82, v13
	v_pk_min_f16 v13, v11, v9
	v_pk_add_f16 v12, v61, v12
	v_pk_add_f16 v63, v87, v13
	v_pk_min_f16 v13, v11, v3
	v_pk_min_f16 v11, v11, v5
	v_pk_add_f16 v55, v55, v13
	v_pk_add_f16 v47, v47, v11
	v_pk_max_f16 v11, v85, v85
	v_pk_add_f16 v4, v44, v4
	v_pk_min_f16 v13, v11, v8
	v_pk_min_f16 v8, v7, v8
	v_pk_add_f16 v71, v84, v13
	v_pk_min_f16 v13, v11, v9
	v_pk_add_f16 v70, v10, v8
	v_pk_add_f16 v62, v88, v13
	v_pk_min_f16 v13, v11, v3
	v_pk_min_f16 v3, v7, v3
	;; [unrolled: 1-line block ×3, first 2 shown]
	v_pk_add_f16 v53, v2, v3
	v_pk_min_f16 v2, v7, v5
	v_pk_min_f16 v8, v7, v9
	v_pk_add_f16 v45, v1, v2
	v_pk_min_f16 v1, v6, v5
	s_add_i32 s18, s18, 8
	v_pk_add_f16 v54, v54, v13
	v_pk_add_f16 v46, v46, v11
	;; [unrolled: 1-line block ×4, first 2 shown]
	v_lshl_add_u64 v[26:27], v[26:27], 0, s[14:15]
	s_cmp_ge_i32 s18, s19
	v_lshl_add_u64 v[28:29], v[28:29], 0, 16
	s_waitcnt vmcnt(0)
	ds_write_b16 v43, v80
	ds_write_b16 v69, v79
	ds_write_b16 v69, v0 offset:512
	s_waitcnt lgkmcnt(0)
	s_barrier
	s_cbranch_scc1 .LBB253_36
.LBB253_24:                             ; =>This Inner Loop Header: Depth=1
	v_add_u32_e32 v32, s18, v36
	v_add_u32_e32 v0, 8, v32
	v_cmp_gt_i32_e64 s[4:5], s22, v0
	s_and_b64 s[12:13], s[4:5], s[10:11]
	v_mov_b32_e32 v79, 0
	s_and_saveexec_b64 s[4:5], s[12:13]
	s_cbranch_execz .LBB253_26
; %bb.25:                               ;   in Loop: Header=BB253_24 Depth=1
	flat_load_ushort v79, v[28:29]
.LBB253_26:                             ;   in Loop: Header=BB253_24 Depth=1
	s_or_b64 exec, exec, s[4:5]
	v_add_u32_e32 v33, s18, v38
	v_add_u32_e32 v0, 8, v33
	v_cmp_le_i32_e64 s[4:5], s22, v0
	s_or_b64 s[12:13], vcc, s[4:5]
	s_xor_b64 s[16:17], s[12:13], -1
	v_mov_b32_e32 v80, 0
	v_lshl_add_u64 v[0:1], v[26:27], 0, v[24:25]
	v_mov_b32_e32 v81, 0
	s_and_saveexec_b64 s[12:13], s[16:17]
	s_cbranch_execz .LBB253_28
; %bb.27:                               ;   in Loop: Header=BB253_24 Depth=1
	flat_load_ushort v81, v[0:1]
.LBB253_28:                             ;   in Loop: Header=BB253_24 Depth=1
	s_or_b64 exec, exec, s[12:13]
	s_or_b64 s[4:5], s[2:3], s[4:5]
	s_xor_b64 s[12:13], s[4:5], -1
	s_and_saveexec_b64 s[4:5], s[12:13]
	s_cbranch_execz .LBB253_30
; %bb.29:                               ;   in Loop: Header=BB253_24 Depth=1
	flat_load_ushort v80, v[0:1] offset:128
.LBB253_30:                             ;   in Loop: Header=BB253_24 Depth=1
	s_or_b64 exec, exec, s[4:5]
	ds_read2_b64 v[0:3], v77 offset0:48 offset1:56
	ds_read2_b64 v[12:15], v78 offset0:64 offset1:96
	ds_read2_b64 v[20:23], v78 offset1:32
	ds_read2_b64 v[16:19], v77 offset1:8
	ds_read2_b64 v[8:11], v77 offset0:16 offset1:24
	ds_read2_b64 v[4:7], v77 offset0:32 offset1:40
	v_add_u32_e32 v32, 12, v32
	v_cmp_gt_i32_e64 s[4:5], s22, v32
	s_waitcnt vmcnt(0) lgkmcnt(0)
	ds_write_b16 v42, v79
	ds_write_b16 v40, v81
	ds_write_b16 v40, v80 offset:512
	s_and_b64 s[12:13], s[4:5], s[10:11]
	v_mov_b32_e32 v79, 0
	v_mov_b32_e32 v80, 0
	s_waitcnt lgkmcnt(0)
	s_barrier
	s_and_saveexec_b64 s[4:5], s[12:13]
	s_cbranch_execz .LBB253_32
; %bb.31:                               ;   in Loop: Header=BB253_24 Depth=1
	flat_load_ushort v80, v[28:29] offset:8
.LBB253_32:                             ;   in Loop: Header=BB253_24 Depth=1
	s_or_b64 exec, exec, s[4:5]
	v_add_u32_e32 v32, 12, v33
	v_cmp_le_i32_e64 s[4:5], s22, v32
	s_or_b64 s[12:13], vcc, s[4:5]
	s_xor_b64 s[16:17], s[12:13], -1
	v_lshl_add_u64 v[32:33], v[26:27], 0, v[30:31]
	s_and_saveexec_b64 s[12:13], s[16:17]
	s_cbranch_execz .LBB253_34
; %bb.33:                               ;   in Loop: Header=BB253_24 Depth=1
	flat_load_ushort v79, v[32:33]
.LBB253_34:                             ;   in Loop: Header=BB253_24 Depth=1
	s_or_b64 exec, exec, s[12:13]
	v_pk_max_f16 v101, v2, v2
	v_pk_max_f16 v97, v20, v20
	;; [unrolled: 1-line block ×17, first 2 shown]
	v_pk_min_f16 v2, v101, v97
	v_pk_min_f16 v20, v101, v98
	;; [unrolled: 1-line block ×26, first 2 shown]
	v_pk_max_f16 v0, v3, v3
	v_pk_max_f16 v103, v17, v17
	;; [unrolled: 1-line block ×5, first 2 shown]
	v_pk_min_f16 v112, v5, v119
	v_pk_min_f16 v113, v5, v120
	;; [unrolled: 1-line block ×4, first 2 shown]
	v_pk_max_f16 v5, v7, v7
	v_pk_max_f16 v1, v1, v1
	s_or_b64 s[4:5], s[2:3], s[4:5]
	v_pk_min_f16 v84, v84, v102
	v_pk_min_f16 v87, v87, v102
	;; [unrolled: 1-line block ×34, first 2 shown]
	s_xor_b64 s[12:13], s[4:5], -1
	v_mov_b32_e32 v0, 0
	s_and_saveexec_b64 s[4:5], s[12:13]
	s_cbranch_execz .LBB253_23
; %bb.35:                               ;   in Loop: Header=BB253_24 Depth=1
	flat_load_ushort v0, v[32:33] offset:128
	s_branch .LBB253_23
.LBB253_36:
	s_load_dwordx2 s[2:3], s[0:1], 0x70
	s_load_dword s30, s[0:1], 0x50
	s_load_dword s29, s[0:1], 0x68
	v_add_u32_e32 v8, 0x800, v39
	ds_read2_b64 v[0:3], v8 offset0:112 offset1:120
	ds_read2_b64 v[4:7], v37 offset0:192 offset1:224
	;; [unrolled: 1-line block ×6, first 2 shown]
	s_waitcnt lgkmcnt(0)
	s_lshl_b64 s[0:1], s[2:3], 1
	s_add_u32 s22, s6, s0
	v_add_u32_e32 v69, s27, v35
	s_addc_u32 s23, s7, s1
	v_mad_i64_i32 v[26:27], s[0:1], v69, s30, 0
	v_add_u32_e32 v24, s26, v34
	v_lshl_add_u64 v[42:43], v[26:27], 1, s[24:25]
	v_mad_i64_i32 v[26:27], s[0:1], v69, s29, 0
	v_cmp_gt_i32_e64 s[18:19], s21, v69
	v_lshl_add_u64 v[40:41], v[26:27], 1, s[22:23]
	v_cmp_gt_i32_e64 s[2:3], s20, v24
	v_cndmask_b32_e64 v26, 0, 1, s[8:9]
	s_and_b64 s[6:7], s[2:3], s[18:19]
	v_ashrrev_i32_e32 v25, 31, v24
	v_cmp_ne_u32_e64 s[0:1], 1, v26
	s_and_saveexec_b64 s[4:5], s[6:7]
	s_cbranch_execz .LBB253_41
; %bb.37:
	s_and_b64 vcc, exec, s[0:1]
	s_cbranch_vccnz .LBB253_39
; %bb.38:
	v_lshl_add_u64 v[26:27], v[24:25], 1, v[42:43]
	flat_load_ushort v26, v[26:27]
	s_waitcnt vmcnt(0) lgkmcnt(0)
	v_mul_f16_e32 v26, s28, v26
	s_branch .LBB253_40
.LBB253_39:
	v_mov_b32_e32 v26, 0
.LBB253_40:
	v_pk_max_f16 v27, v20, v20
	v_pk_max_f16 v28, v16, v16
	v_pk_max_f16 v29, v17, v17
	v_pk_min_f16 v27, v28, v27
	v_pk_max_f16 v28, v21, v21
	v_pk_add_f16 v27, v76, v27
	v_pk_min_f16 v28, v29, v28
	s_nop 0
	v_pk_add_f16 v27, v27, v28
	s_nop 0
	v_add_f16_sdwa v27, v27, v27 dst_sel:DWORD dst_unused:UNUSED_PAD src0_sel:DWORD src1_sel:WORD_1
	v_add_f16_e32 v28, v27, v26
	v_lshl_add_u64 v[26:27], v[24:25], 1, v[40:41]
	global_store_short v[26:27], v28, off
.LBB253_41:
	s_or_b64 exec, exec, s[4:5]
	v_add_u32_e32 v26, 8, v24
	v_cmp_gt_i32_e64 s[4:5], s20, v26
	s_and_b64 s[8:9], s[4:5], s[18:19]
	v_ashrrev_i32_e32 v27, 31, v26
	s_and_saveexec_b64 s[6:7], s[8:9]
	s_cbranch_execz .LBB253_46
; %bb.42:
	s_and_b64 vcc, exec, s[0:1]
	s_cbranch_vccnz .LBB253_44
; %bb.43:
	v_lshl_add_u64 v[28:29], v[26:27], 1, v[42:43]
	flat_load_ushort v28, v[28:29]
	s_waitcnt vmcnt(0) lgkmcnt(0)
	v_mul_f16_e32 v28, s28, v28
	s_branch .LBB253_45
.LBB253_44:
	v_mov_b32_e32 v28, 0
.LBB253_45:
	v_pk_max_f16 v29, v20, v20
	v_pk_max_f16 v30, v18, v18
	v_pk_max_f16 v31, v19, v19
	v_pk_min_f16 v29, v30, v29
	v_pk_max_f16 v30, v21, v21
	v_pk_add_f16 v29, v75, v29
	v_pk_min_f16 v30, v31, v30
	s_nop 0
	v_pk_add_f16 v29, v29, v30
	s_nop 0
	v_add_f16_sdwa v29, v29, v29 dst_sel:DWORD dst_unused:UNUSED_PAD src0_sel:DWORD src1_sel:WORD_1
	v_add_f16_e32 v30, v29, v28
	v_lshl_add_u64 v[28:29], v[26:27], 1, v[40:41]
	global_store_short v[28:29], v30, off
.LBB253_46:
	s_or_b64 exec, exec, s[6:7]
	v_add_u32_e32 v28, 16, v24
	v_cmp_gt_i32_e64 s[6:7], s20, v28
	s_and_b64 s[10:11], s[6:7], s[18:19]
	v_ashrrev_i32_e32 v29, 31, v28
	;; [unrolled: 34-line block ×6, first 2 shown]
	s_and_saveexec_b64 s[16:17], s[26:27]
	s_cbranch_execz .LBB253_71
; %bb.67:
	s_and_b64 vcc, exec, s[0:1]
	s_cbranch_vccnz .LBB253_69
; %bb.68:
	v_lshl_add_u64 v[38:39], v[36:37], 1, v[42:43]
	flat_load_ushort v38, v[38:39]
	s_waitcnt vmcnt(0) lgkmcnt(0)
	v_mul_f16_e32 v38, s28, v38
	s_branch .LBB253_70
.LBB253_69:
	v_mov_b32_e32 v38, 0
.LBB253_70:
	v_pk_max_f16 v39, v20, v20
	v_pk_max_f16 v71, v0, v0
	s_nop 0
	v_pk_min_f16 v39, v71, v39
	v_pk_max_f16 v71, v1, v1
	v_pk_add_f16 v39, v70, v39
	v_pk_max_f16 v70, v21, v21
	s_nop 0
	v_pk_min_f16 v70, v71, v70
	s_nop 0
	v_pk_add_f16 v39, v39, v70
	s_nop 0
	v_add_f16_sdwa v39, v39, v39 dst_sel:DWORD dst_unused:UNUSED_PAD src0_sel:DWORD src1_sel:WORD_1
	v_add_f16_e32 v70, v39, v38
	v_lshl_add_u64 v[38:39], v[36:37], 1, v[40:41]
	global_store_short v[38:39], v70, off
.LBB253_71:
	s_or_b64 exec, exec, s[16:17]
	v_add_u32_e32 v38, 56, v24
	v_cmp_gt_i32_e64 s[16:17], s20, v38
	s_and_b64 s[26:27], s[16:17], s[18:19]
	v_ashrrev_i32_e32 v39, 31, v38
	s_and_saveexec_b64 s[18:19], s[26:27]
	s_cbranch_execz .LBB253_76
; %bb.72:
	s_and_b64 vcc, exec, s[0:1]
	s_cbranch_vccnz .LBB253_74
; %bb.73:
	v_lshl_add_u64 v[42:43], v[38:39], 1, v[42:43]
	flat_load_ushort v42, v[42:43]
	s_waitcnt vmcnt(0) lgkmcnt(0)
	v_mul_f16_e32 v42, s28, v42
	s_branch .LBB253_75
.LBB253_74:
	v_mov_b32_e32 v42, 0
.LBB253_75:
	v_pk_max_f16 v20, v20, v20
	v_pk_max_f16 v43, v2, v2
	;; [unrolled: 1-line block ×3, first 2 shown]
	v_pk_min_f16 v20, v43, v20
	v_pk_max_f16 v43, v3, v3
	v_pk_add_f16 v20, v68, v20
	v_pk_min_f16 v21, v43, v21
	s_nop 0
	v_pk_add_f16 v20, v20, v21
	s_nop 0
	v_add_f16_sdwa v20, v20, v20 dst_sel:DWORD dst_unused:UNUSED_PAD src0_sel:DWORD src1_sel:WORD_1
	v_add_f16_e32 v42, v20, v42
	v_lshl_add_u64 v[20:21], v[38:39], 1, v[40:41]
	global_store_short v[20:21], v42, off
.LBB253_76:
	s_or_b64 exec, exec, s[18:19]
	v_add_u32_e32 v42, 32, v69
	v_mad_i64_i32 v[20:21], s[26:27], v42, s30, 0
	v_cmp_gt_i32_e64 s[18:19], s21, v42
	v_lshl_add_u64 v[40:41], v[20:21], 1, s[24:25]
	v_mad_i64_i32 v[20:21], s[26:27], v42, s29, 0
	v_lshl_add_u64 v[20:21], v[20:21], 1, s[22:23]
	s_and_b64 s[34:35], s[2:3], s[18:19]
	s_and_saveexec_b64 s[26:27], s[34:35]
	s_cbranch_execnz .LBB253_84
; %bb.77:
	s_or_b64 exec, exec, s[26:27]
	s_and_b64 s[34:35], s[4:5], s[18:19]
	s_and_saveexec_b64 s[26:27], s[34:35]
	s_cbranch_execnz .LBB253_88
.LBB253_78:
	s_or_b64 exec, exec, s[26:27]
	s_and_b64 s[34:35], s[6:7], s[18:19]
	s_and_saveexec_b64 s[26:27], s[34:35]
	s_cbranch_execnz .LBB253_92
.LBB253_79:
	s_or_b64 exec, exec, s[26:27]
	s_and_b64 s[34:35], s[8:9], s[18:19]
	s_and_saveexec_b64 s[26:27], s[34:35]
	s_cbranch_execnz .LBB253_96
.LBB253_80:
	s_or_b64 exec, exec, s[26:27]
	s_and_b64 s[34:35], s[10:11], s[18:19]
	s_and_saveexec_b64 s[26:27], s[34:35]
	s_cbranch_execnz .LBB253_100
.LBB253_81:
	s_or_b64 exec, exec, s[26:27]
	s_and_b64 s[34:35], s[12:13], s[18:19]
	s_and_saveexec_b64 s[26:27], s[34:35]
	s_cbranch_execnz .LBB253_104
.LBB253_82:
	s_or_b64 exec, exec, s[26:27]
	s_and_b64 s[34:35], s[14:15], s[18:19]
	s_and_saveexec_b64 s[26:27], s[34:35]
	s_cbranch_execnz .LBB253_108
.LBB253_83:
	s_or_b64 exec, exec, s[26:27]
	s_and_b64 s[26:27], s[16:17], s[18:19]
	s_and_saveexec_b64 s[18:19], s[26:27]
	s_cbranch_execnz .LBB253_112
	s_branch .LBB253_116
.LBB253_84:
	s_and_b64 vcc, exec, s[0:1]
	s_cbranch_vccnz .LBB253_86
; %bb.85:
	v_lshl_add_u64 v[42:43], v[24:25], 1, v[40:41]
	flat_load_ushort v42, v[42:43]
	s_waitcnt vmcnt(0) lgkmcnt(0)
	v_mul_f16_e32 v42, s28, v42
	s_branch .LBB253_87
.LBB253_86:
	v_mov_b32_e32 v42, 0
.LBB253_87:
	v_pk_max_f16 v43, v22, v22
	v_pk_max_f16 v68, v16, v16
	s_nop 0
	v_pk_min_f16 v43, v68, v43
	v_pk_max_f16 v68, v17, v17
	v_pk_add_f16 v43, v67, v43
	v_pk_max_f16 v67, v23, v23
	s_nop 0
	v_pk_min_f16 v67, v68, v67
	s_nop 0
	v_pk_add_f16 v43, v43, v67
	s_nop 0
	v_add_f16_sdwa v43, v43, v43 dst_sel:DWORD dst_unused:UNUSED_PAD src0_sel:DWORD src1_sel:WORD_1
	v_add_f16_e32 v67, v43, v42
	v_lshl_add_u64 v[42:43], v[24:25], 1, v[20:21]
	global_store_short v[42:43], v67, off
	s_or_b64 exec, exec, s[26:27]
	s_and_b64 s[34:35], s[4:5], s[18:19]
	s_and_saveexec_b64 s[26:27], s[34:35]
	s_cbranch_execz .LBB253_78
.LBB253_88:
	s_and_b64 vcc, exec, s[0:1]
	s_cbranch_vccnz .LBB253_90
; %bb.89:
	v_lshl_add_u64 v[42:43], v[26:27], 1, v[40:41]
	flat_load_ushort v42, v[42:43]
	s_waitcnt vmcnt(0) lgkmcnt(0)
	v_mul_f16_e32 v42, s28, v42
	s_branch .LBB253_91
.LBB253_90:
	v_mov_b32_e32 v42, 0
.LBB253_91:
	v_pk_max_f16 v43, v22, v22
	v_pk_max_f16 v67, v18, v18
	s_nop 0
	v_pk_min_f16 v43, v67, v43
	v_pk_max_f16 v67, v19, v19
	v_pk_add_f16 v43, v66, v43
	v_pk_max_f16 v66, v23, v23
	s_nop 0
	v_pk_min_f16 v66, v67, v66
	s_nop 0
	v_pk_add_f16 v43, v43, v66
	s_nop 0
	v_add_f16_sdwa v43, v43, v43 dst_sel:DWORD dst_unused:UNUSED_PAD src0_sel:DWORD src1_sel:WORD_1
	v_add_f16_e32 v66, v43, v42
	v_lshl_add_u64 v[42:43], v[26:27], 1, v[20:21]
	global_store_short v[42:43], v66, off
	s_or_b64 exec, exec, s[26:27]
	s_and_b64 s[34:35], s[6:7], s[18:19]
	s_and_saveexec_b64 s[26:27], s[34:35]
	s_cbranch_execz .LBB253_79
.LBB253_92:
	s_and_b64 vcc, exec, s[0:1]
	s_cbranch_vccnz .LBB253_94
; %bb.93:
	v_lshl_add_u64 v[42:43], v[28:29], 1, v[40:41]
	flat_load_ushort v42, v[42:43]
	s_waitcnt vmcnt(0) lgkmcnt(0)
	v_mul_f16_e32 v42, s28, v42
	s_branch .LBB253_95
.LBB253_94:
	v_mov_b32_e32 v42, 0
.LBB253_95:
	v_pk_max_f16 v43, v22, v22
	v_pk_max_f16 v66, v12, v12
	s_nop 0
	v_pk_min_f16 v43, v66, v43
	v_pk_max_f16 v66, v13, v13
	v_pk_add_f16 v43, v65, v43
	v_pk_max_f16 v65, v23, v23
	s_nop 0
	v_pk_min_f16 v65, v66, v65
	s_nop 0
	v_pk_add_f16 v43, v43, v65
	s_nop 0
	v_add_f16_sdwa v43, v43, v43 dst_sel:DWORD dst_unused:UNUSED_PAD src0_sel:DWORD src1_sel:WORD_1
	v_add_f16_e32 v65, v43, v42
	v_lshl_add_u64 v[42:43], v[28:29], 1, v[20:21]
	global_store_short v[42:43], v65, off
	s_or_b64 exec, exec, s[26:27]
	s_and_b64 s[34:35], s[8:9], s[18:19]
	s_and_saveexec_b64 s[26:27], s[34:35]
	s_cbranch_execz .LBB253_80
.LBB253_96:
	s_and_b64 vcc, exec, s[0:1]
	s_cbranch_vccnz .LBB253_98
; %bb.97:
	v_lshl_add_u64 v[42:43], v[30:31], 1, v[40:41]
	flat_load_ushort v42, v[42:43]
	s_waitcnt vmcnt(0) lgkmcnt(0)
	v_mul_f16_e32 v42, s28, v42
	s_branch .LBB253_99
.LBB253_98:
	v_mov_b32_e32 v42, 0
.LBB253_99:
	v_pk_max_f16 v43, v22, v22
	v_pk_max_f16 v65, v14, v14
	s_nop 0
	v_pk_min_f16 v43, v65, v43
	v_pk_max_f16 v65, v15, v15
	v_pk_add_f16 v43, v64, v43
	v_pk_max_f16 v64, v23, v23
	s_nop 0
	v_pk_min_f16 v64, v65, v64
	s_nop 0
	v_pk_add_f16 v43, v43, v64
	s_nop 0
	v_add_f16_sdwa v43, v43, v43 dst_sel:DWORD dst_unused:UNUSED_PAD src0_sel:DWORD src1_sel:WORD_1
	v_add_f16_e32 v64, v43, v42
	v_lshl_add_u64 v[42:43], v[30:31], 1, v[20:21]
	global_store_short v[42:43], v64, off
	s_or_b64 exec, exec, s[26:27]
	s_and_b64 s[34:35], s[10:11], s[18:19]
	s_and_saveexec_b64 s[26:27], s[34:35]
	s_cbranch_execz .LBB253_81
.LBB253_100:
	s_and_b64 vcc, exec, s[0:1]
	s_cbranch_vccnz .LBB253_102
; %bb.101:
	v_lshl_add_u64 v[42:43], v[32:33], 1, v[40:41]
	flat_load_ushort v42, v[42:43]
	s_waitcnt vmcnt(0) lgkmcnt(0)
	v_mul_f16_e32 v42, s28, v42
	s_branch .LBB253_103
.LBB253_102:
	v_mov_b32_e32 v42, 0
.LBB253_103:
	v_pk_max_f16 v43, v22, v22
	v_pk_max_f16 v64, v8, v8
	s_nop 0
	v_pk_min_f16 v43, v64, v43
	v_pk_max_f16 v64, v9, v9
	v_pk_add_f16 v43, v63, v43
	v_pk_max_f16 v63, v23, v23
	s_nop 0
	v_pk_min_f16 v63, v64, v63
	s_nop 0
	v_pk_add_f16 v43, v43, v63
	s_nop 0
	v_add_f16_sdwa v43, v43, v43 dst_sel:DWORD dst_unused:UNUSED_PAD src0_sel:DWORD src1_sel:WORD_1
	v_add_f16_e32 v63, v43, v42
	v_lshl_add_u64 v[42:43], v[32:33], 1, v[20:21]
	global_store_short v[42:43], v63, off
	s_or_b64 exec, exec, s[26:27]
	s_and_b64 s[34:35], s[12:13], s[18:19]
	s_and_saveexec_b64 s[26:27], s[34:35]
	s_cbranch_execz .LBB253_82
.LBB253_104:
	s_and_b64 vcc, exec, s[0:1]
	s_cbranch_vccnz .LBB253_106
; %bb.105:
	v_lshl_add_u64 v[42:43], v[34:35], 1, v[40:41]
	flat_load_ushort v42, v[42:43]
	s_waitcnt vmcnt(0) lgkmcnt(0)
	v_mul_f16_e32 v42, s28, v42
	s_branch .LBB253_107
.LBB253_106:
	v_mov_b32_e32 v42, 0
.LBB253_107:
	v_pk_max_f16 v43, v22, v22
	v_pk_max_f16 v63, v10, v10
	s_nop 0
	v_pk_min_f16 v43, v63, v43
	v_pk_max_f16 v63, v11, v11
	v_pk_add_f16 v43, v62, v43
	v_pk_max_f16 v62, v23, v23
	s_nop 0
	v_pk_min_f16 v62, v63, v62
	s_nop 0
	v_pk_add_f16 v43, v43, v62
	s_nop 0
	v_add_f16_sdwa v43, v43, v43 dst_sel:DWORD dst_unused:UNUSED_PAD src0_sel:DWORD src1_sel:WORD_1
	v_add_f16_e32 v62, v43, v42
	v_lshl_add_u64 v[42:43], v[34:35], 1, v[20:21]
	global_store_short v[42:43], v62, off
	s_or_b64 exec, exec, s[26:27]
	s_and_b64 s[34:35], s[14:15], s[18:19]
	s_and_saveexec_b64 s[26:27], s[34:35]
	s_cbranch_execz .LBB253_83
.LBB253_108:
	s_and_b64 vcc, exec, s[0:1]
	s_cbranch_vccnz .LBB253_110
; %bb.109:
	v_lshl_add_u64 v[42:43], v[36:37], 1, v[40:41]
	flat_load_ushort v42, v[42:43]
	s_waitcnt vmcnt(0) lgkmcnt(0)
	v_mul_f16_e32 v42, s28, v42
	s_branch .LBB253_111
.LBB253_110:
	v_mov_b32_e32 v42, 0
.LBB253_111:
	v_pk_max_f16 v43, v22, v22
	v_pk_max_f16 v62, v0, v0
	s_nop 0
	v_pk_min_f16 v43, v62, v43
	v_pk_max_f16 v62, v1, v1
	v_pk_add_f16 v43, v61, v43
	v_pk_max_f16 v61, v23, v23
	s_nop 0
	v_pk_min_f16 v61, v62, v61
	s_nop 0
	v_pk_add_f16 v43, v43, v61
	s_nop 0
	v_add_f16_sdwa v43, v43, v43 dst_sel:DWORD dst_unused:UNUSED_PAD src0_sel:DWORD src1_sel:WORD_1
	v_add_f16_e32 v61, v43, v42
	v_lshl_add_u64 v[42:43], v[36:37], 1, v[20:21]
	global_store_short v[42:43], v61, off
	s_or_b64 exec, exec, s[26:27]
	s_and_b64 s[26:27], s[16:17], s[18:19]
	s_and_saveexec_b64 s[18:19], s[26:27]
	s_cbranch_execz .LBB253_116
.LBB253_112:
	s_and_b64 vcc, exec, s[0:1]
	s_cbranch_vccnz .LBB253_114
; %bb.113:
	v_lshl_add_u64 v[40:41], v[38:39], 1, v[40:41]
	flat_load_ushort v40, v[40:41]
	s_waitcnt vmcnt(0) lgkmcnt(0)
	v_mul_f16_e32 v40, s28, v40
	s_branch .LBB253_115
.LBB253_114:
	v_mov_b32_e32 v40, 0
.LBB253_115:
	v_pk_max_f16 v22, v22, v22
	v_pk_max_f16 v41, v2, v2
	;; [unrolled: 1-line block ×3, first 2 shown]
	v_pk_min_f16 v22, v41, v22
	v_pk_max_f16 v41, v3, v3
	v_pk_add_f16 v22, v60, v22
	v_pk_min_f16 v23, v41, v23
	v_lshl_add_u64 v[20:21], v[38:39], 1, v[20:21]
	v_pk_add_f16 v22, v22, v23
	s_nop 0
	v_add_f16_sdwa v22, v22, v22 dst_sel:DWORD dst_unused:UNUSED_PAD src0_sel:DWORD src1_sel:WORD_1
	v_add_f16_e32 v22, v22, v40
	global_store_short v[20:21], v22, off
.LBB253_116:
	s_or_b64 exec, exec, s[18:19]
	v_add_u32_e32 v40, 64, v69
	v_mad_i64_i32 v[20:21], s[26:27], v40, s30, 0
	v_cmp_gt_i32_e64 s[18:19], s21, v40
	v_lshl_add_u64 v[22:23], v[20:21], 1, s[24:25]
	v_mad_i64_i32 v[20:21], s[26:27], v40, s29, 0
	v_lshl_add_u64 v[20:21], v[20:21], 1, s[22:23]
	s_and_b64 s[34:35], s[2:3], s[18:19]
	s_and_saveexec_b64 s[26:27], s[34:35]
	s_cbranch_execnz .LBB253_124
; %bb.117:
	s_or_b64 exec, exec, s[26:27]
	s_and_b64 s[34:35], s[4:5], s[18:19]
	s_and_saveexec_b64 s[26:27], s[34:35]
	s_cbranch_execnz .LBB253_128
.LBB253_118:
	s_or_b64 exec, exec, s[26:27]
	s_and_b64 s[34:35], s[6:7], s[18:19]
	s_and_saveexec_b64 s[26:27], s[34:35]
	s_cbranch_execnz .LBB253_132
.LBB253_119:
	s_or_b64 exec, exec, s[26:27]
	s_and_b64 s[34:35], s[8:9], s[18:19]
	s_and_saveexec_b64 s[26:27], s[34:35]
	s_cbranch_execnz .LBB253_136
.LBB253_120:
	s_or_b64 exec, exec, s[26:27]
	s_and_b64 s[34:35], s[10:11], s[18:19]
	s_and_saveexec_b64 s[26:27], s[34:35]
	s_cbranch_execnz .LBB253_140
.LBB253_121:
	s_or_b64 exec, exec, s[26:27]
	s_and_b64 s[34:35], s[12:13], s[18:19]
	s_and_saveexec_b64 s[26:27], s[34:35]
	s_cbranch_execnz .LBB253_144
.LBB253_122:
	s_or_b64 exec, exec, s[26:27]
	s_and_b64 s[34:35], s[14:15], s[18:19]
	s_and_saveexec_b64 s[26:27], s[34:35]
	s_cbranch_execnz .LBB253_148
.LBB253_123:
	s_or_b64 exec, exec, s[26:27]
	s_and_b64 s[26:27], s[16:17], s[18:19]
	s_and_saveexec_b64 s[18:19], s[26:27]
	s_cbranch_execnz .LBB253_152
	s_branch .LBB253_156
.LBB253_124:
	s_and_b64 vcc, exec, s[0:1]
	s_cbranch_vccnz .LBB253_126
; %bb.125:
	v_lshl_add_u64 v[40:41], v[24:25], 1, v[22:23]
	flat_load_ushort v40, v[40:41]
	s_waitcnt vmcnt(0) lgkmcnt(0)
	v_mul_f16_e32 v40, s28, v40
	s_branch .LBB253_127
.LBB253_126:
	v_mov_b32_e32 v40, 0
.LBB253_127:
	v_pk_max_f16 v41, v4, v4
	v_pk_max_f16 v42, v16, v16
	;; [unrolled: 1-line block ×3, first 2 shown]
	v_pk_min_f16 v41, v42, v41
	v_pk_max_f16 v42, v5, v5
	v_pk_add_f16 v41, v59, v41
	v_pk_min_f16 v42, v43, v42
	s_nop 0
	v_pk_add_f16 v41, v41, v42
	s_nop 0
	v_add_f16_sdwa v41, v41, v41 dst_sel:DWORD dst_unused:UNUSED_PAD src0_sel:DWORD src1_sel:WORD_1
	v_add_f16_e32 v42, v41, v40
	v_lshl_add_u64 v[40:41], v[24:25], 1, v[20:21]
	global_store_short v[40:41], v42, off
	s_or_b64 exec, exec, s[26:27]
	s_and_b64 s[34:35], s[4:5], s[18:19]
	s_and_saveexec_b64 s[26:27], s[34:35]
	s_cbranch_execz .LBB253_118
.LBB253_128:
	s_and_b64 vcc, exec, s[0:1]
	s_cbranch_vccnz .LBB253_130
; %bb.129:
	v_lshl_add_u64 v[40:41], v[26:27], 1, v[22:23]
	flat_load_ushort v40, v[40:41]
	s_waitcnt vmcnt(0) lgkmcnt(0)
	v_mul_f16_e32 v40, s28, v40
	s_branch .LBB253_131
.LBB253_130:
	v_mov_b32_e32 v40, 0
.LBB253_131:
	v_pk_max_f16 v41, v4, v4
	v_pk_max_f16 v42, v18, v18
	;; [unrolled: 1-line block ×3, first 2 shown]
	v_pk_min_f16 v41, v42, v41
	v_pk_max_f16 v42, v5, v5
	v_pk_add_f16 v41, v58, v41
	v_pk_min_f16 v42, v43, v42
	s_nop 0
	v_pk_add_f16 v41, v41, v42
	s_nop 0
	v_add_f16_sdwa v41, v41, v41 dst_sel:DWORD dst_unused:UNUSED_PAD src0_sel:DWORD src1_sel:WORD_1
	v_add_f16_e32 v42, v41, v40
	v_lshl_add_u64 v[40:41], v[26:27], 1, v[20:21]
	global_store_short v[40:41], v42, off
	s_or_b64 exec, exec, s[26:27]
	s_and_b64 s[34:35], s[6:7], s[18:19]
	s_and_saveexec_b64 s[26:27], s[34:35]
	s_cbranch_execz .LBB253_119
.LBB253_132:
	s_and_b64 vcc, exec, s[0:1]
	s_cbranch_vccnz .LBB253_134
; %bb.133:
	v_lshl_add_u64 v[40:41], v[28:29], 1, v[22:23]
	flat_load_ushort v40, v[40:41]
	s_waitcnt vmcnt(0) lgkmcnt(0)
	v_mul_f16_e32 v40, s28, v40
	s_branch .LBB253_135
.LBB253_134:
	v_mov_b32_e32 v40, 0
.LBB253_135:
	v_pk_max_f16 v41, v4, v4
	v_pk_max_f16 v42, v12, v12
	v_pk_max_f16 v43, v13, v13
	v_pk_min_f16 v41, v42, v41
	v_pk_max_f16 v42, v5, v5
	v_pk_add_f16 v41, v57, v41
	v_pk_min_f16 v42, v43, v42
	s_nop 0
	v_pk_add_f16 v41, v41, v42
	s_nop 0
	v_add_f16_sdwa v41, v41, v41 dst_sel:DWORD dst_unused:UNUSED_PAD src0_sel:DWORD src1_sel:WORD_1
	v_add_f16_e32 v42, v41, v40
	v_lshl_add_u64 v[40:41], v[28:29], 1, v[20:21]
	global_store_short v[40:41], v42, off
	s_or_b64 exec, exec, s[26:27]
	s_and_b64 s[34:35], s[8:9], s[18:19]
	s_and_saveexec_b64 s[26:27], s[34:35]
	s_cbranch_execz .LBB253_120
.LBB253_136:
	s_and_b64 vcc, exec, s[0:1]
	s_cbranch_vccnz .LBB253_138
; %bb.137:
	v_lshl_add_u64 v[40:41], v[30:31], 1, v[22:23]
	flat_load_ushort v40, v[40:41]
	s_waitcnt vmcnt(0) lgkmcnt(0)
	v_mul_f16_e32 v40, s28, v40
	s_branch .LBB253_139
.LBB253_138:
	v_mov_b32_e32 v40, 0
.LBB253_139:
	v_pk_max_f16 v41, v4, v4
	v_pk_max_f16 v42, v14, v14
	;; [unrolled: 1-line block ×3, first 2 shown]
	v_pk_min_f16 v41, v42, v41
	v_pk_max_f16 v42, v5, v5
	v_pk_add_f16 v41, v56, v41
	v_pk_min_f16 v42, v43, v42
	s_nop 0
	v_pk_add_f16 v41, v41, v42
	s_nop 0
	v_add_f16_sdwa v41, v41, v41 dst_sel:DWORD dst_unused:UNUSED_PAD src0_sel:DWORD src1_sel:WORD_1
	v_add_f16_e32 v42, v41, v40
	v_lshl_add_u64 v[40:41], v[30:31], 1, v[20:21]
	global_store_short v[40:41], v42, off
	s_or_b64 exec, exec, s[26:27]
	s_and_b64 s[34:35], s[10:11], s[18:19]
	s_and_saveexec_b64 s[26:27], s[34:35]
	s_cbranch_execz .LBB253_121
.LBB253_140:
	s_and_b64 vcc, exec, s[0:1]
	s_cbranch_vccnz .LBB253_142
; %bb.141:
	v_lshl_add_u64 v[40:41], v[32:33], 1, v[22:23]
	flat_load_ushort v40, v[40:41]
	s_waitcnt vmcnt(0) lgkmcnt(0)
	v_mul_f16_e32 v40, s28, v40
	s_branch .LBB253_143
.LBB253_142:
	v_mov_b32_e32 v40, 0
.LBB253_143:
	v_pk_max_f16 v41, v4, v4
	v_pk_max_f16 v42, v8, v8
	;; [unrolled: 1-line block ×3, first 2 shown]
	v_pk_min_f16 v41, v42, v41
	v_pk_max_f16 v42, v5, v5
	v_pk_add_f16 v41, v55, v41
	v_pk_min_f16 v42, v43, v42
	s_nop 0
	v_pk_add_f16 v41, v41, v42
	s_nop 0
	v_add_f16_sdwa v41, v41, v41 dst_sel:DWORD dst_unused:UNUSED_PAD src0_sel:DWORD src1_sel:WORD_1
	v_add_f16_e32 v42, v41, v40
	v_lshl_add_u64 v[40:41], v[32:33], 1, v[20:21]
	global_store_short v[40:41], v42, off
	s_or_b64 exec, exec, s[26:27]
	s_and_b64 s[34:35], s[12:13], s[18:19]
	s_and_saveexec_b64 s[26:27], s[34:35]
	s_cbranch_execz .LBB253_122
.LBB253_144:
	s_and_b64 vcc, exec, s[0:1]
	s_cbranch_vccnz .LBB253_146
; %bb.145:
	v_lshl_add_u64 v[40:41], v[34:35], 1, v[22:23]
	flat_load_ushort v40, v[40:41]
	s_waitcnt vmcnt(0) lgkmcnt(0)
	v_mul_f16_e32 v40, s28, v40
	s_branch .LBB253_147
.LBB253_146:
	v_mov_b32_e32 v40, 0
.LBB253_147:
	v_pk_max_f16 v41, v4, v4
	v_pk_max_f16 v42, v10, v10
	v_pk_max_f16 v43, v11, v11
	v_pk_min_f16 v41, v42, v41
	v_pk_max_f16 v42, v5, v5
	v_pk_add_f16 v41, v54, v41
	v_pk_min_f16 v42, v43, v42
	s_nop 0
	v_pk_add_f16 v41, v41, v42
	s_nop 0
	v_add_f16_sdwa v41, v41, v41 dst_sel:DWORD dst_unused:UNUSED_PAD src0_sel:DWORD src1_sel:WORD_1
	v_add_f16_e32 v42, v41, v40
	v_lshl_add_u64 v[40:41], v[34:35], 1, v[20:21]
	global_store_short v[40:41], v42, off
	s_or_b64 exec, exec, s[26:27]
	s_and_b64 s[34:35], s[14:15], s[18:19]
	s_and_saveexec_b64 s[26:27], s[34:35]
	s_cbranch_execz .LBB253_123
.LBB253_148:
	s_and_b64 vcc, exec, s[0:1]
	s_cbranch_vccnz .LBB253_150
; %bb.149:
	v_lshl_add_u64 v[40:41], v[36:37], 1, v[22:23]
	flat_load_ushort v40, v[40:41]
	s_waitcnt vmcnt(0) lgkmcnt(0)
	v_mul_f16_e32 v40, s28, v40
	s_branch .LBB253_151
.LBB253_150:
	v_mov_b32_e32 v40, 0
.LBB253_151:
	v_pk_max_f16 v41, v4, v4
	v_pk_max_f16 v42, v0, v0
	;; [unrolled: 1-line block ×3, first 2 shown]
	v_pk_min_f16 v41, v42, v41
	v_pk_max_f16 v42, v5, v5
	v_pk_add_f16 v41, v53, v41
	v_pk_min_f16 v42, v43, v42
	s_nop 0
	v_pk_add_f16 v41, v41, v42
	s_nop 0
	v_add_f16_sdwa v41, v41, v41 dst_sel:DWORD dst_unused:UNUSED_PAD src0_sel:DWORD src1_sel:WORD_1
	v_add_f16_e32 v42, v41, v40
	v_lshl_add_u64 v[40:41], v[36:37], 1, v[20:21]
	global_store_short v[40:41], v42, off
	s_or_b64 exec, exec, s[26:27]
	s_and_b64 s[26:27], s[16:17], s[18:19]
	s_and_saveexec_b64 s[18:19], s[26:27]
	s_cbranch_execz .LBB253_156
.LBB253_152:
	s_and_b64 vcc, exec, s[0:1]
	s_cbranch_vccnz .LBB253_154
; %bb.153:
	v_lshl_add_u64 v[22:23], v[38:39], 1, v[22:23]
	flat_load_ushort v22, v[22:23]
	s_waitcnt vmcnt(0) lgkmcnt(0)
	v_mul_f16_e32 v22, s28, v22
	s_branch .LBB253_155
.LBB253_154:
	v_mov_b32_e32 v22, 0
.LBB253_155:
	v_pk_max_f16 v4, v4, v4
	v_pk_max_f16 v23, v2, v2
	;; [unrolled: 1-line block ×3, first 2 shown]
	v_pk_min_f16 v4, v23, v4
	v_pk_max_f16 v23, v3, v3
	v_pk_add_f16 v4, v52, v4
	v_pk_min_f16 v5, v23, v5
	s_nop 0
	v_pk_add_f16 v4, v4, v5
	s_nop 0
	v_add_f16_sdwa v4, v4, v4 dst_sel:DWORD dst_unused:UNUSED_PAD src0_sel:DWORD src1_sel:WORD_1
	v_add_f16_e32 v22, v4, v22
	v_lshl_add_u64 v[4:5], v[38:39], 1, v[20:21]
	global_store_short v[4:5], v22, off
.LBB253_156:
	s_or_b64 exec, exec, s[18:19]
	v_add_u32_e32 v22, 0x60, v69
	v_cmp_gt_i32_e64 s[18:19], s21, v22
	v_mad_i64_i32 v[4:5], s[20:21], v22, s30, 0
	v_lshl_add_u64 v[20:21], v[4:5], 1, s[24:25]
	v_mad_i64_i32 v[4:5], s[20:21], v22, s29, 0
	v_lshl_add_u64 v[4:5], v[4:5], 1, s[22:23]
	s_and_b64 s[20:21], s[2:3], s[18:19]
	s_and_saveexec_b64 s[2:3], s[20:21]
	s_cbranch_execnz .LBB253_165
; %bb.157:
	s_or_b64 exec, exec, s[2:3]
	s_and_b64 s[4:5], s[4:5], s[18:19]
	s_and_saveexec_b64 s[2:3], s[4:5]
	s_cbranch_execnz .LBB253_169
.LBB253_158:
	s_or_b64 exec, exec, s[2:3]
	s_and_b64 s[4:5], s[6:7], s[18:19]
	s_and_saveexec_b64 s[2:3], s[4:5]
	s_cbranch_execnz .LBB253_173
.LBB253_159:
	s_or_b64 exec, exec, s[2:3]
	s_and_b64 s[4:5], s[8:9], s[18:19]
	s_and_saveexec_b64 s[2:3], s[4:5]
	s_cbranch_execnz .LBB253_177
.LBB253_160:
	s_or_b64 exec, exec, s[2:3]
	s_and_b64 s[4:5], s[10:11], s[18:19]
	s_and_saveexec_b64 s[2:3], s[4:5]
	s_cbranch_execnz .LBB253_181
.LBB253_161:
	s_or_b64 exec, exec, s[2:3]
	s_and_b64 s[4:5], s[12:13], s[18:19]
	s_and_saveexec_b64 s[2:3], s[4:5]
	s_cbranch_execnz .LBB253_185
.LBB253_162:
	s_or_b64 exec, exec, s[2:3]
	s_and_b64 s[4:5], s[14:15], s[18:19]
	s_and_saveexec_b64 s[2:3], s[4:5]
	s_cbranch_execnz .LBB253_189
.LBB253_163:
	s_or_b64 exec, exec, s[2:3]
	s_and_b64 s[2:3], s[16:17], s[18:19]
	s_and_saveexec_b64 s[4:5], s[2:3]
	s_cbranch_execnz .LBB253_193
.LBB253_164:
	s_endpgm
.LBB253_165:
	s_and_b64 vcc, exec, s[0:1]
	s_cbranch_vccnz .LBB253_167
; %bb.166:
	v_lshl_add_u64 v[22:23], v[24:25], 1, v[20:21]
	flat_load_ushort v22, v[22:23]
	s_waitcnt vmcnt(0) lgkmcnt(0)
	v_mul_f16_e32 v22, s28, v22
	s_branch .LBB253_168
.LBB253_167:
	v_mov_b32_e32 v22, 0
.LBB253_168:
	v_pk_max_f16 v23, v6, v6
	v_pk_max_f16 v16, v16, v16
	;; [unrolled: 1-line block ×3, first 2 shown]
	v_pk_min_f16 v16, v16, v23
	v_pk_max_f16 v23, v7, v7
	v_pk_add_f16 v16, v51, v16
	v_pk_min_f16 v17, v17, v23
	s_nop 0
	v_pk_add_f16 v16, v16, v17
	s_nop 0
	v_add_f16_sdwa v16, v16, v16 dst_sel:DWORD dst_unused:UNUSED_PAD src0_sel:DWORD src1_sel:WORD_1
	v_add_f16_e32 v22, v16, v22
	v_lshl_add_u64 v[16:17], v[24:25], 1, v[4:5]
	global_store_short v[16:17], v22, off
	s_or_b64 exec, exec, s[2:3]
	s_and_b64 s[4:5], s[4:5], s[18:19]
	s_and_saveexec_b64 s[2:3], s[4:5]
	s_cbranch_execz .LBB253_158
.LBB253_169:
	s_and_b64 vcc, exec, s[0:1]
	s_cbranch_vccnz .LBB253_171
; %bb.170:
	v_lshl_add_u64 v[16:17], v[26:27], 1, v[20:21]
	flat_load_ushort v16, v[16:17]
	s_waitcnt vmcnt(0) lgkmcnt(0)
	v_mul_f16_e32 v16, s28, v16
	s_branch .LBB253_172
.LBB253_171:
	v_mov_b32_e32 v16, 0
.LBB253_172:
	v_pk_max_f16 v17, v6, v6
	v_pk_max_f16 v18, v18, v18
	;; [unrolled: 1-line block ×3, first 2 shown]
	v_pk_min_f16 v17, v18, v17
	v_pk_max_f16 v18, v7, v7
	v_pk_add_f16 v17, v50, v17
	v_pk_min_f16 v18, v19, v18
	s_nop 0
	v_pk_add_f16 v17, v17, v18
	s_nop 0
	v_add_f16_sdwa v17, v17, v17 dst_sel:DWORD dst_unused:UNUSED_PAD src0_sel:DWORD src1_sel:WORD_1
	v_add_f16_e32 v18, v17, v16
	v_lshl_add_u64 v[16:17], v[26:27], 1, v[4:5]
	global_store_short v[16:17], v18, off
	s_or_b64 exec, exec, s[2:3]
	s_and_b64 s[4:5], s[6:7], s[18:19]
	s_and_saveexec_b64 s[2:3], s[4:5]
	s_cbranch_execz .LBB253_159
.LBB253_173:
	s_and_b64 vcc, exec, s[0:1]
	s_cbranch_vccnz .LBB253_175
; %bb.174:
	v_lshl_add_u64 v[16:17], v[28:29], 1, v[20:21]
	flat_load_ushort v16, v[16:17]
	s_waitcnt vmcnt(0) lgkmcnt(0)
	v_mul_f16_e32 v16, s28, v16
	s_branch .LBB253_176
.LBB253_175:
	v_mov_b32_e32 v16, 0
.LBB253_176:
	v_pk_max_f16 v17, v6, v6
	v_pk_max_f16 v12, v12, v12
	;; [unrolled: 1-line block ×3, first 2 shown]
	v_pk_min_f16 v12, v12, v17
	v_pk_max_f16 v17, v7, v7
	v_pk_add_f16 v12, v49, v12
	v_pk_min_f16 v13, v13, v17
	s_nop 0
	v_pk_add_f16 v12, v12, v13
	s_nop 0
	v_add_f16_sdwa v12, v12, v12 dst_sel:DWORD dst_unused:UNUSED_PAD src0_sel:DWORD src1_sel:WORD_1
	v_add_f16_e32 v16, v12, v16
	v_lshl_add_u64 v[12:13], v[28:29], 1, v[4:5]
	global_store_short v[12:13], v16, off
	s_or_b64 exec, exec, s[2:3]
	s_and_b64 s[4:5], s[8:9], s[18:19]
	s_and_saveexec_b64 s[2:3], s[4:5]
	s_cbranch_execz .LBB253_160
.LBB253_177:
	s_and_b64 vcc, exec, s[0:1]
	s_cbranch_vccnz .LBB253_179
; %bb.178:
	v_lshl_add_u64 v[12:13], v[30:31], 1, v[20:21]
	flat_load_ushort v12, v[12:13]
	s_waitcnt vmcnt(0) lgkmcnt(0)
	v_mul_f16_e32 v12, s28, v12
	s_branch .LBB253_180
.LBB253_179:
	v_mov_b32_e32 v12, 0
.LBB253_180:
	v_pk_max_f16 v13, v6, v6
	v_pk_max_f16 v14, v14, v14
	;; [unrolled: 1-line block ×3, first 2 shown]
	v_pk_min_f16 v13, v14, v13
	v_pk_max_f16 v14, v7, v7
	v_pk_add_f16 v13, v48, v13
	v_pk_min_f16 v14, v15, v14
	s_nop 0
	v_pk_add_f16 v13, v13, v14
	s_nop 0
	v_add_f16_sdwa v13, v13, v13 dst_sel:DWORD dst_unused:UNUSED_PAD src0_sel:DWORD src1_sel:WORD_1
	v_add_f16_e32 v14, v13, v12
	v_lshl_add_u64 v[12:13], v[30:31], 1, v[4:5]
	global_store_short v[12:13], v14, off
	s_or_b64 exec, exec, s[2:3]
	s_and_b64 s[4:5], s[10:11], s[18:19]
	s_and_saveexec_b64 s[2:3], s[4:5]
	s_cbranch_execz .LBB253_161
.LBB253_181:
	s_and_b64 vcc, exec, s[0:1]
	s_cbranch_vccnz .LBB253_183
; %bb.182:
	v_lshl_add_u64 v[12:13], v[32:33], 1, v[20:21]
	flat_load_ushort v12, v[12:13]
	s_waitcnt vmcnt(0) lgkmcnt(0)
	v_mul_f16_e32 v12, s28, v12
	s_branch .LBB253_184
.LBB253_183:
	v_mov_b32_e32 v12, 0
.LBB253_184:
	v_pk_max_f16 v13, v6, v6
	v_pk_max_f16 v8, v8, v8
	;; [unrolled: 1-line block ×3, first 2 shown]
	v_pk_min_f16 v8, v8, v13
	v_pk_max_f16 v13, v7, v7
	v_pk_add_f16 v8, v47, v8
	v_pk_min_f16 v9, v9, v13
	s_nop 0
	v_pk_add_f16 v8, v8, v9
	s_nop 0
	v_add_f16_sdwa v8, v8, v8 dst_sel:DWORD dst_unused:UNUSED_PAD src0_sel:DWORD src1_sel:WORD_1
	v_add_f16_e32 v12, v8, v12
	v_lshl_add_u64 v[8:9], v[32:33], 1, v[4:5]
	global_store_short v[8:9], v12, off
	s_or_b64 exec, exec, s[2:3]
	s_and_b64 s[4:5], s[12:13], s[18:19]
	s_and_saveexec_b64 s[2:3], s[4:5]
	s_cbranch_execz .LBB253_162
.LBB253_185:
	s_and_b64 vcc, exec, s[0:1]
	s_cbranch_vccnz .LBB253_187
; %bb.186:
	v_lshl_add_u64 v[8:9], v[34:35], 1, v[20:21]
	flat_load_ushort v8, v[8:9]
	s_waitcnt vmcnt(0) lgkmcnt(0)
	v_mul_f16_e32 v8, s28, v8
	s_branch .LBB253_188
.LBB253_187:
	v_mov_b32_e32 v8, 0
.LBB253_188:
	v_pk_max_f16 v9, v6, v6
	v_pk_max_f16 v10, v10, v10
	v_pk_max_f16 v11, v11, v11
	v_pk_min_f16 v9, v10, v9
	v_pk_max_f16 v10, v7, v7
	v_pk_add_f16 v9, v46, v9
	v_pk_min_f16 v10, v11, v10
	s_nop 0
	v_pk_add_f16 v9, v9, v10
	s_nop 0
	v_add_f16_sdwa v9, v9, v9 dst_sel:DWORD dst_unused:UNUSED_PAD src0_sel:DWORD src1_sel:WORD_1
	v_add_f16_e32 v10, v9, v8
	v_lshl_add_u64 v[8:9], v[34:35], 1, v[4:5]
	global_store_short v[8:9], v10, off
	s_or_b64 exec, exec, s[2:3]
	s_and_b64 s[4:5], s[14:15], s[18:19]
	s_and_saveexec_b64 s[2:3], s[4:5]
	s_cbranch_execz .LBB253_163
.LBB253_189:
	s_and_b64 vcc, exec, s[0:1]
	s_cbranch_vccnz .LBB253_191
; %bb.190:
	v_lshl_add_u64 v[8:9], v[36:37], 1, v[20:21]
	flat_load_ushort v8, v[8:9]
	s_waitcnt vmcnt(0) lgkmcnt(0)
	v_mul_f16_e32 v8, s28, v8
	s_branch .LBB253_192
.LBB253_191:
	v_mov_b32_e32 v8, 0
.LBB253_192:
	v_pk_max_f16 v9, v6, v6
	v_pk_max_f16 v0, v0, v0
	;; [unrolled: 1-line block ×3, first 2 shown]
	v_pk_min_f16 v0, v0, v9
	v_pk_max_f16 v9, v7, v7
	v_pk_add_f16 v0, v45, v0
	v_pk_min_f16 v1, v1, v9
	s_nop 0
	v_pk_add_f16 v0, v0, v1
	s_nop 0
	v_add_f16_sdwa v0, v0, v0 dst_sel:DWORD dst_unused:UNUSED_PAD src0_sel:DWORD src1_sel:WORD_1
	v_add_f16_e32 v8, v0, v8
	v_lshl_add_u64 v[0:1], v[36:37], 1, v[4:5]
	global_store_short v[0:1], v8, off
	s_or_b64 exec, exec, s[2:3]
	s_and_b64 s[2:3], s[16:17], s[18:19]
	s_and_saveexec_b64 s[4:5], s[2:3]
	s_cbranch_execz .LBB253_164
.LBB253_193:
	s_and_b64 vcc, exec, s[0:1]
	s_cbranch_vccnz .LBB253_195
; %bb.194:
	v_lshl_add_u64 v[0:1], v[38:39], 1, v[20:21]
	flat_load_ushort v0, v[0:1]
	s_waitcnt vmcnt(0) lgkmcnt(0)
	v_mul_f16_e32 v0, s28, v0
	s_branch .LBB253_196
.LBB253_195:
	v_mov_b32_e32 v0, 0
.LBB253_196:
	v_pk_max_f16 v1, v6, v6
	v_pk_max_f16 v2, v2, v2
	;; [unrolled: 1-line block ×3, first 2 shown]
	v_pk_min_f16 v1, v2, v1
	v_pk_max_f16 v2, v7, v7
	v_pk_add_f16 v1, v44, v1
	v_pk_min_f16 v2, v3, v2
	s_nop 0
	v_pk_add_f16 v1, v1, v2
	s_nop 0
	v_add_f16_sdwa v1, v1, v1 dst_sel:DWORD dst_unused:UNUSED_PAD src0_sel:DWORD src1_sel:WORD_1
	v_add_f16_e32 v2, v1, v0
	v_lshl_add_u64 v[0:1], v[38:39], 1, v[4:5]
	global_store_short v[0:1], v2, off
	s_endpgm
	.section	.rodata,"a",@progbits
	.p2align	6, 0x0
	.amdhsa_kernel _ZN12_GLOBAL__N_120geam_min_plus_kernelIDF16_Dv2_DF16_S1_Li8ELi32ELi64ELi128ELi4ELi4ELi64ELi64ELi4ELc84ELc84ELb1ELb1ELb0EDF16_KPKDF16_KPDF16_EEviiiT16_PT17_ilS9_ilS7_S9_ilPT18_ili26rocblas_geam_ex_operation_
		.amdhsa_group_segment_fixed_size 3072
		.amdhsa_private_segment_fixed_size 0
		.amdhsa_kernarg_size 128
		.amdhsa_user_sgpr_count 2
		.amdhsa_user_sgpr_dispatch_ptr 0
		.amdhsa_user_sgpr_queue_ptr 0
		.amdhsa_user_sgpr_kernarg_segment_ptr 1
		.amdhsa_user_sgpr_dispatch_id 0
		.amdhsa_user_sgpr_kernarg_preload_length 0
		.amdhsa_user_sgpr_kernarg_preload_offset 0
		.amdhsa_user_sgpr_private_segment_size 0
		.amdhsa_uses_dynamic_stack 0
		.amdhsa_enable_private_segment 0
		.amdhsa_system_sgpr_workgroup_id_x 1
		.amdhsa_system_sgpr_workgroup_id_y 0
		.amdhsa_system_sgpr_workgroup_id_z 1
		.amdhsa_system_sgpr_workgroup_info 0
		.amdhsa_system_vgpr_workitem_id 1
		.amdhsa_next_free_vgpr 123
		.amdhsa_next_free_sgpr 36
		.amdhsa_accum_offset 124
		.amdhsa_reserve_vcc 1
		.amdhsa_float_round_mode_32 0
		.amdhsa_float_round_mode_16_64 0
		.amdhsa_float_denorm_mode_32 3
		.amdhsa_float_denorm_mode_16_64 3
		.amdhsa_dx10_clamp 1
		.amdhsa_ieee_mode 1
		.amdhsa_fp16_overflow 0
		.amdhsa_tg_split 0
		.amdhsa_exception_fp_ieee_invalid_op 0
		.amdhsa_exception_fp_denorm_src 0
		.amdhsa_exception_fp_ieee_div_zero 0
		.amdhsa_exception_fp_ieee_overflow 0
		.amdhsa_exception_fp_ieee_underflow 0
		.amdhsa_exception_fp_ieee_inexact 0
		.amdhsa_exception_int_div_zero 0
	.end_amdhsa_kernel
	.section	.text._ZN12_GLOBAL__N_120geam_min_plus_kernelIDF16_Dv2_DF16_S1_Li8ELi32ELi64ELi128ELi4ELi4ELi64ELi64ELi4ELc84ELc84ELb1ELb1ELb0EDF16_KPKDF16_KPDF16_EEviiiT16_PT17_ilS9_ilS7_S9_ilPT18_ili26rocblas_geam_ex_operation_,"axG",@progbits,_ZN12_GLOBAL__N_120geam_min_plus_kernelIDF16_Dv2_DF16_S1_Li8ELi32ELi64ELi128ELi4ELi4ELi64ELi64ELi4ELc84ELc84ELb1ELb1ELb0EDF16_KPKDF16_KPDF16_EEviiiT16_PT17_ilS9_ilS7_S9_ilPT18_ili26rocblas_geam_ex_operation_,comdat
.Lfunc_end253:
	.size	_ZN12_GLOBAL__N_120geam_min_plus_kernelIDF16_Dv2_DF16_S1_Li8ELi32ELi64ELi128ELi4ELi4ELi64ELi64ELi4ELc84ELc84ELb1ELb1ELb0EDF16_KPKDF16_KPDF16_EEviiiT16_PT17_ilS9_ilS7_S9_ilPT18_ili26rocblas_geam_ex_operation_, .Lfunc_end253-_ZN12_GLOBAL__N_120geam_min_plus_kernelIDF16_Dv2_DF16_S1_Li8ELi32ELi64ELi128ELi4ELi4ELi64ELi64ELi4ELc84ELc84ELb1ELb1ELb0EDF16_KPKDF16_KPDF16_EEviiiT16_PT17_ilS9_ilS7_S9_ilPT18_ili26rocblas_geam_ex_operation_
                                        ; -- End function
	.section	.AMDGPU.csdata,"",@progbits
; Kernel info:
; codeLenInByte = 11156
; NumSgprs: 42
; NumVgprs: 123
; NumAgprs: 0
; TotalNumVgprs: 123
; ScratchSize: 0
; MemoryBound: 0
; FloatMode: 240
; IeeeMode: 1
; LDSByteSize: 3072 bytes/workgroup (compile time only)
; SGPRBlocks: 5
; VGPRBlocks: 15
; NumSGPRsForWavesPerEU: 42
; NumVGPRsForWavesPerEU: 123
; AccumOffset: 124
; Occupancy: 4
; WaveLimiterHint : 1
; COMPUTE_PGM_RSRC2:SCRATCH_EN: 0
; COMPUTE_PGM_RSRC2:USER_SGPR: 2
; COMPUTE_PGM_RSRC2:TRAP_HANDLER: 0
; COMPUTE_PGM_RSRC2:TGID_X_EN: 1
; COMPUTE_PGM_RSRC2:TGID_Y_EN: 0
; COMPUTE_PGM_RSRC2:TGID_Z_EN: 1
; COMPUTE_PGM_RSRC2:TIDIG_COMP_CNT: 1
; COMPUTE_PGM_RSRC3_GFX90A:ACCUM_OFFSET: 30
; COMPUTE_PGM_RSRC3_GFX90A:TG_SPLIT: 0
	.section	.text._ZN12_GLOBAL__N_120geam_min_plus_kernelIDF16_Dv2_DF16_S1_Li8ELi32ELi64ELi128ELi4ELi4ELi64ELi64ELi4ELc84ELc84ELb0ELb1ELb0EDF16_KPKDF16_KPDF16_EEviiiT16_PT17_ilS9_ilS7_S9_ilPT18_ili26rocblas_geam_ex_operation_,"axG",@progbits,_ZN12_GLOBAL__N_120geam_min_plus_kernelIDF16_Dv2_DF16_S1_Li8ELi32ELi64ELi128ELi4ELi4ELi64ELi64ELi4ELc84ELc84ELb0ELb1ELb0EDF16_KPKDF16_KPDF16_EEviiiT16_PT17_ilS9_ilS7_S9_ilPT18_ili26rocblas_geam_ex_operation_,comdat
	.globl	_ZN12_GLOBAL__N_120geam_min_plus_kernelIDF16_Dv2_DF16_S1_Li8ELi32ELi64ELi128ELi4ELi4ELi64ELi64ELi4ELc84ELc84ELb0ELb1ELb0EDF16_KPKDF16_KPDF16_EEviiiT16_PT17_ilS9_ilS7_S9_ilPT18_ili26rocblas_geam_ex_operation_ ; -- Begin function _ZN12_GLOBAL__N_120geam_min_plus_kernelIDF16_Dv2_DF16_S1_Li8ELi32ELi64ELi128ELi4ELi4ELi64ELi64ELi4ELc84ELc84ELb0ELb1ELb0EDF16_KPKDF16_KPDF16_EEviiiT16_PT17_ilS9_ilS7_S9_ilPT18_ili26rocblas_geam_ex_operation_
	.p2align	8
	.type	_ZN12_GLOBAL__N_120geam_min_plus_kernelIDF16_Dv2_DF16_S1_Li8ELi32ELi64ELi128ELi4ELi4ELi64ELi64ELi4ELc84ELc84ELb0ELb1ELb0EDF16_KPKDF16_KPDF16_EEviiiT16_PT17_ilS9_ilS7_S9_ilPT18_ili26rocblas_geam_ex_operation_,@function
_ZN12_GLOBAL__N_120geam_min_plus_kernelIDF16_Dv2_DF16_S1_Li8ELi32ELi64ELi128ELi4ELi4ELi64ELi64ELi4ELc84ELc84ELb0ELb1ELb0EDF16_KPKDF16_KPDF16_EEviiiT16_PT17_ilS9_ilS7_S9_ilPT18_ili26rocblas_geam_ex_operation_: ; @_ZN12_GLOBAL__N_120geam_min_plus_kernelIDF16_Dv2_DF16_S1_Li8ELi32ELi64ELi128ELi4ELi4ELi64ELi64ELi4ELc84ELc84ELb0ELb1ELb0EDF16_KPKDF16_KPDF16_EEviiiT16_PT17_ilS9_ilS7_S9_ilPT18_ili26rocblas_geam_ex_operation_
; %bb.0:
	s_load_dwordx4 s[20:23], s[0:1], 0x0
	s_load_dwordx4 s[4:7], s[0:1], 0x20
	s_mov_b32 s12, s3
	s_mov_b32 s13, 0
	s_waitcnt lgkmcnt(0)
	v_cmp_eq_f16_e64 s[8:9], s23, 0
	v_cmp_neq_f16_e64 s[10:11], s23, 0
	s_and_b64 vcc, exec, s[8:9]
	s_cbranch_vccnz .LBB254_3
; %bb.1:
	s_load_dwordx2 s[14:15], s[0:1], 0x10
	s_lshl_b64 s[16:17], s[12:13], 3
	s_waitcnt lgkmcnt(0)
	s_add_u32 s14, s14, s16
	s_addc_u32 s15, s15, s17
	s_load_dwordx2 s[14:15], s[14:15], 0x0
	s_lshl_b64 s[4:5], s[4:5], 1
	s_waitcnt lgkmcnt(0)
	s_add_u32 s18, s14, s4
	s_addc_u32 s19, s15, s5
	s_andn2_b64 vcc, exec, s[8:9]
	s_cbranch_vccnz .LBB254_4
.LBB254_2:
	s_mov_b64 s[14:15], 0
	s_cbranch_execz .LBB254_5
	s_branch .LBB254_6
.LBB254_3:
	s_mov_b64 s[18:19], 0
	s_andn2_b64 vcc, exec, s[8:9]
	s_cbranch_vccz .LBB254_2
.LBB254_4:
                                        ; implicit-def: $sgpr14_sgpr15
.LBB254_5:
	s_lshl_b64 s[8:9], s[12:13], 3
	s_add_u32 s6, s6, s8
	s_load_dwordx2 s[4:5], s[0:1], 0x38
	s_addc_u32 s7, s7, s9
	s_load_dwordx2 s[6:7], s[6:7], 0x0
	s_waitcnt lgkmcnt(0)
	s_lshl_b64 s[4:5], s[4:5], 1
	s_add_u32 s14, s6, s4
	s_addc_u32 s15, s7, s5
.LBB254_6:
	s_load_dword s28, s[0:1], 0x40
	s_load_dwordx4 s[4:7], s[0:1], 0x58
	s_waitcnt lgkmcnt(0)
	v_cmp_eq_f16_e64 s[16:17], s28, 0
	v_cmp_neq_f16_e64 s[8:9], s28, 0
	s_and_b64 vcc, exec, s[16:17]
	s_cbranch_vccnz .LBB254_8
; %bb.7:
	s_load_dwordx2 s[16:17], s[0:1], 0x48
	s_lshl_b64 s[24:25], s[12:13], 3
	s_waitcnt lgkmcnt(0)
	s_add_u32 s16, s16, s24
	s_addc_u32 s17, s17, s25
	s_load_dwordx2 s[16:17], s[16:17], 0x0
	s_lshl_b64 s[4:5], s[4:5], 1
	s_waitcnt lgkmcnt(0)
	s_add_u32 s24, s16, s4
	s_addc_u32 s25, s17, s5
	s_branch .LBB254_9
.LBB254_8:
	s_mov_b64 s[24:25], 0
.LBB254_9:
	s_lshl_b64 s[4:5], s[12:13], 3
	s_add_u32 s4, s6, s4
	s_addc_u32 s5, s7, s5
	s_add_i32 s3, s20, -1
	s_ashr_i32 s6, s3, 31
	s_lshr_b32 s6, s6, 26
	s_add_i32 s3, s3, s6
	s_ashr_i32 s3, s3, 6
	s_add_i32 s6, s3, 1
	v_cvt_f32_u32_e32 v1, s6
	v_and_b32_e32 v30, 0x3ff, v0
	v_bfe_u32 v31, v0, 10, 10
	s_load_dwordx2 s[12:13], s[4:5], 0x0
	v_rcp_iflag_f32_e32 v1, v1
	s_not_b32 s3, s3
	v_lshl_add_u32 v2, v31, 3, v30
	s_load_dword s34, s[0:1], 0x18
	v_mul_f32_e32 v0, 0x4f7ffffe, v1
	v_cvt_u32_f32_e32 v0, v0
	v_lshrrev_b32_e32 v7, 2, v2
	v_and_b32_e32 v32, 3, v30
	v_mov_b32_e32 v8, 0
	v_readfirstlane_b32 s4, v0
	s_mul_i32 s3, s3, s4
	s_mul_hi_u32 s3, s4, s3
	s_add_i32 s4, s4, s3
	s_mul_hi_u32 s3, s2, s4
	s_mul_i32 s4, s3, s6
	s_sub_i32 s4, s2, s4
	s_add_i32 s5, s3, 1
	s_sub_i32 s7, s4, s6
	s_cmp_ge_u32 s4, s6
	s_cselect_b32 s3, s5, s3
	s_cselect_b32 s4, s7, s4
	s_add_i32 s5, s3, 1
	s_cmp_ge_u32 s4, s6
	s_cselect_b32 s4, s5, s3
	s_mul_i32 s3, s4, s6
	s_sub_i32 s2, s2, s3
	s_lshl_b32 s29, s2, 6
	v_add_u32_e32 v4, s29, v7
	v_cmp_gt_i32_e64 s[2:3], s22, v32
	v_cmp_gt_i32_e32 vcc, s20, v4
	s_and_b64 s[2:3], s[2:3], vcc
	s_and_b64 s[6:7], s[10:11], s[2:3]
	v_lshlrev_b32_e32 v0, 1, v32
	v_mov_b32_e32 v9, 0
	s_and_saveexec_b64 s[2:3], s[6:7]
	s_cbranch_execz .LBB254_11
; %bb.10:
	s_waitcnt lgkmcnt(0)
	v_mad_i64_i32 v[10:11], s[6:7], v4, s34, 0
	v_lshl_add_u64 v[10:11], v[10:11], 1, s[18:19]
	v_mov_b32_e32 v1, 0
	v_lshl_add_u64 v[10:11], v[10:11], 0, v[0:1]
	flat_load_ushort v1, v[10:11]
	s_waitcnt vmcnt(0) lgkmcnt(0)
	v_mul_f16_e32 v9, s23, v1
.LBB254_11:
	s_or_b64 exec, exec, s[2:3]
	s_load_dword s31, s[0:1], 0x30
	v_lshrrev_b32_e32 v33, 6, v2
	s_add_i32 s33, s22, -1
	v_and_b32_e32 v10, 63, v2
	s_lshl_b32 s30, s4, 7
	v_min_i32_e32 v1, s33, v33
	v_or_b32_e32 v24, s30, v10
	s_waitcnt lgkmcnt(0)
	v_mad_i64_i32 v[2:3], s[2:3], s31, v1, 0
	v_cmp_le_i32_e64 s[6:7], s22, v33
	v_cmp_le_i32_e64 s[2:3], s21, v24
	s_or_b64 s[4:5], s[2:3], s[6:7]
	s_xor_b64 s[16:17], s[10:11], -1
	s_or_b64 s[4:5], s[4:5], s[16:17]
	v_lshl_add_u64 v[2:3], v[2:3], 1, s[14:15]
	s_xor_b64 s[26:27], s[4:5], -1
	v_ashrrev_i32_e32 v25, 31, v24
	s_and_saveexec_b64 s[4:5], s[26:27]
	s_cbranch_execz .LBB254_13
; %bb.12:
	v_lshl_add_u64 v[12:13], v[24:25], 1, v[2:3]
	flat_load_ushort v1, v[12:13]
	s_waitcnt vmcnt(0) lgkmcnt(0)
	v_mul_f16_e32 v8, s23, v1
.LBB254_13:
	s_or_b64 exec, exec, s[4:5]
	v_or_b32_e32 v1, 64, v24
	v_cmp_le_i32_e64 s[4:5], s21, v1
	s_or_b64 s[6:7], s[4:5], s[6:7]
	s_or_b64 s[6:7], s[6:7], s[16:17]
	s_xor_b64 s[26:27], s[6:7], -1
	v_mov_b32_e32 v1, 0
	v_mov_b32_e32 v11, 0
	s_and_saveexec_b64 s[6:7], s[26:27]
	s_cbranch_execz .LBB254_15
; %bb.14:
	v_lshl_add_u64 v[2:3], v[24:25], 1, v[2:3]
	flat_load_ushort v2, v[2:3] offset:128
	s_waitcnt vmcnt(0) lgkmcnt(0)
	v_mul_f16_e32 v11, s23, v2
.LBB254_15:
	s_or_b64 exec, exec, s[6:7]
	v_or_b32_e32 v2, 4, v32
	v_cmp_gt_i32_e64 s[6:7], s22, v2
	s_and_b64 s[6:7], s[6:7], vcc
	s_and_b64 s[26:27], s[10:11], s[6:7]
	s_and_saveexec_b64 s[6:7], s[26:27]
	s_cbranch_execz .LBB254_17
; %bb.16:
	v_mad_i64_i32 v[2:3], s[26:27], v4, s34, 0
	v_lshl_add_u64 v[2:3], v[2:3], 1, s[18:19]
	v_mov_b32_e32 v1, 0
	v_lshl_add_u64 v[2:3], v[2:3], 0, v[0:1]
	flat_load_ushort v1, v[2:3] offset:8
	s_waitcnt vmcnt(0) lgkmcnt(0)
	v_mul_f16_e32 v1, s23, v1
.LBB254_17:
	s_or_b64 exec, exec, s[6:7]
	v_add_u32_e32 v2, 4, v33
	v_cmp_le_i32_e64 s[6:7], s22, v2
	v_min_i32_e32 v2, s33, v2
	v_mad_i64_i32 v[2:3], s[26:27], s31, v2, 0
	s_or_b64 s[26:27], s[2:3], s[6:7]
	s_or_b64 s[26:27], s[26:27], s[16:17]
	v_lshl_add_u64 v[2:3], v[2:3], 1, s[14:15]
	s_xor_b64 s[36:37], s[26:27], -1
	v_mov_b32_e32 v5, 0
	v_mov_b32_e32 v6, 0
	s_and_saveexec_b64 s[26:27], s[36:37]
	s_cbranch_execz .LBB254_19
; %bb.18:
	v_lshl_add_u64 v[12:13], v[24:25], 1, v[2:3]
	flat_load_ushort v6, v[12:13]
	s_waitcnt vmcnt(0) lgkmcnt(0)
	v_mul_f16_e32 v6, s23, v6
.LBB254_19:
	s_or_b64 exec, exec, s[26:27]
	s_or_b64 s[6:7], s[4:5], s[6:7]
	s_or_b64 s[6:7], s[6:7], s[16:17]
	s_xor_b64 s[26:27], s[6:7], -1
	s_and_saveexec_b64 s[6:7], s[26:27]
	s_cbranch_execz .LBB254_21
; %bb.20:
	v_lshl_add_u64 v[2:3], v[24:25], 1, v[2:3]
	flat_load_ushort v2, v[2:3] offset:128
	s_waitcnt vmcnt(0) lgkmcnt(0)
	v_mul_f16_e32 v5, s23, v2
.LBB254_21:
	s_or_b64 exec, exec, s[6:7]
	v_lshlrev_b32_e32 v3, 1, v33
	v_lshl_or_b32 v2, v7, 3, v0
	v_lshl_add_u32 v36, v10, 3, v3
	v_lshlrev_b32_e32 v35, 3, v30
	v_lshlrev_b32_e32 v34, 3, v31
	ds_write_b16 v2, v9 offset:2048
	ds_write_b16 v36, v8
	ds_write_b16 v36, v11 offset:512
	s_waitcnt lgkmcnt(0)
	s_barrier
	ds_read2_b64 v[8:11], v34 offset1:32
	v_add_u32_e32 v37, 0x800, v35
	ds_read2_b64 v[12:15], v37 offset0:48 offset1:56
	ds_read2_b64 v[16:19], v34 offset0:64 offset1:96
	ds_read2_b64 v[20:23], v37 offset1:8
	ds_read2_b64 v[26:29], v37 offset0:16 offset1:24
	ds_read2_b64 v[38:41], v37 offset0:32 offset1:40
	s_waitcnt lgkmcnt(5)
	v_pk_max_f16 v3, v8, v8
	s_waitcnt lgkmcnt(4)
	v_pk_max_f16 v7, v14, v14
	v_pk_max_f16 v10, v10, v10
	v_pk_min_f16 v8, v7, v3
	s_waitcnt lgkmcnt(3)
	v_pk_max_f16 v14, v16, v16
	s_waitcnt lgkmcnt(2)
	v_pk_max_f16 v16, v20, v20
	v_pk_max_f16 v18, v18, v18
	v_pk_max_f16 v22, v22, v22
	s_waitcnt lgkmcnt(1)
	v_pk_max_f16 v26, v26, v26
	v_pk_max_f16 v28, v28, v28
	;; [unrolled: 4-line block ×3, first 2 shown]
	v_pk_max_f16 v12, v12, v12
	v_pk_max_f16 v15, v15, v15
	v_pk_min_f16 v20, v16, v3
	v_pk_min_f16 v42, v16, v10
	v_pk_min_f16 v43, v16, v14
	v_pk_min_f16 v16, v16, v18
	v_pk_min_f16 v44, v22, v3
	v_pk_min_f16 v45, v22, v10
	v_pk_min_f16 v46, v22, v14
	v_pk_min_f16 v22, v22, v18
	v_pk_min_f16 v47, v26, v3
	v_pk_min_f16 v48, v26, v10
	v_pk_min_f16 v49, v26, v14
	v_pk_min_f16 v26, v26, v18
	v_pk_min_f16 v53, v28, v3
	v_pk_min_f16 v54, v28, v10
	v_pk_min_f16 v55, v28, v14
	v_pk_min_f16 v28, v28, v18
	v_pk_max_f16 v11, v11, v11
	v_pk_min_f16 v56, v38, v3
	v_pk_min_f16 v61, v38, v10
	;; [unrolled: 1-line block ×15, first 2 shown]
	v_pk_add_f16 v8, v8, 0
	v_pk_min_f16 v18, v15, v9
	v_pk_max_f16 v17, v17, v17
	v_pk_add_f16 v68, v8, v18
	v_pk_add_f16 v8, v50, 0
	v_pk_min_f16 v18, v15, v11
	v_pk_max_f16 v21, v21, v21
	v_pk_add_f16 v60, v8, v18
	;; [unrolled: 4-line block ×6, first 2 shown]
	v_pk_add_f16 v8, v16, 0
	v_pk_min_f16 v16, v21, v19
	v_pk_add_f16 v18, v54, 0
	v_pk_add_f16 v51, v8, v16
	v_pk_add_f16 v8, v44, 0
	v_pk_min_f16 v16, v23, v9
	v_pk_add_f16 v20, v55, 0
	v_pk_add_f16 v73, v8, v16
	v_pk_add_f16 v8, v45, 0
	v_pk_min_f16 v16, v23, v11
	v_pk_add_f16 v42, v64, 0
	v_pk_add_f16 v66, v8, v16
	v_pk_add_f16 v8, v46, 0
	v_pk_min_f16 v16, v23, v17
	v_pk_add_f16 v21, v28, 0
	v_pk_add_f16 v58, v8, v16
	v_pk_add_f16 v8, v22, 0
	v_pk_min_f16 v16, v23, v19
	v_pk_add_f16 v22, v56, 0
	v_pk_add_f16 v50, v8, v16
	v_pk_add_f16 v8, v47, 0
	v_pk_min_f16 v16, v27, v9
	v_pk_add_f16 v23, v61, 0
	v_pk_add_f16 v72, v8, v16
	v_pk_add_f16 v8, v48, 0
	v_pk_min_f16 v16, v27, v11
	v_pk_add_f16 v28, v38, 0
	v_pk_add_f16 v65, v8, v16
	v_pk_add_f16 v8, v49, 0
	v_pk_min_f16 v16, v27, v17
	v_pk_min_f16 v27, v27, v19
	v_pk_add_f16 v57, v8, v16
	v_pk_add_f16 v8, v26, 0
	;; [unrolled: 1-line block ×4, first 2 shown]
	v_pk_min_f16 v8, v29, v9
	v_pk_add_f16 v38, v63, 0
	v_pk_add_f16 v71, v16, v8
	v_pk_min_f16 v8, v29, v11
	v_pk_add_f16 v26, v62, 0
	v_pk_add_f16 v64, v18, v8
	;; [unrolled: 3-line block ×4, first 2 shown]
	v_pk_max_f16 v8, v39, v39
	v_pk_add_f16 v10, v10, 0
	v_pk_min_f16 v16, v8, v9
	v_pk_add_f16 v14, v14, 0
	v_pk_add_f16 v70, v22, v16
	v_pk_min_f16 v16, v8, v11
	v_pk_add_f16 v12, v12, 0
	v_pk_add_f16 v63, v23, v16
	v_pk_min_f16 v16, v8, v17
	v_pk_min_f16 v8, v8, v19
	v_pk_add_f16 v55, v26, v16
	v_pk_add_f16 v47, v28, v8
	v_pk_max_f16 v8, v41, v41
	v_pk_add_f16 v43, v69, 0
	v_pk_min_f16 v16, v8, v9
	v_pk_add_f16 v7, v7, 0
	v_pk_add_f16 v39, v38, v16
	v_pk_min_f16 v16, v8, v11
	s_mov_b32 s26, 0
	v_pk_add_f16 v62, v42, v16
	v_pk_min_f16 v16, v8, v17
	v_pk_min_f16 v8, v8, v19
	v_pk_add_f16 v54, v43, v16
	v_pk_add_f16 v46, v40, v8
	v_pk_max_f16 v8, v13, v13
	s_cmp_lt_i32 s22, 9
	v_pk_min_f16 v9, v8, v9
	ds_write_b16 v2, v1 offset:2560
	ds_write_b16 v36, v6 offset:1024
	;; [unrolled: 1-line block ×3, first 2 shown]
	v_pk_add_f16 v38, v3, v9
	v_pk_min_f16 v3, v8, v11
	s_waitcnt lgkmcnt(0)
	v_pk_add_f16 v61, v10, v3
	v_pk_min_f16 v3, v8, v17
	s_barrier
	v_pk_add_f16 v53, v14, v3
	v_pk_min_f16 v3, v8, v19
	s_nop 0
	v_pk_add_f16 v45, v12, v3
	v_pk_min_f16 v3, v15, v19
	s_nop 0
	v_pk_add_f16 v44, v7, v3
	s_cbranch_scc1 .LBB254_36
; %bb.22:
	v_mov_b32_e32 v1, 0xa00
	v_lshl_add_u32 v43, v30, 3, v1
	v_mov_b32_e32 v1, 0x400
	v_add_u32_e32 v40, 0x800, v2
	v_add_u32_e32 v41, 0xa00, v2
	v_lshl_add_u32 v69, v31, 3, v1
	v_mad_i64_i32 v[2:3], s[6:7], s34, v4, 0
	v_mov_b32_e32 v1, 0
	v_lshl_add_u64 v[0:1], v[2:3], 1, v[0:1]
	v_lshl_add_u64 v[0:1], v[0:1], 0, s[18:19]
	v_or_b32_e32 v42, 0x400, v36
	s_add_i32 s27, s22, -8
	v_lshl_add_u64 v[26:27], v[0:1], 0, 24
	s_branch .LBB254_24
.LBB254_23:                             ;   in Loop: Header=BB254_24 Depth=1
	s_or_b64 exec, exec, s[6:7]
	v_pk_add_f16 v20, v60, v20
	v_pk_add_f16 v12, v52, v12
	;; [unrolled: 1-line block ×20, first 2 shown]
	ds_read2_b64 v[6:9], v37 offset0:48 offset1:56
	ds_read2_b64 v[10:13], v34 offset1:32
	v_pk_add_f16 v2, v68, v2
	v_pk_add_f16 v22, v67, v22
	v_pk_add_f16 v4, v70, v4
	v_pk_add_f16 v44, v44, v97
	s_waitcnt lgkmcnt(1)
	v_pk_max_f16 v8, v8, v8
	s_waitcnt lgkmcnt(0)
	v_pk_max_f16 v10, v10, v10
	v_pk_add_f16 v16, v74, v16
	v_pk_add_f16 v58, v64, v84
	;; [unrolled: 1-line block ×10, first 2 shown]
	ds_read2_b64 v[2:5], v34 offset0:64 offset1:96
	v_pk_min_f16 v14, v8, v10
	v_pk_add_f16 v39, v62, v90
	v_pk_add_f16 v62, v16, v17
	;; [unrolled: 1-line block ×4, first 2 shown]
	ds_read2_b64 v[14:17], v37 offset1:8
	v_pk_max_f16 v12, v12, v12
	s_waitcnt lgkmcnt(1)
	v_pk_max_f16 v2, v2, v2
	v_pk_min_f16 v61, v8, v12
	v_pk_max_f16 v4, v4, v4
	v_pk_add_f16 v61, v20, v61
	v_pk_min_f16 v20, v8, v2
	s_waitcnt lgkmcnt(0)
	v_pk_max_f16 v14, v14, v14
	v_pk_add_f16 v66, v21, v20
	v_pk_min_f16 v20, v14, v10
	v_pk_max_f16 v16, v16, v16
	v_pk_add_f16 v62, v62, v20
	v_pk_min_f16 v20, v14, v12
	v_pk_add_f16 v50, v50, v80
	v_pk_add_f16 v22, v22, v20
	v_pk_min_f16 v20, v14, v2
	v_pk_min_f16 v14, v14, v4
	v_pk_add_f16 v23, v23, v20
	v_pk_min_f16 v20, v16, v10
	v_pk_add_f16 v14, v28, v14
	v_pk_add_f16 v28, v18, v20
	v_pk_min_f16 v18, v16, v12
	v_pk_add_f16 v50, v50, v101
	v_pk_add_f16 v70, v19, v18
	ds_read2_b64 v[18:21], v37 offset0:16 offset1:24
	v_pk_min_f16 v67, v16, v2
	v_pk_min_f16 v16, v16, v4
	v_pk_add_f16 v49, v49, v83
	v_pk_add_f16 v16, v50, v16
	s_waitcnt lgkmcnt(0)
	v_pk_max_f16 v18, v18, v18
	v_pk_add_f16 v52, v52, v102
	v_pk_min_f16 v50, v18, v10
	ds_read2_b64 v[78:81], v37 offset0:32 offset1:40
	v_pk_add_f16 v71, v51, v50
	v_pk_min_f16 v50, v18, v12
	v_pk_add_f16 v49, v49, v104
	v_pk_add_f16 v77, v52, v50
	v_pk_min_f16 v50, v18, v2
	v_pk_min_f16 v18, v18, v4
	v_pk_max_f16 v20, v20, v20
	v_pk_add_f16 v18, v49, v18
	v_pk_min_f16 v49, v20, v10
	v_pk_add_f16 v48, v48, v86
	v_pk_add_f16 v58, v58, v105
	;; [unrolled: 1-line block ×3, first 2 shown]
	v_pk_min_f16 v49, v20, v12
	v_pk_add_f16 v57, v57, v82
	v_pk_add_f16 v56, v56, v85
	;; [unrolled: 1-line block ×4, first 2 shown]
	v_pk_min_f16 v49, v20, v2
	v_pk_min_f16 v20, v20, v4
	v_pk_add_f16 v56, v56, v106
	v_pk_add_f16 v20, v48, v20
	s_waitcnt lgkmcnt(0)
	v_pk_max_f16 v48, v78, v78
	v_pk_add_f16 v56, v56, v49
	v_pk_min_f16 v49, v48, v10
	v_pk_add_f16 v47, v47, v89
	v_pk_add_f16 v59, v59, v109
	;; [unrolled: 1-line block ×3, first 2 shown]
	v_pk_min_f16 v49, v48, v12
	v_pk_add_f16 v55, v55, v88
	v_pk_add_f16 v47, v47, v111
	;; [unrolled: 1-line block ×3, first 2 shown]
	v_pk_min_f16 v49, v48, v2
	v_pk_min_f16 v48, v48, v4
	v_pk_add_f16 v55, v55, v110
	v_pk_add_f16 v47, v47, v48
	v_pk_max_f16 v48, v80, v80
	v_pk_add_f16 v55, v55, v49
	v_pk_min_f16 v49, v48, v10
	v_pk_add_f16 v54, v54, v91
	v_pk_add_f16 v39, v39, v112
	;; [unrolled: 1-line block ×3, first 2 shown]
	v_pk_min_f16 v49, v48, v12
	v_pk_max_f16 v6, v6, v6
	v_pk_add_f16 v54, v54, v113
	v_pk_add_f16 v84, v39, v49
	v_pk_min_f16 v39, v48, v2
	v_pk_min_f16 v10, v6, v10
	;; [unrolled: 1-line block ×5, first 2 shown]
	v_pk_add_f16 v54, v54, v39
	v_pk_min_f16 v39, v48, v4
	v_pk_add_f16 v1, v1, v6
	v_pk_min_f16 v4, v8, v4
	v_pk_max_f16 v6, v9, v9
	v_pk_max_f16 v8, v11, v11
	v_pk_add_f16 v60, v60, v116
	v_pk_min_f16 v9, v6, v8
	v_pk_max_f16 v3, v3, v3
	v_pk_add_f16 v68, v45, v9
	v_pk_max_f16 v9, v13, v13
	v_pk_add_f16 v12, v60, v12
	v_pk_min_f16 v11, v6, v9
	v_pk_max_f16 v5, v5, v5
	v_pk_add_f16 v60, v61, v11
	v_pk_min_f16 v11, v6, v3
	v_pk_add_f16 v29, v29, v67
	v_pk_add_f16 v52, v66, v11
	v_pk_max_f16 v11, v15, v15
	v_pk_add_f16 v57, v57, v103
	v_pk_min_f16 v13, v11, v8
	v_pk_add_f16 v57, v57, v50
	v_pk_add_f16 v74, v62, v13
	v_pk_min_f16 v13, v11, v9
	v_pk_add_f16 v46, v46, v92
	v_pk_add_f16 v67, v22, v13
	v_pk_min_f16 v13, v11, v3
	v_pk_min_f16 v11, v11, v5
	v_pk_add_f16 v59, v23, v13
	v_pk_add_f16 v51, v14, v11
	v_pk_max_f16 v11, v17, v17
	v_pk_add_f16 v53, v53, v95
	v_pk_min_f16 v13, v11, v8
	v_pk_add_f16 v46, v46, v114
	v_pk_add_f16 v73, v28, v13
	v_pk_min_f16 v13, v11, v9
	v_pk_add_f16 v38, v38, v93
	v_pk_add_f16 v66, v70, v13
	v_pk_min_f16 v13, v11, v3
	v_pk_min_f16 v11, v11, v5
	v_pk_add_f16 v58, v29, v13
	v_pk_add_f16 v50, v16, v11
	v_pk_max_f16 v11, v19, v19
	v_pk_add_f16 v53, v53, v117
	v_pk_min_f16 v13, v11, v8
	v_pk_add_f16 v46, v46, v39
	v_pk_add_f16 v72, v71, v13
	v_pk_min_f16 v13, v11, v9
	v_pk_max_f16 v7, v7, v7
	v_pk_add_f16 v65, v77, v13
	v_pk_min_f16 v13, v11, v3
	v_pk_min_f16 v11, v11, v5
	v_pk_add_f16 v57, v57, v13
	v_pk_add_f16 v49, v18, v11
	v_pk_max_f16 v11, v21, v21
	v_pk_add_f16 v38, v38, v115
	v_pk_min_f16 v13, v11, v8
	v_pk_add_f16 v2, v53, v2
	v_pk_add_f16 v71, v63, v13
	v_pk_min_f16 v13, v11, v9
	v_pk_add_f16 v10, v38, v10
	v_pk_add_f16 v64, v82, v13
	v_pk_min_f16 v13, v11, v3
	v_pk_min_f16 v11, v11, v5
	v_pk_add_f16 v56, v56, v13
	v_pk_add_f16 v48, v20, v11
	v_pk_max_f16 v11, v79, v79
	v_pk_add_f16 v4, v44, v4
	v_pk_min_f16 v13, v11, v8
	s_add_i32 s26, s26, 8
	v_pk_add_f16 v70, v78, v13
	v_pk_min_f16 v13, v11, v9
	s_cmp_ge_i32 s26, s27
	v_pk_add_f16 v63, v83, v13
	v_pk_min_f16 v13, v11, v3
	v_pk_min_f16 v11, v11, v5
	v_pk_add_f16 v55, v55, v13
	v_pk_add_f16 v47, v47, v11
	v_pk_max_f16 v11, v81, v81
	v_lshl_add_u64 v[26:27], v[26:27], 0, 16
	v_pk_min_f16 v13, v11, v8
	v_pk_min_f16 v8, v7, v8
	v_pk_add_f16 v39, v80, v13
	v_pk_min_f16 v13, v11, v9
	v_pk_add_f16 v38, v10, v8
	v_pk_add_f16 v62, v84, v13
	v_pk_min_f16 v13, v11, v3
	v_pk_min_f16 v3, v7, v3
	;; [unrolled: 1-line block ×3, first 2 shown]
	v_pk_add_f16 v53, v2, v3
	v_pk_min_f16 v2, v7, v5
	v_pk_min_f16 v8, v7, v9
	v_pk_add_f16 v45, v1, v2
	v_pk_min_f16 v1, v6, v5
	v_pk_add_f16 v54, v54, v13
	v_pk_add_f16 v46, v46, v11
	;; [unrolled: 1-line block ×4, first 2 shown]
	ds_write_b16 v41, v76
	ds_write_b16 v42, v75
	ds_write_b16 v42, v0 offset:512
	s_waitcnt lgkmcnt(0)
	s_barrier
	s_cbranch_scc1 .LBB254_36
.LBB254_24:                             ; =>This Inner Loop Header: Depth=1
	v_add_u32_e32 v28, s26, v32
	v_add_u32_e32 v0, 8, v28
	v_cmp_gt_i32_e64 s[6:7], s22, v0
	s_and_b64 s[6:7], s[6:7], vcc
	s_and_b64 s[6:7], s[10:11], s[6:7]
	v_mov_b32_e32 v75, 0
	s_and_saveexec_b64 s[18:19], s[6:7]
	s_cbranch_execz .LBB254_26
; %bb.25:                               ;   in Loop: Header=BB254_24 Depth=1
	v_add_co_u32_e64 v0, s[6:7], -8, v26
	s_nop 1
	v_addc_co_u32_e64 v1, s[6:7], -1, v27, s[6:7]
	flat_load_ushort v0, v[0:1]
	s_waitcnt vmcnt(0) lgkmcnt(0)
	v_mul_f16_e32 v75, s23, v0
.LBB254_26:                             ;   in Loop: Header=BB254_24 Depth=1
	s_or_b64 exec, exec, s[18:19]
	v_add_u32_e32 v29, s26, v33
	v_add_u32_e32 v0, 8, v29
	v_cmp_le_i32_e64 s[6:7], s22, v0
	v_min_i32_e32 v0, s33, v0
	v_mad_i64_i32 v[0:1], s[18:19], v0, s31, 0
	s_or_b64 s[18:19], s[2:3], s[6:7]
	v_lshl_add_u64 v[0:1], v[0:1], 1, s[14:15]
	s_or_b64 s[18:19], s[18:19], s[16:17]
	s_xor_b64 s[34:35], s[18:19], -1
	v_mov_b32_e32 v76, 0
	v_lshl_add_u64 v[0:1], v[24:25], 1, v[0:1]
	v_mov_b32_e32 v77, 0
	s_and_saveexec_b64 s[18:19], s[34:35]
	s_cbranch_execz .LBB254_28
; %bb.27:                               ;   in Loop: Header=BB254_24 Depth=1
	flat_load_ushort v2, v[0:1]
	s_waitcnt vmcnt(0) lgkmcnt(0)
	v_mul_f16_e32 v77, s23, v2
.LBB254_28:                             ;   in Loop: Header=BB254_24 Depth=1
	s_or_b64 exec, exec, s[18:19]
	s_or_b64 s[6:7], s[4:5], s[6:7]
	s_or_b64 s[6:7], s[6:7], s[16:17]
	s_xor_b64 s[18:19], s[6:7], -1
	s_and_saveexec_b64 s[6:7], s[18:19]
	s_cbranch_execz .LBB254_30
; %bb.29:                               ;   in Loop: Header=BB254_24 Depth=1
	flat_load_ushort v0, v[0:1] offset:128
	s_waitcnt vmcnt(0) lgkmcnt(0)
	v_mul_f16_e32 v76, s23, v0
.LBB254_30:                             ;   in Loop: Header=BB254_24 Depth=1
	s_or_b64 exec, exec, s[6:7]
	ds_read2_b64 v[0:3], v43 offset0:48 offset1:56
	ds_read2_b64 v[12:15], v69 offset0:64 offset1:96
	ds_read2_b64 v[20:23], v69 offset1:32
	ds_read2_b64 v[16:19], v43 offset1:8
	ds_read2_b64 v[8:11], v43 offset0:16 offset1:24
	ds_read2_b64 v[4:7], v43 offset0:32 offset1:40
	v_add_u32_e32 v28, 12, v28
	v_cmp_gt_i32_e64 s[6:7], s22, v28
	s_and_b64 s[6:7], s[6:7], vcc
	ds_write_b16 v40, v75
	ds_write_b16 v36, v77
	ds_write_b16 v36, v76 offset:512
	s_and_b64 s[18:19], s[10:11], s[6:7]
	v_mov_b32_e32 v75, 0
	v_mov_b32_e32 v76, 0
	s_waitcnt lgkmcnt(0)
	s_barrier
	s_and_saveexec_b64 s[6:7], s[18:19]
	s_cbranch_execz .LBB254_32
; %bb.31:                               ;   in Loop: Header=BB254_24 Depth=1
	flat_load_ushort v28, v[26:27]
	s_waitcnt vmcnt(0) lgkmcnt(0)
	v_mul_f16_e32 v76, s23, v28
.LBB254_32:                             ;   in Loop: Header=BB254_24 Depth=1
	s_or_b64 exec, exec, s[6:7]
	v_add_u32_e32 v28, 12, v29
	v_cmp_le_i32_e64 s[6:7], s22, v28
	v_min_i32_e32 v28, s33, v28
	v_mad_i64_i32 v[28:29], s[18:19], v28, s31, 0
	s_or_b64 s[18:19], s[2:3], s[6:7]
	v_lshl_add_u64 v[28:29], v[28:29], 1, s[14:15]
	s_or_b64 s[18:19], s[18:19], s[16:17]
	s_xor_b64 s[34:35], s[18:19], -1
	v_lshl_add_u64 v[28:29], v[24:25], 1, v[28:29]
	s_and_saveexec_b64 s[18:19], s[34:35]
	s_cbranch_execz .LBB254_34
; %bb.33:                               ;   in Loop: Header=BB254_24 Depth=1
	flat_load_ushort v75, v[28:29]
	s_waitcnt vmcnt(0) lgkmcnt(0)
	v_mul_f16_e32 v75, s23, v75
.LBB254_34:                             ;   in Loop: Header=BB254_24 Depth=1
	s_or_b64 exec, exec, s[18:19]
	v_pk_max_f16 v97, v2, v2
	v_pk_max_f16 v93, v20, v20
	;; [unrolled: 1-line block ×17, first 2 shown]
	s_or_b64 s[6:7], s[4:5], s[6:7]
	v_pk_min_f16 v2, v97, v93
	v_pk_min_f16 v20, v97, v94
	;; [unrolled: 1-line block ×26, first 2 shown]
	v_pk_max_f16 v0, v3, v3
	v_pk_max_f16 v99, v17, v17
	;; [unrolled: 1-line block ×5, first 2 shown]
	v_pk_min_f16 v108, v5, v115
	v_pk_min_f16 v109, v5, v116
	;; [unrolled: 1-line block ×4, first 2 shown]
	v_pk_max_f16 v5, v7, v7
	v_pk_max_f16 v1, v1, v1
	s_or_b64 s[6:7], s[6:7], s[16:17]
	v_pk_min_f16 v80, v80, v98
	v_pk_min_f16 v83, v83, v98
	;; [unrolled: 1-line block ×34, first 2 shown]
	s_xor_b64 s[18:19], s[6:7], -1
	v_mov_b32_e32 v0, 0
	s_and_saveexec_b64 s[6:7], s[18:19]
	s_cbranch_execz .LBB254_23
; %bb.35:                               ;   in Loop: Header=BB254_24 Depth=1
	flat_load_ushort v0, v[28:29] offset:128
	s_waitcnt vmcnt(0) lgkmcnt(0)
	v_mul_f16_e32 v0, s23, v0
	s_branch .LBB254_23
.LBB254_36:
	s_load_dwordx2 s[2:3], s[0:1], 0x70
	s_load_dword s33, s[0:1], 0x50
	s_load_dword s31, s[0:1], 0x68
	v_add_u32_e32 v8, 0x800, v35
	ds_read2_b64 v[0:3], v8 offset0:112 offset1:120
	ds_read2_b64 v[4:7], v34 offset0:192 offset1:224
	;; [unrolled: 1-line block ×6, first 2 shown]
	s_waitcnt lgkmcnt(0)
	s_lshl_b64 s[0:1], s[2:3], 1
	s_add_u32 s22, s12, s0
	v_add_u32_e32 v69, s30, v31
	s_addc_u32 s23, s13, s1
	v_mad_i64_i32 v[26:27], s[0:1], v69, s33, 0
	v_add_u32_e32 v24, s29, v30
	v_lshl_add_u64 v[42:43], v[26:27], 1, s[24:25]
	v_mad_i64_i32 v[26:27], s[0:1], v69, s31, 0
	v_cmp_gt_i32_e64 s[18:19], s21, v69
	v_lshl_add_u64 v[40:41], v[26:27], 1, s[22:23]
	v_cmp_gt_i32_e64 s[2:3], s20, v24
	v_cndmask_b32_e64 v26, 0, 1, s[8:9]
	s_and_b64 s[6:7], s[2:3], s[18:19]
	v_ashrrev_i32_e32 v25, 31, v24
	v_cmp_ne_u32_e64 s[0:1], 1, v26
	s_and_saveexec_b64 s[4:5], s[6:7]
	s_cbranch_execz .LBB254_41
; %bb.37:
	s_and_b64 vcc, exec, s[0:1]
	s_cbranch_vccnz .LBB254_39
; %bb.38:
	v_lshl_add_u64 v[26:27], v[24:25], 1, v[42:43]
	flat_load_ushort v26, v[26:27]
	s_waitcnt vmcnt(0) lgkmcnt(0)
	v_mul_f16_e32 v26, s28, v26
	s_branch .LBB254_40
.LBB254_39:
	v_mov_b32_e32 v26, 0
.LBB254_40:
	v_pk_max_f16 v27, v20, v20
	v_pk_max_f16 v28, v16, v16
	v_pk_max_f16 v29, v17, v17
	v_pk_min_f16 v27, v28, v27
	v_pk_max_f16 v28, v21, v21
	v_pk_add_f16 v27, v74, v27
	v_pk_min_f16 v28, v29, v28
	s_nop 0
	v_pk_add_f16 v27, v27, v28
	s_nop 0
	v_add_f16_sdwa v27, v27, v27 dst_sel:DWORD dst_unused:UNUSED_PAD src0_sel:DWORD src1_sel:WORD_1
	v_add_f16_e32 v28, v27, v26
	v_lshl_add_u64 v[26:27], v[24:25], 1, v[40:41]
	global_store_short v[26:27], v28, off
.LBB254_41:
	s_or_b64 exec, exec, s[4:5]
	v_add_u32_e32 v26, 8, v24
	v_cmp_gt_i32_e64 s[4:5], s20, v26
	s_and_b64 s[8:9], s[4:5], s[18:19]
	v_ashrrev_i32_e32 v27, 31, v26
	s_and_saveexec_b64 s[6:7], s[8:9]
	s_cbranch_execz .LBB254_46
; %bb.42:
	s_and_b64 vcc, exec, s[0:1]
	s_cbranch_vccnz .LBB254_44
; %bb.43:
	v_lshl_add_u64 v[28:29], v[26:27], 1, v[42:43]
	flat_load_ushort v28, v[28:29]
	s_waitcnt vmcnt(0) lgkmcnt(0)
	v_mul_f16_e32 v28, s28, v28
	s_branch .LBB254_45
.LBB254_44:
	v_mov_b32_e32 v28, 0
.LBB254_45:
	v_pk_max_f16 v29, v20, v20
	v_pk_max_f16 v30, v18, v18
	v_pk_max_f16 v31, v19, v19
	v_pk_min_f16 v29, v30, v29
	v_pk_max_f16 v30, v21, v21
	v_pk_add_f16 v29, v73, v29
	v_pk_min_f16 v30, v31, v30
	s_nop 0
	v_pk_add_f16 v29, v29, v30
	s_nop 0
	v_add_f16_sdwa v29, v29, v29 dst_sel:DWORD dst_unused:UNUSED_PAD src0_sel:DWORD src1_sel:WORD_1
	v_add_f16_e32 v30, v29, v28
	v_lshl_add_u64 v[28:29], v[26:27], 1, v[40:41]
	global_store_short v[28:29], v30, off
.LBB254_46:
	s_or_b64 exec, exec, s[6:7]
	v_add_u32_e32 v28, 16, v24
	v_cmp_gt_i32_e64 s[6:7], s20, v28
	s_and_b64 s[10:11], s[6:7], s[18:19]
	v_ashrrev_i32_e32 v29, 31, v28
	;; [unrolled: 34-line block ×5, first 2 shown]
	s_and_saveexec_b64 s[14:15], s[16:17]
	s_cbranch_execz .LBB254_66
; %bb.62:
	s_and_b64 vcc, exec, s[0:1]
	s_cbranch_vccnz .LBB254_64
; %bb.63:
	v_lshl_add_u64 v[36:37], v[34:35], 1, v[42:43]
	flat_load_ushort v36, v[36:37]
	s_waitcnt vmcnt(0) lgkmcnt(0)
	v_mul_f16_e32 v36, s28, v36
	s_branch .LBB254_65
.LBB254_64:
	v_mov_b32_e32 v36, 0
.LBB254_65:
	v_pk_max_f16 v37, v20, v20
	v_pk_max_f16 v70, v10, v10
	s_nop 0
	v_pk_min_f16 v37, v70, v37
	v_pk_max_f16 v70, v11, v11
	v_pk_add_f16 v37, v39, v37
	v_pk_max_f16 v39, v21, v21
	s_nop 0
	v_pk_min_f16 v39, v70, v39
	s_nop 0
	v_pk_add_f16 v37, v37, v39
	s_nop 0
	v_add_f16_sdwa v37, v37, v37 dst_sel:DWORD dst_unused:UNUSED_PAD src0_sel:DWORD src1_sel:WORD_1
	v_add_f16_e32 v39, v37, v36
	v_lshl_add_u64 v[36:37], v[34:35], 1, v[40:41]
	global_store_short v[36:37], v39, off
.LBB254_66:
	s_or_b64 exec, exec, s[14:15]
	v_add_u32_e32 v36, 48, v24
	v_cmp_gt_i32_e64 s[14:15], s20, v36
	s_and_b64 s[26:27], s[14:15], s[18:19]
	v_ashrrev_i32_e32 v37, 31, v36
	s_and_saveexec_b64 s[16:17], s[26:27]
	s_cbranch_execz .LBB254_71
; %bb.67:
	s_and_b64 vcc, exec, s[0:1]
	s_cbranch_vccnz .LBB254_69
; %bb.68:
	v_lshl_add_u64 v[70:71], v[36:37], 1, v[42:43]
	flat_load_ushort v39, v[70:71]
	s_waitcnt vmcnt(0) lgkmcnt(0)
	v_mul_f16_e32 v39, s28, v39
	s_branch .LBB254_70
.LBB254_69:
	v_mov_b32_e32 v39, 0
.LBB254_70:
	v_pk_max_f16 v70, v20, v20
	v_pk_max_f16 v71, v0, v0
	s_nop 0
	v_pk_min_f16 v70, v71, v70
	v_pk_max_f16 v71, v1, v1
	v_pk_add_f16 v38, v38, v70
	v_pk_max_f16 v70, v21, v21
	s_nop 0
	v_pk_min_f16 v70, v71, v70
	s_nop 0
	v_pk_add_f16 v38, v38, v70
	s_nop 0
	v_add_f16_sdwa v38, v38, v38 dst_sel:DWORD dst_unused:UNUSED_PAD src0_sel:DWORD src1_sel:WORD_1
	v_add_f16_e32 v70, v38, v39
	v_lshl_add_u64 v[38:39], v[36:37], 1, v[40:41]
	global_store_short v[38:39], v70, off
.LBB254_71:
	s_or_b64 exec, exec, s[16:17]
	v_add_u32_e32 v38, 56, v24
	v_cmp_gt_i32_e64 s[16:17], s20, v38
	s_and_b64 s[26:27], s[16:17], s[18:19]
	v_ashrrev_i32_e32 v39, 31, v38
	s_and_saveexec_b64 s[18:19], s[26:27]
	s_cbranch_execz .LBB254_76
; %bb.72:
	s_and_b64 vcc, exec, s[0:1]
	s_cbranch_vccnz .LBB254_74
; %bb.73:
	v_lshl_add_u64 v[42:43], v[38:39], 1, v[42:43]
	flat_load_ushort v42, v[42:43]
	s_waitcnt vmcnt(0) lgkmcnt(0)
	v_mul_f16_e32 v42, s28, v42
	s_branch .LBB254_75
.LBB254_74:
	v_mov_b32_e32 v42, 0
.LBB254_75:
	v_pk_max_f16 v20, v20, v20
	v_pk_max_f16 v43, v2, v2
	;; [unrolled: 1-line block ×3, first 2 shown]
	v_pk_min_f16 v20, v43, v20
	v_pk_max_f16 v43, v3, v3
	v_pk_add_f16 v20, v68, v20
	v_pk_min_f16 v21, v43, v21
	s_nop 0
	v_pk_add_f16 v20, v20, v21
	s_nop 0
	v_add_f16_sdwa v20, v20, v20 dst_sel:DWORD dst_unused:UNUSED_PAD src0_sel:DWORD src1_sel:WORD_1
	v_add_f16_e32 v42, v20, v42
	v_lshl_add_u64 v[20:21], v[38:39], 1, v[40:41]
	global_store_short v[20:21], v42, off
.LBB254_76:
	s_or_b64 exec, exec, s[18:19]
	v_add_u32_e32 v42, 32, v69
	v_mad_i64_i32 v[20:21], s[26:27], v42, s33, 0
	v_cmp_gt_i32_e64 s[18:19], s21, v42
	v_lshl_add_u64 v[40:41], v[20:21], 1, s[24:25]
	v_mad_i64_i32 v[20:21], s[26:27], v42, s31, 0
	v_lshl_add_u64 v[20:21], v[20:21], 1, s[22:23]
	s_and_b64 s[34:35], s[2:3], s[18:19]
	s_and_saveexec_b64 s[26:27], s[34:35]
	s_cbranch_execnz .LBB254_84
; %bb.77:
	s_or_b64 exec, exec, s[26:27]
	s_and_b64 s[34:35], s[4:5], s[18:19]
	s_and_saveexec_b64 s[26:27], s[34:35]
	s_cbranch_execnz .LBB254_88
.LBB254_78:
	s_or_b64 exec, exec, s[26:27]
	s_and_b64 s[34:35], s[6:7], s[18:19]
	s_and_saveexec_b64 s[26:27], s[34:35]
	s_cbranch_execnz .LBB254_92
.LBB254_79:
	s_or_b64 exec, exec, s[26:27]
	s_and_b64 s[34:35], s[8:9], s[18:19]
	s_and_saveexec_b64 s[26:27], s[34:35]
	s_cbranch_execnz .LBB254_96
.LBB254_80:
	s_or_b64 exec, exec, s[26:27]
	s_and_b64 s[34:35], s[10:11], s[18:19]
	s_and_saveexec_b64 s[26:27], s[34:35]
	s_cbranch_execnz .LBB254_100
.LBB254_81:
	s_or_b64 exec, exec, s[26:27]
	s_and_b64 s[34:35], s[12:13], s[18:19]
	s_and_saveexec_b64 s[26:27], s[34:35]
	s_cbranch_execnz .LBB254_104
.LBB254_82:
	s_or_b64 exec, exec, s[26:27]
	s_and_b64 s[34:35], s[14:15], s[18:19]
	s_and_saveexec_b64 s[26:27], s[34:35]
	s_cbranch_execnz .LBB254_108
.LBB254_83:
	s_or_b64 exec, exec, s[26:27]
	s_and_b64 s[26:27], s[16:17], s[18:19]
	s_and_saveexec_b64 s[18:19], s[26:27]
	s_cbranch_execnz .LBB254_112
	s_branch .LBB254_116
.LBB254_84:
	s_and_b64 vcc, exec, s[0:1]
	s_cbranch_vccnz .LBB254_86
; %bb.85:
	v_lshl_add_u64 v[42:43], v[24:25], 1, v[40:41]
	flat_load_ushort v42, v[42:43]
	s_waitcnt vmcnt(0) lgkmcnt(0)
	v_mul_f16_e32 v42, s28, v42
	s_branch .LBB254_87
.LBB254_86:
	v_mov_b32_e32 v42, 0
.LBB254_87:
	v_pk_max_f16 v43, v22, v22
	v_pk_max_f16 v68, v16, v16
	s_nop 0
	v_pk_min_f16 v43, v68, v43
	v_pk_max_f16 v68, v17, v17
	v_pk_add_f16 v43, v67, v43
	v_pk_max_f16 v67, v23, v23
	s_nop 0
	v_pk_min_f16 v67, v68, v67
	s_nop 0
	v_pk_add_f16 v43, v43, v67
	s_nop 0
	v_add_f16_sdwa v43, v43, v43 dst_sel:DWORD dst_unused:UNUSED_PAD src0_sel:DWORD src1_sel:WORD_1
	v_add_f16_e32 v67, v43, v42
	v_lshl_add_u64 v[42:43], v[24:25], 1, v[20:21]
	global_store_short v[42:43], v67, off
	s_or_b64 exec, exec, s[26:27]
	s_and_b64 s[34:35], s[4:5], s[18:19]
	s_and_saveexec_b64 s[26:27], s[34:35]
	s_cbranch_execz .LBB254_78
.LBB254_88:
	s_and_b64 vcc, exec, s[0:1]
	s_cbranch_vccnz .LBB254_90
; %bb.89:
	v_lshl_add_u64 v[42:43], v[26:27], 1, v[40:41]
	flat_load_ushort v42, v[42:43]
	s_waitcnt vmcnt(0) lgkmcnt(0)
	v_mul_f16_e32 v42, s28, v42
	s_branch .LBB254_91
.LBB254_90:
	v_mov_b32_e32 v42, 0
.LBB254_91:
	v_pk_max_f16 v43, v22, v22
	v_pk_max_f16 v67, v18, v18
	s_nop 0
	v_pk_min_f16 v43, v67, v43
	v_pk_max_f16 v67, v19, v19
	v_pk_add_f16 v43, v66, v43
	v_pk_max_f16 v66, v23, v23
	s_nop 0
	v_pk_min_f16 v66, v67, v66
	s_nop 0
	v_pk_add_f16 v43, v43, v66
	s_nop 0
	v_add_f16_sdwa v43, v43, v43 dst_sel:DWORD dst_unused:UNUSED_PAD src0_sel:DWORD src1_sel:WORD_1
	v_add_f16_e32 v66, v43, v42
	v_lshl_add_u64 v[42:43], v[26:27], 1, v[20:21]
	global_store_short v[42:43], v66, off
	s_or_b64 exec, exec, s[26:27]
	s_and_b64 s[34:35], s[6:7], s[18:19]
	s_and_saveexec_b64 s[26:27], s[34:35]
	s_cbranch_execz .LBB254_79
.LBB254_92:
	s_and_b64 vcc, exec, s[0:1]
	s_cbranch_vccnz .LBB254_94
; %bb.93:
	v_lshl_add_u64 v[42:43], v[28:29], 1, v[40:41]
	flat_load_ushort v42, v[42:43]
	s_waitcnt vmcnt(0) lgkmcnt(0)
	v_mul_f16_e32 v42, s28, v42
	s_branch .LBB254_95
.LBB254_94:
	v_mov_b32_e32 v42, 0
.LBB254_95:
	v_pk_max_f16 v43, v22, v22
	v_pk_max_f16 v66, v12, v12
	s_nop 0
	v_pk_min_f16 v43, v66, v43
	v_pk_max_f16 v66, v13, v13
	v_pk_add_f16 v43, v65, v43
	v_pk_max_f16 v65, v23, v23
	s_nop 0
	v_pk_min_f16 v65, v66, v65
	s_nop 0
	v_pk_add_f16 v43, v43, v65
	s_nop 0
	v_add_f16_sdwa v43, v43, v43 dst_sel:DWORD dst_unused:UNUSED_PAD src0_sel:DWORD src1_sel:WORD_1
	v_add_f16_e32 v65, v43, v42
	v_lshl_add_u64 v[42:43], v[28:29], 1, v[20:21]
	global_store_short v[42:43], v65, off
	s_or_b64 exec, exec, s[26:27]
	s_and_b64 s[34:35], s[8:9], s[18:19]
	s_and_saveexec_b64 s[26:27], s[34:35]
	s_cbranch_execz .LBB254_80
.LBB254_96:
	s_and_b64 vcc, exec, s[0:1]
	s_cbranch_vccnz .LBB254_98
; %bb.97:
	v_lshl_add_u64 v[42:43], v[30:31], 1, v[40:41]
	flat_load_ushort v42, v[42:43]
	s_waitcnt vmcnt(0) lgkmcnt(0)
	v_mul_f16_e32 v42, s28, v42
	s_branch .LBB254_99
.LBB254_98:
	v_mov_b32_e32 v42, 0
.LBB254_99:
	v_pk_max_f16 v43, v22, v22
	v_pk_max_f16 v65, v14, v14
	s_nop 0
	v_pk_min_f16 v43, v65, v43
	v_pk_max_f16 v65, v15, v15
	v_pk_add_f16 v43, v64, v43
	v_pk_max_f16 v64, v23, v23
	s_nop 0
	v_pk_min_f16 v64, v65, v64
	s_nop 0
	v_pk_add_f16 v43, v43, v64
	s_nop 0
	v_add_f16_sdwa v43, v43, v43 dst_sel:DWORD dst_unused:UNUSED_PAD src0_sel:DWORD src1_sel:WORD_1
	v_add_f16_e32 v64, v43, v42
	v_lshl_add_u64 v[42:43], v[30:31], 1, v[20:21]
	global_store_short v[42:43], v64, off
	s_or_b64 exec, exec, s[26:27]
	s_and_b64 s[34:35], s[10:11], s[18:19]
	s_and_saveexec_b64 s[26:27], s[34:35]
	s_cbranch_execz .LBB254_81
.LBB254_100:
	s_and_b64 vcc, exec, s[0:1]
	s_cbranch_vccnz .LBB254_102
; %bb.101:
	v_lshl_add_u64 v[42:43], v[32:33], 1, v[40:41]
	flat_load_ushort v42, v[42:43]
	s_waitcnt vmcnt(0) lgkmcnt(0)
	v_mul_f16_e32 v42, s28, v42
	s_branch .LBB254_103
.LBB254_102:
	v_mov_b32_e32 v42, 0
.LBB254_103:
	v_pk_max_f16 v43, v22, v22
	v_pk_max_f16 v64, v8, v8
	s_nop 0
	v_pk_min_f16 v43, v64, v43
	v_pk_max_f16 v64, v9, v9
	v_pk_add_f16 v43, v63, v43
	v_pk_max_f16 v63, v23, v23
	s_nop 0
	v_pk_min_f16 v63, v64, v63
	s_nop 0
	v_pk_add_f16 v43, v43, v63
	s_nop 0
	v_add_f16_sdwa v43, v43, v43 dst_sel:DWORD dst_unused:UNUSED_PAD src0_sel:DWORD src1_sel:WORD_1
	v_add_f16_e32 v63, v43, v42
	v_lshl_add_u64 v[42:43], v[32:33], 1, v[20:21]
	global_store_short v[42:43], v63, off
	s_or_b64 exec, exec, s[26:27]
	s_and_b64 s[34:35], s[12:13], s[18:19]
	s_and_saveexec_b64 s[26:27], s[34:35]
	s_cbranch_execz .LBB254_82
.LBB254_104:
	s_and_b64 vcc, exec, s[0:1]
	s_cbranch_vccnz .LBB254_106
; %bb.105:
	v_lshl_add_u64 v[42:43], v[34:35], 1, v[40:41]
	flat_load_ushort v42, v[42:43]
	s_waitcnt vmcnt(0) lgkmcnt(0)
	v_mul_f16_e32 v42, s28, v42
	s_branch .LBB254_107
.LBB254_106:
	v_mov_b32_e32 v42, 0
.LBB254_107:
	v_pk_max_f16 v43, v22, v22
	v_pk_max_f16 v63, v10, v10
	s_nop 0
	v_pk_min_f16 v43, v63, v43
	v_pk_max_f16 v63, v11, v11
	v_pk_add_f16 v43, v62, v43
	v_pk_max_f16 v62, v23, v23
	s_nop 0
	v_pk_min_f16 v62, v63, v62
	s_nop 0
	v_pk_add_f16 v43, v43, v62
	s_nop 0
	v_add_f16_sdwa v43, v43, v43 dst_sel:DWORD dst_unused:UNUSED_PAD src0_sel:DWORD src1_sel:WORD_1
	v_add_f16_e32 v62, v43, v42
	v_lshl_add_u64 v[42:43], v[34:35], 1, v[20:21]
	global_store_short v[42:43], v62, off
	s_or_b64 exec, exec, s[26:27]
	s_and_b64 s[34:35], s[14:15], s[18:19]
	s_and_saveexec_b64 s[26:27], s[34:35]
	s_cbranch_execz .LBB254_83
.LBB254_108:
	s_and_b64 vcc, exec, s[0:1]
	s_cbranch_vccnz .LBB254_110
; %bb.109:
	v_lshl_add_u64 v[42:43], v[36:37], 1, v[40:41]
	flat_load_ushort v42, v[42:43]
	s_waitcnt vmcnt(0) lgkmcnt(0)
	v_mul_f16_e32 v42, s28, v42
	s_branch .LBB254_111
.LBB254_110:
	v_mov_b32_e32 v42, 0
.LBB254_111:
	v_pk_max_f16 v43, v22, v22
	v_pk_max_f16 v62, v0, v0
	s_nop 0
	v_pk_min_f16 v43, v62, v43
	v_pk_max_f16 v62, v1, v1
	v_pk_add_f16 v43, v61, v43
	v_pk_max_f16 v61, v23, v23
	s_nop 0
	v_pk_min_f16 v61, v62, v61
	s_nop 0
	v_pk_add_f16 v43, v43, v61
	s_nop 0
	v_add_f16_sdwa v43, v43, v43 dst_sel:DWORD dst_unused:UNUSED_PAD src0_sel:DWORD src1_sel:WORD_1
	v_add_f16_e32 v61, v43, v42
	v_lshl_add_u64 v[42:43], v[36:37], 1, v[20:21]
	global_store_short v[42:43], v61, off
	s_or_b64 exec, exec, s[26:27]
	s_and_b64 s[26:27], s[16:17], s[18:19]
	s_and_saveexec_b64 s[18:19], s[26:27]
	s_cbranch_execz .LBB254_116
.LBB254_112:
	s_and_b64 vcc, exec, s[0:1]
	s_cbranch_vccnz .LBB254_114
; %bb.113:
	v_lshl_add_u64 v[40:41], v[38:39], 1, v[40:41]
	flat_load_ushort v40, v[40:41]
	s_waitcnt vmcnt(0) lgkmcnt(0)
	v_mul_f16_e32 v40, s28, v40
	s_branch .LBB254_115
.LBB254_114:
	v_mov_b32_e32 v40, 0
.LBB254_115:
	v_pk_max_f16 v22, v22, v22
	v_pk_max_f16 v41, v2, v2
	;; [unrolled: 1-line block ×3, first 2 shown]
	v_pk_min_f16 v22, v41, v22
	v_pk_max_f16 v41, v3, v3
	v_pk_add_f16 v22, v60, v22
	v_pk_min_f16 v23, v41, v23
	v_lshl_add_u64 v[20:21], v[38:39], 1, v[20:21]
	v_pk_add_f16 v22, v22, v23
	s_nop 0
	v_add_f16_sdwa v22, v22, v22 dst_sel:DWORD dst_unused:UNUSED_PAD src0_sel:DWORD src1_sel:WORD_1
	v_add_f16_e32 v22, v22, v40
	global_store_short v[20:21], v22, off
.LBB254_116:
	s_or_b64 exec, exec, s[18:19]
	v_add_u32_e32 v40, 64, v69
	v_mad_i64_i32 v[20:21], s[26:27], v40, s33, 0
	v_cmp_gt_i32_e64 s[18:19], s21, v40
	v_lshl_add_u64 v[22:23], v[20:21], 1, s[24:25]
	v_mad_i64_i32 v[20:21], s[26:27], v40, s31, 0
	v_lshl_add_u64 v[20:21], v[20:21], 1, s[22:23]
	s_and_b64 s[34:35], s[2:3], s[18:19]
	s_and_saveexec_b64 s[26:27], s[34:35]
	s_cbranch_execnz .LBB254_124
; %bb.117:
	s_or_b64 exec, exec, s[26:27]
	s_and_b64 s[34:35], s[4:5], s[18:19]
	s_and_saveexec_b64 s[26:27], s[34:35]
	s_cbranch_execnz .LBB254_128
.LBB254_118:
	s_or_b64 exec, exec, s[26:27]
	s_and_b64 s[34:35], s[6:7], s[18:19]
	s_and_saveexec_b64 s[26:27], s[34:35]
	s_cbranch_execnz .LBB254_132
.LBB254_119:
	s_or_b64 exec, exec, s[26:27]
	s_and_b64 s[34:35], s[8:9], s[18:19]
	s_and_saveexec_b64 s[26:27], s[34:35]
	s_cbranch_execnz .LBB254_136
.LBB254_120:
	s_or_b64 exec, exec, s[26:27]
	s_and_b64 s[34:35], s[10:11], s[18:19]
	s_and_saveexec_b64 s[26:27], s[34:35]
	s_cbranch_execnz .LBB254_140
.LBB254_121:
	s_or_b64 exec, exec, s[26:27]
	s_and_b64 s[34:35], s[12:13], s[18:19]
	s_and_saveexec_b64 s[26:27], s[34:35]
	s_cbranch_execnz .LBB254_144
.LBB254_122:
	s_or_b64 exec, exec, s[26:27]
	s_and_b64 s[34:35], s[14:15], s[18:19]
	s_and_saveexec_b64 s[26:27], s[34:35]
	s_cbranch_execnz .LBB254_148
.LBB254_123:
	s_or_b64 exec, exec, s[26:27]
	s_and_b64 s[26:27], s[16:17], s[18:19]
	s_and_saveexec_b64 s[18:19], s[26:27]
	s_cbranch_execnz .LBB254_152
	s_branch .LBB254_156
.LBB254_124:
	s_and_b64 vcc, exec, s[0:1]
	s_cbranch_vccnz .LBB254_126
; %bb.125:
	v_lshl_add_u64 v[40:41], v[24:25], 1, v[22:23]
	flat_load_ushort v40, v[40:41]
	s_waitcnt vmcnt(0) lgkmcnt(0)
	v_mul_f16_e32 v40, s28, v40
	s_branch .LBB254_127
.LBB254_126:
	v_mov_b32_e32 v40, 0
.LBB254_127:
	v_pk_max_f16 v41, v4, v4
	v_pk_max_f16 v42, v16, v16
	;; [unrolled: 1-line block ×3, first 2 shown]
	v_pk_min_f16 v41, v42, v41
	v_pk_max_f16 v42, v5, v5
	v_pk_add_f16 v41, v59, v41
	v_pk_min_f16 v42, v43, v42
	s_nop 0
	v_pk_add_f16 v41, v41, v42
	s_nop 0
	v_add_f16_sdwa v41, v41, v41 dst_sel:DWORD dst_unused:UNUSED_PAD src0_sel:DWORD src1_sel:WORD_1
	v_add_f16_e32 v42, v41, v40
	v_lshl_add_u64 v[40:41], v[24:25], 1, v[20:21]
	global_store_short v[40:41], v42, off
	s_or_b64 exec, exec, s[26:27]
	s_and_b64 s[34:35], s[4:5], s[18:19]
	s_and_saveexec_b64 s[26:27], s[34:35]
	s_cbranch_execz .LBB254_118
.LBB254_128:
	s_and_b64 vcc, exec, s[0:1]
	s_cbranch_vccnz .LBB254_130
; %bb.129:
	v_lshl_add_u64 v[40:41], v[26:27], 1, v[22:23]
	flat_load_ushort v40, v[40:41]
	s_waitcnt vmcnt(0) lgkmcnt(0)
	v_mul_f16_e32 v40, s28, v40
	s_branch .LBB254_131
.LBB254_130:
	v_mov_b32_e32 v40, 0
.LBB254_131:
	v_pk_max_f16 v41, v4, v4
	v_pk_max_f16 v42, v18, v18
	;; [unrolled: 1-line block ×3, first 2 shown]
	v_pk_min_f16 v41, v42, v41
	v_pk_max_f16 v42, v5, v5
	v_pk_add_f16 v41, v58, v41
	v_pk_min_f16 v42, v43, v42
	s_nop 0
	v_pk_add_f16 v41, v41, v42
	s_nop 0
	v_add_f16_sdwa v41, v41, v41 dst_sel:DWORD dst_unused:UNUSED_PAD src0_sel:DWORD src1_sel:WORD_1
	v_add_f16_e32 v42, v41, v40
	v_lshl_add_u64 v[40:41], v[26:27], 1, v[20:21]
	global_store_short v[40:41], v42, off
	s_or_b64 exec, exec, s[26:27]
	s_and_b64 s[34:35], s[6:7], s[18:19]
	s_and_saveexec_b64 s[26:27], s[34:35]
	s_cbranch_execz .LBB254_119
.LBB254_132:
	s_and_b64 vcc, exec, s[0:1]
	s_cbranch_vccnz .LBB254_134
; %bb.133:
	v_lshl_add_u64 v[40:41], v[28:29], 1, v[22:23]
	flat_load_ushort v40, v[40:41]
	s_waitcnt vmcnt(0) lgkmcnt(0)
	v_mul_f16_e32 v40, s28, v40
	s_branch .LBB254_135
.LBB254_134:
	v_mov_b32_e32 v40, 0
.LBB254_135:
	v_pk_max_f16 v41, v4, v4
	v_pk_max_f16 v42, v12, v12
	;; [unrolled: 1-line block ×3, first 2 shown]
	v_pk_min_f16 v41, v42, v41
	v_pk_max_f16 v42, v5, v5
	v_pk_add_f16 v41, v57, v41
	v_pk_min_f16 v42, v43, v42
	s_nop 0
	v_pk_add_f16 v41, v41, v42
	s_nop 0
	v_add_f16_sdwa v41, v41, v41 dst_sel:DWORD dst_unused:UNUSED_PAD src0_sel:DWORD src1_sel:WORD_1
	v_add_f16_e32 v42, v41, v40
	v_lshl_add_u64 v[40:41], v[28:29], 1, v[20:21]
	global_store_short v[40:41], v42, off
	s_or_b64 exec, exec, s[26:27]
	s_and_b64 s[34:35], s[8:9], s[18:19]
	s_and_saveexec_b64 s[26:27], s[34:35]
	s_cbranch_execz .LBB254_120
.LBB254_136:
	s_and_b64 vcc, exec, s[0:1]
	s_cbranch_vccnz .LBB254_138
; %bb.137:
	v_lshl_add_u64 v[40:41], v[30:31], 1, v[22:23]
	flat_load_ushort v40, v[40:41]
	s_waitcnt vmcnt(0) lgkmcnt(0)
	v_mul_f16_e32 v40, s28, v40
	s_branch .LBB254_139
.LBB254_138:
	v_mov_b32_e32 v40, 0
.LBB254_139:
	v_pk_max_f16 v41, v4, v4
	v_pk_max_f16 v42, v14, v14
	;; [unrolled: 1-line block ×3, first 2 shown]
	v_pk_min_f16 v41, v42, v41
	v_pk_max_f16 v42, v5, v5
	v_pk_add_f16 v41, v56, v41
	v_pk_min_f16 v42, v43, v42
	s_nop 0
	v_pk_add_f16 v41, v41, v42
	s_nop 0
	v_add_f16_sdwa v41, v41, v41 dst_sel:DWORD dst_unused:UNUSED_PAD src0_sel:DWORD src1_sel:WORD_1
	v_add_f16_e32 v42, v41, v40
	v_lshl_add_u64 v[40:41], v[30:31], 1, v[20:21]
	global_store_short v[40:41], v42, off
	s_or_b64 exec, exec, s[26:27]
	s_and_b64 s[34:35], s[10:11], s[18:19]
	s_and_saveexec_b64 s[26:27], s[34:35]
	s_cbranch_execz .LBB254_121
.LBB254_140:
	s_and_b64 vcc, exec, s[0:1]
	s_cbranch_vccnz .LBB254_142
; %bb.141:
	v_lshl_add_u64 v[40:41], v[32:33], 1, v[22:23]
	flat_load_ushort v40, v[40:41]
	s_waitcnt vmcnt(0) lgkmcnt(0)
	v_mul_f16_e32 v40, s28, v40
	s_branch .LBB254_143
.LBB254_142:
	v_mov_b32_e32 v40, 0
.LBB254_143:
	v_pk_max_f16 v41, v4, v4
	v_pk_max_f16 v42, v8, v8
	;; [unrolled: 1-line block ×3, first 2 shown]
	v_pk_min_f16 v41, v42, v41
	v_pk_max_f16 v42, v5, v5
	v_pk_add_f16 v41, v55, v41
	v_pk_min_f16 v42, v43, v42
	s_nop 0
	v_pk_add_f16 v41, v41, v42
	s_nop 0
	v_add_f16_sdwa v41, v41, v41 dst_sel:DWORD dst_unused:UNUSED_PAD src0_sel:DWORD src1_sel:WORD_1
	v_add_f16_e32 v42, v41, v40
	v_lshl_add_u64 v[40:41], v[32:33], 1, v[20:21]
	global_store_short v[40:41], v42, off
	s_or_b64 exec, exec, s[26:27]
	s_and_b64 s[34:35], s[12:13], s[18:19]
	s_and_saveexec_b64 s[26:27], s[34:35]
	s_cbranch_execz .LBB254_122
.LBB254_144:
	s_and_b64 vcc, exec, s[0:1]
	s_cbranch_vccnz .LBB254_146
; %bb.145:
	v_lshl_add_u64 v[40:41], v[34:35], 1, v[22:23]
	flat_load_ushort v40, v[40:41]
	s_waitcnt vmcnt(0) lgkmcnt(0)
	v_mul_f16_e32 v40, s28, v40
	s_branch .LBB254_147
.LBB254_146:
	v_mov_b32_e32 v40, 0
.LBB254_147:
	v_pk_max_f16 v41, v4, v4
	v_pk_max_f16 v42, v10, v10
	;; [unrolled: 1-line block ×3, first 2 shown]
	v_pk_min_f16 v41, v42, v41
	v_pk_max_f16 v42, v5, v5
	v_pk_add_f16 v41, v54, v41
	v_pk_min_f16 v42, v43, v42
	s_nop 0
	v_pk_add_f16 v41, v41, v42
	s_nop 0
	v_add_f16_sdwa v41, v41, v41 dst_sel:DWORD dst_unused:UNUSED_PAD src0_sel:DWORD src1_sel:WORD_1
	v_add_f16_e32 v42, v41, v40
	v_lshl_add_u64 v[40:41], v[34:35], 1, v[20:21]
	global_store_short v[40:41], v42, off
	s_or_b64 exec, exec, s[26:27]
	s_and_b64 s[34:35], s[14:15], s[18:19]
	s_and_saveexec_b64 s[26:27], s[34:35]
	s_cbranch_execz .LBB254_123
.LBB254_148:
	s_and_b64 vcc, exec, s[0:1]
	s_cbranch_vccnz .LBB254_150
; %bb.149:
	v_lshl_add_u64 v[40:41], v[36:37], 1, v[22:23]
	flat_load_ushort v40, v[40:41]
	s_waitcnt vmcnt(0) lgkmcnt(0)
	v_mul_f16_e32 v40, s28, v40
	s_branch .LBB254_151
.LBB254_150:
	v_mov_b32_e32 v40, 0
.LBB254_151:
	v_pk_max_f16 v41, v4, v4
	v_pk_max_f16 v42, v0, v0
	;; [unrolled: 1-line block ×3, first 2 shown]
	v_pk_min_f16 v41, v42, v41
	v_pk_max_f16 v42, v5, v5
	v_pk_add_f16 v41, v53, v41
	v_pk_min_f16 v42, v43, v42
	s_nop 0
	v_pk_add_f16 v41, v41, v42
	s_nop 0
	v_add_f16_sdwa v41, v41, v41 dst_sel:DWORD dst_unused:UNUSED_PAD src0_sel:DWORD src1_sel:WORD_1
	v_add_f16_e32 v42, v41, v40
	v_lshl_add_u64 v[40:41], v[36:37], 1, v[20:21]
	global_store_short v[40:41], v42, off
	s_or_b64 exec, exec, s[26:27]
	s_and_b64 s[26:27], s[16:17], s[18:19]
	s_and_saveexec_b64 s[18:19], s[26:27]
	s_cbranch_execz .LBB254_156
.LBB254_152:
	s_and_b64 vcc, exec, s[0:1]
	s_cbranch_vccnz .LBB254_154
; %bb.153:
	v_lshl_add_u64 v[22:23], v[38:39], 1, v[22:23]
	flat_load_ushort v22, v[22:23]
	s_waitcnt vmcnt(0) lgkmcnt(0)
	v_mul_f16_e32 v22, s28, v22
	s_branch .LBB254_155
.LBB254_154:
	v_mov_b32_e32 v22, 0
.LBB254_155:
	v_pk_max_f16 v4, v4, v4
	v_pk_max_f16 v23, v2, v2
	;; [unrolled: 1-line block ×3, first 2 shown]
	v_pk_min_f16 v4, v23, v4
	v_pk_max_f16 v23, v3, v3
	v_pk_add_f16 v4, v52, v4
	v_pk_min_f16 v5, v23, v5
	s_nop 0
	v_pk_add_f16 v4, v4, v5
	s_nop 0
	v_add_f16_sdwa v4, v4, v4 dst_sel:DWORD dst_unused:UNUSED_PAD src0_sel:DWORD src1_sel:WORD_1
	v_add_f16_e32 v22, v4, v22
	v_lshl_add_u64 v[4:5], v[38:39], 1, v[20:21]
	global_store_short v[4:5], v22, off
.LBB254_156:
	s_or_b64 exec, exec, s[18:19]
	v_add_u32_e32 v22, 0x60, v69
	v_cmp_gt_i32_e64 s[18:19], s21, v22
	v_mad_i64_i32 v[4:5], s[20:21], v22, s33, 0
	v_lshl_add_u64 v[20:21], v[4:5], 1, s[24:25]
	v_mad_i64_i32 v[4:5], s[20:21], v22, s31, 0
	v_lshl_add_u64 v[4:5], v[4:5], 1, s[22:23]
	s_and_b64 s[20:21], s[2:3], s[18:19]
	s_and_saveexec_b64 s[2:3], s[20:21]
	s_cbranch_execnz .LBB254_165
; %bb.157:
	s_or_b64 exec, exec, s[2:3]
	s_and_b64 s[4:5], s[4:5], s[18:19]
	s_and_saveexec_b64 s[2:3], s[4:5]
	s_cbranch_execnz .LBB254_169
.LBB254_158:
	s_or_b64 exec, exec, s[2:3]
	s_and_b64 s[4:5], s[6:7], s[18:19]
	s_and_saveexec_b64 s[2:3], s[4:5]
	s_cbranch_execnz .LBB254_173
.LBB254_159:
	s_or_b64 exec, exec, s[2:3]
	s_and_b64 s[4:5], s[8:9], s[18:19]
	s_and_saveexec_b64 s[2:3], s[4:5]
	s_cbranch_execnz .LBB254_177
.LBB254_160:
	s_or_b64 exec, exec, s[2:3]
	s_and_b64 s[4:5], s[10:11], s[18:19]
	s_and_saveexec_b64 s[2:3], s[4:5]
	s_cbranch_execnz .LBB254_181
.LBB254_161:
	s_or_b64 exec, exec, s[2:3]
	s_and_b64 s[4:5], s[12:13], s[18:19]
	s_and_saveexec_b64 s[2:3], s[4:5]
	s_cbranch_execnz .LBB254_185
.LBB254_162:
	s_or_b64 exec, exec, s[2:3]
	s_and_b64 s[4:5], s[14:15], s[18:19]
	s_and_saveexec_b64 s[2:3], s[4:5]
	s_cbranch_execnz .LBB254_189
.LBB254_163:
	s_or_b64 exec, exec, s[2:3]
	s_and_b64 s[2:3], s[16:17], s[18:19]
	s_and_saveexec_b64 s[4:5], s[2:3]
	s_cbranch_execnz .LBB254_193
.LBB254_164:
	s_endpgm
.LBB254_165:
	s_and_b64 vcc, exec, s[0:1]
	s_cbranch_vccnz .LBB254_167
; %bb.166:
	v_lshl_add_u64 v[22:23], v[24:25], 1, v[20:21]
	flat_load_ushort v22, v[22:23]
	s_waitcnt vmcnt(0) lgkmcnt(0)
	v_mul_f16_e32 v22, s28, v22
	s_branch .LBB254_168
.LBB254_167:
	v_mov_b32_e32 v22, 0
.LBB254_168:
	v_pk_max_f16 v23, v6, v6
	v_pk_max_f16 v16, v16, v16
	;; [unrolled: 1-line block ×3, first 2 shown]
	v_pk_min_f16 v16, v16, v23
	v_pk_max_f16 v23, v7, v7
	v_pk_add_f16 v16, v51, v16
	v_pk_min_f16 v17, v17, v23
	s_nop 0
	v_pk_add_f16 v16, v16, v17
	s_nop 0
	v_add_f16_sdwa v16, v16, v16 dst_sel:DWORD dst_unused:UNUSED_PAD src0_sel:DWORD src1_sel:WORD_1
	v_add_f16_e32 v22, v16, v22
	v_lshl_add_u64 v[16:17], v[24:25], 1, v[4:5]
	global_store_short v[16:17], v22, off
	s_or_b64 exec, exec, s[2:3]
	s_and_b64 s[4:5], s[4:5], s[18:19]
	s_and_saveexec_b64 s[2:3], s[4:5]
	s_cbranch_execz .LBB254_158
.LBB254_169:
	s_and_b64 vcc, exec, s[0:1]
	s_cbranch_vccnz .LBB254_171
; %bb.170:
	v_lshl_add_u64 v[16:17], v[26:27], 1, v[20:21]
	flat_load_ushort v16, v[16:17]
	s_waitcnt vmcnt(0) lgkmcnt(0)
	v_mul_f16_e32 v16, s28, v16
	s_branch .LBB254_172
.LBB254_171:
	v_mov_b32_e32 v16, 0
.LBB254_172:
	v_pk_max_f16 v17, v6, v6
	v_pk_max_f16 v18, v18, v18
	;; [unrolled: 1-line block ×3, first 2 shown]
	v_pk_min_f16 v17, v18, v17
	v_pk_max_f16 v18, v7, v7
	v_pk_add_f16 v17, v50, v17
	v_pk_min_f16 v18, v19, v18
	s_nop 0
	v_pk_add_f16 v17, v17, v18
	s_nop 0
	v_add_f16_sdwa v17, v17, v17 dst_sel:DWORD dst_unused:UNUSED_PAD src0_sel:DWORD src1_sel:WORD_1
	v_add_f16_e32 v18, v17, v16
	v_lshl_add_u64 v[16:17], v[26:27], 1, v[4:5]
	global_store_short v[16:17], v18, off
	s_or_b64 exec, exec, s[2:3]
	s_and_b64 s[4:5], s[6:7], s[18:19]
	s_and_saveexec_b64 s[2:3], s[4:5]
	s_cbranch_execz .LBB254_159
.LBB254_173:
	s_and_b64 vcc, exec, s[0:1]
	s_cbranch_vccnz .LBB254_175
; %bb.174:
	v_lshl_add_u64 v[16:17], v[28:29], 1, v[20:21]
	flat_load_ushort v16, v[16:17]
	s_waitcnt vmcnt(0) lgkmcnt(0)
	v_mul_f16_e32 v16, s28, v16
	s_branch .LBB254_176
.LBB254_175:
	v_mov_b32_e32 v16, 0
.LBB254_176:
	v_pk_max_f16 v17, v6, v6
	v_pk_max_f16 v12, v12, v12
	;; [unrolled: 1-line block ×3, first 2 shown]
	v_pk_min_f16 v12, v12, v17
	v_pk_max_f16 v17, v7, v7
	v_pk_add_f16 v12, v49, v12
	v_pk_min_f16 v13, v13, v17
	s_nop 0
	v_pk_add_f16 v12, v12, v13
	s_nop 0
	v_add_f16_sdwa v12, v12, v12 dst_sel:DWORD dst_unused:UNUSED_PAD src0_sel:DWORD src1_sel:WORD_1
	v_add_f16_e32 v16, v12, v16
	v_lshl_add_u64 v[12:13], v[28:29], 1, v[4:5]
	global_store_short v[12:13], v16, off
	s_or_b64 exec, exec, s[2:3]
	s_and_b64 s[4:5], s[8:9], s[18:19]
	s_and_saveexec_b64 s[2:3], s[4:5]
	s_cbranch_execz .LBB254_160
.LBB254_177:
	s_and_b64 vcc, exec, s[0:1]
	s_cbranch_vccnz .LBB254_179
; %bb.178:
	v_lshl_add_u64 v[12:13], v[30:31], 1, v[20:21]
	flat_load_ushort v12, v[12:13]
	s_waitcnt vmcnt(0) lgkmcnt(0)
	v_mul_f16_e32 v12, s28, v12
	s_branch .LBB254_180
.LBB254_179:
	v_mov_b32_e32 v12, 0
.LBB254_180:
	v_pk_max_f16 v13, v6, v6
	v_pk_max_f16 v14, v14, v14
	;; [unrolled: 1-line block ×3, first 2 shown]
	v_pk_min_f16 v13, v14, v13
	v_pk_max_f16 v14, v7, v7
	v_pk_add_f16 v13, v48, v13
	v_pk_min_f16 v14, v15, v14
	s_nop 0
	v_pk_add_f16 v13, v13, v14
	s_nop 0
	v_add_f16_sdwa v13, v13, v13 dst_sel:DWORD dst_unused:UNUSED_PAD src0_sel:DWORD src1_sel:WORD_1
	v_add_f16_e32 v14, v13, v12
	v_lshl_add_u64 v[12:13], v[30:31], 1, v[4:5]
	global_store_short v[12:13], v14, off
	s_or_b64 exec, exec, s[2:3]
	s_and_b64 s[4:5], s[10:11], s[18:19]
	s_and_saveexec_b64 s[2:3], s[4:5]
	s_cbranch_execz .LBB254_161
.LBB254_181:
	s_and_b64 vcc, exec, s[0:1]
	s_cbranch_vccnz .LBB254_183
; %bb.182:
	v_lshl_add_u64 v[12:13], v[32:33], 1, v[20:21]
	flat_load_ushort v12, v[12:13]
	s_waitcnt vmcnt(0) lgkmcnt(0)
	v_mul_f16_e32 v12, s28, v12
	s_branch .LBB254_184
.LBB254_183:
	v_mov_b32_e32 v12, 0
.LBB254_184:
	v_pk_max_f16 v13, v6, v6
	v_pk_max_f16 v8, v8, v8
	;; [unrolled: 1-line block ×3, first 2 shown]
	v_pk_min_f16 v8, v8, v13
	v_pk_max_f16 v13, v7, v7
	v_pk_add_f16 v8, v47, v8
	v_pk_min_f16 v9, v9, v13
	s_nop 0
	v_pk_add_f16 v8, v8, v9
	s_nop 0
	v_add_f16_sdwa v8, v8, v8 dst_sel:DWORD dst_unused:UNUSED_PAD src0_sel:DWORD src1_sel:WORD_1
	v_add_f16_e32 v12, v8, v12
	v_lshl_add_u64 v[8:9], v[32:33], 1, v[4:5]
	global_store_short v[8:9], v12, off
	s_or_b64 exec, exec, s[2:3]
	s_and_b64 s[4:5], s[12:13], s[18:19]
	s_and_saveexec_b64 s[2:3], s[4:5]
	s_cbranch_execz .LBB254_162
.LBB254_185:
	s_and_b64 vcc, exec, s[0:1]
	s_cbranch_vccnz .LBB254_187
; %bb.186:
	v_lshl_add_u64 v[8:9], v[34:35], 1, v[20:21]
	flat_load_ushort v8, v[8:9]
	s_waitcnt vmcnt(0) lgkmcnt(0)
	v_mul_f16_e32 v8, s28, v8
	s_branch .LBB254_188
.LBB254_187:
	v_mov_b32_e32 v8, 0
.LBB254_188:
	v_pk_max_f16 v9, v6, v6
	v_pk_max_f16 v10, v10, v10
	;; [unrolled: 1-line block ×3, first 2 shown]
	v_pk_min_f16 v9, v10, v9
	v_pk_max_f16 v10, v7, v7
	v_pk_add_f16 v9, v46, v9
	v_pk_min_f16 v10, v11, v10
	s_nop 0
	v_pk_add_f16 v9, v9, v10
	s_nop 0
	v_add_f16_sdwa v9, v9, v9 dst_sel:DWORD dst_unused:UNUSED_PAD src0_sel:DWORD src1_sel:WORD_1
	v_add_f16_e32 v10, v9, v8
	v_lshl_add_u64 v[8:9], v[34:35], 1, v[4:5]
	global_store_short v[8:9], v10, off
	s_or_b64 exec, exec, s[2:3]
	s_and_b64 s[4:5], s[14:15], s[18:19]
	s_and_saveexec_b64 s[2:3], s[4:5]
	s_cbranch_execz .LBB254_163
.LBB254_189:
	s_and_b64 vcc, exec, s[0:1]
	s_cbranch_vccnz .LBB254_191
; %bb.190:
	v_lshl_add_u64 v[8:9], v[36:37], 1, v[20:21]
	flat_load_ushort v8, v[8:9]
	s_waitcnt vmcnt(0) lgkmcnt(0)
	v_mul_f16_e32 v8, s28, v8
	s_branch .LBB254_192
.LBB254_191:
	v_mov_b32_e32 v8, 0
.LBB254_192:
	v_pk_max_f16 v9, v6, v6
	v_pk_max_f16 v0, v0, v0
	;; [unrolled: 1-line block ×3, first 2 shown]
	v_pk_min_f16 v0, v0, v9
	v_pk_max_f16 v9, v7, v7
	v_pk_add_f16 v0, v45, v0
	v_pk_min_f16 v1, v1, v9
	s_nop 0
	v_pk_add_f16 v0, v0, v1
	s_nop 0
	v_add_f16_sdwa v0, v0, v0 dst_sel:DWORD dst_unused:UNUSED_PAD src0_sel:DWORD src1_sel:WORD_1
	v_add_f16_e32 v8, v0, v8
	v_lshl_add_u64 v[0:1], v[36:37], 1, v[4:5]
	global_store_short v[0:1], v8, off
	s_or_b64 exec, exec, s[2:3]
	s_and_b64 s[2:3], s[16:17], s[18:19]
	s_and_saveexec_b64 s[4:5], s[2:3]
	s_cbranch_execz .LBB254_164
.LBB254_193:
	s_and_b64 vcc, exec, s[0:1]
	s_cbranch_vccnz .LBB254_195
; %bb.194:
	v_lshl_add_u64 v[0:1], v[38:39], 1, v[20:21]
	flat_load_ushort v0, v[0:1]
	s_waitcnt vmcnt(0) lgkmcnt(0)
	v_mul_f16_e32 v0, s28, v0
	s_branch .LBB254_196
.LBB254_195:
	v_mov_b32_e32 v0, 0
.LBB254_196:
	v_pk_max_f16 v1, v6, v6
	v_pk_max_f16 v2, v2, v2
	;; [unrolled: 1-line block ×3, first 2 shown]
	v_pk_min_f16 v1, v2, v1
	v_pk_max_f16 v2, v7, v7
	v_pk_add_f16 v1, v44, v1
	v_pk_min_f16 v2, v3, v2
	s_nop 0
	v_pk_add_f16 v1, v1, v2
	s_nop 0
	v_add_f16_sdwa v1, v1, v1 dst_sel:DWORD dst_unused:UNUSED_PAD src0_sel:DWORD src1_sel:WORD_1
	v_add_f16_e32 v2, v1, v0
	v_lshl_add_u64 v[0:1], v[38:39], 1, v[4:5]
	global_store_short v[0:1], v2, off
	s_endpgm
	.section	.rodata,"a",@progbits
	.p2align	6, 0x0
	.amdhsa_kernel _ZN12_GLOBAL__N_120geam_min_plus_kernelIDF16_Dv2_DF16_S1_Li8ELi32ELi64ELi128ELi4ELi4ELi64ELi64ELi4ELc84ELc84ELb0ELb1ELb0EDF16_KPKDF16_KPDF16_EEviiiT16_PT17_ilS9_ilS7_S9_ilPT18_ili26rocblas_geam_ex_operation_
		.amdhsa_group_segment_fixed_size 3072
		.amdhsa_private_segment_fixed_size 0
		.amdhsa_kernarg_size 128
		.amdhsa_user_sgpr_count 2
		.amdhsa_user_sgpr_dispatch_ptr 0
		.amdhsa_user_sgpr_queue_ptr 0
		.amdhsa_user_sgpr_kernarg_segment_ptr 1
		.amdhsa_user_sgpr_dispatch_id 0
		.amdhsa_user_sgpr_kernarg_preload_length 0
		.amdhsa_user_sgpr_kernarg_preload_offset 0
		.amdhsa_user_sgpr_private_segment_size 0
		.amdhsa_uses_dynamic_stack 0
		.amdhsa_enable_private_segment 0
		.amdhsa_system_sgpr_workgroup_id_x 1
		.amdhsa_system_sgpr_workgroup_id_y 0
		.amdhsa_system_sgpr_workgroup_id_z 1
		.amdhsa_system_sgpr_workgroup_info 0
		.amdhsa_system_vgpr_workitem_id 1
		.amdhsa_next_free_vgpr 119
		.amdhsa_next_free_sgpr 38
		.amdhsa_accum_offset 120
		.amdhsa_reserve_vcc 1
		.amdhsa_float_round_mode_32 0
		.amdhsa_float_round_mode_16_64 0
		.amdhsa_float_denorm_mode_32 3
		.amdhsa_float_denorm_mode_16_64 3
		.amdhsa_dx10_clamp 1
		.amdhsa_ieee_mode 1
		.amdhsa_fp16_overflow 0
		.amdhsa_tg_split 0
		.amdhsa_exception_fp_ieee_invalid_op 0
		.amdhsa_exception_fp_denorm_src 0
		.amdhsa_exception_fp_ieee_div_zero 0
		.amdhsa_exception_fp_ieee_overflow 0
		.amdhsa_exception_fp_ieee_underflow 0
		.amdhsa_exception_fp_ieee_inexact 0
		.amdhsa_exception_int_div_zero 0
	.end_amdhsa_kernel
	.section	.text._ZN12_GLOBAL__N_120geam_min_plus_kernelIDF16_Dv2_DF16_S1_Li8ELi32ELi64ELi128ELi4ELi4ELi64ELi64ELi4ELc84ELc84ELb0ELb1ELb0EDF16_KPKDF16_KPDF16_EEviiiT16_PT17_ilS9_ilS7_S9_ilPT18_ili26rocblas_geam_ex_operation_,"axG",@progbits,_ZN12_GLOBAL__N_120geam_min_plus_kernelIDF16_Dv2_DF16_S1_Li8ELi32ELi64ELi128ELi4ELi4ELi64ELi64ELi4ELc84ELc84ELb0ELb1ELb0EDF16_KPKDF16_KPDF16_EEviiiT16_PT17_ilS9_ilS7_S9_ilPT18_ili26rocblas_geam_ex_operation_,comdat
.Lfunc_end254:
	.size	_ZN12_GLOBAL__N_120geam_min_plus_kernelIDF16_Dv2_DF16_S1_Li8ELi32ELi64ELi128ELi4ELi4ELi64ELi64ELi4ELc84ELc84ELb0ELb1ELb0EDF16_KPKDF16_KPDF16_EEviiiT16_PT17_ilS9_ilS7_S9_ilPT18_ili26rocblas_geam_ex_operation_, .Lfunc_end254-_ZN12_GLOBAL__N_120geam_min_plus_kernelIDF16_Dv2_DF16_S1_Li8ELi32ELi64ELi128ELi4ELi4ELi64ELi64ELi4ELc84ELc84ELb0ELb1ELb0EDF16_KPKDF16_KPDF16_EEviiiT16_PT17_ilS9_ilS7_S9_ilPT18_ili26rocblas_geam_ex_operation_
                                        ; -- End function
	.section	.AMDGPU.csdata,"",@progbits
; Kernel info:
; codeLenInByte = 11320
; NumSgprs: 44
; NumVgprs: 119
; NumAgprs: 0
; TotalNumVgprs: 119
; ScratchSize: 0
; MemoryBound: 0
; FloatMode: 240
; IeeeMode: 1
; LDSByteSize: 3072 bytes/workgroup (compile time only)
; SGPRBlocks: 5
; VGPRBlocks: 14
; NumSGPRsForWavesPerEU: 44
; NumVGPRsForWavesPerEU: 119
; AccumOffset: 120
; Occupancy: 4
; WaveLimiterHint : 1
; COMPUTE_PGM_RSRC2:SCRATCH_EN: 0
; COMPUTE_PGM_RSRC2:USER_SGPR: 2
; COMPUTE_PGM_RSRC2:TRAP_HANDLER: 0
; COMPUTE_PGM_RSRC2:TGID_X_EN: 1
; COMPUTE_PGM_RSRC2:TGID_Y_EN: 0
; COMPUTE_PGM_RSRC2:TGID_Z_EN: 1
; COMPUTE_PGM_RSRC2:TIDIG_COMP_CNT: 1
; COMPUTE_PGM_RSRC3_GFX90A:ACCUM_OFFSET: 29
; COMPUTE_PGM_RSRC3_GFX90A:TG_SPLIT: 0
	.section	.text._ZN12_GLOBAL__N_120geam_ex_scale_kernelILi32ELi32EDF16_DF16_PKDF16_PDF16_EEviiT2_T3_lilT4_lil,"axG",@progbits,_ZN12_GLOBAL__N_120geam_ex_scale_kernelILi32ELi32EDF16_DF16_PKDF16_PDF16_EEviiT2_T3_lilT4_lil,comdat
	.globl	_ZN12_GLOBAL__N_120geam_ex_scale_kernelILi32ELi32EDF16_DF16_PKDF16_PDF16_EEviiT2_T3_lilT4_lil ; -- Begin function _ZN12_GLOBAL__N_120geam_ex_scale_kernelILi32ELi32EDF16_DF16_PKDF16_PDF16_EEviiT2_T3_lilT4_lil
	.p2align	8
	.type	_ZN12_GLOBAL__N_120geam_ex_scale_kernelILi32ELi32EDF16_DF16_PKDF16_PDF16_EEviiT2_T3_lilT4_lil,@function
_ZN12_GLOBAL__N_120geam_ex_scale_kernelILi32ELi32EDF16_DF16_PKDF16_PDF16_EEviiT2_T3_lilT4_lil: ; @_ZN12_GLOBAL__N_120geam_ex_scale_kernelILi32ELi32EDF16_DF16_PKDF16_PDF16_EEviiT2_T3_lilT4_lil
; %bb.0:
	s_load_dwordx4 s[8:11], s[0:1], 0x0
	s_load_dwordx4 s[4:7], s[0:1], 0x28
	s_load_dwordx2 s[12:13], s[0:1], 0x38
	s_waitcnt lgkmcnt(0)
	v_cmp_eq_f16_e64 s[16:17], s10, 0
	s_and_b64 vcc, exec, s[16:17]
	s_cbranch_vccnz .LBB255_2
; %bb.1:
	s_load_dwordx4 s[20:23], s[0:1], 0x10
	s_mul_i32 s5, s3, s5
	s_mul_hi_u32 s11, s3, s4
	s_add_i32 s5, s11, s5
	s_mul_i32 s4, s3, s4
	s_lshl_b64 s[4:5], s[4:5], 1
	s_waitcnt lgkmcnt(0)
	s_add_u32 s11, s20, s4
	s_addc_u32 s15, s21, s5
	s_lshl_b64 s[4:5], s[22:23], 1
	s_add_u32 s14, s11, s4
	s_addc_u32 s15, s15, s5
	s_branch .LBB255_3
.LBB255_2:
	s_mov_b64 s[14:15], 0
.LBB255_3:
	s_add_i32 s4, s8, -1
	s_ashr_i32 s5, s4, 31
	s_lshr_b32 s5, s5, 27
	s_add_i32 s4, s4, s5
	s_ashr_i32 s4, s4, 5
	s_add_i32 s5, s4, 1
	v_cvt_f32_u32_e32 v1, s5
	s_not_b32 s4, s4
	v_and_b32_e32 v3, 0x3ff, v0
	v_bfe_u32 v0, v0, 10, 10
	v_rcp_iflag_f32_e32 v1, v1
	s_nop 0
	v_mul_f32_e32 v1, 0x4f7ffffe, v1
	v_cvt_u32_f32_e32 v1, v1
	s_nop 0
	v_readfirstlane_b32 s11, v1
	s_mul_i32 s4, s4, s11
	s_mul_hi_u32 s4, s11, s4
	s_add_i32 s11, s11, s4
	s_mul_hi_u32 s4, s2, s11
	s_mul_i32 s11, s4, s5
	s_sub_i32 s11, s2, s11
	s_add_i32 s18, s4, 1
	s_sub_i32 s19, s11, s5
	s_cmp_ge_u32 s11, s5
	s_cselect_b32 s4, s18, s4
	s_cselect_b32 s11, s19, s11
	s_add_i32 s18, s4, 1
	s_cmp_ge_u32 s11, s5
	s_cselect_b32 s4, s18, s4
	s_mul_i32 s5, s4, s5
	s_sub_i32 s2, s2, s5
	v_lshl_add_u32 v2, s4, 5, v0
	v_lshl_add_u32 v0, s2, 5, v3
	v_cmp_gt_u32_e32 vcc, s8, v0
	v_cmp_gt_u32_e64 s[4:5], s9, v2
	s_and_b64 s[4:5], vcc, s[4:5]
	s_and_saveexec_b64 s[8:9], s[4:5]
	s_cbranch_execz .LBB255_9
; %bb.4:
	s_andn2_b64 vcc, exec, s[16:17]
	v_mov_b32_e32 v1, 0
	s_cbranch_vccnz .LBB255_6
; %bb.5:
	s_mov_b32 s2, 0
	v_mov_b32_e32 v3, s2
	s_cbranch_execz .LBB255_7
	s_branch .LBB255_8
.LBB255_6:
                                        ; implicit-def: $sgpr2
	v_mov_b32_e32 v3, s2
.LBB255_7:
	s_load_dword s2, s[0:1], 0x20
	v_mov_b32_e32 v1, 0
	s_waitcnt lgkmcnt(0)
	v_mad_u64_u32 v[4:5], s[4:5], v2, s2, v[0:1]
	s_ashr_i32 s8, s2, 31
	v_mov_b32_e32 v6, v5
	v_mad_u64_u32 v[6:7], s[4:5], v2, s8, v[6:7]
	v_mov_b32_e32 v5, v6
	v_lshl_add_u64 v[4:5], v[4:5], 1, s[14:15]
	flat_load_ushort v3, v[4:5]
	s_waitcnt vmcnt(0) lgkmcnt(0)
	v_mul_f16_e32 v3, s10, v3
.LBB255_8:
	s_load_dwordx2 s[4:5], s[0:1], 0x48
	s_load_dword s2, s[0:1], 0x40
	s_waitcnt lgkmcnt(0)
	s_mul_i32 s1, s3, s5
	s_mul_hi_u32 s5, s3, s4
	s_mul_i32 s0, s3, s4
	s_add_i32 s1, s5, s1
	s_lshl_b64 s[0:1], s[0:1], 1
	s_add_u32 s3, s6, s0
	s_addc_u32 s4, s7, s1
	s_lshl_b64 s[0:1], s[12:13], 1
	s_add_u32 s0, s3, s0
	s_addc_u32 s1, s4, s1
	s_ashr_i32 s4, s2, 31
	v_mad_u64_u32 v[4:5], s[2:3], v2, s2, 0
	v_mov_b32_e32 v6, v5
	v_mad_u64_u32 v[6:7], s[2:3], v2, s4, v[6:7]
	v_mov_b32_e32 v5, v6
	v_lshl_add_u64 v[4:5], v[4:5], 1, s[0:1]
	v_lshl_add_u64 v[0:1], v[0:1], 1, v[4:5]
	global_store_short v[0:1], v3, off
.LBB255_9:
	s_endpgm
	.section	.rodata,"a",@progbits
	.p2align	6, 0x0
	.amdhsa_kernel _ZN12_GLOBAL__N_120geam_ex_scale_kernelILi32ELi32EDF16_DF16_PKDF16_PDF16_EEviiT2_T3_lilT4_lil
		.amdhsa_group_segment_fixed_size 0
		.amdhsa_private_segment_fixed_size 0
		.amdhsa_kernarg_size 80
		.amdhsa_user_sgpr_count 2
		.amdhsa_user_sgpr_dispatch_ptr 0
		.amdhsa_user_sgpr_queue_ptr 0
		.amdhsa_user_sgpr_kernarg_segment_ptr 1
		.amdhsa_user_sgpr_dispatch_id 0
		.amdhsa_user_sgpr_kernarg_preload_length 0
		.amdhsa_user_sgpr_kernarg_preload_offset 0
		.amdhsa_user_sgpr_private_segment_size 0
		.amdhsa_uses_dynamic_stack 0
		.amdhsa_enable_private_segment 0
		.amdhsa_system_sgpr_workgroup_id_x 1
		.amdhsa_system_sgpr_workgroup_id_y 0
		.amdhsa_system_sgpr_workgroup_id_z 1
		.amdhsa_system_sgpr_workgroup_info 0
		.amdhsa_system_vgpr_workitem_id 1
		.amdhsa_next_free_vgpr 8
		.amdhsa_next_free_sgpr 24
		.amdhsa_accum_offset 8
		.amdhsa_reserve_vcc 1
		.amdhsa_float_round_mode_32 0
		.amdhsa_float_round_mode_16_64 0
		.amdhsa_float_denorm_mode_32 3
		.amdhsa_float_denorm_mode_16_64 3
		.amdhsa_dx10_clamp 1
		.amdhsa_ieee_mode 1
		.amdhsa_fp16_overflow 0
		.amdhsa_tg_split 0
		.amdhsa_exception_fp_ieee_invalid_op 0
		.amdhsa_exception_fp_denorm_src 0
		.amdhsa_exception_fp_ieee_div_zero 0
		.amdhsa_exception_fp_ieee_overflow 0
		.amdhsa_exception_fp_ieee_underflow 0
		.amdhsa_exception_fp_ieee_inexact 0
		.amdhsa_exception_int_div_zero 0
	.end_amdhsa_kernel
	.section	.text._ZN12_GLOBAL__N_120geam_ex_scale_kernelILi32ELi32EDF16_DF16_PKDF16_PDF16_EEviiT2_T3_lilT4_lil,"axG",@progbits,_ZN12_GLOBAL__N_120geam_ex_scale_kernelILi32ELi32EDF16_DF16_PKDF16_PDF16_EEviiT2_T3_lilT4_lil,comdat
.Lfunc_end255:
	.size	_ZN12_GLOBAL__N_120geam_ex_scale_kernelILi32ELi32EDF16_DF16_PKDF16_PDF16_EEviiT2_T3_lilT4_lil, .Lfunc_end255-_ZN12_GLOBAL__N_120geam_ex_scale_kernelILi32ELi32EDF16_DF16_PKDF16_PDF16_EEviiT2_T3_lilT4_lil
                                        ; -- End function
	.section	.AMDGPU.csdata,"",@progbits
; Kernel info:
; codeLenInByte = 500
; NumSgprs: 30
; NumVgprs: 8
; NumAgprs: 0
; TotalNumVgprs: 8
; ScratchSize: 0
; MemoryBound: 0
; FloatMode: 240
; IeeeMode: 1
; LDSByteSize: 0 bytes/workgroup (compile time only)
; SGPRBlocks: 3
; VGPRBlocks: 0
; NumSGPRsForWavesPerEU: 30
; NumVGPRsForWavesPerEU: 8
; AccumOffset: 8
; Occupancy: 8
; WaveLimiterHint : 0
; COMPUTE_PGM_RSRC2:SCRATCH_EN: 0
; COMPUTE_PGM_RSRC2:USER_SGPR: 2
; COMPUTE_PGM_RSRC2:TRAP_HANDLER: 0
; COMPUTE_PGM_RSRC2:TGID_X_EN: 1
; COMPUTE_PGM_RSRC2:TGID_Y_EN: 0
; COMPUTE_PGM_RSRC2:TGID_Z_EN: 1
; COMPUTE_PGM_RSRC2:TIDIG_COMP_CNT: 1
; COMPUTE_PGM_RSRC3_GFX90A:ACCUM_OFFSET: 1
; COMPUTE_PGM_RSRC3_GFX90A:TG_SPLIT: 0
	.section	.text._ZN12_GLOBAL__N_120geam_ex_scale_kernelILi32ELi32EDF16_PKDF16_S2_PDF16_EEviiT2_T3_lilT4_lil,"axG",@progbits,_ZN12_GLOBAL__N_120geam_ex_scale_kernelILi32ELi32EDF16_PKDF16_S2_PDF16_EEviiT2_T3_lilT4_lil,comdat
	.globl	_ZN12_GLOBAL__N_120geam_ex_scale_kernelILi32ELi32EDF16_PKDF16_S2_PDF16_EEviiT2_T3_lilT4_lil ; -- Begin function _ZN12_GLOBAL__N_120geam_ex_scale_kernelILi32ELi32EDF16_PKDF16_S2_PDF16_EEviiT2_T3_lilT4_lil
	.p2align	8
	.type	_ZN12_GLOBAL__N_120geam_ex_scale_kernelILi32ELi32EDF16_PKDF16_S2_PDF16_EEviiT2_T3_lilT4_lil,@function
_ZN12_GLOBAL__N_120geam_ex_scale_kernelILi32ELi32EDF16_PKDF16_S2_PDF16_EEviiT2_T3_lilT4_lil: ; @_ZN12_GLOBAL__N_120geam_ex_scale_kernelILi32ELi32EDF16_PKDF16_S2_PDF16_EEviiT2_T3_lilT4_lil
; %bb.0:
	s_load_dwordx4 s[4:7], s[0:1], 0x8
	s_load_dwordx4 s[8:11], s[0:1], 0x28
	v_mov_b32_e32 v1, 0
	s_load_dwordx2 s[12:13], s[0:1], 0x38
	s_waitcnt lgkmcnt(0)
	global_load_ushort v2, v1, s[4:5]
	s_waitcnt vmcnt(0)
	v_cmp_eq_f16_e64 s[4:5], 0, v2
	s_and_b64 vcc, exec, s[4:5]
	s_cbranch_vccnz .LBB256_2
; %bb.1:
	s_load_dwordx2 s[14:15], s[0:1], 0x18
	s_mul_i32 s9, s3, s9
	s_mul_hi_u32 s16, s3, s8
	s_add_i32 s9, s16, s9
	s_mul_i32 s8, s3, s8
	s_lshl_b64 s[8:9], s[8:9], 1
	s_add_u32 s8, s6, s8
	s_addc_u32 s9, s7, s9
	s_waitcnt lgkmcnt(0)
	s_lshl_b64 s[6:7], s[14:15], 1
	s_add_u32 s8, s8, s6
	s_addc_u32 s9, s9, s7
	s_branch .LBB256_3
.LBB256_2:
	s_mov_b64 s[8:9], 0
.LBB256_3:
	s_load_dwordx2 s[6:7], s[0:1], 0x0
	v_and_b32_e32 v4, 0x3ff, v0
	v_bfe_u32 v0, v0, 10, 10
	s_waitcnt lgkmcnt(0)
	s_add_i32 s14, s6, -1
	s_ashr_i32 s15, s14, 31
	s_lshr_b32 s15, s15, 27
	s_add_i32 s14, s14, s15
	s_ashr_i32 s14, s14, 5
	s_add_i32 s15, s14, 1
	v_cvt_f32_u32_e32 v1, s15
	s_not_b32 s14, s14
	v_rcp_iflag_f32_e32 v1, v1
	s_nop 0
	v_mul_f32_e32 v1, 0x4f7ffffe, v1
	v_cvt_u32_f32_e32 v1, v1
	s_nop 0
	v_readfirstlane_b32 s16, v1
	s_mul_i32 s14, s14, s16
	s_mul_hi_u32 s14, s16, s14
	s_add_i32 s16, s16, s14
	s_mul_hi_u32 s14, s2, s16
	s_mul_i32 s16, s14, s15
	s_sub_i32 s16, s2, s16
	s_add_i32 s17, s14, 1
	s_sub_i32 s18, s16, s15
	s_cmp_ge_u32 s16, s15
	s_cselect_b32 s14, s17, s14
	s_cselect_b32 s16, s18, s16
	s_add_i32 s17, s14, 1
	s_cmp_ge_u32 s16, s15
	s_cselect_b32 s14, s17, s14
	s_mul_i32 s15, s14, s15
	s_sub_i32 s2, s2, s15
	v_lshl_add_u32 v3, s14, 5, v0
	v_lshl_add_u32 v0, s2, 5, v4
	v_cmp_gt_u32_e32 vcc, s6, v0
	v_cmp_gt_u32_e64 s[6:7], s7, v3
	s_and_b64 s[6:7], vcc, s[6:7]
	s_and_saveexec_b64 s[14:15], s[6:7]
	s_cbranch_execz .LBB256_9
; %bb.4:
	s_andn2_b64 vcc, exec, s[4:5]
	v_mov_b32_e32 v1, 0
	s_cbranch_vccnz .LBB256_6
; %bb.5:
	s_mov_b32 s2, 0
	v_mov_b32_e32 v4, s2
	s_cbranch_execz .LBB256_7
	s_branch .LBB256_8
.LBB256_6:
                                        ; implicit-def: $sgpr2
	v_mov_b32_e32 v4, s2
.LBB256_7:
	s_load_dword s2, s[0:1], 0x20
	v_mov_b32_e32 v1, 0
	s_waitcnt lgkmcnt(0)
	v_mad_u64_u32 v[4:5], s[4:5], v3, s2, v[0:1]
	s_ashr_i32 s6, s2, 31
	v_mov_b32_e32 v6, v5
	v_mad_u64_u32 v[6:7], s[4:5], v3, s6, v[6:7]
	v_mov_b32_e32 v5, v6
	v_lshl_add_u64 v[4:5], v[4:5], 1, s[8:9]
	flat_load_ushort v4, v[4:5]
	s_waitcnt vmcnt(0) lgkmcnt(0)
	v_mul_f16_e32 v4, v2, v4
.LBB256_8:
	s_load_dwordx2 s[4:5], s[0:1], 0x48
	s_load_dword s2, s[0:1], 0x40
	s_waitcnt lgkmcnt(0)
	s_mul_i32 s1, s3, s5
	s_mul_hi_u32 s5, s3, s4
	s_mul_i32 s0, s3, s4
	s_add_i32 s1, s5, s1
	s_lshl_b64 s[0:1], s[0:1], 1
	s_add_u32 s3, s10, s0
	s_addc_u32 s4, s11, s1
	s_lshl_b64 s[0:1], s[12:13], 1
	s_add_u32 s0, s3, s0
	s_addc_u32 s1, s4, s1
	s_ashr_i32 s4, s2, 31
	v_mad_u64_u32 v[6:7], s[2:3], v3, s2, 0
	v_mov_b32_e32 v2, v7
	v_mad_u64_u32 v[2:3], s[2:3], v3, s4, v[2:3]
	v_mov_b32_e32 v7, v2
	v_lshl_add_u64 v[2:3], v[6:7], 1, s[0:1]
	v_lshl_add_u64 v[0:1], v[0:1], 1, v[2:3]
	global_store_short v[0:1], v4, off
.LBB256_9:
	s_endpgm
	.section	.rodata,"a",@progbits
	.p2align	6, 0x0
	.amdhsa_kernel _ZN12_GLOBAL__N_120geam_ex_scale_kernelILi32ELi32EDF16_PKDF16_S2_PDF16_EEviiT2_T3_lilT4_lil
		.amdhsa_group_segment_fixed_size 0
		.amdhsa_private_segment_fixed_size 0
		.amdhsa_kernarg_size 80
		.amdhsa_user_sgpr_count 2
		.amdhsa_user_sgpr_dispatch_ptr 0
		.amdhsa_user_sgpr_queue_ptr 0
		.amdhsa_user_sgpr_kernarg_segment_ptr 1
		.amdhsa_user_sgpr_dispatch_id 0
		.amdhsa_user_sgpr_kernarg_preload_length 0
		.amdhsa_user_sgpr_kernarg_preload_offset 0
		.amdhsa_user_sgpr_private_segment_size 0
		.amdhsa_uses_dynamic_stack 0
		.amdhsa_enable_private_segment 0
		.amdhsa_system_sgpr_workgroup_id_x 1
		.amdhsa_system_sgpr_workgroup_id_y 0
		.amdhsa_system_sgpr_workgroup_id_z 1
		.amdhsa_system_sgpr_workgroup_info 0
		.amdhsa_system_vgpr_workitem_id 1
		.amdhsa_next_free_vgpr 8
		.amdhsa_next_free_sgpr 19
		.amdhsa_accum_offset 8
		.amdhsa_reserve_vcc 1
		.amdhsa_float_round_mode_32 0
		.amdhsa_float_round_mode_16_64 0
		.amdhsa_float_denorm_mode_32 3
		.amdhsa_float_denorm_mode_16_64 3
		.amdhsa_dx10_clamp 1
		.amdhsa_ieee_mode 1
		.amdhsa_fp16_overflow 0
		.amdhsa_tg_split 0
		.amdhsa_exception_fp_ieee_invalid_op 0
		.amdhsa_exception_fp_denorm_src 0
		.amdhsa_exception_fp_ieee_div_zero 0
		.amdhsa_exception_fp_ieee_overflow 0
		.amdhsa_exception_fp_ieee_underflow 0
		.amdhsa_exception_fp_ieee_inexact 0
		.amdhsa_exception_int_div_zero 0
	.end_amdhsa_kernel
	.section	.text._ZN12_GLOBAL__N_120geam_ex_scale_kernelILi32ELi32EDF16_PKDF16_S2_PDF16_EEviiT2_T3_lilT4_lil,"axG",@progbits,_ZN12_GLOBAL__N_120geam_ex_scale_kernelILi32ELi32EDF16_PKDF16_S2_PDF16_EEviiT2_T3_lilT4_lil,comdat
.Lfunc_end256:
	.size	_ZN12_GLOBAL__N_120geam_ex_scale_kernelILi32ELi32EDF16_PKDF16_S2_PDF16_EEviiT2_T3_lilT4_lil, .Lfunc_end256-_ZN12_GLOBAL__N_120geam_ex_scale_kernelILi32ELi32EDF16_PKDF16_S2_PDF16_EEviiT2_T3_lilT4_lil
                                        ; -- End function
	.section	.AMDGPU.csdata,"",@progbits
; Kernel info:
; codeLenInByte = 528
; NumSgprs: 25
; NumVgprs: 8
; NumAgprs: 0
; TotalNumVgprs: 8
; ScratchSize: 0
; MemoryBound: 0
; FloatMode: 240
; IeeeMode: 1
; LDSByteSize: 0 bytes/workgroup (compile time only)
; SGPRBlocks: 3
; VGPRBlocks: 0
; NumSGPRsForWavesPerEU: 25
; NumVGPRsForWavesPerEU: 8
; AccumOffset: 8
; Occupancy: 8
; WaveLimiterHint : 0
; COMPUTE_PGM_RSRC2:SCRATCH_EN: 0
; COMPUTE_PGM_RSRC2:USER_SGPR: 2
; COMPUTE_PGM_RSRC2:TRAP_HANDLER: 0
; COMPUTE_PGM_RSRC2:TGID_X_EN: 1
; COMPUTE_PGM_RSRC2:TGID_Y_EN: 0
; COMPUTE_PGM_RSRC2:TGID_Z_EN: 1
; COMPUTE_PGM_RSRC2:TIDIG_COMP_CNT: 1
; COMPUTE_PGM_RSRC3_GFX90A:ACCUM_OFFSET: 1
; COMPUTE_PGM_RSRC3_GFX90A:TG_SPLIT: 0
	.section	.text._ZN12_GLOBAL__N_120geam_ex_round_kernelILi32ELi32EDF16_DF16_PKDF16_PDF16_EEviiT2_T3_lilT4_lil,"axG",@progbits,_ZN12_GLOBAL__N_120geam_ex_round_kernelILi32ELi32EDF16_DF16_PKDF16_PDF16_EEviiT2_T3_lilT4_lil,comdat
	.globl	_ZN12_GLOBAL__N_120geam_ex_round_kernelILi32ELi32EDF16_DF16_PKDF16_PDF16_EEviiT2_T3_lilT4_lil ; -- Begin function _ZN12_GLOBAL__N_120geam_ex_round_kernelILi32ELi32EDF16_DF16_PKDF16_PDF16_EEviiT2_T3_lilT4_lil
	.p2align	8
	.type	_ZN12_GLOBAL__N_120geam_ex_round_kernelILi32ELi32EDF16_DF16_PKDF16_PDF16_EEviiT2_T3_lilT4_lil,@function
_ZN12_GLOBAL__N_120geam_ex_round_kernelILi32ELi32EDF16_DF16_PKDF16_PDF16_EEviiT2_T3_lilT4_lil: ; @_ZN12_GLOBAL__N_120geam_ex_round_kernelILi32ELi32EDF16_DF16_PKDF16_PDF16_EEviiT2_T3_lilT4_lil
; %bb.0:
	s_load_dwordx4 s[8:11], s[0:1], 0x0
	s_load_dwordx4 s[4:7], s[0:1], 0x28
	s_load_dwordx2 s[12:13], s[0:1], 0x38
	s_waitcnt lgkmcnt(0)
	v_cmp_eq_f16_e64 s[16:17], s10, 0
	s_and_b64 vcc, exec, s[16:17]
	s_cbranch_vccnz .LBB257_2
; %bb.1:
	s_load_dwordx4 s[20:23], s[0:1], 0x10
	s_mul_i32 s5, s3, s5
	s_mul_hi_u32 s11, s3, s4
	s_add_i32 s5, s11, s5
	s_mul_i32 s4, s3, s4
	s_lshl_b64 s[4:5], s[4:5], 1
	s_waitcnt lgkmcnt(0)
	s_add_u32 s11, s20, s4
	s_addc_u32 s15, s21, s5
	s_lshl_b64 s[4:5], s[22:23], 1
	s_add_u32 s14, s11, s4
	s_addc_u32 s15, s15, s5
	s_branch .LBB257_3
.LBB257_2:
	s_mov_b64 s[14:15], 0
.LBB257_3:
	s_add_i32 s4, s8, -1
	s_ashr_i32 s5, s4, 31
	s_lshr_b32 s5, s5, 27
	s_add_i32 s4, s4, s5
	s_ashr_i32 s4, s4, 5
	s_add_i32 s5, s4, 1
	v_cvt_f32_u32_e32 v1, s5
	s_not_b32 s4, s4
	v_and_b32_e32 v3, 0x3ff, v0
	v_bfe_u32 v0, v0, 10, 10
	v_rcp_iflag_f32_e32 v1, v1
	s_nop 0
	v_mul_f32_e32 v1, 0x4f7ffffe, v1
	v_cvt_u32_f32_e32 v1, v1
	s_nop 0
	v_readfirstlane_b32 s11, v1
	s_mul_i32 s4, s4, s11
	s_mul_hi_u32 s4, s11, s4
	s_add_i32 s11, s11, s4
	s_mul_hi_u32 s4, s2, s11
	s_mul_i32 s11, s4, s5
	s_sub_i32 s11, s2, s11
	s_add_i32 s18, s4, 1
	s_sub_i32 s19, s11, s5
	s_cmp_ge_u32 s11, s5
	s_cselect_b32 s4, s18, s4
	s_cselect_b32 s11, s19, s11
	s_add_i32 s18, s4, 1
	s_cmp_ge_u32 s11, s5
	s_cselect_b32 s4, s18, s4
	s_mul_i32 s5, s4, s5
	s_sub_i32 s2, s2, s5
	v_lshl_add_u32 v2, s4, 5, v0
	v_lshl_add_u32 v0, s2, 5, v3
	v_cmp_gt_u32_e32 vcc, s8, v0
	v_cmp_gt_u32_e64 s[4:5], s9, v2
	s_and_b64 s[4:5], vcc, s[4:5]
	s_and_saveexec_b64 s[8:9], s[4:5]
	s_cbranch_execz .LBB257_9
; %bb.4:
	s_andn2_b64 vcc, exec, s[16:17]
	s_cbranch_vccnz .LBB257_6
; %bb.5:
	v_mov_b32_e32 v5, 0
	s_mov_b32 s2, 0
	v_mov_b32_e32 v1, v5
	v_mov_b32_e32 v3, s2
	s_cbranch_execz .LBB257_7
	s_branch .LBB257_8
.LBB257_6:
                                        ; implicit-def: $sgpr2
                                        ; implicit-def: $vgpr4_vgpr5
	v_mov_b32_e32 v3, s2
.LBB257_7:
	s_load_dword s2, s[0:1], 0x20
	v_mov_b32_e32 v5, 0
	v_mov_b32_e32 v1, v5
	s_waitcnt lgkmcnt(0)
	v_mad_u64_u32 v[6:7], s[4:5], v2, s2, v[0:1]
	s_ashr_i32 s8, s2, 31
	v_mov_b32_e32 v4, v7
	v_mad_u64_u32 v[8:9], s[4:5], v2, s8, v[4:5]
	v_mov_b32_e32 v7, v8
	v_lshl_add_u64 v[6:7], v[6:7], 1, s[14:15]
	flat_load_ushort v3, v[6:7]
	s_waitcnt vmcnt(0) lgkmcnt(0)
	v_mul_f16_e32 v3, s10, v3
.LBB257_8:
	s_load_dwordx2 s[4:5], s[0:1], 0x48
	s_load_dword s2, s[0:1], 0x40
	v_cmp_nlt_f16_e32 vcc, 0, v3
	s_waitcnt lgkmcnt(0)
	s_mul_i32 s1, s3, s5
	s_mul_hi_u32 s5, s3, s4
	s_mul_i32 s0, s3, s4
	s_add_i32 s1, s5, s1
	s_lshl_b64 s[0:1], s[0:1], 1
	s_add_u32 s3, s6, s0
	s_addc_u32 s4, s7, s1
	s_lshl_b64 s[0:1], s[12:13], 1
	s_add_u32 s0, s3, s0
	s_addc_u32 s1, s4, s1
	s_ashr_i32 s3, s2, 31
	v_mul_lo_u32 v6, v5, s2
	v_mul_lo_u32 v7, v2, s3
	v_mad_u64_u32 v[4:5], s[2:3], v2, s2, 0
	v_add3_u32 v5, v5, v7, v6
	v_lshl_add_u64 v[4:5], v[4:5], 1, s[0:1]
	v_lshl_add_u64 v[0:1], v[0:1], 1, v[4:5]
	v_cndmask_b32_e32 v2, 0, v3, vcc
	global_store_short v[0:1], v2, off
.LBB257_9:
	s_endpgm
	.section	.rodata,"a",@progbits
	.p2align	6, 0x0
	.amdhsa_kernel _ZN12_GLOBAL__N_120geam_ex_round_kernelILi32ELi32EDF16_DF16_PKDF16_PDF16_EEviiT2_T3_lilT4_lil
		.amdhsa_group_segment_fixed_size 0
		.amdhsa_private_segment_fixed_size 0
		.amdhsa_kernarg_size 80
		.amdhsa_user_sgpr_count 2
		.amdhsa_user_sgpr_dispatch_ptr 0
		.amdhsa_user_sgpr_queue_ptr 0
		.amdhsa_user_sgpr_kernarg_segment_ptr 1
		.amdhsa_user_sgpr_dispatch_id 0
		.amdhsa_user_sgpr_kernarg_preload_length 0
		.amdhsa_user_sgpr_kernarg_preload_offset 0
		.amdhsa_user_sgpr_private_segment_size 0
		.amdhsa_uses_dynamic_stack 0
		.amdhsa_enable_private_segment 0
		.amdhsa_system_sgpr_workgroup_id_x 1
		.amdhsa_system_sgpr_workgroup_id_y 0
		.amdhsa_system_sgpr_workgroup_id_z 1
		.amdhsa_system_sgpr_workgroup_info 0
		.amdhsa_system_vgpr_workitem_id 1
		.amdhsa_next_free_vgpr 10
		.amdhsa_next_free_sgpr 24
		.amdhsa_accum_offset 12
		.amdhsa_reserve_vcc 1
		.amdhsa_float_round_mode_32 0
		.amdhsa_float_round_mode_16_64 0
		.amdhsa_float_denorm_mode_32 3
		.amdhsa_float_denorm_mode_16_64 3
		.amdhsa_dx10_clamp 1
		.amdhsa_ieee_mode 1
		.amdhsa_fp16_overflow 0
		.amdhsa_tg_split 0
		.amdhsa_exception_fp_ieee_invalid_op 0
		.amdhsa_exception_fp_denorm_src 0
		.amdhsa_exception_fp_ieee_div_zero 0
		.amdhsa_exception_fp_ieee_overflow 0
		.amdhsa_exception_fp_ieee_underflow 0
		.amdhsa_exception_fp_ieee_inexact 0
		.amdhsa_exception_int_div_zero 0
	.end_amdhsa_kernel
	.section	.text._ZN12_GLOBAL__N_120geam_ex_round_kernelILi32ELi32EDF16_DF16_PKDF16_PDF16_EEviiT2_T3_lilT4_lil,"axG",@progbits,_ZN12_GLOBAL__N_120geam_ex_round_kernelILi32ELi32EDF16_DF16_PKDF16_PDF16_EEviiT2_T3_lilT4_lil,comdat
.Lfunc_end257:
	.size	_ZN12_GLOBAL__N_120geam_ex_round_kernelILi32ELi32EDF16_DF16_PKDF16_PDF16_EEviiT2_T3_lilT4_lil, .Lfunc_end257-_ZN12_GLOBAL__N_120geam_ex_round_kernelILi32ELi32EDF16_DF16_PKDF16_PDF16_EEviiT2_T3_lilT4_lil
                                        ; -- End function
	.section	.AMDGPU.csdata,"",@progbits
; Kernel info:
; codeLenInByte = 524
; NumSgprs: 30
; NumVgprs: 10
; NumAgprs: 0
; TotalNumVgprs: 10
; ScratchSize: 0
; MemoryBound: 0
; FloatMode: 240
; IeeeMode: 1
; LDSByteSize: 0 bytes/workgroup (compile time only)
; SGPRBlocks: 3
; VGPRBlocks: 1
; NumSGPRsForWavesPerEU: 30
; NumVGPRsForWavesPerEU: 10
; AccumOffset: 12
; Occupancy: 8
; WaveLimiterHint : 0
; COMPUTE_PGM_RSRC2:SCRATCH_EN: 0
; COMPUTE_PGM_RSRC2:USER_SGPR: 2
; COMPUTE_PGM_RSRC2:TRAP_HANDLER: 0
; COMPUTE_PGM_RSRC2:TGID_X_EN: 1
; COMPUTE_PGM_RSRC2:TGID_Y_EN: 0
; COMPUTE_PGM_RSRC2:TGID_Z_EN: 1
; COMPUTE_PGM_RSRC2:TIDIG_COMP_CNT: 1
; COMPUTE_PGM_RSRC3_GFX90A:ACCUM_OFFSET: 2
; COMPUTE_PGM_RSRC3_GFX90A:TG_SPLIT: 0
	.section	.text._ZN12_GLOBAL__N_120geam_min_plus_kernelIDF16_Dv2_DF16_S1_Li32ELi8ELi256ELi64ELi4ELi64ELi4ELi4ELi64ELc78ELc78ELb0ELb0ELb1EPKDF16_S2_DF16_EEviiiT16_PT17_ilS6_ilS4_S6_ilPT18_ili26rocblas_geam_ex_operation_,"axG",@progbits,_ZN12_GLOBAL__N_120geam_min_plus_kernelIDF16_Dv2_DF16_S1_Li32ELi8ELi256ELi64ELi4ELi64ELi4ELi4ELi64ELc78ELc78ELb0ELb0ELb1EPKDF16_S2_DF16_EEviiiT16_PT17_ilS6_ilS4_S6_ilPT18_ili26rocblas_geam_ex_operation_,comdat
	.globl	_ZN12_GLOBAL__N_120geam_min_plus_kernelIDF16_Dv2_DF16_S1_Li32ELi8ELi256ELi64ELi4ELi64ELi4ELi4ELi64ELc78ELc78ELb0ELb0ELb1EPKDF16_S2_DF16_EEviiiT16_PT17_ilS6_ilS4_S6_ilPT18_ili26rocblas_geam_ex_operation_ ; -- Begin function _ZN12_GLOBAL__N_120geam_min_plus_kernelIDF16_Dv2_DF16_S1_Li32ELi8ELi256ELi64ELi4ELi64ELi4ELi4ELi64ELc78ELc78ELb0ELb0ELb1EPKDF16_S2_DF16_EEviiiT16_PT17_ilS6_ilS4_S6_ilPT18_ili26rocblas_geam_ex_operation_
	.p2align	8
	.type	_ZN12_GLOBAL__N_120geam_min_plus_kernelIDF16_Dv2_DF16_S1_Li32ELi8ELi256ELi64ELi4ELi64ELi4ELi4ELi64ELc78ELc78ELb0ELb0ELb1EPKDF16_S2_DF16_EEviiiT16_PT17_ilS6_ilS4_S6_ilPT18_ili26rocblas_geam_ex_operation_,@function
_ZN12_GLOBAL__N_120geam_min_plus_kernelIDF16_Dv2_DF16_S1_Li32ELi8ELi256ELi64ELi4ELi64ELi4ELi4ELi64ELc78ELc78ELb0ELb0ELb1EPKDF16_S2_DF16_EEviiiT16_PT17_ilS6_ilS4_S6_ilPT18_ili26rocblas_geam_ex_operation_: ; @_ZN12_GLOBAL__N_120geam_min_plus_kernelIDF16_Dv2_DF16_S1_Li32ELi8ELi256ELi64ELi4ELi64ELi4ELi4ELi64ELc78ELc78ELb0ELb0ELb1EPKDF16_S2_DF16_EEviiiT16_PT17_ilS6_ilS4_S6_ilPT18_ili26rocblas_geam_ex_operation_
; %bb.0:
	s_load_dwordx4 s[16:19], s[0:1], 0x10
	s_load_dwordx4 s[8:11], s[0:1], 0x28
	s_mov_b32 s20, s3
	s_mov_b32 s21, 0
	s_lshl_b64 s[4:5], s[20:21], 1
	s_waitcnt lgkmcnt(0)
	s_add_u32 s6, s16, s4
	s_addc_u32 s7, s17, s5
	v_mov_b32_e32 v1, 0
	global_load_ushort v44, v1, s[6:7]
	s_load_dwordx4 s[12:15], s[0:1], 0x40
	s_load_dwordx2 s[24:25], s[0:1], 0x50
	s_mov_b64 s[22:23], 0
	s_mov_b64 s[16:17], 0
	s_waitcnt lgkmcnt(0)
	s_add_u32 s4, s14, s4
	s_addc_u32 s5, s15, s5
	s_waitcnt vmcnt(0)
	v_cmp_eq_f16_e32 vcc, 0, v44
	v_cmp_neq_f16_e64 s[6:7], 0, v44
	s_cbranch_vccnz .LBB258_2
; %bb.1:
	s_mul_i32 s3, s20, s9
	s_mul_hi_u32 s9, s20, s8
	s_add_i32 s9, s9, s3
	s_mul_i32 s8, s20, s8
	s_lshl_b64 s[8:9], s[8:9], 1
	s_add_u32 s16, s18, s8
	s_addc_u32 s17, s19, s9
.LBB258_2:
	global_load_ushort v52, v1, s[4:5]
	v_cndmask_b32_e64 v1, 0, 1, s[6:7]
	v_cmp_ne_u32_e64 s[4:5], 1, v1
	s_andn2_b64 vcc, exec, s[6:7]
	s_cbranch_vccnz .LBB258_4
; %bb.3:
	s_mul_i32 s3, s20, s13
	s_mul_hi_u32 s8, s20, s12
	s_add_i32 s9, s8, s3
	s_mul_i32 s8, s20, s12
	s_lshl_b64 s[8:9], s[8:9], 1
	s_add_u32 s22, s10, s8
	s_addc_u32 s23, s11, s9
.LBB258_4:
	s_load_dwordx4 s[12:15], s[0:1], 0x60
	s_waitcnt vmcnt(0)
	v_cmp_eq_f16_e32 vcc, 0, v52
	s_and_b64 s[8:9], exec, vcc
	s_mov_b64 vcc, s[8:9]
	s_cbranch_vccnz .LBB258_6
; %bb.5:
	s_waitcnt lgkmcnt(0)
	s_mul_i32 s3, s20, s13
	s_mul_hi_u32 s10, s20, s12
	s_add_i32 s11, s10, s3
	s_mul_i32 s10, s20, s12
	s_lshl_b64 s[10:11], s[10:11], 1
	s_add_u32 s10, s24, s10
	s_addc_u32 s11, s25, s11
	s_branch .LBB258_7
.LBB258_6:
	s_mov_b64 s[10:11], 0
.LBB258_7:
	s_load_dword s3, s[0:1], 0x0
	s_waitcnt lgkmcnt(0)
	s_load_dword s12, s[0:1], 0x20
	v_and_b32_e32 v42, 0x3ff, v0
	v_bfe_u32 v43, v0, 10, 10
	v_lshl_add_u32 v8, v43, 5, v42
	s_add_i32 s3, s3, -1
	s_ashr_i32 s13, s3, 31
	s_lshr_b32 s13, s13, 24
	s_add_i32 s3, s3, s13
	s_ashr_i32 s3, s3, 8
	s_add_i32 s21, s3, 1
	v_cvt_f32_u32_e32 v1, s21
	v_lshrrev_b32_e32 v38, 6, v8
	s_not_b32 s3, s3
	s_waitcnt lgkmcnt(0)
	s_ashr_i32 s13, s12, 31
	v_rcp_iflag_f32_e32 v0, v1
	v_and_b32_e32 v36, 63, v8
	v_mul_f32_e32 v0, 0x4f7ffffe, v0
	v_cvt_u32_f32_e32 v4, v0
	v_mad_i64_i32 v[0:1], s[18:19], s12, v38, 0
	v_lshl_add_u64 v[2:3], v[0:1], 1, s[16:17]
	v_readfirstlane_b32 s18, v4
	s_mul_i32 s3, s3, s18
	s_mul_hi_u32 s3, s18, s3
	s_add_i32 s18, s18, s3
	s_mul_hi_u32 s3, s2, s18
	s_mul_i32 s18, s3, s21
	s_sub_i32 s18, s2, s18
	s_add_i32 s19, s3, 1
	s_sub_i32 s24, s18, s21
	s_cmp_ge_u32 s18, s21
	s_cselect_b32 s3, s19, s3
	s_cselect_b32 s18, s24, s18
	s_add_i32 s19, s3, 1
	s_cmp_ge_u32 s18, s21
	s_cselect_b32 s19, s19, s3
	s_mul_i32 s3, s19, s21
	s_sub_i32 s18, s2, s3
	s_lshl_b32 s18, s18, 8
	v_or_b32_e32 v0, s18, v36
	s_and_b64 vcc, exec, s[4:5]
	v_ashrrev_i32_e32 v1, 31, v0
	s_cbranch_vccnz .LBB258_10
; %bb.8:
	v_lshl_add_u64 v[4:5], v[0:1], 1, v[2:3]
	flat_load_ushort v6, v[4:5]
	flat_load_ushort v7, v[4:5] offset:128
	s_waitcnt vmcnt(0) lgkmcnt(0)
	v_mul_f16_e32 v4, v44, v6
	v_mul_f16_e32 v5, v44, v7
	s_and_b64 vcc, exec, s[4:5]
	s_cbranch_vccnz .LBB258_11
.LBB258_9:
	v_lshl_add_u64 v[2:3], v[0:1], 1, v[2:3]
	flat_load_ushort v6, v[2:3] offset:256
	flat_load_ushort v7, v[2:3] offset:384
	s_waitcnt vmcnt(0) lgkmcnt(0)
	v_mul_f16_e32 v6, v44, v6
	v_mul_f16_e32 v7, v44, v7
	s_branch .LBB258_12
.LBB258_10:
	v_mov_b32_e32 v4, 0
	v_mov_b32_e32 v5, 0
	s_and_b64 vcc, exec, s[4:5]
	s_cbranch_vccz .LBB258_9
.LBB258_11:
	v_mov_b32_e32 v6, 0
	v_mov_b32_e32 v7, 0
.LBB258_12:
	s_load_dword s21, s[0:1], 0x38
	v_and_b32_e32 v2, 3, v42
	v_lshrrev_b32_e32 v8, 2, v8
	s_lshl_b32 s19, s19, 6
	s_and_b64 vcc, exec, s[4:5]
	v_add_u32_e32 v34, s19, v8
	v_lshlrev_b32_e32 v32, 1, v2
	s_cbranch_vccnz .LBB258_14
; %bb.13:
	s_waitcnt lgkmcnt(0)
	v_mad_i64_i32 v[2:3], s[24:25], v34, s21, 0
	v_lshl_add_u64 v[2:3], v[2:3], 1, s[22:23]
	v_mov_b32_e32 v33, 0
	v_lshl_add_u64 v[2:3], v[2:3], 0, v[32:33]
	flat_load_ushort v2, v[2:3]
	s_waitcnt vmcnt(0) lgkmcnt(0)
	v_mul_f16_e32 v9, v44, v2
	s_branch .LBB258_15
.LBB258_14:
	v_mov_b32_e32 v9, 0
.LBB258_15:
	v_add_u32_e32 v2, 4, v38
	v_mad_i64_i32 v[2:3], s[24:25], s12, v2, 0
	s_and_b64 vcc, exec, s[4:5]
	v_lshl_add_u64 v[2:3], v[2:3], 1, s[16:17]
	s_cbranch_vccnz .LBB258_19
; %bb.16:
	v_lshl_add_u64 v[10:11], v[0:1], 1, v[2:3]
	flat_load_ushort v12, v[10:11]
	flat_load_ushort v13, v[10:11] offset:128
	s_waitcnt vmcnt(0) lgkmcnt(0)
	v_mul_f16_e32 v35, v44, v12
	v_mul_f16_e32 v37, v44, v13
	s_and_b64 vcc, exec, s[4:5]
	s_cbranch_vccnz .LBB258_20
.LBB258_17:
	v_lshl_add_u64 v[0:1], v[0:1], 1, v[2:3]
	flat_load_ushort v2, v[0:1] offset:256
	flat_load_ushort v3, v[0:1] offset:384
	s_waitcnt vmcnt(0) lgkmcnt(0)
	v_mul_f16_e32 v39, v44, v2
	v_mul_f16_e32 v40, v44, v3
	s_and_b64 vcc, exec, s[4:5]
	s_cbranch_vccnz .LBB258_21
.LBB258_18:
	s_waitcnt lgkmcnt(0)
	v_mad_i64_i32 v[0:1], s[24:25], v34, s21, 0
	v_lshl_add_u64 v[0:1], v[0:1], 1, s[22:23]
	v_mov_b32_e32 v33, 0
	v_lshl_add_u64 v[0:1], v[0:1], 0, v[32:33]
	flat_load_ushort v0, v[0:1] offset:8
	s_waitcnt vmcnt(0) lgkmcnt(0)
	v_mul_f16_e32 v41, v44, v0
	s_branch .LBB258_22
.LBB258_19:
	v_mov_b32_e32 v35, 0
	v_mov_b32_e32 v37, 0
	s_and_b64 vcc, exec, s[4:5]
	s_cbranch_vccz .LBB258_17
.LBB258_20:
	v_mov_b32_e32 v39, 0
	v_mov_b32_e32 v40, 0
	s_and_b64 vcc, exec, s[4:5]
	s_cbranch_vccz .LBB258_18
.LBB258_21:
	v_mov_b32_e32 v41, 0
.LBB258_22:
	v_lshlrev_b32_e32 v0, 1, v38
	v_lshl_add_u32 v46, v36, 3, v0
	v_lshl_or_b32 v33, v8, 3, v32
	v_lshlrev_b32_e32 v45, 3, v42
	ds_write_b16 v46, v4
	ds_write_b16 v46, v5 offset:512
	ds_write_b16 v46, v6 offset:1024
	ds_write_b16 v46, v7 offset:1536
	ds_write_b16 v33, v9 offset:4096
	s_waitcnt lgkmcnt(0)
	s_barrier
	ds_read2_b64 v[16:19], v45 offset1:32
	ds_read2_b64 v[12:15], v45 offset0:64 offset1:96
	ds_read2_b64 v[4:7], v45 offset0:128 offset1:160
	v_lshlrev_b32_e32 v50, 3, v43
	v_add_u32_e32 v47, 0x1000, v50
	ds_read2_b64 v[28:31], v47 offset1:8
	ds_read2_b64 v[0:3], v45 offset0:192 offset1:224
	ds_read2_b64 v[24:27], v47 offset0:16 offset1:24
	ds_read2_b64 v[20:23], v47 offset0:32 offset1:40
	ds_read2_b64 v[8:11], v47 offset0:48 offset1:56
	s_movk_i32 s25, 0x7c00
	s_waitcnt lgkmcnt(4)
	v_pk_add_f16 v51, v12, v28
	v_pk_add_f16 v48, v16, v28
	v_pk_min_f16 v53, v51, s25 op_sel_hi:[1,0]
	v_pk_add_f16 v51, v14, v28
	v_pk_add_f16 v49, v18, v28
	v_pk_min_f16 v54, v51, s25 op_sel_hi:[1,0]
	v_pk_add_f16 v51, v4, v28
	v_pk_min_f16 v48, v48, s25 op_sel_hi:[1,0]
	v_pk_min_f16 v55, v51, s25 op_sel_hi:[1,0]
	v_pk_add_f16 v51, v6, v28
	v_pk_min_f16 v49, v49, s25 op_sel_hi:[1,0]
	v_pk_min_f16 v56, v51, s25 op_sel_hi:[1,0]
	s_waitcnt lgkmcnt(3)
	v_pk_add_f16 v51, v0, v28
	v_pk_add_f16 v28, v2, v28
	v_pk_min_f16 v57, v51, s25 op_sel_hi:[1,0]
	v_pk_add_f16 v51, v16, v30
	v_pk_min_f16 v28, v28, s25 op_sel_hi:[1,0]
	v_pk_min_f16 v58, v51, s25 op_sel_hi:[1,0]
	v_pk_add_f16 v51, v18, v30
	s_load_dword s24, s[0:1], 0x8
	v_pk_min_f16 v59, v51, s25 op_sel_hi:[1,0]
	v_pk_add_f16 v51, v12, v30
	ds_write_b16 v46, v35 offset:2048
	ds_write_b16 v46, v37 offset:2560
	;; [unrolled: 1-line block ×5, first 2 shown]
	v_pk_min_f16 v60, v51, s25 op_sel_hi:[1,0]
	v_pk_add_f16 v51, v14, v30
	s_waitcnt lgkmcnt(0)
	s_cmp_lt_i32 s24, 9
	v_pk_min_f16 v61, v51, s25 op_sel_hi:[1,0]
	v_pk_add_f16 v51, v4, v30
	s_nop 0
	v_pk_min_f16 v62, v51, s25 op_sel_hi:[1,0]
	v_pk_add_f16 v51, v6, v30
	s_barrier
	v_pk_min_f16 v63, v51, s25 op_sel_hi:[1,0]
	v_pk_add_f16 v51, v0, v30
	v_pk_add_f16 v30, v2, v30
	v_pk_min_f16 v64, v51, s25 op_sel_hi:[1,0]
	v_pk_add_f16 v51, v16, v24
	v_pk_min_f16 v30, v30, s25 op_sel_hi:[1,0]
	v_pk_min_f16 v65, v51, s25 op_sel_hi:[1,0]
	v_pk_add_f16 v51, v18, v24
	s_nop 0
	v_pk_min_f16 v66, v51, s25 op_sel_hi:[1,0]
	v_pk_add_f16 v51, v12, v24
	s_nop 0
	v_pk_min_f16 v67, v51, s25 op_sel_hi:[1,0]
	v_pk_add_f16 v51, v14, v24
	s_nop 0
	v_pk_min_f16 v68, v51, s25 op_sel_hi:[1,0]
	v_pk_add_f16 v51, v4, v24
	s_nop 0
	v_pk_min_f16 v69, v51, s25 op_sel_hi:[1,0]
	v_pk_add_f16 v51, v6, v24
	s_nop 0
	v_pk_min_f16 v70, v51, s25 op_sel_hi:[1,0]
	v_pk_add_f16 v51, v0, v24
	v_pk_add_f16 v24, v2, v24
	v_pk_min_f16 v71, v51, s25 op_sel_hi:[1,0]
	v_pk_add_f16 v51, v16, v26
	v_pk_min_f16 v24, v24, s25 op_sel_hi:[1,0]
	v_pk_min_f16 v72, v51, s25 op_sel_hi:[1,0]
	v_pk_add_f16 v51, v18, v26
	s_nop 0
	v_pk_min_f16 v73, v51, s25 op_sel_hi:[1,0]
	v_pk_add_f16 v51, v12, v26
	s_nop 0
	v_pk_min_f16 v74, v51, s25 op_sel_hi:[1,0]
	v_pk_add_f16 v51, v14, v26
	s_nop 0
	v_pk_min_f16 v75, v51, s25 op_sel_hi:[1,0]
	v_pk_add_f16 v51, v4, v26
	s_nop 0
	v_pk_min_f16 v76, v51, s25 op_sel_hi:[1,0]
	v_pk_add_f16 v51, v6, v26
	s_nop 0
	;; [unrolled: 21-line block ×4, first 2 shown]
	v_pk_min_f16 v125, v51, s25 op_sel_hi:[1,0]
	v_pk_add_f16 v51, v0, v22
	v_pk_add_f16 v22, v2, v22
	v_pk_min_f16 v126, v51, s25 op_sel_hi:[1,0]
	v_pk_add_f16 v51, v16, v8
	v_pk_min_f16 v22, v22, s25 op_sel_hi:[1,0]
	v_pk_min_f16 v127, v51, s25 op_sel_hi:[1,0]
	v_pk_add_f16 v51, v18, v8
	s_nop 0
	v_pk_min_f16 v128, v51, s25 op_sel_hi:[1,0]
	v_pk_add_f16 v51, v12, v8
	s_nop 0
	;; [unrolled: 3-line block ×3, first 2 shown]
	v_pk_min_f16 v130, v51, s25 op_sel_hi:[1,0]
	v_pk_add_f16 v51, v4, v8
	v_pk_add_f16 v4, v4, v10
	v_pk_min_f16 v131, v51, s25 op_sel_hi:[1,0]
	v_pk_add_f16 v51, v6, v8
	s_nop 0
	v_pk_min_f16 v132, v51, s25 op_sel_hi:[1,0]
	v_pk_add_f16 v51, v0, v8
	v_pk_add_f16 v8, v2, v8
	v_pk_add_f16 v0, v0, v10
	v_pk_min_f16 v134, v8, s25 op_sel_hi:[1,0]
	v_pk_add_f16 v8, v16, v10
	v_pk_min_f16 v133, v51, s25 op_sel_hi:[1,0]
	v_pk_min_f16 v16, v8, s25 op_sel_hi:[1,0]
	v_pk_add_f16 v8, v18, v10
	s_nop 0
	v_pk_min_f16 v18, v8, s25 op_sel_hi:[1,0]
	v_pk_add_f16 v8, v12, v10
	s_nop 0
	;; [unrolled: 3-line block ×3, first 2 shown]
	v_pk_min_f16 v14, v8, s25 op_sel_hi:[1,0]
	v_pk_min_f16 v8, v4, s25 op_sel_hi:[1,0]
	v_pk_add_f16 v4, v6, v10
	s_nop 0
	v_pk_min_f16 v6, v4, s25 op_sel_hi:[1,0]
	v_pk_min_f16 v4, v0, s25 op_sel_hi:[1,0]
	v_pk_add_f16 v0, v2, v10
	v_pk_add_f16 v2, v17, v29
	v_pk_min_f16 v0, v0, s25 op_sel_hi:[1,0]
	v_pk_min_f16 v51, v48, v2
	v_pk_add_f16 v2, v19, v29
	s_nop 0
	v_pk_min_f16 v115, v49, v2
	v_pk_add_f16 v2, v13, v29
	s_nop 0
	;; [unrolled: 3-line block ×53, first 2 shown]
	v_pk_min_f16 v62, v132, v2
	v_pk_add_f16 v2, v1, v9
	v_pk_add_f16 v1, v1, v11
	v_pk_min_f16 v61, v133, v2
	v_pk_add_f16 v2, v3, v9
	v_pk_min_f16 v54, v4, v1
	v_pk_min_f16 v59, v134, v2
	v_pk_add_f16 v2, v17, v11
	v_pk_add_f16 v1, v3, v11
	v_pk_min_f16 v60, v16, v2
	v_pk_add_f16 v2, v19, v11
	v_pk_min_f16 v68, v0, v1
	v_pk_min_f16 v58, v18, v2
	v_pk_add_f16 v2, v13, v11
	s_nop 0
	v_pk_min_f16 v57, v12, v2
	v_pk_add_f16 v2, v15, v11
	s_nop 0
	;; [unrolled: 3-line block ×4, first 2 shown]
	v_pk_min_f16 v53, v6, v2
	s_cbranch_scc1 .LBB258_40
; %bb.23:
	v_mov_b32_e32 v0, 0x800
	v_lshl_add_u32 v117, v42, 3, v0
	v_mov_b32_e32 v0, 0x1200
	v_add_u32_e32 v48, 0x1000, v33
	v_add_u32_e32 v116, 0x1200, v33
	v_lshl_add_u32 v118, v43, 3, v0
	v_mad_i64_i32 v[0:1], s[26:27], s21, v34, 0
	v_mov_b32_e32 v33, 0
	v_lshl_add_u64 v[0:1], v[0:1], 1, v[32:33]
	v_lshl_add_u64 v[0:1], v[0:1], 0, s[22:23]
	;; [unrolled: 1-line block ×3, first 2 shown]
	v_add_u32_e32 v0, 12, v38
	v_mad_i64_i32 v[0:1], s[22:23], v0, s12, 0
	v_lshlrev_b64 v[34:35], 1, v[0:1]
	v_lshl_or_b32 v0, s2, 8, v36
	s_lshl_b32 s2, s3, 8
	v_subrev_u32_e32 v0, s2, v0
	v_ashrrev_i32_e32 v1, 31, v0
	v_lshl_add_u64 v[36:37], v[0:1], 1, s[16:17]
	v_add_u32_e32 v0, 8, v38
	s_lshl_b64 s[2:3], s[12:13], 4
	v_mad_i64_i32 v[0:1], s[12:13], v0, s12, 0
	v_add_u32_e32 v49, 0x800, v46
	s_add_i32 s24, s24, -8
	v_lshlrev_b64 v[38:39], 1, v[0:1]
	s_mov_b32 s12, 0
	s_and_b64 s[6:7], exec, s[6:7]
	s_branch .LBB258_26
.LBB258_24:                             ;   in Loop: Header=BB258_26 Depth=1
	flat_load_ushort v0, v[32:33] offset:8
	s_waitcnt vmcnt(0) lgkmcnt(0)
	v_mul_f16_e32 v28, v44, v0
.LBB258_25:                             ;   in Loop: Header=BB258_26 Depth=1
	ds_read2_b64 v[8:11], v45 offset1:32
	ds_read2_b64 v[4:7], v45 offset0:64 offset1:96
	ds_read2_b64 v[0:3], v45 offset0:128 offset1:160
	ds_read2_b64 v[122:125], v47 offset1:8
	ds_read2_b64 v[12:15], v45 offset0:192 offset1:224
	ds_read2_b64 v[24:27], v47 offset0:16 offset1:24
	;; [unrolled: 1-line block ×4, first 2 shown]
	s_waitcnt lgkmcnt(4)
	v_pk_add_f16 v113, v8, v122
	v_pk_max_f16 v112, v112, v112
	v_pk_max_f16 v111, v111, v111
	v_pk_min_f16 v112, v112, v113
	v_pk_add_f16 v113, v10, v122
	v_pk_max_f16 v110, v110, v110
	v_pk_min_f16 v111, v111, v113
	v_pk_add_f16 v113, v4, v122
	;; [unrolled: 3-line block ×5, first 2 shown]
	v_pk_max_f16 v106, v106, v106
	v_pk_min_f16 v107, v107, v113
	s_waitcnt lgkmcnt(3)
	v_pk_add_f16 v113, v12, v122
	v_pk_max_f16 v105, v105, v105
	v_pk_min_f16 v106, v106, v113
	v_pk_add_f16 v113, v14, v122
	v_pk_max_f16 v104, v104, v104
	v_pk_min_f16 v105, v105, v113
	;; [unrolled: 3-line block ×10, first 2 shown]
	s_waitcnt lgkmcnt(2)
	v_pk_add_f16 v113, v8, v24
	v_pk_max_f16 v95, v95, v95
	v_pk_min_f16 v96, v96, v113
	v_pk_add_f16 v113, v10, v24
	v_pk_max_f16 v94, v94, v94
	v_pk_min_f16 v95, v95, v113
	;; [unrolled: 3-line block ×6, first 2 shown]
	v_pk_add_f16 v113, v12, v24
	v_pk_add_f16 v24, v14, v24
	v_pk_max_f16 v88, v88, v88
	v_pk_min_f16 v24, v89, v24
	v_pk_add_f16 v89, v8, v26
	v_pk_max_f16 v87, v87, v87
	v_pk_min_f16 v88, v88, v89
	;; [unrolled: 3-line block ×7, first 2 shown]
	v_pk_add_f16 v89, v12, v26
	v_pk_add_f16 v26, v14, v26
	v_pk_max_f16 v80, v80, v80
	v_pk_min_f16 v26, v81, v26
	s_waitcnt lgkmcnt(1)
	v_pk_add_f16 v81, v8, v20
	v_pk_max_f16 v79, v79, v79
	v_pk_min_f16 v80, v80, v81
	v_pk_add_f16 v81, v10, v20
	v_pk_max_f16 v78, v78, v78
	v_pk_min_f16 v79, v79, v81
	;; [unrolled: 3-line block ×6, first 2 shown]
	v_pk_add_f16 v81, v12, v20
	v_pk_add_f16 v20, v14, v20
	v_pk_max_f16 v72, v72, v72
	v_pk_min_f16 v20, v73, v20
	v_pk_add_f16 v73, v8, v22
	v_pk_max_f16 v71, v71, v71
	v_pk_min_f16 v72, v72, v73
	v_pk_add_f16 v73, v10, v22
	v_pk_max_f16 v70, v70, v70
	v_pk_min_f16 v71, v71, v73
	v_pk_add_f16 v73, v4, v22
	v_pk_max_f16 v69, v69, v69
	v_pk_min_f16 v70, v70, v73
	v_pk_add_f16 v73, v6, v22
	v_pk_max_f16 v68, v68, v68
	v_pk_min_f16 v69, v69, v73
	v_pk_add_f16 v73, v0, v22
	v_pk_max_f16 v67, v67, v67
	v_pk_min_f16 v68, v68, v73
	v_pk_add_f16 v73, v2, v22
	v_pk_max_f16 v65, v65, v65
	v_pk_min_f16 v67, v67, v73
	v_pk_add_f16 v73, v12, v22
	v_pk_add_f16 v22, v14, v22
	v_pk_max_f16 v64, v64, v64
	v_pk_min_f16 v22, v65, v22
	s_waitcnt lgkmcnt(0)
	v_pk_add_f16 v65, v8, v16
	v_pk_max_f16 v63, v63, v63
	v_pk_min_f16 v64, v64, v65
	v_pk_add_f16 v65, v10, v16
	v_pk_max_f16 v62, v62, v62
	v_pk_min_f16 v63, v63, v65
	;; [unrolled: 3-line block ×5, first 2 shown]
	v_pk_add_f16 v65, v2, v16
	v_pk_add_f16 v8, v8, v18
	v_pk_min_f16 v59, v59, v65
	v_pk_add_f16 v65, v12, v16
	v_pk_add_f16 v16, v14, v16
	;; [unrolled: 1-line block ×9, first 2 shown]
	v_pk_max_f16 v18, v31, v31
	v_pk_max_f16 v51, v51, v51
	v_pk_min_f16 v14, v18, v14
	v_pk_add_f16 v18, v9, v123
	v_pk_min_f16 v0, v51, v0
	v_pk_min_f16 v51, v112, v18
	v_pk_add_f16 v18, v11, v123
	v_pk_max_f16 v90, v90, v90
	v_pk_min_f16 v115, v111, v18
	v_pk_add_f16 v18, v5, v123
	v_pk_min_f16 v90, v90, v113
	v_pk_min_f16 v114, v110, v18
	v_pk_add_f16 v18, v7, v123
	;; [unrolled: 6-line block ×6, first 2 shown]
	v_pk_max_f16 v55, v55, v55
	v_pk_min_f16 v105, v101, v18
	v_pk_add_f16 v18, v1, v125
	v_pk_max_f16 v30, v30, v30
	v_pk_min_f16 v104, v100, v18
	v_pk_add_f16 v18, v3, v125
	;; [unrolled: 3-line block ×3, first 2 shown]
	v_pk_min_f16 v10, v55, v10
	v_pk_min_f16 v102, v98, v18
	v_pk_add_f16 v18, v15, v125
	v_pk_max_f16 v54, v54, v54
	v_pk_min_f16 v101, v97, v18
	v_pk_add_f16 v18, v9, v25
	v_pk_max_f16 v53, v53, v53
	v_pk_min_f16 v100, v96, v18
	v_pk_add_f16 v18, v11, v25
	v_pk_min_f16 v2, v30, v2
	v_pk_min_f16 v99, v95, v18
	v_pk_add_f16 v18, v5, v25
	v_pk_max_f16 v29, v29, v29
	v_pk_min_f16 v98, v94, v18
	v_pk_add_f16 v18, v7, v25
	v_pk_max_f16 v57, v57, v57
	v_pk_min_f16 v97, v93, v18
	v_pk_add_f16 v18, v1, v25
	v_pk_min_f16 v8, v56, v8
	v_pk_min_f16 v96, v92, v18
	v_pk_add_f16 v18, v3, v25
	v_pk_min_f16 v4, v54, v4
	;; [unrolled: 3-line block ×5, first 2 shown]
	v_pk_min_f16 v92, v88, v18
	v_pk_add_f16 v18, v11, v27
	s_add_i32 s12, s12, 8
	v_pk_min_f16 v91, v87, v18
	v_pk_add_f16 v18, v5, v27
	v_lshl_add_u64 v[32:33], v[32:33], 0, 16
	v_pk_min_f16 v90, v86, v18
	v_pk_add_f16 v18, v7, v27
	s_cmp_ge_i32 s12, s24
	v_pk_min_f16 v89, v85, v18
	v_pk_add_f16 v18, v1, v27
	v_lshl_add_u64 v[36:37], v[36:37], 0, s[2:3]
	v_pk_min_f16 v88, v84, v18
	v_pk_add_f16 v18, v3, v27
	ds_write_b16 v49, v119
	ds_write_b16 v49, v120 offset:512
	ds_write_b16 v49, v40 offset:1024
	;; [unrolled: 1-line block ×3, first 2 shown]
	ds_write_b16 v116, v28
	v_pk_min_f16 v87, v83, v18
	v_pk_add_f16 v18, v13, v27
	s_waitcnt lgkmcnt(0)
	v_pk_min_f16 v86, v82, v18
	v_pk_add_f16 v18, v15, v27
	s_barrier
	v_pk_min_f16 v84, v26, v18
	v_pk_add_f16 v18, v9, v21
	s_nop 0
	v_pk_min_f16 v85, v80, v18
	v_pk_add_f16 v18, v11, v21
	s_nop 0
	v_pk_min_f16 v83, v79, v18
	v_pk_add_f16 v18, v5, v21
	s_nop 0
	v_pk_min_f16 v82, v78, v18
	v_pk_add_f16 v18, v7, v21
	s_nop 0
	v_pk_min_f16 v81, v77, v18
	v_pk_add_f16 v18, v1, v21
	s_nop 0
	v_pk_min_f16 v80, v76, v18
	v_pk_add_f16 v18, v3, v21
	s_nop 0
	v_pk_min_f16 v79, v75, v18
	v_pk_add_f16 v18, v13, v21
	s_nop 0
	v_pk_min_f16 v78, v74, v18
	v_pk_add_f16 v18, v15, v21
	s_nop 0
	v_pk_min_f16 v77, v20, v18
	v_pk_add_f16 v18, v9, v23
	s_nop 0
	v_pk_min_f16 v76, v72, v18
	v_pk_add_f16 v18, v11, v23
	s_nop 0
	v_pk_min_f16 v75, v71, v18
	v_pk_add_f16 v18, v5, v23
	s_nop 0
	v_pk_min_f16 v74, v70, v18
	v_pk_add_f16 v18, v7, v23
	s_nop 0
	v_pk_min_f16 v73, v69, v18
	v_pk_add_f16 v18, v1, v23
	s_nop 0
	v_pk_min_f16 v72, v68, v18
	v_pk_add_f16 v18, v3, v23
	s_nop 0
	v_pk_min_f16 v71, v67, v18
	v_pk_add_f16 v18, v13, v23
	s_nop 0
	v_pk_min_f16 v70, v66, v18
	v_pk_add_f16 v18, v15, v23
	s_nop 0
	v_pk_min_f16 v69, v22, v18
	v_pk_add_f16 v18, v9, v17
	v_pk_add_f16 v9, v9, v19
	v_pk_min_f16 v67, v64, v18
	v_pk_add_f16 v18, v11, v17
	s_nop 0
	v_pk_min_f16 v66, v63, v18
	v_pk_add_f16 v18, v5, v17
	v_pk_add_f16 v5, v5, v19
	v_pk_min_f16 v65, v62, v18
	v_pk_add_f16 v18, v7, v17
	v_pk_min_f16 v57, v4, v5
	v_pk_min_f16 v64, v61, v18
	v_pk_add_f16 v18, v1, v17
	v_pk_add_f16 v1, v1, v19
	v_pk_min_f16 v63, v60, v18
	v_pk_min_f16 v55, v0, v1
	v_pk_add_f16 v0, v3, v19
	v_pk_add_f16 v18, v3, v17
	v_pk_min_f16 v53, v2, v0
	v_pk_add_f16 v0, v13, v19
	v_pk_min_f16 v62, v59, v18
	v_pk_add_f16 v18, v13, v17
	v_pk_add_f16 v17, v15, v17
	v_pk_min_f16 v60, v8, v9
	v_pk_add_f16 v8, v11, v19
	;; [unrolled: 3-line block ×3, first 2 shown]
	v_pk_min_f16 v61, v58, v18
	v_pk_min_f16 v59, v16, v17
	;; [unrolled: 1-line block ×5, first 2 shown]
	s_cbranch_scc1 .LBB258_40
.LBB258_26:                             ; =>This Inner Loop Header: Depth=1
	s_and_b64 vcc, exec, s[4:5]
	v_lshl_add_u64 v[0:1], v[36:37], 0, v[38:39]
	s_cbranch_vccnz .LBB258_30
; %bb.27:                               ;   in Loop: Header=BB258_26 Depth=1
	flat_load_ushort v2, v[0:1]
	flat_load_ushort v3, v[0:1] offset:128
	s_waitcnt vmcnt(0) lgkmcnt(0)
	v_mul_f16_e32 v40, v44, v2
	v_mul_f16_e32 v41, v44, v3
	s_and_b64 vcc, exec, s[4:5]
	s_cbranch_vccnz .LBB258_31
.LBB258_28:                             ;   in Loop: Header=BB258_26 Depth=1
	flat_load_ushort v2, v[0:1] offset:256
	flat_load_ushort v3, v[0:1] offset:384
	s_waitcnt vmcnt(0) lgkmcnt(0)
	v_mul_f16_e32 v119, v44, v2
	v_mul_f16_e32 v120, v44, v3
	s_and_b64 vcc, exec, s[4:5]
	s_cbranch_vccnz .LBB258_32
.LBB258_29:                             ;   in Loop: Header=BB258_26 Depth=1
	flat_load_ushort v0, v[32:33]
	s_waitcnt vmcnt(0) lgkmcnt(0)
	v_mul_f16_e32 v121, v44, v0
	s_branch .LBB258_33
.LBB258_30:                             ;   in Loop: Header=BB258_26 Depth=1
	v_mov_b32_e32 v40, 0
	v_mov_b32_e32 v41, 0
	s_and_b64 vcc, exec, s[4:5]
	s_cbranch_vccz .LBB258_28
.LBB258_31:                             ;   in Loop: Header=BB258_26 Depth=1
	v_mov_b32_e32 v119, 0
	v_mov_b32_e32 v120, 0
	s_and_b64 vcc, exec, s[4:5]
	s_cbranch_vccz .LBB258_29
.LBB258_32:                             ;   in Loop: Header=BB258_26 Depth=1
	v_mov_b32_e32 v121, 0
.LBB258_33:                             ;   in Loop: Header=BB258_26 Depth=1
	ds_read2_b64 v[12:15], v117 offset1:32
	ds_read2_b64 v[8:11], v117 offset0:64 offset1:96
	ds_read2_b64 v[4:7], v117 offset0:128 offset1:160
	;; [unrolled: 1-line block ×3, first 2 shown]
	ds_read2_b64 v[28:31], v118 offset1:8
	ds_read2_b64 v[24:27], v118 offset0:16 offset1:24
	ds_read2_b64 v[20:23], v118 offset0:32 offset1:40
	;; [unrolled: 1-line block ×3, first 2 shown]
	ds_write_b16 v46, v40
	ds_write_b16 v46, v41 offset:512
	ds_write_b16 v46, v119 offset:1024
	;; [unrolled: 1-line block ×3, first 2 shown]
	ds_write_b16 v48, v121
	v_lshl_add_u64 v[40:41], v[36:37], 0, v[34:35]
	s_mov_b64 vcc, s[6:7]
	s_waitcnt lgkmcnt(0)
	s_barrier
	s_cbranch_vccz .LBB258_36
; %bb.34:                               ;   in Loop: Header=BB258_26 Depth=1
	flat_load_ushort v119, v[40:41]
	flat_load_ushort v120, v[40:41] offset:128
	s_waitcnt vmcnt(0) lgkmcnt(0)
	v_mul_f16_e32 v119, v44, v119
	v_mul_f16_e32 v120, v44, v120
	s_and_b64 vcc, exec, s[4:5]
	s_cbranch_vccnz .LBB258_37
.LBB258_35:                             ;   in Loop: Header=BB258_26 Depth=1
	flat_load_ushort v121, v[40:41] offset:256
	flat_load_ushort v122, v[40:41] offset:384
	s_waitcnt vmcnt(0) lgkmcnt(0)
	v_mul_f16_e32 v40, v44, v121
	v_mul_f16_e32 v41, v44, v122
	s_branch .LBB258_38
.LBB258_36:                             ;   in Loop: Header=BB258_26 Depth=1
	v_mov_b32_e32 v119, 0
	v_mov_b32_e32 v120, 0
	s_and_b64 vcc, exec, s[4:5]
	s_cbranch_vccz .LBB258_35
.LBB258_37:                             ;   in Loop: Header=BB258_26 Depth=1
	v_mov_b32_e32 v40, 0
	v_mov_b32_e32 v41, 0
.LBB258_38:                             ;   in Loop: Header=BB258_26 Depth=1
	v_pk_add_f16 v121, v12, v28
	v_pk_max_f16 v51, v51, v51
	v_pk_max_f16 v115, v115, v115
	v_pk_min_f16 v51, v51, v121
	v_pk_add_f16 v121, v14, v28
	v_pk_max_f16 v114, v114, v114
	v_pk_min_f16 v115, v115, v121
	v_pk_add_f16 v121, v8, v28
	v_pk_max_f16 v113, v113, v113
	v_pk_min_f16 v114, v114, v121
	v_pk_add_f16 v121, v10, v28
	v_pk_max_f16 v112, v112, v112
	v_pk_min_f16 v113, v113, v121
	v_pk_add_f16 v121, v4, v28
	v_pk_max_f16 v111, v111, v111
	v_pk_min_f16 v121, v112, v121
	v_pk_add_f16 v112, v6, v28
	v_pk_max_f16 v109, v109, v109
	v_pk_min_f16 v122, v111, v112
	v_pk_add_f16 v111, v0, v28
	v_pk_add_f16 v28, v2, v28
	v_pk_max_f16 v108, v108, v108
	v_pk_min_f16 v28, v109, v28
	v_pk_add_f16 v109, v12, v30
	v_pk_max_f16 v107, v107, v107
	v_pk_min_f16 v124, v108, v109
	v_pk_add_f16 v108, v14, v30
	v_pk_max_f16 v106, v106, v106
	v_pk_min_f16 v125, v107, v108
	v_pk_add_f16 v107, v8, v30
	v_pk_max_f16 v105, v105, v105
	v_pk_min_f16 v126, v106, v107
	v_pk_add_f16 v106, v10, v30
	v_pk_max_f16 v104, v104, v104
	v_pk_min_f16 v127, v105, v106
	v_pk_add_f16 v105, v4, v30
	v_pk_max_f16 v103, v103, v103
	v_pk_min_f16 v128, v104, v105
	v_pk_add_f16 v104, v6, v30
	v_pk_max_f16 v101, v101, v101
	v_pk_min_f16 v129, v103, v104
	v_pk_add_f16 v103, v0, v30
	v_pk_add_f16 v30, v2, v30
	v_pk_max_f16 v100, v100, v100
	v_pk_min_f16 v30, v101, v30
	v_pk_add_f16 v101, v12, v24
	;; [unrolled: 22-line block ×6, first 2 shown]
	v_pk_max_f16 v66, v66, v66
	v_pk_min_f16 v159, v67, v69
	v_pk_add_f16 v67, v14, v16
	v_pk_max_f16 v65, v65, v65
	v_pk_min_f16 v160, v66, v67
	v_pk_add_f16 v66, v8, v16
	;; [unrolled: 3-line block ×5, first 2 shown]
	v_pk_add_f16 v12, v12, v18
	v_pk_min_f16 v164, v62, v63
	v_pk_add_f16 v62, v0, v16
	v_pk_add_f16 v16, v2, v16
	;; [unrolled: 1-line block ×9, first 2 shown]
	v_pk_max_f16 v18, v68, v68
	v_pk_max_f16 v110, v110, v110
	v_pk_min_f16 v2, v18, v2
	v_pk_add_f16 v18, v13, v29
	v_pk_min_f16 v123, v110, v111
	v_pk_min_f16 v112, v51, v18
	v_pk_add_f16 v18, v15, v29
	v_pk_max_f16 v102, v102, v102
	v_pk_min_f16 v111, v115, v18
	v_pk_add_f16 v18, v9, v29
	v_pk_min_f16 v130, v102, v103
	v_pk_min_f16 v110, v114, v18
	v_pk_add_f16 v18, v11, v29
	;; [unrolled: 6-line block ×7, first 2 shown]
	v_pk_max_f16 v59, v59, v59
	v_pk_min_f16 v99, v129, v18
	v_pk_add_f16 v18, v1, v31
	v_pk_max_f16 v53, v53, v53
	v_pk_min_f16 v98, v130, v18
	v_pk_add_f16 v18, v3, v31
	v_pk_min_f16 v16, v59, v16
	v_pk_min_f16 v97, v30, v18
	v_pk_add_f16 v18, v13, v25
	v_pk_max_f16 v59, v60, v60
	v_pk_min_f16 v96, v131, v18
	v_pk_add_f16 v18, v15, v25
	v_pk_max_f16 v57, v57, v57
	;; [unrolled: 3-line block ×3, first 2 shown]
	v_pk_min_f16 v94, v133, v18
	v_pk_add_f16 v18, v11, v25
	v_pk_min_f16 v6, v53, v6
	v_pk_min_f16 v93, v134, v18
	v_pk_add_f16 v18, v5, v25
	v_pk_max_f16 v53, v54, v54
	v_pk_min_f16 v92, v135, v18
	v_pk_add_f16 v18, v7, v25
	v_pk_min_f16 v12, v59, v12
	v_pk_min_f16 v91, v136, v18
	v_pk_add_f16 v18, v1, v25
	v_pk_max_f16 v58, v58, v58
	;; [unrolled: 6-line block ×3, first 2 shown]
	v_pk_min_f16 v88, v138, v18
	v_pk_add_f16 v18, v15, v27
	v_pk_min_f16 v4, v55, v4
	v_pk_min_f16 v87, v139, v18
	v_pk_add_f16 v18, v9, v27
	v_pk_min_f16 v0, v53, v0
	;; [unrolled: 3-line block ×4, first 2 shown]
	v_pk_min_f16 v84, v142, v18
	v_pk_add_f16 v18, v7, v27
	s_and_b64 vcc, exec, s[4:5]
	v_pk_min_f16 v83, v143, v18
	v_pk_add_f16 v18, v1, v27
	s_nop 0
	v_pk_min_f16 v82, v144, v18
	v_pk_add_f16 v18, v3, v27
	s_nop 0
	v_pk_min_f16 v81, v26, v18
	v_pk_add_f16 v18, v13, v21
	s_nop 0
	v_pk_min_f16 v80, v145, v18
	v_pk_add_f16 v18, v15, v21
	s_nop 0
	v_pk_min_f16 v79, v146, v18
	v_pk_add_f16 v18, v9, v21
	s_nop 0
	v_pk_min_f16 v78, v147, v18
	v_pk_add_f16 v18, v11, v21
	s_nop 0
	v_pk_min_f16 v77, v148, v18
	v_pk_add_f16 v18, v5, v21
	s_nop 0
	v_pk_min_f16 v76, v149, v18
	v_pk_add_f16 v18, v7, v21
	s_nop 0
	v_pk_min_f16 v75, v150, v18
	v_pk_add_f16 v18, v1, v21
	s_nop 0
	v_pk_min_f16 v74, v151, v18
	v_pk_add_f16 v18, v3, v21
	s_nop 0
	v_pk_min_f16 v73, v20, v18
	v_pk_add_f16 v18, v13, v23
	s_nop 0
	v_pk_min_f16 v72, v152, v18
	v_pk_add_f16 v18, v15, v23
	s_nop 0
	v_pk_min_f16 v71, v153, v18
	v_pk_add_f16 v18, v9, v23
	s_nop 0
	v_pk_min_f16 v70, v154, v18
	v_pk_add_f16 v18, v11, v23
	s_nop 0
	v_pk_min_f16 v69, v155, v18
	v_pk_add_f16 v18, v5, v23
	s_nop 0
	v_pk_min_f16 v68, v156, v18
	v_pk_add_f16 v18, v7, v23
	s_nop 0
	v_pk_min_f16 v67, v157, v18
	v_pk_add_f16 v18, v1, v23
	s_nop 0
	v_pk_min_f16 v66, v158, v18
	v_pk_add_f16 v18, v3, v23
	s_nop 0
	v_pk_min_f16 v65, v22, v18
	v_pk_add_f16 v18, v13, v17
	v_pk_add_f16 v13, v13, v19
	v_pk_min_f16 v64, v159, v18
	v_pk_add_f16 v18, v15, v17
	v_pk_min_f16 v56, v12, v13
	v_pk_min_f16 v63, v160, v18
	v_pk_add_f16 v18, v9, v17
	v_pk_add_f16 v9, v9, v19
	v_pk_min_f16 v62, v161, v18
	v_pk_add_f16 v18, v11, v17
	v_pk_add_f16 v12, v15, v19
	;; [unrolled: 3-line block ×3, first 2 shown]
	v_pk_min_f16 v60, v163, v18
	v_pk_add_f16 v18, v7, v17
	v_pk_min_f16 v54, v8, v9
	v_pk_min_f16 v59, v164, v18
	v_pk_add_f16 v18, v1, v17
	v_pk_add_f16 v1, v1, v19
	;; [unrolled: 1-line block ×4, first 2 shown]
	v_pk_min_f16 v51, v4, v5
	v_pk_add_f16 v4, v7, v19
	v_pk_min_f16 v29, v0, v1
	v_pk_add_f16 v0, v3, v19
	v_pk_min_f16 v58, v165, v18
	v_pk_min_f16 v57, v16, v17
	;; [unrolled: 1-line block ×6, first 2 shown]
	s_cbranch_vccz .LBB258_24
; %bb.39:                               ;   in Loop: Header=BB258_26 Depth=1
	v_mov_b32_e32 v28, 0
	s_branch .LBB258_25
.LBB258_40:
	s_load_dword s6, s[0:1], 0x58
	ds_read_b64 v[30:31], v45 offset:2048
	ds_read_b64 v[46:47], v50 offset:4608
	v_add_u32_e32 v116, s19, v43
	v_cmp_neq_f16_e64 s[4:5], 0, v52
	v_add_u32_e32 v28, s18, v42
	s_waitcnt lgkmcnt(0)
	v_mad_i64_i32 v[0:1], s[2:3], v116, s6, 0
	v_ashrrev_i32_e32 v29, 31, v28
	v_lshl_add_u64 v[48:49], v[0:1], 1, s[10:11]
	s_and_b64 vcc, exec, s[4:5]
	v_mov_b32_e32 v36, 0
	v_mov_b32_e32 v34, 0
	s_cbranch_vccz .LBB258_42
; %bb.41:
	v_lshl_add_u64 v[0:1], v[28:29], 1, v[48:49]
	flat_load_ushort v0, v[0:1]
	s_waitcnt vmcnt(0) lgkmcnt(0)
	v_mul_f16_e32 v34, v52, v0
.LBB258_42:
	v_add_u32_e32 v0, 0x800, v45
	ds_read2_b64 v[8:11], v0 offset0:32 offset1:64
	ds_read2_b64 v[4:7], v0 offset0:96 offset1:128
	;; [unrolled: 1-line block ×3, first 2 shown]
	ds_read_b64 v[24:25], v45 offset:3840
	s_load_dword s7, s[0:1], 0x70
	s_load_dwordx2 s[2:3], s[0:1], 0x78
	v_add_u32_e32 v12, 0x1000, v50
	ds_read2_b64 v[20:23], v12 offset0:72 offset1:80
	ds_read2_b64 v[16:19], v12 offset0:88 offset1:96
	;; [unrolled: 1-line block ×3, first 2 shown]
	ds_read_b64 v[26:27], v50 offset:5056
	v_pk_add_f16 v32, v30, v46
	v_pk_max_f16 v33, v51, v51
	s_waitcnt lgkmcnt(0)
	s_mul_i32 s0, s20, s3
	s_mul_hi_u32 s1, s20, s2
	s_add_i32 s1, s1, s0
	s_mul_i32 s0, s20, s2
	s_lshl_b64 s[0:1], s[0:1], 1
	s_add_u32 s2, s14, s0
	v_pk_min_f16 v32, v33, v32
	v_pk_add_f16 v33, v31, v47
	s_addc_u32 s3, s15, s1
	v_pk_min_f16 v35, v32, v33
	v_mad_i64_i32 v[38:39], s[0:1], v116, s7, 0
	v_add_u32_e32 v32, 32, v28
	v_lshl_add_u64 v[50:51], v[38:39], 1, s[2:3]
	v_lshrrev_b32_e32 v37, 16, v35
	v_cndmask_b32_e64 v38, 0, 1, s[4:5]
	v_ashrrev_i32_e32 v33, 31, v32
	v_min3_f16 v37, v34, v35, v37
	v_lshl_add_u64 v[34:35], v[28:29], 1, v[50:51]
	v_cmp_ne_u32_e64 s[0:1], 1, v38
	s_andn2_b64 vcc, exec, s[4:5]
	global_store_short v[34:35], v37, off
	s_cbranch_vccnz .LBB258_44
; %bb.43:
	v_lshl_add_u64 v[34:35], v[32:33], 1, v[48:49]
	flat_load_ushort v34, v[34:35]
	s_waitcnt vmcnt(0) lgkmcnt(0)
	v_mul_f16_e32 v36, v52, v34
.LBB258_44:
	v_pk_add_f16 v34, v8, v46
	v_pk_max_f16 v35, v115, v115
	s_and_b64 vcc, exec, s[0:1]
	v_pk_min_f16 v34, v35, v34
	v_pk_add_f16 v35, v9, v47
	v_mov_b32_e32 v39, 0
	v_pk_min_f16 v37, v34, v35
	v_add_u32_e32 v34, 64, v28
	v_lshrrev_b32_e32 v38, 16, v37
	v_min3_f16 v38, v36, v37, v38
	v_lshl_add_u64 v[36:37], v[32:33], 1, v[50:51]
	v_ashrrev_i32_e32 v35, 31, v34
	global_store_short v[36:37], v38, off
	v_mov_b32_e32 v38, 0
	s_cbranch_vccnz .LBB258_46
; %bb.45:
	v_lshl_add_u64 v[36:37], v[34:35], 1, v[48:49]
	flat_load_ushort v36, v[36:37]
	s_waitcnt vmcnt(0) lgkmcnt(0)
	v_mul_f16_e32 v39, v52, v36
.LBB258_46:
	v_pk_add_f16 v36, v10, v46
	v_pk_max_f16 v37, v114, v114
	s_and_b64 vcc, exec, s[0:1]
	v_pk_min_f16 v36, v37, v36
	v_pk_add_f16 v37, v11, v47
	s_nop 0
	v_pk_min_f16 v40, v36, v37
	v_add_u32_e32 v36, 0x60, v28
	v_lshrrev_b32_e32 v41, 16, v40
	v_ashrrev_i32_e32 v37, 31, v36
	v_min3_f16 v39, v39, v40, v41
	v_lshl_add_u64 v[40:41], v[34:35], 1, v[50:51]
	global_store_short v[40:41], v39, off
	s_cbranch_vccnz .LBB258_48
; %bb.47:
	v_lshl_add_u64 v[38:39], v[36:37], 1, v[48:49]
	flat_load_ushort v38, v[38:39]
	s_waitcnt vmcnt(0) lgkmcnt(0)
	v_mul_f16_e32 v38, v52, v38
.LBB258_48:
	v_pk_add_f16 v39, v4, v46
	v_pk_max_f16 v40, v113, v113
	v_add_u32_e32 v44, 0x80, v28
	v_pk_min_f16 v39, v40, v39
	v_pk_add_f16 v40, v5, v47
	v_ashrrev_i32_e32 v45, 31, v44
	v_pk_min_f16 v39, v39, v40
	s_and_b64 vcc, exec, s[0:1]
	v_lshrrev_b32_e32 v40, 16, v39
	v_min3_f16 v40, v38, v39, v40
	v_lshl_add_u64 v[38:39], v[36:37], 1, v[50:51]
	global_store_short v[38:39], v40, off
	v_mov_b32_e32 v38, 0
	v_mov_b32_e32 v39, 0
	s_cbranch_vccnz .LBB258_50
; %bb.49:
	v_lshl_add_u64 v[40:41], v[44:45], 1, v[48:49]
	flat_load_ushort v39, v[40:41]
	s_waitcnt vmcnt(0) lgkmcnt(0)
	v_mul_f16_e32 v39, v52, v39
.LBB258_50:
	v_pk_add_f16 v40, v6, v46
	v_pk_max_f16 v41, v112, v112
	v_add_u32_e32 v42, 0xa0, v28
	v_pk_min_f16 v40, v41, v40
	v_pk_add_f16 v41, v7, v47
	v_ashrrev_i32_e32 v43, 31, v42
	v_pk_min_f16 v40, v40, v41
	s_and_b64 vcc, exec, s[0:1]
	v_lshrrev_b32_e32 v41, 16, v40
	v_min3_f16 v39, v39, v40, v41
	v_lshl_add_u64 v[40:41], v[44:45], 1, v[50:51]
	global_store_short v[40:41], v39, off
	s_cbranch_vccnz .LBB258_52
; %bb.51:
	v_lshl_add_u64 v[38:39], v[42:43], 1, v[48:49]
	flat_load_ushort v38, v[38:39]
	s_waitcnt vmcnt(0) lgkmcnt(0)
	v_mul_f16_e32 v38, v52, v38
.LBB258_52:
	v_pk_add_f16 v39, v0, v46
	v_pk_max_f16 v40, v111, v111
	s_and_b64 vcc, exec, s[0:1]
	v_pk_min_f16 v39, v40, v39
	v_pk_add_f16 v40, v1, v47
	v_mov_b32_e32 v112, 0
	v_pk_min_f16 v39, v39, v40
	v_add_u32_e32 v40, 0xc0, v28
	v_lshrrev_b32_e32 v111, 16, v39
	v_min3_f16 v111, v38, v39, v111
	v_lshl_add_u64 v[38:39], v[42:43], 1, v[50:51]
	v_ashrrev_i32_e32 v41, 31, v40
	global_store_short v[38:39], v111, off
	v_mov_b32_e32 v111, 0
	s_cbranch_vccnz .LBB258_54
; %bb.53:
	v_lshl_add_u64 v[38:39], v[40:41], 1, v[48:49]
	flat_load_ushort v38, v[38:39]
	s_waitcnt vmcnt(0) lgkmcnt(0)
	v_mul_f16_e32 v112, v52, v38
.LBB258_54:
	v_pk_add_f16 v38, v2, v46
	v_pk_max_f16 v39, v110, v110
	s_and_b64 vcc, exec, s[0:1]
	v_pk_min_f16 v38, v39, v38
	v_pk_add_f16 v39, v3, v47
	s_nop 0
	v_pk_min_f16 v110, v38, v39
	v_add_u32_e32 v38, 0xe0, v28
	v_lshrrev_b32_e32 v113, 16, v110
	v_ashrrev_i32_e32 v39, 31, v38
	v_min3_f16 v110, v112, v110, v113
	v_lshl_add_u64 v[112:113], v[40:41], 1, v[50:51]
	global_store_short v[112:113], v110, off
	s_cbranch_vccnz .LBB258_56
; %bb.55:
	v_lshl_add_u64 v[48:49], v[38:39], 1, v[48:49]
	flat_load_ushort v48, v[48:49]
	s_waitcnt vmcnt(0) lgkmcnt(0)
	v_mul_f16_e32 v111, v52, v48
.LBB258_56:
	v_pk_add_f16 v46, v24, v46
	v_pk_max_f16 v48, v109, v109
	v_pk_add_f16 v47, v25, v47
	v_pk_min_f16 v46, v48, v46
	s_and_b64 vcc, exec, s[0:1]
	v_pk_min_f16 v46, v46, v47
	s_nop 0
	v_lshrrev_b32_e32 v47, 16, v46
	v_min3_f16 v48, v111, v46, v47
	v_lshl_add_u64 v[46:47], v[38:39], 1, v[50:51]
	global_store_short v[46:47], v48, off
	v_add_u32_e32 v48, 8, v116
	v_mad_i64_i32 v[46:47], s[4:5], v48, s6, 0
	v_lshl_add_u64 v[46:47], v[46:47], 1, s[10:11]
	v_mov_b32_e32 v50, 0
	v_mov_b32_e32 v51, 0
	s_cbranch_vccnz .LBB258_58
; %bb.57:
	v_lshl_add_u64 v[110:111], v[28:29], 1, v[46:47]
	flat_load_ushort v49, v[110:111]
	s_waitcnt vmcnt(0) lgkmcnt(0)
	v_mul_f16_e32 v51, v52, v49
.LBB258_58:
	v_pk_add_f16 v49, v30, v20
	v_pk_max_f16 v108, v108, v108
	s_and_b64 vcc, exec, s[0:1]
	v_pk_min_f16 v49, v108, v49
	v_pk_add_f16 v108, v31, v21
	s_nop 0
	v_pk_min_f16 v108, v49, v108
	v_mad_i64_i32 v[48:49], s[4:5], v48, s7, 0
	v_lshl_add_u64 v[48:49], v[48:49], 1, s[2:3]
	v_lshrrev_b32_e32 v109, 16, v108
	v_min3_f16 v51, v51, v108, v109
	v_lshl_add_u64 v[108:109], v[28:29], 1, v[48:49]
	global_store_short v[108:109], v51, off
	s_cbranch_vccnz .LBB258_60
; %bb.59:
	v_lshl_add_u64 v[50:51], v[32:33], 1, v[46:47]
	flat_load_ushort v50, v[50:51]
	s_waitcnt vmcnt(0) lgkmcnt(0)
	v_mul_f16_e32 v50, v52, v50
.LBB258_60:
	v_pk_add_f16 v51, v8, v20
	v_pk_max_f16 v107, v107, v107
	s_and_b64 vcc, exec, s[0:1]
	v_pk_min_f16 v51, v107, v51
	v_pk_add_f16 v107, v9, v21
	s_nop 0
	v_pk_min_f16 v51, v51, v107
	s_nop 0
	v_lshrrev_b32_e32 v107, 16, v51
	v_min3_f16 v107, v50, v51, v107
	v_lshl_add_u64 v[50:51], v[32:33], 1, v[48:49]
	global_store_short v[50:51], v107, off
	v_mov_b32_e32 v50, 0
	v_mov_b32_e32 v51, 0
	s_cbranch_vccnz .LBB258_62
; %bb.61:
	v_lshl_add_u64 v[108:109], v[34:35], 1, v[46:47]
	flat_load_ushort v51, v[108:109]
	s_waitcnt vmcnt(0) lgkmcnt(0)
	v_mul_f16_e32 v51, v52, v51
.LBB258_62:
	v_pk_add_f16 v107, v10, v20
	v_pk_max_f16 v106, v106, v106
	s_and_b64 vcc, exec, s[0:1]
	v_pk_min_f16 v106, v106, v107
	v_pk_add_f16 v107, v11, v21
	s_nop 0
	v_pk_min_f16 v106, v106, v107
	s_nop 0
	v_lshrrev_b32_e32 v107, 16, v106
	v_min3_f16 v51, v51, v106, v107
	v_lshl_add_u64 v[106:107], v[34:35], 1, v[48:49]
	global_store_short v[106:107], v51, off
	s_cbranch_vccnz .LBB258_64
; %bb.63:
	v_lshl_add_u64 v[50:51], v[36:37], 1, v[46:47]
	flat_load_ushort v50, v[50:51]
	s_waitcnt vmcnt(0) lgkmcnt(0)
	v_mul_f16_e32 v50, v52, v50
.LBB258_64:
	v_pk_add_f16 v51, v4, v20
	v_pk_max_f16 v105, v105, v105
	s_and_b64 vcc, exec, s[0:1]
	v_pk_min_f16 v51, v105, v51
	v_pk_add_f16 v105, v5, v21
	s_nop 0
	v_pk_min_f16 v51, v51, v105
	s_nop 0
	v_lshrrev_b32_e32 v105, 16, v51
	v_min3_f16 v105, v50, v51, v105
	v_lshl_add_u64 v[50:51], v[36:37], 1, v[48:49]
	global_store_short v[50:51], v105, off
	v_mov_b32_e32 v50, 0
	v_mov_b32_e32 v51, 0
	s_cbranch_vccnz .LBB258_66
; %bb.65:
	v_lshl_add_u64 v[106:107], v[44:45], 1, v[46:47]
	flat_load_ushort v51, v[106:107]
	s_waitcnt vmcnt(0) lgkmcnt(0)
	v_mul_f16_e32 v51, v52, v51
.LBB258_66:
	v_pk_add_f16 v105, v6, v20
	v_pk_max_f16 v104, v104, v104
	s_and_b64 vcc, exec, s[0:1]
	v_pk_min_f16 v104, v104, v105
	v_pk_add_f16 v105, v7, v21
	s_nop 0
	v_pk_min_f16 v104, v104, v105
	s_nop 0
	;; [unrolled: 40-line block ×3, first 2 shown]
	v_lshrrev_b32_e32 v103, 16, v102
	v_min3_f16 v51, v51, v102, v103
	v_lshl_add_u64 v[102:103], v[40:41], 1, v[48:49]
	global_store_short v[102:103], v51, off
	s_cbranch_vccnz .LBB258_72
; %bb.71:
	v_lshl_add_u64 v[46:47], v[38:39], 1, v[46:47]
	flat_load_ushort v46, v[46:47]
	s_waitcnt vmcnt(0) lgkmcnt(0)
	v_mul_f16_e32 v50, v52, v46
.LBB258_72:
	v_pk_add_f16 v20, v24, v20
	v_pk_max_f16 v46, v101, v101
	v_pk_add_f16 v21, v25, v21
	v_pk_min_f16 v20, v46, v20
	s_and_b64 vcc, exec, s[0:1]
	v_pk_min_f16 v20, v20, v21
	s_nop 0
	v_lshrrev_b32_e32 v21, 16, v20
	v_min3_f16 v46, v50, v20, v21
	v_lshl_add_u64 v[20:21], v[38:39], 1, v[48:49]
	global_store_short v[20:21], v46, off
	v_add_u32_e32 v46, 16, v116
	v_mad_i64_i32 v[20:21], s[4:5], v46, s6, 0
	v_lshl_add_u64 v[20:21], v[20:21], 1, s[10:11]
	v_mov_b32_e32 v48, 0
	v_mov_b32_e32 v49, 0
	s_cbranch_vccnz .LBB258_74
; %bb.73:
	v_lshl_add_u64 v[50:51], v[28:29], 1, v[20:21]
	flat_load_ushort v47, v[50:51]
	s_waitcnt vmcnt(0) lgkmcnt(0)
	v_mul_f16_e32 v49, v52, v47
.LBB258_74:
	v_pk_add_f16 v47, v30, v22
	v_pk_max_f16 v50, v100, v100
	s_and_b64 vcc, exec, s[0:1]
	v_pk_min_f16 v47, v50, v47
	v_pk_add_f16 v50, v31, v23
	s_nop 0
	v_pk_min_f16 v50, v47, v50
	v_mad_i64_i32 v[46:47], s[4:5], v46, s7, 0
	v_lshl_add_u64 v[46:47], v[46:47], 1, s[2:3]
	v_lshrrev_b32_e32 v51, 16, v50
	v_min3_f16 v49, v49, v50, v51
	v_lshl_add_u64 v[50:51], v[28:29], 1, v[46:47]
	global_store_short v[50:51], v49, off
	s_cbranch_vccnz .LBB258_76
; %bb.75:
	v_lshl_add_u64 v[48:49], v[32:33], 1, v[20:21]
	flat_load_ushort v48, v[48:49]
	s_waitcnt vmcnt(0) lgkmcnt(0)
	v_mul_f16_e32 v48, v52, v48
.LBB258_76:
	v_pk_add_f16 v49, v8, v22
	v_pk_max_f16 v50, v99, v99
	s_and_b64 vcc, exec, s[0:1]
	v_pk_min_f16 v49, v50, v49
	v_pk_add_f16 v50, v9, v23
	s_nop 0
	v_pk_min_f16 v49, v49, v50
	s_nop 0
	v_lshrrev_b32_e32 v50, 16, v49
	v_min3_f16 v50, v48, v49, v50
	v_lshl_add_u64 v[48:49], v[32:33], 1, v[46:47]
	global_store_short v[48:49], v50, off
	v_mov_b32_e32 v48, 0
	v_mov_b32_e32 v49, 0
	s_cbranch_vccnz .LBB258_78
; %bb.77:
	v_lshl_add_u64 v[50:51], v[34:35], 1, v[20:21]
	flat_load_ushort v49, v[50:51]
	s_waitcnt vmcnt(0) lgkmcnt(0)
	v_mul_f16_e32 v49, v52, v49
.LBB258_78:
	v_pk_add_f16 v50, v10, v22
	v_pk_max_f16 v51, v98, v98
	s_and_b64 vcc, exec, s[0:1]
	v_pk_min_f16 v50, v51, v50
	v_pk_add_f16 v51, v11, v23
	s_nop 0
	v_pk_min_f16 v50, v50, v51
	s_nop 0
	v_lshrrev_b32_e32 v51, 16, v50
	v_min3_f16 v49, v49, v50, v51
	v_lshl_add_u64 v[50:51], v[34:35], 1, v[46:47]
	global_store_short v[50:51], v49, off
	s_cbranch_vccnz .LBB258_80
; %bb.79:
	v_lshl_add_u64 v[48:49], v[36:37], 1, v[20:21]
	flat_load_ushort v48, v[48:49]
	s_waitcnt vmcnt(0) lgkmcnt(0)
	v_mul_f16_e32 v48, v52, v48
.LBB258_80:
	v_pk_add_f16 v49, v4, v22
	v_pk_max_f16 v50, v97, v97
	s_and_b64 vcc, exec, s[0:1]
	v_pk_min_f16 v49, v50, v49
	v_pk_add_f16 v50, v5, v23
	s_nop 0
	v_pk_min_f16 v49, v49, v50
	s_nop 0
	v_lshrrev_b32_e32 v50, 16, v49
	v_min3_f16 v50, v48, v49, v50
	v_lshl_add_u64 v[48:49], v[36:37], 1, v[46:47]
	global_store_short v[48:49], v50, off
	v_mov_b32_e32 v48, 0
	v_mov_b32_e32 v49, 0
	s_cbranch_vccnz .LBB258_82
; %bb.81:
	v_lshl_add_u64 v[50:51], v[44:45], 1, v[20:21]
	flat_load_ushort v49, v[50:51]
	s_waitcnt vmcnt(0) lgkmcnt(0)
	v_mul_f16_e32 v49, v52, v49
.LBB258_82:
	v_pk_add_f16 v50, v6, v22
	v_pk_max_f16 v51, v96, v96
	s_and_b64 vcc, exec, s[0:1]
	v_pk_min_f16 v50, v51, v50
	v_pk_add_f16 v51, v7, v23
	s_nop 0
	v_pk_min_f16 v50, v50, v51
	s_nop 0
	;; [unrolled: 40-line block ×3, first 2 shown]
	v_lshrrev_b32_e32 v51, 16, v50
	v_min3_f16 v49, v49, v50, v51
	v_lshl_add_u64 v[50:51], v[40:41], 1, v[46:47]
	global_store_short v[50:51], v49, off
	s_cbranch_vccnz .LBB258_88
; %bb.87:
	v_lshl_add_u64 v[20:21], v[38:39], 1, v[20:21]
	flat_load_ushort v20, v[20:21]
	s_waitcnt vmcnt(0) lgkmcnt(0)
	v_mul_f16_e32 v48, v52, v20
.LBB258_88:
	v_pk_add_f16 v20, v24, v22
	v_pk_max_f16 v21, v93, v93
	s_and_b64 vcc, exec, s[0:1]
	v_pk_min_f16 v20, v21, v20
	v_pk_add_f16 v21, v25, v23
	s_nop 0
	v_pk_min_f16 v20, v20, v21
	s_nop 0
	v_lshrrev_b32_e32 v21, 16, v20
	v_min3_f16 v22, v48, v20, v21
	v_lshl_add_u64 v[20:21], v[38:39], 1, v[46:47]
	global_store_short v[20:21], v22, off
	v_add_u32_e32 v22, 24, v116
	v_mad_i64_i32 v[20:21], s[4:5], v22, s6, 0
	v_lshl_add_u64 v[20:21], v[20:21], 1, s[10:11]
	v_mov_b32_e32 v46, 0
	v_mov_b32_e32 v47, 0
	s_cbranch_vccnz .LBB258_90
; %bb.89:
	v_lshl_add_u64 v[48:49], v[28:29], 1, v[20:21]
	flat_load_ushort v23, v[48:49]
	s_waitcnt vmcnt(0) lgkmcnt(0)
	v_mul_f16_e32 v47, v52, v23
.LBB258_90:
	v_pk_add_f16 v23, v30, v16
	v_pk_max_f16 v48, v92, v92
	s_and_b64 vcc, exec, s[0:1]
	v_pk_min_f16 v23, v48, v23
	v_pk_add_f16 v48, v31, v17
	s_nop 0
	v_pk_min_f16 v48, v23, v48
	v_mad_i64_i32 v[22:23], s[4:5], v22, s7, 0
	v_lshl_add_u64 v[22:23], v[22:23], 1, s[2:3]
	v_lshrrev_b32_e32 v49, 16, v48
	v_min3_f16 v47, v47, v48, v49
	v_lshl_add_u64 v[48:49], v[28:29], 1, v[22:23]
	global_store_short v[48:49], v47, off
	s_cbranch_vccnz .LBB258_92
; %bb.91:
	v_lshl_add_u64 v[46:47], v[32:33], 1, v[20:21]
	flat_load_ushort v46, v[46:47]
	s_waitcnt vmcnt(0) lgkmcnt(0)
	v_mul_f16_e32 v46, v52, v46
.LBB258_92:
	v_pk_add_f16 v47, v8, v16
	v_pk_max_f16 v48, v91, v91
	s_and_b64 vcc, exec, s[0:1]
	v_pk_min_f16 v47, v48, v47
	v_pk_add_f16 v48, v9, v17
	s_nop 0
	v_pk_min_f16 v47, v47, v48
	s_nop 0
	v_lshrrev_b32_e32 v48, 16, v47
	v_min3_f16 v48, v46, v47, v48
	v_lshl_add_u64 v[46:47], v[32:33], 1, v[22:23]
	global_store_short v[46:47], v48, off
	v_mov_b32_e32 v46, 0
	v_mov_b32_e32 v47, 0
	s_cbranch_vccnz .LBB258_94
; %bb.93:
	v_lshl_add_u64 v[48:49], v[34:35], 1, v[20:21]
	flat_load_ushort v47, v[48:49]
	s_waitcnt vmcnt(0) lgkmcnt(0)
	v_mul_f16_e32 v47, v52, v47
.LBB258_94:
	v_pk_add_f16 v48, v10, v16
	v_pk_max_f16 v49, v90, v90
	s_and_b64 vcc, exec, s[0:1]
	v_pk_min_f16 v48, v49, v48
	v_pk_add_f16 v49, v11, v17
	s_nop 0
	v_pk_min_f16 v48, v48, v49
	s_nop 0
	v_lshrrev_b32_e32 v49, 16, v48
	v_min3_f16 v47, v47, v48, v49
	v_lshl_add_u64 v[48:49], v[34:35], 1, v[22:23]
	global_store_short v[48:49], v47, off
	s_cbranch_vccnz .LBB258_96
; %bb.95:
	v_lshl_add_u64 v[46:47], v[36:37], 1, v[20:21]
	flat_load_ushort v46, v[46:47]
	s_waitcnt vmcnt(0) lgkmcnt(0)
	v_mul_f16_e32 v46, v52, v46
.LBB258_96:
	v_pk_add_f16 v47, v4, v16
	v_pk_max_f16 v48, v89, v89
	s_and_b64 vcc, exec, s[0:1]
	v_pk_min_f16 v47, v48, v47
	v_pk_add_f16 v48, v5, v17
	s_nop 0
	v_pk_min_f16 v47, v47, v48
	s_nop 0
	v_lshrrev_b32_e32 v48, 16, v47
	v_min3_f16 v48, v46, v47, v48
	v_lshl_add_u64 v[46:47], v[36:37], 1, v[22:23]
	global_store_short v[46:47], v48, off
	v_mov_b32_e32 v46, 0
	v_mov_b32_e32 v47, 0
	s_cbranch_vccnz .LBB258_98
; %bb.97:
	v_lshl_add_u64 v[48:49], v[44:45], 1, v[20:21]
	flat_load_ushort v47, v[48:49]
	s_waitcnt vmcnt(0) lgkmcnt(0)
	v_mul_f16_e32 v47, v52, v47
.LBB258_98:
	v_pk_add_f16 v48, v6, v16
	v_pk_max_f16 v49, v88, v88
	s_and_b64 vcc, exec, s[0:1]
	v_pk_min_f16 v48, v49, v48
	v_pk_add_f16 v49, v7, v17
	s_nop 0
	v_pk_min_f16 v48, v48, v49
	s_nop 0
	;; [unrolled: 40-line block ×3, first 2 shown]
	v_lshrrev_b32_e32 v49, 16, v48
	v_min3_f16 v47, v47, v48, v49
	v_lshl_add_u64 v[48:49], v[40:41], 1, v[22:23]
	global_store_short v[48:49], v47, off
	s_cbranch_vccnz .LBB258_104
; %bb.103:
	v_lshl_add_u64 v[20:21], v[38:39], 1, v[20:21]
	flat_load_ushort v20, v[20:21]
	s_waitcnt vmcnt(0) lgkmcnt(0)
	v_mul_f16_e32 v46, v52, v20
.LBB258_104:
	v_pk_add_f16 v16, v24, v16
	v_pk_max_f16 v20, v84, v84
	v_pk_add_f16 v17, v25, v17
	v_pk_min_f16 v16, v20, v16
	s_and_b64 vcc, exec, s[0:1]
	v_pk_min_f16 v16, v16, v17
	s_nop 0
	v_lshrrev_b32_e32 v17, 16, v16
	v_min3_f16 v20, v46, v16, v17
	v_lshl_add_u64 v[16:17], v[38:39], 1, v[22:23]
	global_store_short v[16:17], v20, off
	v_add_u32_e32 v20, 32, v116
	v_mad_i64_i32 v[16:17], s[4:5], v20, s6, 0
	v_lshl_add_u64 v[16:17], v[16:17], 1, s[10:11]
	v_mov_b32_e32 v22, 0
	v_mov_b32_e32 v23, 0
	s_cbranch_vccnz .LBB258_106
; %bb.105:
	v_lshl_add_u64 v[46:47], v[28:29], 1, v[16:17]
	flat_load_ushort v21, v[46:47]
	s_waitcnt vmcnt(0) lgkmcnt(0)
	v_mul_f16_e32 v23, v52, v21
.LBB258_106:
	v_pk_add_f16 v21, v30, v18
	v_pk_max_f16 v46, v85, v85
	s_and_b64 vcc, exec, s[0:1]
	v_pk_min_f16 v21, v46, v21
	v_pk_add_f16 v46, v31, v19
	s_nop 0
	v_pk_min_f16 v46, v21, v46
	v_mad_i64_i32 v[20:21], s[4:5], v20, s7, 0
	v_lshl_add_u64 v[20:21], v[20:21], 1, s[2:3]
	v_lshrrev_b32_e32 v47, 16, v46
	v_min3_f16 v23, v23, v46, v47
	v_lshl_add_u64 v[46:47], v[28:29], 1, v[20:21]
	global_store_short v[46:47], v23, off
	s_cbranch_vccnz .LBB258_108
; %bb.107:
	v_lshl_add_u64 v[22:23], v[32:33], 1, v[16:17]
	flat_load_ushort v22, v[22:23]
	s_waitcnt vmcnt(0) lgkmcnt(0)
	v_mul_f16_e32 v22, v52, v22
.LBB258_108:
	v_pk_add_f16 v23, v8, v18
	v_pk_max_f16 v46, v83, v83
	s_and_b64 vcc, exec, s[0:1]
	v_pk_min_f16 v23, v46, v23
	v_pk_add_f16 v46, v9, v19
	s_nop 0
	v_pk_min_f16 v23, v23, v46
	s_nop 0
	v_lshrrev_b32_e32 v46, 16, v23
	v_min3_f16 v46, v22, v23, v46
	v_lshl_add_u64 v[22:23], v[32:33], 1, v[20:21]
	global_store_short v[22:23], v46, off
	v_mov_b32_e32 v22, 0
	v_mov_b32_e32 v23, 0
	s_cbranch_vccnz .LBB258_110
; %bb.109:
	v_lshl_add_u64 v[46:47], v[34:35], 1, v[16:17]
	flat_load_ushort v23, v[46:47]
	s_waitcnt vmcnt(0) lgkmcnt(0)
	v_mul_f16_e32 v23, v52, v23
.LBB258_110:
	v_pk_add_f16 v46, v10, v18
	v_pk_max_f16 v47, v82, v82
	s_and_b64 vcc, exec, s[0:1]
	v_pk_min_f16 v46, v47, v46
	v_pk_add_f16 v47, v11, v19
	s_nop 0
	v_pk_min_f16 v46, v46, v47
	s_nop 0
	v_lshrrev_b32_e32 v47, 16, v46
	v_min3_f16 v23, v23, v46, v47
	v_lshl_add_u64 v[46:47], v[34:35], 1, v[20:21]
	global_store_short v[46:47], v23, off
	s_cbranch_vccnz .LBB258_112
; %bb.111:
	v_lshl_add_u64 v[22:23], v[36:37], 1, v[16:17]
	flat_load_ushort v22, v[22:23]
	s_waitcnt vmcnt(0) lgkmcnt(0)
	v_mul_f16_e32 v22, v52, v22
.LBB258_112:
	v_pk_add_f16 v23, v4, v18
	v_pk_max_f16 v46, v81, v81
	s_and_b64 vcc, exec, s[0:1]
	v_pk_min_f16 v23, v46, v23
	v_pk_add_f16 v46, v5, v19
	s_nop 0
	v_pk_min_f16 v23, v23, v46
	s_nop 0
	v_lshrrev_b32_e32 v46, 16, v23
	v_min3_f16 v46, v22, v23, v46
	v_lshl_add_u64 v[22:23], v[36:37], 1, v[20:21]
	global_store_short v[22:23], v46, off
	v_mov_b32_e32 v22, 0
	v_mov_b32_e32 v23, 0
	s_cbranch_vccnz .LBB258_114
; %bb.113:
	v_lshl_add_u64 v[46:47], v[44:45], 1, v[16:17]
	flat_load_ushort v23, v[46:47]
	s_waitcnt vmcnt(0) lgkmcnt(0)
	v_mul_f16_e32 v23, v52, v23
.LBB258_114:
	v_pk_add_f16 v46, v6, v18
	v_pk_max_f16 v47, v80, v80
	s_and_b64 vcc, exec, s[0:1]
	v_pk_min_f16 v46, v47, v46
	v_pk_add_f16 v47, v7, v19
	s_nop 0
	v_pk_min_f16 v46, v46, v47
	s_nop 0
	;; [unrolled: 40-line block ×3, first 2 shown]
	v_lshrrev_b32_e32 v47, 16, v46
	v_min3_f16 v23, v23, v46, v47
	v_lshl_add_u64 v[46:47], v[40:41], 1, v[20:21]
	global_store_short v[46:47], v23, off
	s_cbranch_vccnz .LBB258_120
; %bb.119:
	v_lshl_add_u64 v[16:17], v[38:39], 1, v[16:17]
	flat_load_ushort v16, v[16:17]
	s_waitcnt vmcnt(0) lgkmcnt(0)
	v_mul_f16_e32 v22, v52, v16
.LBB258_120:
	v_pk_add_f16 v16, v24, v18
	v_pk_max_f16 v17, v77, v77
	s_and_b64 vcc, exec, s[0:1]
	v_pk_min_f16 v16, v17, v16
	v_pk_add_f16 v17, v25, v19
	s_nop 0
	v_pk_min_f16 v16, v16, v17
	s_nop 0
	v_lshrrev_b32_e32 v17, 16, v16
	v_min3_f16 v18, v22, v16, v17
	v_lshl_add_u64 v[16:17], v[38:39], 1, v[20:21]
	global_store_short v[16:17], v18, off
	v_add_u32_e32 v18, 40, v116
	v_mad_i64_i32 v[16:17], s[4:5], v18, s6, 0
	v_lshl_add_u64 v[16:17], v[16:17], 1, s[10:11]
	v_mov_b32_e32 v20, 0
	v_mov_b32_e32 v21, 0
	s_cbranch_vccnz .LBB258_122
; %bb.121:
	v_lshl_add_u64 v[22:23], v[28:29], 1, v[16:17]
	flat_load_ushort v19, v[22:23]
	s_waitcnt vmcnt(0) lgkmcnt(0)
	v_mul_f16_e32 v21, v52, v19
.LBB258_122:
	v_pk_add_f16 v19, v30, v12
	v_pk_max_f16 v22, v76, v76
	s_and_b64 vcc, exec, s[0:1]
	v_pk_min_f16 v19, v22, v19
	v_pk_add_f16 v22, v31, v13
	s_nop 0
	v_pk_min_f16 v22, v19, v22
	v_mad_i64_i32 v[18:19], s[4:5], v18, s7, 0
	v_lshl_add_u64 v[18:19], v[18:19], 1, s[2:3]
	v_lshrrev_b32_e32 v23, 16, v22
	v_min3_f16 v21, v21, v22, v23
	v_lshl_add_u64 v[22:23], v[28:29], 1, v[18:19]
	global_store_short v[22:23], v21, off
	s_cbranch_vccnz .LBB258_124
; %bb.123:
	v_lshl_add_u64 v[20:21], v[32:33], 1, v[16:17]
	flat_load_ushort v20, v[20:21]
	s_waitcnt vmcnt(0) lgkmcnt(0)
	v_mul_f16_e32 v20, v52, v20
.LBB258_124:
	v_pk_add_f16 v21, v8, v12
	v_pk_max_f16 v22, v75, v75
	s_and_b64 vcc, exec, s[0:1]
	v_pk_min_f16 v21, v22, v21
	v_pk_add_f16 v22, v9, v13
	s_nop 0
	v_pk_min_f16 v21, v21, v22
	s_nop 0
	v_lshrrev_b32_e32 v22, 16, v21
	v_min3_f16 v22, v20, v21, v22
	v_lshl_add_u64 v[20:21], v[32:33], 1, v[18:19]
	global_store_short v[20:21], v22, off
	v_mov_b32_e32 v20, 0
	v_mov_b32_e32 v21, 0
	s_cbranch_vccnz .LBB258_126
; %bb.125:
	v_lshl_add_u64 v[22:23], v[34:35], 1, v[16:17]
	flat_load_ushort v21, v[22:23]
	s_waitcnt vmcnt(0) lgkmcnt(0)
	v_mul_f16_e32 v21, v52, v21
.LBB258_126:
	v_pk_add_f16 v22, v10, v12
	v_pk_max_f16 v23, v74, v74
	s_and_b64 vcc, exec, s[0:1]
	v_pk_min_f16 v22, v23, v22
	v_pk_add_f16 v23, v11, v13
	s_nop 0
	v_pk_min_f16 v22, v22, v23
	s_nop 0
	v_lshrrev_b32_e32 v23, 16, v22
	v_min3_f16 v21, v21, v22, v23
	v_lshl_add_u64 v[22:23], v[34:35], 1, v[18:19]
	global_store_short v[22:23], v21, off
	s_cbranch_vccnz .LBB258_128
; %bb.127:
	v_lshl_add_u64 v[20:21], v[36:37], 1, v[16:17]
	flat_load_ushort v20, v[20:21]
	s_waitcnt vmcnt(0) lgkmcnt(0)
	v_mul_f16_e32 v20, v52, v20
.LBB258_128:
	v_pk_add_f16 v21, v4, v12
	v_pk_max_f16 v22, v73, v73
	s_and_b64 vcc, exec, s[0:1]
	v_pk_min_f16 v21, v22, v21
	v_pk_add_f16 v22, v5, v13
	s_nop 0
	v_pk_min_f16 v21, v21, v22
	s_nop 0
	v_lshrrev_b32_e32 v22, 16, v21
	v_min3_f16 v22, v20, v21, v22
	v_lshl_add_u64 v[20:21], v[36:37], 1, v[18:19]
	global_store_short v[20:21], v22, off
	v_mov_b32_e32 v20, 0
	v_mov_b32_e32 v21, 0
	s_cbranch_vccnz .LBB258_130
; %bb.129:
	v_lshl_add_u64 v[22:23], v[44:45], 1, v[16:17]
	flat_load_ushort v21, v[22:23]
	s_waitcnt vmcnt(0) lgkmcnt(0)
	v_mul_f16_e32 v21, v52, v21
.LBB258_130:
	v_pk_add_f16 v22, v6, v12
	v_pk_max_f16 v23, v72, v72
	s_and_b64 vcc, exec, s[0:1]
	v_pk_min_f16 v22, v23, v22
	v_pk_add_f16 v23, v7, v13
	s_nop 0
	v_pk_min_f16 v22, v22, v23
	s_nop 0
	;; [unrolled: 40-line block ×3, first 2 shown]
	v_lshrrev_b32_e32 v23, 16, v22
	v_min3_f16 v21, v21, v22, v23
	v_lshl_add_u64 v[22:23], v[40:41], 1, v[18:19]
	global_store_short v[22:23], v21, off
	s_cbranch_vccnz .LBB258_136
; %bb.135:
	v_lshl_add_u64 v[16:17], v[38:39], 1, v[16:17]
	flat_load_ushort v16, v[16:17]
	s_waitcnt vmcnt(0) lgkmcnt(0)
	v_mul_f16_e32 v20, v52, v16
.LBB258_136:
	v_pk_add_f16 v12, v24, v12
	v_pk_max_f16 v16, v69, v69
	v_pk_add_f16 v13, v25, v13
	v_pk_min_f16 v12, v16, v12
	s_and_b64 vcc, exec, s[0:1]
	v_pk_min_f16 v12, v12, v13
	s_nop 0
	v_lshrrev_b32_e32 v13, 16, v12
	v_min3_f16 v16, v20, v12, v13
	v_lshl_add_u64 v[12:13], v[38:39], 1, v[18:19]
	global_store_short v[12:13], v16, off
	v_add_u32_e32 v16, 48, v116
	v_mad_i64_i32 v[12:13], s[4:5], v16, s6, 0
	v_lshl_add_u64 v[12:13], v[12:13], 1, s[10:11]
	v_mov_b32_e32 v18, 0
	v_mov_b32_e32 v19, 0
	s_cbranch_vccnz .LBB258_138
; %bb.137:
	v_lshl_add_u64 v[20:21], v[28:29], 1, v[12:13]
	flat_load_ushort v17, v[20:21]
	s_waitcnt vmcnt(0) lgkmcnt(0)
	v_mul_f16_e32 v19, v52, v17
.LBB258_138:
	v_pk_add_f16 v17, v30, v14
	v_pk_max_f16 v20, v67, v67
	s_and_b64 vcc, exec, s[0:1]
	v_pk_min_f16 v17, v20, v17
	v_pk_add_f16 v20, v31, v15
	s_nop 0
	v_pk_min_f16 v20, v17, v20
	v_mad_i64_i32 v[16:17], s[4:5], v16, s7, 0
	v_lshl_add_u64 v[16:17], v[16:17], 1, s[2:3]
	v_lshrrev_b32_e32 v21, 16, v20
	v_min3_f16 v19, v19, v20, v21
	v_lshl_add_u64 v[20:21], v[28:29], 1, v[16:17]
	global_store_short v[20:21], v19, off
	s_cbranch_vccnz .LBB258_140
; %bb.139:
	v_lshl_add_u64 v[18:19], v[32:33], 1, v[12:13]
	flat_load_ushort v18, v[18:19]
	s_waitcnt vmcnt(0) lgkmcnt(0)
	v_mul_f16_e32 v18, v52, v18
.LBB258_140:
	v_pk_add_f16 v19, v8, v14
	v_pk_max_f16 v20, v66, v66
	s_and_b64 vcc, exec, s[0:1]
	v_pk_min_f16 v19, v20, v19
	v_pk_add_f16 v20, v9, v15
	s_nop 0
	v_pk_min_f16 v19, v19, v20
	s_nop 0
	v_lshrrev_b32_e32 v20, 16, v19
	v_min3_f16 v20, v18, v19, v20
	v_lshl_add_u64 v[18:19], v[32:33], 1, v[16:17]
	global_store_short v[18:19], v20, off
	v_mov_b32_e32 v18, 0
	v_mov_b32_e32 v19, 0
	s_cbranch_vccnz .LBB258_142
; %bb.141:
	v_lshl_add_u64 v[20:21], v[34:35], 1, v[12:13]
	flat_load_ushort v19, v[20:21]
	s_waitcnt vmcnt(0) lgkmcnt(0)
	v_mul_f16_e32 v19, v52, v19
.LBB258_142:
	v_pk_add_f16 v20, v10, v14
	v_pk_max_f16 v21, v65, v65
	s_and_b64 vcc, exec, s[0:1]
	v_pk_min_f16 v20, v21, v20
	v_pk_add_f16 v21, v11, v15
	s_nop 0
	v_pk_min_f16 v20, v20, v21
	s_nop 0
	v_lshrrev_b32_e32 v21, 16, v20
	v_min3_f16 v19, v19, v20, v21
	v_lshl_add_u64 v[20:21], v[34:35], 1, v[16:17]
	global_store_short v[20:21], v19, off
	s_cbranch_vccnz .LBB258_144
; %bb.143:
	v_lshl_add_u64 v[18:19], v[36:37], 1, v[12:13]
	flat_load_ushort v18, v[18:19]
	s_waitcnt vmcnt(0) lgkmcnt(0)
	v_mul_f16_e32 v18, v52, v18
.LBB258_144:
	v_pk_add_f16 v19, v4, v14
	v_pk_max_f16 v20, v64, v64
	s_and_b64 vcc, exec, s[0:1]
	v_pk_min_f16 v19, v20, v19
	v_pk_add_f16 v20, v5, v15
	s_nop 0
	v_pk_min_f16 v19, v19, v20
	s_nop 0
	v_lshrrev_b32_e32 v20, 16, v19
	v_min3_f16 v20, v18, v19, v20
	v_lshl_add_u64 v[18:19], v[36:37], 1, v[16:17]
	global_store_short v[18:19], v20, off
	v_mov_b32_e32 v18, 0
	v_mov_b32_e32 v19, 0
	s_cbranch_vccnz .LBB258_146
; %bb.145:
	v_lshl_add_u64 v[20:21], v[44:45], 1, v[12:13]
	flat_load_ushort v19, v[20:21]
	s_waitcnt vmcnt(0) lgkmcnt(0)
	v_mul_f16_e32 v19, v52, v19
.LBB258_146:
	v_pk_add_f16 v20, v6, v14
	v_pk_max_f16 v21, v63, v63
	s_and_b64 vcc, exec, s[0:1]
	v_pk_min_f16 v20, v21, v20
	v_pk_add_f16 v21, v7, v15
	s_nop 0
	v_pk_min_f16 v20, v20, v21
	s_nop 0
	;; [unrolled: 40-line block ×3, first 2 shown]
	v_lshrrev_b32_e32 v21, 16, v20
	v_min3_f16 v19, v19, v20, v21
	v_lshl_add_u64 v[20:21], v[40:41], 1, v[16:17]
	global_store_short v[20:21], v19, off
	s_cbranch_vccnz .LBB258_152
; %bb.151:
	v_lshl_add_u64 v[12:13], v[38:39], 1, v[12:13]
	flat_load_ushort v12, v[12:13]
	s_waitcnt vmcnt(0) lgkmcnt(0)
	v_mul_f16_e32 v18, v52, v12
.LBB258_152:
	v_pk_add_f16 v12, v24, v14
	v_pk_max_f16 v13, v59, v59
	s_and_b64 vcc, exec, s[0:1]
	v_pk_min_f16 v12, v13, v12
	v_pk_add_f16 v13, v25, v15
	s_nop 0
	v_pk_min_f16 v12, v12, v13
	s_nop 0
	v_lshrrev_b32_e32 v13, 16, v12
	v_min3_f16 v14, v18, v12, v13
	v_lshl_add_u64 v[12:13], v[38:39], 1, v[16:17]
	global_store_short v[12:13], v14, off
	v_add_u32_e32 v14, 56, v116
	v_mad_i64_i32 v[12:13], s[4:5], v14, s6, 0
	v_lshl_add_u64 v[12:13], v[12:13], 1, s[10:11]
	v_mov_b32_e32 v16, 0
	v_mov_b32_e32 v17, 0
	s_cbranch_vccnz .LBB258_154
; %bb.153:
	v_lshl_add_u64 v[18:19], v[28:29], 1, v[12:13]
	flat_load_ushort v15, v[18:19]
	s_waitcnt vmcnt(0) lgkmcnt(0)
	v_mul_f16_e32 v17, v52, v15
.LBB258_154:
	v_pk_add_f16 v15, v30, v26
	v_pk_max_f16 v18, v60, v60
	s_and_b64 vcc, exec, s[0:1]
	v_pk_min_f16 v15, v18, v15
	v_pk_add_f16 v18, v31, v27
	s_nop 0
	v_pk_min_f16 v18, v15, v18
	v_mad_i64_i32 v[14:15], s[4:5], v14, s7, 0
	v_lshl_add_u64 v[14:15], v[14:15], 1, s[2:3]
	v_lshrrev_b32_e32 v19, 16, v18
	v_min3_f16 v17, v17, v18, v19
	v_lshl_add_u64 v[18:19], v[28:29], 1, v[14:15]
	global_store_short v[18:19], v17, off
	s_cbranch_vccnz .LBB258_156
; %bb.155:
	v_lshl_add_u64 v[16:17], v[32:33], 1, v[12:13]
	flat_load_ushort v16, v[16:17]
	s_waitcnt vmcnt(0) lgkmcnt(0)
	v_mul_f16_e32 v16, v52, v16
.LBB258_156:
	v_pk_add_f16 v8, v8, v26
	v_pk_max_f16 v17, v58, v58
	v_pk_add_f16 v9, v9, v27
	v_pk_min_f16 v8, v17, v8
	s_and_b64 vcc, exec, s[0:1]
	v_pk_min_f16 v8, v8, v9
	s_nop 0
	v_lshrrev_b32_e32 v9, 16, v8
	v_min3_f16 v16, v16, v8, v9
	v_lshl_add_u64 v[8:9], v[32:33], 1, v[14:15]
	global_store_short v[8:9], v16, off
	v_mov_b32_e32 v8, 0
	v_mov_b32_e32 v9, 0
	s_cbranch_vccnz .LBB258_158
; %bb.157:
	v_lshl_add_u64 v[16:17], v[34:35], 1, v[12:13]
	flat_load_ushort v9, v[16:17]
	s_waitcnt vmcnt(0) lgkmcnt(0)
	v_mul_f16_e32 v9, v52, v9
.LBB258_158:
	v_pk_add_f16 v10, v10, v26
	v_pk_max_f16 v16, v57, v57
	v_pk_add_f16 v11, v11, v27
	v_pk_min_f16 v10, v16, v10
	s_and_b64 vcc, exec, s[0:1]
	v_pk_min_f16 v10, v10, v11
	s_nop 0
	v_lshrrev_b32_e32 v11, 16, v10
	v_min3_f16 v9, v9, v10, v11
	v_lshl_add_u64 v[10:11], v[34:35], 1, v[14:15]
	global_store_short v[10:11], v9, off
	s_cbranch_vccnz .LBB258_160
; %bb.159:
	v_lshl_add_u64 v[8:9], v[36:37], 1, v[12:13]
	flat_load_ushort v8, v[8:9]
	s_waitcnt vmcnt(0) lgkmcnt(0)
	v_mul_f16_e32 v8, v52, v8
.LBB258_160:
	v_pk_add_f16 v4, v4, v26
	v_pk_max_f16 v9, v56, v56
	v_pk_add_f16 v5, v5, v27
	v_pk_min_f16 v4, v9, v4
	s_and_b64 vcc, exec, s[0:1]
	v_pk_min_f16 v4, v4, v5
	s_nop 0
	v_lshrrev_b32_e32 v5, 16, v4
	v_min3_f16 v8, v8, v4, v5
	v_lshl_add_u64 v[4:5], v[36:37], 1, v[14:15]
	global_store_short v[4:5], v8, off
	v_mov_b32_e32 v4, 0
	v_mov_b32_e32 v5, 0
	s_cbranch_vccnz .LBB258_162
; %bb.161:
	v_lshl_add_u64 v[8:9], v[44:45], 1, v[12:13]
	flat_load_ushort v5, v[8:9]
	s_waitcnt vmcnt(0) lgkmcnt(0)
	v_mul_f16_e32 v5, v52, v5
.LBB258_162:
	v_pk_add_f16 v6, v6, v26
	v_pk_max_f16 v8, v55, v55
	v_pk_add_f16 v7, v7, v27
	v_pk_min_f16 v6, v8, v6
	s_and_b64 vcc, exec, s[0:1]
	v_pk_min_f16 v6, v6, v7
	s_nop 0
	v_lshrrev_b32_e32 v7, 16, v6
	v_min3_f16 v5, v5, v6, v7
	v_lshl_add_u64 v[6:7], v[44:45], 1, v[14:15]
	global_store_short v[6:7], v5, off
	s_cbranch_vccnz .LBB258_164
; %bb.163:
	v_lshl_add_u64 v[4:5], v[42:43], 1, v[12:13]
	flat_load_ushort v4, v[4:5]
	s_waitcnt vmcnt(0) lgkmcnt(0)
	v_mul_f16_e32 v4, v52, v4
.LBB258_164:
	v_pk_add_f16 v0, v0, v26
	v_pk_max_f16 v5, v53, v53
	v_pk_add_f16 v2, v2, v26
	v_pk_min_f16 v0, v5, v0
	v_pk_max_f16 v5, v54, v54
	v_pk_add_f16 v1, v1, v27
	v_pk_min_f16 v2, v5, v2
	v_pk_min_f16 v0, v0, v1
	v_pk_add_f16 v1, v3, v27
	s_mov_b64 vcc, s[8:9]
	v_pk_min_f16 v2, v2, v1
	v_lshrrev_b32_e32 v1, 16, v0
	v_min3_f16 v3, v4, v0, v1
	v_lshl_add_u64 v[0:1], v[42:43], 1, v[14:15]
	global_store_short v[0:1], v3, off
	v_min_f16_sdwa v0, v2, v2 dst_sel:DWORD dst_unused:UNUSED_PAD src0_sel:DWORD src1_sel:WORD_1
	v_max_f16_e32 v0, v0, v0
	s_cbranch_vccz .LBB258_167
; %bb.165:
	v_min_f16_e32 v1, 0, v0
	v_lshl_add_u64 v[2:3], v[40:41], 1, v[14:15]
	s_mov_b32 s2, 0
	global_store_short v[2:3], v1, off
	s_cbranch_execz .LBB258_168
; %bb.166:
	v_mov_b32_e32 v0, s2
	s_branch .LBB258_169
.LBB258_167:
                                        ; implicit-def: $sgpr2
.LBB258_168:
	v_lshlrev_b64 v[2:3], 1, v[40:41]
	v_lshl_add_u64 v[4:5], v[12:13], 0, v[2:3]
	flat_load_ushort v1, v[4:5]
	v_lshl_add_u64 v[2:3], v[14:15], 0, v[2:3]
	s_waitcnt vmcnt(0) lgkmcnt(0)
	v_mul_f16_e32 v1, v52, v1
	v_min_f16_e32 v0, v1, v0
	global_store_short v[2:3], v0, off
	v_lshl_add_u64 v[0:1], v[38:39], 1, v[12:13]
	flat_load_ushort v0, v[0:1]
	s_waitcnt vmcnt(0) lgkmcnt(0)
	v_mul_f16_e32 v0, v52, v0
.LBB258_169:
	v_pk_add_f16 v1, v24, v26
	v_pk_max_f16 v2, v68, v68
	s_nop 0
	v_pk_min_f16 v1, v2, v1
	v_pk_add_f16 v2, v25, v27
	s_nop 0
	v_pk_min_f16 v1, v1, v2
	s_nop 0
	v_lshrrev_b32_e32 v2, 16, v1
	v_min3_f16 v2, v0, v1, v2
	v_lshl_add_u64 v[0:1], v[38:39], 1, v[14:15]
	global_store_short v[0:1], v2, off
	s_endpgm
	.section	.rodata,"a",@progbits
	.p2align	6, 0x0
	.amdhsa_kernel _ZN12_GLOBAL__N_120geam_min_plus_kernelIDF16_Dv2_DF16_S1_Li32ELi8ELi256ELi64ELi4ELi64ELi4ELi4ELi64ELc78ELc78ELb0ELb0ELb1EPKDF16_S2_DF16_EEviiiT16_PT17_ilS6_ilS4_S6_ilPT18_ili26rocblas_geam_ex_operation_
		.amdhsa_group_segment_fixed_size 5120
		.amdhsa_private_segment_fixed_size 0
		.amdhsa_kernarg_size 136
		.amdhsa_user_sgpr_count 2
		.amdhsa_user_sgpr_dispatch_ptr 0
		.amdhsa_user_sgpr_queue_ptr 0
		.amdhsa_user_sgpr_kernarg_segment_ptr 1
		.amdhsa_user_sgpr_dispatch_id 0
		.amdhsa_user_sgpr_kernarg_preload_length 0
		.amdhsa_user_sgpr_kernarg_preload_offset 0
		.amdhsa_user_sgpr_private_segment_size 0
		.amdhsa_uses_dynamic_stack 0
		.amdhsa_enable_private_segment 0
		.amdhsa_system_sgpr_workgroup_id_x 1
		.amdhsa_system_sgpr_workgroup_id_y 0
		.amdhsa_system_sgpr_workgroup_id_z 1
		.amdhsa_system_sgpr_workgroup_info 0
		.amdhsa_system_vgpr_workitem_id 1
		.amdhsa_next_free_vgpr 166
		.amdhsa_next_free_sgpr 28
		.amdhsa_accum_offset 168
		.amdhsa_reserve_vcc 1
		.amdhsa_float_round_mode_32 0
		.amdhsa_float_round_mode_16_64 0
		.amdhsa_float_denorm_mode_32 3
		.amdhsa_float_denorm_mode_16_64 3
		.amdhsa_dx10_clamp 1
		.amdhsa_ieee_mode 1
		.amdhsa_fp16_overflow 0
		.amdhsa_tg_split 0
		.amdhsa_exception_fp_ieee_invalid_op 0
		.amdhsa_exception_fp_denorm_src 0
		.amdhsa_exception_fp_ieee_div_zero 0
		.amdhsa_exception_fp_ieee_overflow 0
		.amdhsa_exception_fp_ieee_underflow 0
		.amdhsa_exception_fp_ieee_inexact 0
		.amdhsa_exception_int_div_zero 0
	.end_amdhsa_kernel
	.section	.text._ZN12_GLOBAL__N_120geam_min_plus_kernelIDF16_Dv2_DF16_S1_Li32ELi8ELi256ELi64ELi4ELi64ELi4ELi4ELi64ELc78ELc78ELb0ELb0ELb1EPKDF16_S2_DF16_EEviiiT16_PT17_ilS6_ilS4_S6_ilPT18_ili26rocblas_geam_ex_operation_,"axG",@progbits,_ZN12_GLOBAL__N_120geam_min_plus_kernelIDF16_Dv2_DF16_S1_Li32ELi8ELi256ELi64ELi4ELi64ELi4ELi4ELi64ELc78ELc78ELb0ELb0ELb1EPKDF16_S2_DF16_EEviiiT16_PT17_ilS6_ilS4_S6_ilPT18_ili26rocblas_geam_ex_operation_,comdat
.Lfunc_end258:
	.size	_ZN12_GLOBAL__N_120geam_min_plus_kernelIDF16_Dv2_DF16_S1_Li32ELi8ELi256ELi64ELi4ELi64ELi4ELi4ELi64ELc78ELc78ELb0ELb0ELb1EPKDF16_S2_DF16_EEviiiT16_PT17_ilS6_ilS4_S6_ilPT18_ili26rocblas_geam_ex_operation_, .Lfunc_end258-_ZN12_GLOBAL__N_120geam_min_plus_kernelIDF16_Dv2_DF16_S1_Li32ELi8ELi256ELi64ELi4ELi64ELi4ELi4ELi64ELc78ELc78ELb0ELb0ELb1EPKDF16_S2_DF16_EEviiiT16_PT17_ilS6_ilS4_S6_ilPT18_ili26rocblas_geam_ex_operation_
                                        ; -- End function
	.section	.AMDGPU.csdata,"",@progbits
; Kernel info:
; codeLenInByte = 17128
; NumSgprs: 34
; NumVgprs: 166
; NumAgprs: 0
; TotalNumVgprs: 166
; ScratchSize: 0
; MemoryBound: 0
; FloatMode: 240
; IeeeMode: 1
; LDSByteSize: 5120 bytes/workgroup (compile time only)
; SGPRBlocks: 4
; VGPRBlocks: 20
; NumSGPRsForWavesPerEU: 34
; NumVGPRsForWavesPerEU: 166
; AccumOffset: 168
; Occupancy: 3
; WaveLimiterHint : 1
; COMPUTE_PGM_RSRC2:SCRATCH_EN: 0
; COMPUTE_PGM_RSRC2:USER_SGPR: 2
; COMPUTE_PGM_RSRC2:TRAP_HANDLER: 0
; COMPUTE_PGM_RSRC2:TGID_X_EN: 1
; COMPUTE_PGM_RSRC2:TGID_Y_EN: 0
; COMPUTE_PGM_RSRC2:TGID_Z_EN: 1
; COMPUTE_PGM_RSRC2:TIDIG_COMP_CNT: 1
; COMPUTE_PGM_RSRC3_GFX90A:ACCUM_OFFSET: 41
; COMPUTE_PGM_RSRC3_GFX90A:TG_SPLIT: 0
	.section	.text._ZN12_GLOBAL__N_120geam_min_plus_kernelIDF16_Dv2_DF16_S1_Li32ELi8ELi256ELi64ELi4ELi64ELi4ELi4ELi64ELc78ELc78ELb1ELb0ELb1EDF16_KDF16_DF16_EEviiiT16_PT17_ilS5_ilS3_S5_ilPT18_ili26rocblas_geam_ex_operation_,"axG",@progbits,_ZN12_GLOBAL__N_120geam_min_plus_kernelIDF16_Dv2_DF16_S1_Li32ELi8ELi256ELi64ELi4ELi64ELi4ELi4ELi64ELc78ELc78ELb1ELb0ELb1EDF16_KDF16_DF16_EEviiiT16_PT17_ilS5_ilS3_S5_ilPT18_ili26rocblas_geam_ex_operation_,comdat
	.globl	_ZN12_GLOBAL__N_120geam_min_plus_kernelIDF16_Dv2_DF16_S1_Li32ELi8ELi256ELi64ELi4ELi64ELi4ELi4ELi64ELc78ELc78ELb1ELb0ELb1EDF16_KDF16_DF16_EEviiiT16_PT17_ilS5_ilS3_S5_ilPT18_ili26rocblas_geam_ex_operation_ ; -- Begin function _ZN12_GLOBAL__N_120geam_min_plus_kernelIDF16_Dv2_DF16_S1_Li32ELi8ELi256ELi64ELi4ELi64ELi4ELi4ELi64ELc78ELc78ELb1ELb0ELb1EDF16_KDF16_DF16_EEviiiT16_PT17_ilS5_ilS3_S5_ilPT18_ili26rocblas_geam_ex_operation_
	.p2align	8
	.type	_ZN12_GLOBAL__N_120geam_min_plus_kernelIDF16_Dv2_DF16_S1_Li32ELi8ELi256ELi64ELi4ELi64ELi4ELi4ELi64ELc78ELc78ELb1ELb0ELb1EDF16_KDF16_DF16_EEviiiT16_PT17_ilS5_ilS3_S5_ilPT18_ili26rocblas_geam_ex_operation_,@function
_ZN12_GLOBAL__N_120geam_min_plus_kernelIDF16_Dv2_DF16_S1_Li32ELi8ELi256ELi64ELi4ELi64ELi4ELi4ELi64ELc78ELc78ELb1ELb0ELb1EDF16_KDF16_DF16_EEviiiT16_PT17_ilS5_ilS3_S5_ilPT18_ili26rocblas_geam_ex_operation_: ; @_ZN12_GLOBAL__N_120geam_min_plus_kernelIDF16_Dv2_DF16_S1_Li32ELi8ELi256ELi64ELi4ELi64ELi4ELi4ELi64ELc78ELc78ELb1ELb0ELb1EDF16_KDF16_DF16_EEviiiT16_PT17_ilS5_ilS3_S5_ilPT18_ili26rocblas_geam_ex_operation_
; %bb.0:
	s_load_dwordx2 s[14:15], s[0:1], 0x8
	s_load_dwordx4 s[4:7], s[0:1], 0x20
	s_waitcnt lgkmcnt(0)
	v_cmp_eq_f16_e64 s[8:9], s15, 0
	s_and_b64 vcc, exec, s[8:9]
	s_cbranch_vccnz .LBB259_3
; %bb.1:
	s_load_dwordx2 s[10:11], s[0:1], 0x10
	s_mul_i32 s5, s3, s5
	s_mul_hi_u32 s12, s3, s4
	s_add_i32 s5, s12, s5
	s_mul_i32 s4, s3, s4
	s_lshl_b64 s[4:5], s[4:5], 1
	s_waitcnt lgkmcnt(0)
	s_add_u32 s16, s10, s4
	s_addc_u32 s17, s11, s5
	s_andn2_b64 vcc, exec, s[8:9]
	s_cbranch_vccnz .LBB259_4
.LBB259_2:
	s_mov_b32 s13, 0
	s_mov_b64 s[18:19], 0
	s_cbranch_execz .LBB259_5
	s_branch .LBB259_6
.LBB259_3:
	s_mov_b64 s[16:17], 0
	s_andn2_b64 vcc, exec, s[8:9]
	s_cbranch_vccz .LBB259_2
.LBB259_4:
                                        ; implicit-def: $sgpr18_sgpr19
                                        ; implicit-def: $sgpr12_sgpr13
.LBB259_5:
	s_load_dwordx2 s[4:5], s[0:1], 0x38
	s_mov_b32 s13, 0
	s_waitcnt lgkmcnt(0)
	s_mul_i32 s5, s3, s5
	s_mul_hi_u32 s8, s3, s4
	s_add_i32 s5, s8, s5
	s_mul_i32 s4, s3, s4
	s_lshl_b64 s[4:5], s[4:5], 1
	s_add_u32 s18, s6, s4
	s_addc_u32 s19, s7, s5
.LBB259_6:
	s_load_dword s12, s[0:1], 0x40
	s_load_dwordx4 s[8:11], s[0:1], 0x58
	s_waitcnt lgkmcnt(0)
	v_cmp_eq_f16_e64 s[4:5], s12, 0
	s_and_b64 s[4:5], exec, s[4:5]
	s_mov_b64 vcc, s[4:5]
	s_cbranch_vccnz .LBB259_8
; %bb.7:
	s_load_dwordx2 s[6:7], s[0:1], 0x48
	s_mul_i32 s9, s3, s9
	s_mul_hi_u32 s15, s3, s8
	s_add_i32 s9, s15, s9
	s_mul_i32 s15, s13, s8
	s_add_i32 s9, s9, s15
	s_mul_i32 s8, s3, s8
	s_lshl_b64 s[8:9], s[8:9], 1
	s_waitcnt lgkmcnt(0)
	s_add_u32 s6, s6, s8
	s_addc_u32 s7, s7, s9
	s_branch .LBB259_9
.LBB259_8:
	s_mov_b64 s[6:7], 0
.LBB259_9:
	s_load_dword s8, s[0:1], 0x0
	s_load_dword s20, s[0:1], 0x18
	;; [unrolled: 1-line block ×3, first 2 shown]
	v_and_b32_e32 v40, 0x3ff, v0
	v_bfe_u32 v41, v0, 10, 10
	s_waitcnt lgkmcnt(0)
	s_add_i32 s8, s8, -1
	s_ashr_i32 s9, s8, 31
	s_lshr_b32 s9, s9, 24
	s_add_i32 s8, s8, s9
	s_ashr_i32 s8, s8, 8
	s_add_i32 s9, s8, 1
	v_cvt_f32_u32_e32 v1, s9
	s_not_b32 s8, s8
	v_and_b32_e32 v6, 3, v40
	v_lshlrev_b32_e32 v36, 1, v6
	v_rcp_iflag_f32_e32 v0, v1
	v_lshl_add_u32 v1, v41, 5, v40
	v_lshrrev_b32_e32 v8, 2, v1
	v_and_b32_e32 v7, 63, v1
	v_mul_f32_e32 v0, 0x4f7ffffe, v0
	v_cvt_u32_f32_e32 v0, v0
	v_lshrrev_b32_e32 v38, 6, v1
	v_mov_b32_e32 v37, 0
	v_lshlrev_b32_e32 v43, 3, v40
	v_readfirstlane_b32 s15, v0
	s_mul_i32 s8, s8, s15
	s_mul_hi_u32 s8, s15, s8
	s_add_i32 s15, s15, s8
	s_mul_hi_u32 s8, s2, s15
	s_mul_i32 s15, s8, s9
	s_sub_i32 s15, s2, s15
	s_add_i32 s22, s8, 1
	s_sub_i32 s23, s15, s9
	s_cmp_ge_u32 s15, s9
	s_cselect_b32 s8, s22, s8
	s_cselect_b32 s15, s23, s15
	s_add_i32 s22, s8, 1
	s_cmp_ge_u32 s15, s9
	s_cselect_b32 s8, s22, s8
	s_mul_i32 s9, s8, s9
	s_lshl_b32 s15, s8, 6
	s_sub_i32 s2, s2, s9
	s_lshl_b32 s2, s2, 8
	v_add_u32_e32 v4, s15, v8
	v_or_b32_e32 v32, s2, v7
	v_mad_i64_i32 v[34:35], s[8:9], v4, s21, 0
	v_mad_i64_i32 v[0:1], s[8:9], s20, v38, 0
	v_ashrrev_i32_e32 v33, 31, v32
	v_lshl_add_u64 v[4:5], v[34:35], 1, s[18:19]
	v_lshl_add_u64 v[0:1], v[0:1], 1, s[16:17]
	v_lshlrev_b64 v[2:3], 1, v[32:33]
	v_lshl_add_u64 v[4:5], v[4:5], 0, v[36:37]
	v_lshl_add_u64 v[0:1], v[0:1], 0, v[2:3]
	flat_load_ushort v6, v[4:5]
	flat_load_ushort v9, v[0:1]
	flat_load_ushort v10, v[0:1] offset:128
	flat_load_ushort v11, v[0:1] offset:256
	;; [unrolled: 1-line block ×3, first 2 shown]
	v_add_u32_e32 v0, 4, v38
	v_lshlrev_b32_e32 v1, 1, v38
	v_lshl_add_u32 v45, v7, 3, v1
	v_mad_i64_i32 v[0:1], s[22:23], s20, v0, 0
	v_lshl_add_u64 v[0:1], v[0:1], 1, s[16:17]
	v_lshlrev_b32_e32 v42, 3, v41
	v_lshl_or_b32 v39, v8, 3, v36
	v_lshl_add_u64 v[0:1], v[0:1], 0, v[2:3]
	v_add_u32_e32 v44, 0x1000, v42
	flat_load_ushort v46, v[4:5] offset:8
	flat_load_ushort v47, v[0:1]
	flat_load_ushort v48, v[0:1] offset:128
	flat_load_ushort v49, v[0:1] offset:256
	;; [unrolled: 1-line block ×3, first 2 shown]
	s_movk_i32 s8, 0x7c00
	s_cmp_lt_i32 s14, 9
	s_waitcnt vmcnt(0) lgkmcnt(0)
	ds_write_b16 v39, v6 offset:4096
	ds_write_b16 v45, v9
	ds_write_b16 v45, v10 offset:512
	ds_write_b16 v45, v11 offset:1024
	;; [unrolled: 1-line block ×3, first 2 shown]
	s_waitcnt lgkmcnt(0)
	s_barrier
	ds_read2_b64 v[16:19], v43 offset1:32
	ds_read2_b64 v[12:15], v43 offset0:64 offset1:96
	ds_read2_b64 v[8:11], v43 offset0:128 offset1:160
	ds_read2_b64 v[28:31], v44 offset1:8
	ds_read2_b64 v[0:3], v43 offset0:192 offset1:224
	ds_read2_b64 v[24:27], v44 offset0:16 offset1:24
	;; [unrolled: 1-line block ×4, first 2 shown]
	s_waitcnt lgkmcnt(4)
	v_pk_add_f16 v54, v14, v28
	v_pk_add_f16 v50, v16, v28
	v_pk_min_f16 v69, v54, s8 op_sel_hi:[1,0]
	s_waitcnt lgkmcnt(2)
	v_pk_add_f16 v54, v8, v24
	v_pk_add_f16 v58, v16, v30
	v_pk_min_f16 v78, v54, s8 op_sel_hi:[1,0]
	v_pk_add_f16 v54, v10, v24
	v_pk_add_f16 v65, v16, v24
	v_pk_min_f16 v79, v54, s8 op_sel_hi:[1,0]
	;; [unrolled: 3-line block ×10, first 2 shown]
	s_waitcnt lgkmcnt(1)
	v_pk_add_f16 v54, v16, v20
	v_pk_add_f16 v64, v0, v30
	v_pk_min_f16 v88, v54, s8 op_sel_hi:[1,0]
	v_pk_add_f16 v54, v18, v20
	v_pk_add_f16 v67, v12, v24
	v_pk_min_f16 v89, v54, s8 op_sel_hi:[1,0]
	;; [unrolled: 3-line block ×8, first 2 shown]
	v_pk_add_f16 v54, v18, v22
	v_pk_min_f16 v50, v50, s8 op_sel_hi:[1,0]
	v_pk_min_f16 v96, v54, s8 op_sel_hi:[1,0]
	v_pk_add_f16 v54, v12, v22
	v_pk_add_f16 v24, v2, v24
	v_pk_min_f16 v97, v54, s8 op_sel_hi:[1,0]
	v_pk_add_f16 v54, v14, v22
	v_pk_add_f16 v26, v2, v26
	;; [unrolled: 3-line block ×3, first 2 shown]
	v_pk_min_f16 v99, v54, s8 op_sel_hi:[1,0]
	v_pk_add_f16 v54, v10, v22
	v_pk_min_f16 v52, v52, s8 op_sel_hi:[1,0]
	v_pk_min_f16 v100, v54, s8 op_sel_hi:[1,0]
	v_pk_add_f16 v54, v0, v22
	v_pk_add_f16 v22, v2, v22
	v_pk_min_f16 v101, v54, s8 op_sel_hi:[1,0]
	s_waitcnt lgkmcnt(0)
	v_pk_add_f16 v54, v16, v4
	v_pk_min_f16 v53, v53, s8 op_sel_hi:[1,0]
	v_pk_min_f16 v102, v54, s8 op_sel_hi:[1,0]
	v_pk_add_f16 v54, v18, v4
	v_pk_min_f16 v55, v55, s8 op_sel_hi:[1,0]
	v_pk_min_f16 v103, v54, s8 op_sel_hi:[1,0]
	;; [unrolled: 3-line block ×6, first 2 shown]
	v_pk_add_f16 v54, v0, v4
	v_pk_add_f16 v4, v2, v4
	;; [unrolled: 1-line block ×3, first 2 shown]
	v_pk_min_f16 v111, v4, s8 op_sel_hi:[1,0]
	v_pk_add_f16 v4, v16, v6
	v_pk_min_f16 v110, v54, s8 op_sel_hi:[1,0]
	v_pk_min_f16 v16, v4, s8 op_sel_hi:[1,0]
	v_pk_add_f16 v4, v18, v6
	v_pk_min_f16 v59, v59, s8 op_sel_hi:[1,0]
	;; [unrolled: 3-line block ×6, first 2 shown]
	v_pk_min_f16 v8, v4, s8 op_sel_hi:[1,0]
	v_pk_min_f16 v4, v0, s8 op_sel_hi:[1,0]
	v_pk_add_f16 v0, v2, v6
	v_pk_add_f16 v2, v17, v29
	v_pk_min_f16 v73, v64, s8 op_sel_hi:[1,0]
	v_pk_min_f16 v50, v50, v2
	v_pk_add_f16 v2, v19, v29
	v_pk_min_f16 v62, v62, s8 op_sel_hi:[1,0]
	v_pk_min_f16 v52, v52, v2
	;; [unrolled: 3-line block ×11, first 2 shown]
	v_pk_add_f16 v2, v15, v31
	ds_write_b16 v45, v47 offset:2048
	ds_write_b16 v45, v48 offset:2560
	;; [unrolled: 1-line block ×5, first 2 shown]
	v_pk_min_f16 v63, v61, v2
	v_pk_add_f16 v2, v9, v31
	s_waitcnt lgkmcnt(0)
	v_pk_min_f16 v62, v62, v2
	v_pk_add_f16 v2, v11, v31
	s_barrier
	v_pk_min_f16 v60, v72, v2
	v_pk_add_f16 v2, v1, v31
	s_nop 0
	v_pk_min_f16 v59, v73, v2
	v_pk_add_f16 v2, v3, v31
	s_nop 0
	;; [unrolled: 3-line block ×40, first 2 shown]
	v_pk_min_f16 v101, v109, v2
	v_pk_add_f16 v2, v1, v5
	v_pk_add_f16 v1, v1, v7
	v_pk_min_f16 v100, v110, v2
	v_pk_add_f16 v2, v3, v5
	v_pk_min_f16 v113, v4, v1
	v_pk_min_f16 v99, v111, v2
	v_pk_add_f16 v2, v17, v7
	v_pk_add_f16 v1, v3, v7
	v_pk_min_f16 v108, v16, v2
	v_pk_add_f16 v2, v19, v7
	v_pk_min_f16 v114, v0, v1
	v_pk_min_f16 v107, v18, v2
	v_pk_add_f16 v2, v13, v7
	s_nop 0
	v_pk_min_f16 v109, v112, v2
	v_pk_add_f16 v2, v15, v7
	s_nop 0
	;; [unrolled: 3-line block ×4, first 2 shown]
	v_pk_min_f16 v112, v8, v2
	s_cbranch_scc1 .LBB259_12
; %bb.10:
	v_mov_b32_e32 v0, 0x800
	v_lshl_add_u32 v49, v40, 3, v0
	v_mov_b32_e32 v0, 0x1200
	v_lshl_add_u32 v51, v41, 3, v0
	v_lshl_add_u64 v[0:1], v[34:35], 1, v[36:37]
	v_lshl_add_u64 v[0:1], v[0:1], 0, s[18:19]
	v_lshl_add_u64 v[34:35], v[0:1], 0, 24
	v_add_u32_e32 v0, 12, v38
	v_mad_i64_i32 v[0:1], s[8:9], v0, s20, 0
	v_lshlrev_b64 v[36:37], 1, v[0:1]
	v_add_u32_e32 v0, 8, v38
	s_ashr_i32 s21, s20, 31
	v_lshl_add_u64 v[32:33], v[32:33], 1, s[16:17]
	v_mad_i64_i32 v[0:1], s[16:17], v0, s20, 0
	v_add_u32_e32 v46, 0x1000, v39
	v_add_u32_e32 v47, 0x800, v45
	;; [unrolled: 1-line block ×3, first 2 shown]
	s_add_i32 s14, s14, -8
	s_lshl_b64 s[8:9], s[20:21], 4
	v_lshlrev_b64 v[38:39], 1, v[0:1]
	s_mov_b32 s16, 0
.LBB259_11:                             ; =>This Inner Loop Header: Depth=1
	v_add_co_u32_e32 v0, vcc, -8, v34
	v_lshl_add_u64 v[120:121], v[32:33], 0, v[36:37]
	s_nop 0
	v_addc_co_u32_e32 v1, vcc, -1, v35, vcc
	flat_load_ushort v115, v[0:1]
	v_lshl_add_u64 v[0:1], v[32:33], 0, v[38:39]
	flat_load_ushort v116, v[0:1] offset:384
	flat_load_ushort v117, v[0:1] offset:256
	;; [unrolled: 1-line block ×3, first 2 shown]
	flat_load_ushort v119, v[0:1]
	ds_read2_b64 v[0:3], v49 offset1:32
	ds_read2_b64 v[4:7], v49 offset0:64 offset1:96
	ds_read2_b64 v[8:11], v49 offset0:128 offset1:160
	;; [unrolled: 1-line block ×3, first 2 shown]
	ds_read2_b64 v[12:15], v51 offset1:8
	ds_read2_b64 v[20:23], v51 offset0:16 offset1:24
	ds_read2_b64 v[24:27], v51 offset0:32 offset1:40
	;; [unrolled: 1-line block ×3, first 2 shown]
	v_pk_max_f16 v114, v114, v114
	v_pk_max_f16 v113, v113, v113
	;; [unrolled: 1-line block ×8, first 2 shown]
	s_add_i32 s16, s16, 8
	v_lshl_add_u64 v[32:33], v[32:33], 0, s[8:9]
	s_cmp_ge_i32 s16, s14
	s_waitcnt vmcnt(0) lgkmcnt(0)
	ds_write_b16 v45, v119
	ds_write_b16 v45, v118 offset:512
	ds_write_b16 v45, v117 offset:1024
	;; [unrolled: 1-line block ×3, first 2 shown]
	ds_write_b16 v46, v115
	s_waitcnt lgkmcnt(0)
	s_barrier
	flat_load_ushort v115, v[34:35]
	flat_load_ushort v116, v[120:121] offset:384
	flat_load_ushort v117, v[120:121] offset:256
	;; [unrolled: 1-line block ×3, first 2 shown]
	flat_load_ushort v119, v[120:121]
	v_pk_add_f16 v120, v18, v30
	v_lshl_add_u64 v[34:35], v[34:35], 0, 16
	v_pk_min_f16 v114, v114, v120
	v_pk_add_f16 v120, v19, v31
	s_nop 0
	v_pk_min_f16 v114, v114, v120
	v_pk_add_f16 v120, v16, v30
	s_nop 0
	;; [unrolled: 3-line block ×11, first 2 shown]
	v_pk_min_f16 v109, v109, v120
	v_pk_add_f16 v120, v2, v30
	v_pk_add_f16 v30, v0, v30
	v_pk_min_f16 v107, v107, v120
	v_pk_add_f16 v120, v3, v31
	v_pk_min_f16 v30, v108, v30
	;; [unrolled: 2-line block ×3, first 2 shown]
	v_pk_min_f16 v108, v30, v31
	v_pk_add_f16 v30, v18, v28
	v_pk_max_f16 v31, v99, v99
	s_nop 0
	v_pk_min_f16 v30, v31, v30
	v_pk_add_f16 v31, v19, v29
	s_nop 0
	v_pk_min_f16 v99, v30, v31
	v_pk_add_f16 v30, v16, v28
	v_pk_max_f16 v31, v100, v100
	s_nop 0
	v_pk_min_f16 v30, v31, v30
	v_pk_add_f16 v31, v17, v29
	s_nop 0
	v_pk_min_f16 v100, v30, v31
	v_pk_add_f16 v30, v10, v28
	v_pk_max_f16 v31, v101, v101
	s_nop 0
	v_pk_min_f16 v30, v31, v30
	v_pk_add_f16 v31, v11, v29
	s_nop 0
	v_pk_min_f16 v101, v30, v31
	v_pk_add_f16 v30, v8, v28
	v_pk_max_f16 v31, v102, v102
	s_nop 0
	v_pk_min_f16 v30, v31, v30
	v_pk_add_f16 v31, v9, v29
	s_nop 0
	v_pk_min_f16 v102, v30, v31
	v_pk_add_f16 v30, v6, v28
	v_pk_max_f16 v31, v103, v103
	s_nop 0
	v_pk_min_f16 v30, v31, v30
	v_pk_add_f16 v31, v7, v29
	s_nop 0
	v_pk_min_f16 v103, v30, v31
	v_pk_add_f16 v30, v4, v28
	v_pk_max_f16 v31, v104, v104
	s_nop 0
	v_pk_min_f16 v30, v31, v30
	v_pk_add_f16 v31, v5, v29
	s_nop 0
	v_pk_min_f16 v104, v30, v31
	v_pk_add_f16 v30, v2, v28
	v_pk_max_f16 v31, v105, v105
	v_pk_add_f16 v28, v0, v28
	v_pk_min_f16 v30, v31, v30
	v_pk_add_f16 v31, v3, v29
	v_pk_add_f16 v29, v1, v29
	v_pk_min_f16 v105, v30, v31
	v_pk_max_f16 v30, v106, v106
	s_nop 0
	v_pk_min_f16 v28, v30, v28
	s_nop 0
	v_pk_min_f16 v106, v28, v29
	v_pk_add_f16 v28, v18, v26
	v_pk_max_f16 v29, v98, v98
	s_nop 0
	v_pk_min_f16 v28, v29, v28
	v_pk_add_f16 v29, v19, v27
	s_nop 0
	v_pk_min_f16 v98, v28, v29
	v_pk_add_f16 v28, v16, v26
	v_pk_max_f16 v29, v97, v97
	s_nop 0
	v_pk_min_f16 v28, v29, v28
	v_pk_add_f16 v29, v17, v27
	s_nop 0
	v_pk_min_f16 v97, v28, v29
	v_pk_add_f16 v28, v10, v26
	v_pk_max_f16 v29, v96, v96
	s_nop 0
	v_pk_min_f16 v28, v29, v28
	v_pk_add_f16 v29, v11, v27
	s_nop 0
	v_pk_min_f16 v96, v28, v29
	v_pk_add_f16 v28, v8, v26
	v_pk_max_f16 v29, v95, v95
	s_nop 0
	v_pk_min_f16 v28, v29, v28
	v_pk_add_f16 v29, v9, v27
	s_nop 0
	v_pk_min_f16 v95, v28, v29
	v_pk_add_f16 v28, v6, v26
	v_pk_max_f16 v29, v93, v93
	s_nop 0
	v_pk_min_f16 v28, v29, v28
	v_pk_add_f16 v29, v7, v27
	s_nop 0
	v_pk_min_f16 v93, v28, v29
	v_pk_add_f16 v28, v4, v26
	v_pk_max_f16 v29, v91, v91
	s_nop 0
	v_pk_min_f16 v28, v29, v28
	v_pk_add_f16 v29, v5, v27
	s_nop 0
	v_pk_min_f16 v91, v28, v29
	v_pk_add_f16 v28, v2, v26
	v_pk_max_f16 v29, v88, v88
	v_pk_add_f16 v26, v0, v26
	v_pk_min_f16 v28, v29, v28
	v_pk_add_f16 v29, v3, v27
	v_pk_add_f16 v27, v1, v27
	v_pk_min_f16 v88, v28, v29
	v_pk_max_f16 v28, v90, v90
	s_nop 0
	v_pk_min_f16 v26, v28, v26
	s_nop 0
	;; [unrolled: 54-line block ×5, first 2 shown]
	v_pk_min_f16 v68, v20, v21
	v_pk_add_f16 v20, v18, v14
	v_pk_max_f16 v21, v61, v61
	s_nop 0
	v_pk_min_f16 v20, v21, v20
	v_pk_add_f16 v21, v19, v15
	s_nop 0
	v_pk_min_f16 v61, v20, v21
	v_pk_add_f16 v20, v16, v14
	v_pk_max_f16 v21, v59, v59
	s_nop 0
	v_pk_min_f16 v20, v21, v20
	v_pk_add_f16 v21, v17, v15
	s_nop 0
	v_pk_min_f16 v59, v20, v21
	v_pk_add_f16 v20, v10, v14
	v_pk_max_f16 v21, v60, v60
	v_pk_add_f16 v10, v10, v12
	v_pk_min_f16 v20, v21, v20
	v_pk_add_f16 v21, v11, v15
	v_pk_add_f16 v11, v11, v13
	v_pk_min_f16 v60, v20, v21
	v_pk_add_f16 v20, v8, v14
	v_pk_max_f16 v21, v62, v62
	v_pk_add_f16 v8, v8, v12
	v_pk_min_f16 v20, v21, v20
	v_pk_add_f16 v21, v9, v15
	v_pk_add_f16 v9, v9, v13
	;; [unrolled: 7-line block ×5, first 2 shown]
	v_pk_min_f16 v65, v20, v21
	v_pk_max_f16 v20, v66, v66
	v_pk_add_f16 v2, v2, v12
	v_pk_min_f16 v14, v20, v14
	v_pk_add_f16 v3, v3, v13
	v_pk_min_f16 v66, v14, v15
	v_pk_add_f16 v14, v18, v12
	v_pk_max_f16 v15, v57, v57
	v_pk_add_f16 v0, v0, v12
	v_pk_min_f16 v14, v15, v14
	v_pk_add_f16 v15, v19, v13
	v_pk_add_f16 v1, v1, v13
	v_pk_min_f16 v57, v14, v15
	v_pk_add_f16 v14, v16, v12
	v_pk_max_f16 v15, v58, v58
	s_nop 0
	v_pk_min_f16 v14, v15, v14
	v_pk_add_f16 v15, v17, v13
	s_nop 0
	v_pk_min_f16 v58, v14, v15
	v_pk_max_f16 v14, v55, v55
	s_nop 0
	v_pk_min_f16 v10, v14, v10
	s_nop 0
	v_pk_min_f16 v55, v10, v11
	v_pk_max_f16 v10, v56, v56
	s_nop 0
	v_pk_min_f16 v8, v10, v8
	;; [unrolled: 5-line block ×6, first 2 shown]
	s_nop 0
	v_pk_min_f16 v50, v0, v1
	ds_read2_b64 v[16:19], v43 offset1:32
	ds_read2_b64 v[12:15], v43 offset0:64 offset1:96
	ds_read2_b64 v[8:11], v43 offset0:128 offset1:160
	;; [unrolled: 1-line block ×3, first 2 shown]
	ds_read2_b64 v[28:31], v44 offset1:8
	ds_read2_b64 v[24:27], v44 offset0:16 offset1:24
	ds_read2_b64 v[20:23], v44 offset0:32 offset1:40
	;; [unrolled: 1-line block ×3, first 2 shown]
	s_waitcnt vmcnt(0) lgkmcnt(0)
	ds_write_b16 v47, v119
	ds_write_b16 v47, v118 offset:512
	ds_write_b16 v47, v117 offset:1024
	;; [unrolled: 1-line block ×3, first 2 shown]
	ds_write_b16 v48, v115
	v_pk_add_f16 v120, v16, v28
	s_waitcnt lgkmcnt(0)
	v_pk_min_f16 v50, v50, v120
	v_pk_add_f16 v120, v18, v28
	s_barrier
	v_pk_min_f16 v52, v52, v120
	v_pk_add_f16 v120, v12, v28
	s_nop 0
	v_pk_min_f16 v54, v54, v120
	v_pk_add_f16 v120, v14, v28
	s_nop 0
	v_pk_min_f16 v53, v53, v120
	v_pk_add_f16 v120, v8, v28
	s_nop 0
	v_pk_min_f16 v56, v56, v120
	v_pk_add_f16 v120, v10, v28
	s_nop 0
	v_pk_min_f16 v55, v55, v120
	v_pk_add_f16 v120, v0, v28
	v_pk_add_f16 v28, v2, v28
	v_pk_min_f16 v58, v58, v120
	v_pk_min_f16 v57, v57, v28
	v_pk_add_f16 v28, v16, v30
	s_nop 0
	v_pk_min_f16 v66, v66, v28
	v_pk_add_f16 v28, v18, v30
	s_nop 0
	v_pk_min_f16 v65, v65, v28
	v_pk_add_f16 v28, v12, v30
	s_nop 0
	v_pk_min_f16 v64, v64, v28
	v_pk_add_f16 v28, v14, v30
	s_nop 0
	v_pk_min_f16 v63, v63, v28
	v_pk_add_f16 v28, v8, v30
	s_nop 0
	v_pk_min_f16 v62, v62, v28
	v_pk_add_f16 v28, v10, v30
	s_nop 0
	v_pk_min_f16 v60, v60, v28
	v_pk_add_f16 v28, v0, v30
	s_nop 0
	v_pk_min_f16 v59, v59, v28
	v_pk_add_f16 v28, v2, v30
	s_nop 0
	v_pk_min_f16 v61, v61, v28
	v_pk_add_f16 v28, v16, v24
	s_nop 0
	v_pk_min_f16 v68, v68, v28
	v_pk_add_f16 v28, v18, v24
	s_nop 0
	v_pk_min_f16 v67, v67, v28
	v_pk_add_f16 v28, v12, v24
	s_nop 0
	v_pk_min_f16 v69, v69, v28
	v_pk_add_f16 v28, v14, v24
	s_nop 0
	v_pk_min_f16 v70, v70, v28
	v_pk_add_f16 v28, v8, v24
	s_nop 0
	v_pk_min_f16 v71, v71, v28
	v_pk_add_f16 v28, v10, v24
	s_nop 0
	v_pk_min_f16 v73, v73, v28
	v_pk_add_f16 v28, v0, v24
	v_pk_add_f16 v24, v2, v24
	v_pk_min_f16 v76, v76, v28
	v_pk_min_f16 v78, v78, v24
	v_pk_add_f16 v24, v16, v26
	s_nop 0
	v_pk_min_f16 v74, v74, v24
	v_pk_add_f16 v24, v18, v26
	s_nop 0
	v_pk_min_f16 v72, v72, v24
	v_pk_add_f16 v24, v12, v26
	s_nop 0
	v_pk_min_f16 v75, v75, v24
	v_pk_add_f16 v24, v14, v26
	s_nop 0
	v_pk_min_f16 v77, v77, v24
	v_pk_add_f16 v24, v8, v26
	s_nop 0
	v_pk_min_f16 v79, v79, v24
	v_pk_add_f16 v24, v10, v26
	s_nop 0
	v_pk_min_f16 v80, v80, v24
	v_pk_add_f16 v24, v0, v26
	s_nop 0
	v_pk_min_f16 v81, v81, v24
	v_pk_add_f16 v24, v2, v26
	s_nop 0
	v_pk_min_f16 v82, v82, v24
	v_pk_add_f16 v24, v16, v20
	s_nop 0
	v_pk_min_f16 v84, v84, v24
	v_pk_add_f16 v24, v18, v20
	s_nop 0
	;; [unrolled: 46-line block ×3, first 2 shown]
	v_pk_min_f16 v22, v105, v20
	v_pk_add_f16 v20, v12, v4
	s_nop 0
	v_pk_min_f16 v24, v104, v20
	v_pk_add_f16 v20, v14, v4
	s_nop 0
	;; [unrolled: 3-line block ×4, first 2 shown]
	v_pk_min_f16 v30, v101, v20
	v_pk_add_f16 v20, v0, v4
	v_pk_add_f16 v4, v2, v4
	v_pk_min_f16 v100, v100, v20
	v_pk_min_f16 v99, v99, v4
	v_pk_add_f16 v4, v16, v6
	v_pk_add_f16 v0, v0, v6
	v_pk_min_f16 v20, v108, v4
	v_pk_add_f16 v4, v18, v6
	s_nop 0
	v_pk_min_f16 v18, v107, v4
	v_pk_add_f16 v4, v12, v6
	s_nop 0
	;; [unrolled: 3-line block ×5, first 2 shown]
	v_pk_min_f16 v8, v112, v4
	v_pk_min_f16 v4, v113, v0
	v_pk_add_f16 v0, v2, v6
	v_pk_add_f16 v2, v17, v29
	v_pk_min_f16 v0, v114, v0
	v_pk_min_f16 v50, v50, v2
	v_pk_add_f16 v2, v19, v29
	s_nop 0
	v_pk_min_f16 v52, v52, v2
	v_pk_add_f16 v2, v13, v29
	s_nop 0
	;; [unrolled: 3-line block ×53, first 2 shown]
	v_pk_min_f16 v101, v30, v2
	v_pk_add_f16 v2, v1, v5
	v_pk_add_f16 v1, v1, v7
	v_pk_min_f16 v100, v100, v2
	v_pk_add_f16 v2, v3, v5
	v_pk_min_f16 v113, v4, v1
	v_pk_min_f16 v99, v99, v2
	v_pk_add_f16 v2, v17, v7
	v_pk_add_f16 v1, v3, v7
	v_pk_min_f16 v108, v20, v2
	v_pk_add_f16 v2, v19, v7
	v_pk_min_f16 v114, v0, v1
	v_pk_min_f16 v107, v18, v2
	v_pk_add_f16 v2, v13, v7
	s_nop 0
	v_pk_min_f16 v109, v16, v2
	v_pk_add_f16 v2, v15, v7
	s_nop 0
	;; [unrolled: 3-line block ×4, first 2 shown]
	v_pk_min_f16 v112, v8, v2
	s_cbranch_scc0 .LBB259_11
.LBB259_12:
	s_load_dword s14, s[0:1], 0x50
	ds_read_b64 v[30:31], v43 offset:2048
	ds_read_b64 v[46:47], v42 offset:4608
	v_add_u32_e32 v115, s15, v41
	v_cmp_neq_f16_e64 s[8:9], s12, 0
	v_add_u32_e32 v28, s2, v40
	s_waitcnt lgkmcnt(0)
	v_mad_i64_i32 v[0:1], s[16:17], v115, s14, 0
	v_ashrrev_i32_e32 v29, 31, v28
	v_lshl_add_u64 v[48:49], v[0:1], 1, s[6:7]
	s_and_b64 vcc, exec, s[8:9]
	v_mov_b32_e32 v36, 0
	v_mov_b32_e32 v34, 0
	s_cbranch_vccz .LBB259_14
; %bb.13:
	v_lshl_add_u64 v[0:1], v[28:29], 1, v[48:49]
	flat_load_ushort v0, v[0:1]
	s_waitcnt vmcnt(0) lgkmcnt(0)
	v_mul_f16_e32 v34, s12, v0
.LBB259_14:
	v_add_u32_e32 v0, 0x800, v43
	ds_read2_b64 v[8:11], v0 offset0:32 offset1:64
	ds_read2_b64 v[4:7], v0 offset0:96 offset1:128
	;; [unrolled: 1-line block ×3, first 2 shown]
	ds_read_b64 v[24:25], v43 offset:3840
	s_load_dword s15, s[0:1], 0x68
	s_load_dwordx2 s[16:17], s[0:1], 0x70
	v_add_u32_e32 v12, 0x1000, v42
	ds_read2_b64 v[20:23], v12 offset0:72 offset1:80
	ds_read2_b64 v[16:19], v12 offset0:88 offset1:96
	;; [unrolled: 1-line block ×3, first 2 shown]
	ds_read_b64 v[26:27], v42 offset:5056
	v_pk_add_f16 v32, v30, v46
	v_pk_max_f16 v33, v50, v50
	s_waitcnt lgkmcnt(0)
	s_mul_i32 s0, s3, s17
	s_mul_hi_u32 s1, s3, s16
	s_add_i32 s0, s1, s0
	s_mul_i32 s1, s13, s16
	s_add_i32 s1, s0, s1
	s_mul_i32 s0, s3, s16
	s_lshl_b64 s[0:1], s[0:1], 1
	s_add_u32 s2, s10, s0
	v_pk_min_f16 v32, v33, v32
	v_pk_add_f16 v33, v31, v47
	s_addc_u32 s3, s11, s1
	v_pk_min_f16 v35, v32, v33
	v_mad_i64_i32 v[38:39], s[0:1], v115, s15, 0
	v_add_u32_e32 v32, 32, v28
	v_lshl_add_u64 v[50:51], v[38:39], 1, s[2:3]
	v_lshrrev_b32_e32 v37, 16, v35
	v_cndmask_b32_e64 v38, 0, 1, s[8:9]
	v_ashrrev_i32_e32 v33, 31, v32
	v_min3_f16 v37, v34, v35, v37
	v_lshl_add_u64 v[34:35], v[28:29], 1, v[50:51]
	v_cmp_ne_u32_e64 s[0:1], 1, v38
	s_andn2_b64 vcc, exec, s[8:9]
	global_store_short v[34:35], v37, off
	s_cbranch_vccnz .LBB259_16
; %bb.15:
	v_lshl_add_u64 v[34:35], v[32:33], 1, v[48:49]
	flat_load_ushort v34, v[34:35]
	s_waitcnt vmcnt(0) lgkmcnt(0)
	v_mul_f16_e32 v36, s12, v34
.LBB259_16:
	v_pk_add_f16 v34, v8, v46
	v_pk_max_f16 v35, v52, v52
	s_and_b64 vcc, exec, s[0:1]
	v_pk_min_f16 v34, v35, v34
	v_pk_add_f16 v35, v9, v47
	v_mov_b32_e32 v39, 0
	v_pk_min_f16 v37, v34, v35
	v_add_u32_e32 v34, 64, v28
	v_lshrrev_b32_e32 v38, 16, v37
	v_min3_f16 v38, v36, v37, v38
	v_lshl_add_u64 v[36:37], v[32:33], 1, v[50:51]
	v_ashrrev_i32_e32 v35, 31, v34
	global_store_short v[36:37], v38, off
	v_mov_b32_e32 v38, 0
	s_cbranch_vccnz .LBB259_18
; %bb.17:
	v_lshl_add_u64 v[36:37], v[34:35], 1, v[48:49]
	flat_load_ushort v36, v[36:37]
	s_waitcnt vmcnt(0) lgkmcnt(0)
	v_mul_f16_e32 v39, s12, v36
.LBB259_18:
	v_pk_add_f16 v36, v10, v46
	v_pk_max_f16 v37, v54, v54
	s_and_b64 vcc, exec, s[0:1]
	v_pk_min_f16 v36, v37, v36
	v_pk_add_f16 v37, v11, v47
	s_nop 0
	v_pk_min_f16 v40, v36, v37
	v_add_u32_e32 v36, 0x60, v28
	v_lshrrev_b32_e32 v41, 16, v40
	v_ashrrev_i32_e32 v37, 31, v36
	v_min3_f16 v39, v39, v40, v41
	v_lshl_add_u64 v[40:41], v[34:35], 1, v[50:51]
	global_store_short v[40:41], v39, off
	s_cbranch_vccnz .LBB259_20
; %bb.19:
	v_lshl_add_u64 v[38:39], v[36:37], 1, v[48:49]
	flat_load_ushort v38, v[38:39]
	s_waitcnt vmcnt(0) lgkmcnt(0)
	v_mul_f16_e32 v38, s12, v38
.LBB259_20:
	v_pk_add_f16 v39, v4, v46
	v_pk_max_f16 v40, v53, v53
	v_add_u32_e32 v44, 0x80, v28
	v_pk_min_f16 v39, v40, v39
	v_pk_add_f16 v40, v5, v47
	v_ashrrev_i32_e32 v45, 31, v44
	v_pk_min_f16 v39, v39, v40
	s_and_b64 vcc, exec, s[0:1]
	v_lshrrev_b32_e32 v40, 16, v39
	v_min3_f16 v40, v38, v39, v40
	v_lshl_add_u64 v[38:39], v[36:37], 1, v[50:51]
	global_store_short v[38:39], v40, off
	v_mov_b32_e32 v38, 0
	v_mov_b32_e32 v39, 0
	s_cbranch_vccnz .LBB259_22
; %bb.21:
	v_lshl_add_u64 v[40:41], v[44:45], 1, v[48:49]
	flat_load_ushort v39, v[40:41]
	s_waitcnt vmcnt(0) lgkmcnt(0)
	v_mul_f16_e32 v39, s12, v39
.LBB259_22:
	v_pk_add_f16 v40, v6, v46
	v_pk_max_f16 v41, v56, v56
	v_add_u32_e32 v42, 0xa0, v28
	v_pk_min_f16 v40, v41, v40
	v_pk_add_f16 v41, v7, v47
	v_ashrrev_i32_e32 v43, 31, v42
	v_pk_min_f16 v40, v40, v41
	s_and_b64 vcc, exec, s[0:1]
	v_lshrrev_b32_e32 v41, 16, v40
	v_min3_f16 v39, v39, v40, v41
	v_lshl_add_u64 v[40:41], v[44:45], 1, v[50:51]
	global_store_short v[40:41], v39, off
	s_cbranch_vccnz .LBB259_24
; %bb.23:
	v_lshl_add_u64 v[38:39], v[42:43], 1, v[48:49]
	flat_load_ushort v38, v[38:39]
	s_waitcnt vmcnt(0) lgkmcnt(0)
	v_mul_f16_e32 v38, s12, v38
.LBB259_24:
	v_pk_add_f16 v39, v0, v46
	v_pk_max_f16 v40, v55, v55
	s_and_b64 vcc, exec, s[0:1]
	v_pk_min_f16 v39, v40, v39
	v_pk_add_f16 v40, v1, v47
	v_mov_b32_e32 v53, 0
	v_pk_min_f16 v39, v39, v40
	v_add_u32_e32 v40, 0xc0, v28
	v_lshrrev_b32_e32 v52, 16, v39
	v_min3_f16 v52, v38, v39, v52
	v_lshl_add_u64 v[38:39], v[42:43], 1, v[50:51]
	v_ashrrev_i32_e32 v41, 31, v40
	global_store_short v[38:39], v52, off
	v_mov_b32_e32 v52, 0
	s_cbranch_vccnz .LBB259_26
; %bb.25:
	v_lshl_add_u64 v[38:39], v[40:41], 1, v[48:49]
	flat_load_ushort v38, v[38:39]
	s_waitcnt vmcnt(0) lgkmcnt(0)
	v_mul_f16_e32 v53, s12, v38
.LBB259_26:
	v_pk_add_f16 v38, v2, v46
	v_pk_max_f16 v39, v58, v58
	s_and_b64 vcc, exec, s[0:1]
	v_pk_min_f16 v38, v39, v38
	v_pk_add_f16 v39, v3, v47
	s_nop 0
	v_pk_min_f16 v54, v38, v39
	v_add_u32_e32 v38, 0xe0, v28
	v_lshrrev_b32_e32 v55, 16, v54
	v_ashrrev_i32_e32 v39, 31, v38
	v_min3_f16 v53, v53, v54, v55
	v_lshl_add_u64 v[54:55], v[40:41], 1, v[50:51]
	global_store_short v[54:55], v53, off
	s_cbranch_vccnz .LBB259_28
; %bb.27:
	v_lshl_add_u64 v[48:49], v[38:39], 1, v[48:49]
	flat_load_ushort v48, v[48:49]
	s_waitcnt vmcnt(0) lgkmcnt(0)
	v_mul_f16_e32 v52, s12, v48
.LBB259_28:
	v_pk_add_f16 v46, v24, v46
	v_pk_max_f16 v48, v57, v57
	v_pk_add_f16 v47, v25, v47
	v_pk_min_f16 v46, v48, v46
	s_and_b64 vcc, exec, s[0:1]
	v_pk_min_f16 v46, v46, v47
	s_nop 0
	v_lshrrev_b32_e32 v47, 16, v46
	v_min3_f16 v48, v52, v46, v47
	v_lshl_add_u64 v[46:47], v[38:39], 1, v[50:51]
	global_store_short v[46:47], v48, off
	v_add_u32_e32 v48, 8, v115
	v_mad_i64_i32 v[46:47], s[8:9], v48, s14, 0
	v_lshl_add_u64 v[46:47], v[46:47], 1, s[6:7]
	v_mov_b32_e32 v50, 0
	v_mov_b32_e32 v51, 0
	s_cbranch_vccnz .LBB259_30
; %bb.29:
	v_lshl_add_u64 v[52:53], v[28:29], 1, v[46:47]
	flat_load_ushort v49, v[52:53]
	s_waitcnt vmcnt(0) lgkmcnt(0)
	v_mul_f16_e32 v51, s12, v49
.LBB259_30:
	v_pk_add_f16 v49, v30, v20
	v_pk_max_f16 v52, v66, v66
	s_and_b64 vcc, exec, s[0:1]
	v_pk_min_f16 v49, v52, v49
	v_pk_add_f16 v52, v31, v21
	s_nop 0
	v_pk_min_f16 v52, v49, v52
	v_mad_i64_i32 v[48:49], s[8:9], v48, s15, 0
	v_lshl_add_u64 v[48:49], v[48:49], 1, s[2:3]
	v_lshrrev_b32_e32 v53, 16, v52
	v_min3_f16 v51, v51, v52, v53
	v_lshl_add_u64 v[52:53], v[28:29], 1, v[48:49]
	global_store_short v[52:53], v51, off
	s_cbranch_vccnz .LBB259_32
; %bb.31:
	v_lshl_add_u64 v[50:51], v[32:33], 1, v[46:47]
	flat_load_ushort v50, v[50:51]
	s_waitcnt vmcnt(0) lgkmcnt(0)
	v_mul_f16_e32 v50, s12, v50
.LBB259_32:
	v_pk_add_f16 v51, v8, v20
	v_pk_max_f16 v52, v65, v65
	s_and_b64 vcc, exec, s[0:1]
	v_pk_min_f16 v51, v52, v51
	v_pk_add_f16 v52, v9, v21
	s_nop 0
	v_pk_min_f16 v51, v51, v52
	s_nop 0
	v_lshrrev_b32_e32 v52, 16, v51
	v_min3_f16 v52, v50, v51, v52
	v_lshl_add_u64 v[50:51], v[32:33], 1, v[48:49]
	global_store_short v[50:51], v52, off
	v_mov_b32_e32 v50, 0
	v_mov_b32_e32 v51, 0
	s_cbranch_vccnz .LBB259_34
; %bb.33:
	v_lshl_add_u64 v[52:53], v[34:35], 1, v[46:47]
	flat_load_ushort v51, v[52:53]
	s_waitcnt vmcnt(0) lgkmcnt(0)
	v_mul_f16_e32 v51, s12, v51
.LBB259_34:
	v_pk_add_f16 v52, v10, v20
	v_pk_max_f16 v53, v64, v64
	s_and_b64 vcc, exec, s[0:1]
	v_pk_min_f16 v52, v53, v52
	v_pk_add_f16 v53, v11, v21
	s_nop 0
	v_pk_min_f16 v52, v52, v53
	s_nop 0
	v_lshrrev_b32_e32 v53, 16, v52
	v_min3_f16 v51, v51, v52, v53
	v_lshl_add_u64 v[52:53], v[34:35], 1, v[48:49]
	global_store_short v[52:53], v51, off
	s_cbranch_vccnz .LBB259_36
; %bb.35:
	v_lshl_add_u64 v[50:51], v[36:37], 1, v[46:47]
	flat_load_ushort v50, v[50:51]
	s_waitcnt vmcnt(0) lgkmcnt(0)
	v_mul_f16_e32 v50, s12, v50
.LBB259_36:
	v_pk_add_f16 v51, v4, v20
	v_pk_max_f16 v52, v63, v63
	s_and_b64 vcc, exec, s[0:1]
	v_pk_min_f16 v51, v52, v51
	v_pk_add_f16 v52, v5, v21
	s_nop 0
	v_pk_min_f16 v51, v51, v52
	s_nop 0
	v_lshrrev_b32_e32 v52, 16, v51
	v_min3_f16 v52, v50, v51, v52
	v_lshl_add_u64 v[50:51], v[36:37], 1, v[48:49]
	global_store_short v[50:51], v52, off
	v_mov_b32_e32 v50, 0
	v_mov_b32_e32 v51, 0
	s_cbranch_vccnz .LBB259_38
; %bb.37:
	v_lshl_add_u64 v[52:53], v[44:45], 1, v[46:47]
	flat_load_ushort v51, v[52:53]
	s_waitcnt vmcnt(0) lgkmcnt(0)
	v_mul_f16_e32 v51, s12, v51
.LBB259_38:
	v_pk_add_f16 v52, v6, v20
	v_pk_max_f16 v53, v62, v62
	s_and_b64 vcc, exec, s[0:1]
	v_pk_min_f16 v52, v53, v52
	v_pk_add_f16 v53, v7, v21
	s_nop 0
	v_pk_min_f16 v52, v52, v53
	s_nop 0
	;; [unrolled: 40-line block ×3, first 2 shown]
	v_lshrrev_b32_e32 v53, 16, v52
	v_min3_f16 v51, v51, v52, v53
	v_lshl_add_u64 v[52:53], v[40:41], 1, v[48:49]
	global_store_short v[52:53], v51, off
	s_cbranch_vccnz .LBB259_44
; %bb.43:
	v_lshl_add_u64 v[46:47], v[38:39], 1, v[46:47]
	flat_load_ushort v46, v[46:47]
	s_waitcnt vmcnt(0) lgkmcnt(0)
	v_mul_f16_e32 v50, s12, v46
.LBB259_44:
	v_pk_add_f16 v20, v24, v20
	v_pk_max_f16 v46, v61, v61
	v_pk_add_f16 v21, v25, v21
	v_pk_min_f16 v20, v46, v20
	s_and_b64 vcc, exec, s[0:1]
	v_pk_min_f16 v20, v20, v21
	s_nop 0
	v_lshrrev_b32_e32 v21, 16, v20
	v_min3_f16 v46, v50, v20, v21
	v_lshl_add_u64 v[20:21], v[38:39], 1, v[48:49]
	global_store_short v[20:21], v46, off
	v_add_u32_e32 v46, 16, v115
	v_mad_i64_i32 v[20:21], s[8:9], v46, s14, 0
	v_lshl_add_u64 v[20:21], v[20:21], 1, s[6:7]
	v_mov_b32_e32 v48, 0
	v_mov_b32_e32 v49, 0
	s_cbranch_vccnz .LBB259_46
; %bb.45:
	v_lshl_add_u64 v[50:51], v[28:29], 1, v[20:21]
	flat_load_ushort v47, v[50:51]
	s_waitcnt vmcnt(0) lgkmcnt(0)
	v_mul_f16_e32 v49, s12, v47
.LBB259_46:
	v_pk_add_f16 v47, v30, v22
	v_pk_max_f16 v50, v68, v68
	s_and_b64 vcc, exec, s[0:1]
	v_pk_min_f16 v47, v50, v47
	v_pk_add_f16 v50, v31, v23
	s_nop 0
	v_pk_min_f16 v50, v47, v50
	v_mad_i64_i32 v[46:47], s[8:9], v46, s15, 0
	v_lshl_add_u64 v[46:47], v[46:47], 1, s[2:3]
	v_lshrrev_b32_e32 v51, 16, v50
	v_min3_f16 v49, v49, v50, v51
	v_lshl_add_u64 v[50:51], v[28:29], 1, v[46:47]
	global_store_short v[50:51], v49, off
	s_cbranch_vccnz .LBB259_48
; %bb.47:
	v_lshl_add_u64 v[48:49], v[32:33], 1, v[20:21]
	flat_load_ushort v48, v[48:49]
	s_waitcnt vmcnt(0) lgkmcnt(0)
	v_mul_f16_e32 v48, s12, v48
.LBB259_48:
	v_pk_add_f16 v49, v8, v22
	v_pk_max_f16 v50, v67, v67
	s_and_b64 vcc, exec, s[0:1]
	v_pk_min_f16 v49, v50, v49
	v_pk_add_f16 v50, v9, v23
	s_nop 0
	v_pk_min_f16 v49, v49, v50
	s_nop 0
	v_lshrrev_b32_e32 v50, 16, v49
	v_min3_f16 v50, v48, v49, v50
	v_lshl_add_u64 v[48:49], v[32:33], 1, v[46:47]
	global_store_short v[48:49], v50, off
	v_mov_b32_e32 v48, 0
	v_mov_b32_e32 v49, 0
	s_cbranch_vccnz .LBB259_50
; %bb.49:
	v_lshl_add_u64 v[50:51], v[34:35], 1, v[20:21]
	flat_load_ushort v49, v[50:51]
	s_waitcnt vmcnt(0) lgkmcnt(0)
	v_mul_f16_e32 v49, s12, v49
.LBB259_50:
	v_pk_add_f16 v50, v10, v22
	v_pk_max_f16 v51, v69, v69
	s_and_b64 vcc, exec, s[0:1]
	v_pk_min_f16 v50, v51, v50
	v_pk_add_f16 v51, v11, v23
	s_nop 0
	v_pk_min_f16 v50, v50, v51
	s_nop 0
	v_lshrrev_b32_e32 v51, 16, v50
	v_min3_f16 v49, v49, v50, v51
	v_lshl_add_u64 v[50:51], v[34:35], 1, v[46:47]
	global_store_short v[50:51], v49, off
	s_cbranch_vccnz .LBB259_52
; %bb.51:
	v_lshl_add_u64 v[48:49], v[36:37], 1, v[20:21]
	flat_load_ushort v48, v[48:49]
	s_waitcnt vmcnt(0) lgkmcnt(0)
	v_mul_f16_e32 v48, s12, v48
.LBB259_52:
	v_pk_add_f16 v49, v4, v22
	v_pk_max_f16 v50, v70, v70
	s_and_b64 vcc, exec, s[0:1]
	v_pk_min_f16 v49, v50, v49
	v_pk_add_f16 v50, v5, v23
	s_nop 0
	v_pk_min_f16 v49, v49, v50
	s_nop 0
	v_lshrrev_b32_e32 v50, 16, v49
	v_min3_f16 v50, v48, v49, v50
	v_lshl_add_u64 v[48:49], v[36:37], 1, v[46:47]
	global_store_short v[48:49], v50, off
	v_mov_b32_e32 v48, 0
	v_mov_b32_e32 v49, 0
	s_cbranch_vccnz .LBB259_54
; %bb.53:
	v_lshl_add_u64 v[50:51], v[44:45], 1, v[20:21]
	flat_load_ushort v49, v[50:51]
	s_waitcnt vmcnt(0) lgkmcnt(0)
	v_mul_f16_e32 v49, s12, v49
.LBB259_54:
	v_pk_add_f16 v50, v6, v22
	v_pk_max_f16 v51, v71, v71
	s_and_b64 vcc, exec, s[0:1]
	v_pk_min_f16 v50, v51, v50
	v_pk_add_f16 v51, v7, v23
	s_nop 0
	v_pk_min_f16 v50, v50, v51
	s_nop 0
	;; [unrolled: 40-line block ×3, first 2 shown]
	v_lshrrev_b32_e32 v51, 16, v50
	v_min3_f16 v49, v49, v50, v51
	v_lshl_add_u64 v[50:51], v[40:41], 1, v[46:47]
	global_store_short v[50:51], v49, off
	s_cbranch_vccnz .LBB259_60
; %bb.59:
	v_lshl_add_u64 v[20:21], v[38:39], 1, v[20:21]
	flat_load_ushort v20, v[20:21]
	s_waitcnt vmcnt(0) lgkmcnt(0)
	v_mul_f16_e32 v48, s12, v20
.LBB259_60:
	v_pk_add_f16 v20, v24, v22
	v_pk_max_f16 v21, v78, v78
	s_and_b64 vcc, exec, s[0:1]
	v_pk_min_f16 v20, v21, v20
	v_pk_add_f16 v21, v25, v23
	s_nop 0
	v_pk_min_f16 v20, v20, v21
	s_nop 0
	v_lshrrev_b32_e32 v21, 16, v20
	v_min3_f16 v22, v48, v20, v21
	v_lshl_add_u64 v[20:21], v[38:39], 1, v[46:47]
	global_store_short v[20:21], v22, off
	v_add_u32_e32 v22, 24, v115
	v_mad_i64_i32 v[20:21], s[8:9], v22, s14, 0
	v_lshl_add_u64 v[20:21], v[20:21], 1, s[6:7]
	v_mov_b32_e32 v46, 0
	v_mov_b32_e32 v47, 0
	s_cbranch_vccnz .LBB259_62
; %bb.61:
	v_lshl_add_u64 v[48:49], v[28:29], 1, v[20:21]
	flat_load_ushort v23, v[48:49]
	s_waitcnt vmcnt(0) lgkmcnt(0)
	v_mul_f16_e32 v47, s12, v23
.LBB259_62:
	v_pk_add_f16 v23, v30, v16
	v_pk_max_f16 v48, v74, v74
	s_and_b64 vcc, exec, s[0:1]
	v_pk_min_f16 v23, v48, v23
	v_pk_add_f16 v48, v31, v17
	s_nop 0
	v_pk_min_f16 v48, v23, v48
	v_mad_i64_i32 v[22:23], s[8:9], v22, s15, 0
	v_lshl_add_u64 v[22:23], v[22:23], 1, s[2:3]
	v_lshrrev_b32_e32 v49, 16, v48
	v_min3_f16 v47, v47, v48, v49
	v_lshl_add_u64 v[48:49], v[28:29], 1, v[22:23]
	global_store_short v[48:49], v47, off
	s_cbranch_vccnz .LBB259_64
; %bb.63:
	v_lshl_add_u64 v[46:47], v[32:33], 1, v[20:21]
	flat_load_ushort v46, v[46:47]
	s_waitcnt vmcnt(0) lgkmcnt(0)
	v_mul_f16_e32 v46, s12, v46
.LBB259_64:
	v_pk_add_f16 v47, v8, v16
	v_pk_max_f16 v48, v72, v72
	s_and_b64 vcc, exec, s[0:1]
	v_pk_min_f16 v47, v48, v47
	v_pk_add_f16 v48, v9, v17
	s_nop 0
	v_pk_min_f16 v47, v47, v48
	s_nop 0
	v_lshrrev_b32_e32 v48, 16, v47
	v_min3_f16 v48, v46, v47, v48
	v_lshl_add_u64 v[46:47], v[32:33], 1, v[22:23]
	global_store_short v[46:47], v48, off
	v_mov_b32_e32 v46, 0
	v_mov_b32_e32 v47, 0
	s_cbranch_vccnz .LBB259_66
; %bb.65:
	v_lshl_add_u64 v[48:49], v[34:35], 1, v[20:21]
	flat_load_ushort v47, v[48:49]
	s_waitcnt vmcnt(0) lgkmcnt(0)
	v_mul_f16_e32 v47, s12, v47
.LBB259_66:
	v_pk_add_f16 v48, v10, v16
	v_pk_max_f16 v49, v75, v75
	s_and_b64 vcc, exec, s[0:1]
	v_pk_min_f16 v48, v49, v48
	v_pk_add_f16 v49, v11, v17
	s_nop 0
	v_pk_min_f16 v48, v48, v49
	s_nop 0
	v_lshrrev_b32_e32 v49, 16, v48
	v_min3_f16 v47, v47, v48, v49
	v_lshl_add_u64 v[48:49], v[34:35], 1, v[22:23]
	global_store_short v[48:49], v47, off
	s_cbranch_vccnz .LBB259_68
; %bb.67:
	v_lshl_add_u64 v[46:47], v[36:37], 1, v[20:21]
	flat_load_ushort v46, v[46:47]
	s_waitcnt vmcnt(0) lgkmcnt(0)
	v_mul_f16_e32 v46, s12, v46
.LBB259_68:
	v_pk_add_f16 v47, v4, v16
	v_pk_max_f16 v48, v77, v77
	s_and_b64 vcc, exec, s[0:1]
	v_pk_min_f16 v47, v48, v47
	v_pk_add_f16 v48, v5, v17
	s_nop 0
	v_pk_min_f16 v47, v47, v48
	s_nop 0
	v_lshrrev_b32_e32 v48, 16, v47
	v_min3_f16 v48, v46, v47, v48
	v_lshl_add_u64 v[46:47], v[36:37], 1, v[22:23]
	global_store_short v[46:47], v48, off
	v_mov_b32_e32 v46, 0
	v_mov_b32_e32 v47, 0
	s_cbranch_vccnz .LBB259_70
; %bb.69:
	v_lshl_add_u64 v[48:49], v[44:45], 1, v[20:21]
	flat_load_ushort v47, v[48:49]
	s_waitcnt vmcnt(0) lgkmcnt(0)
	v_mul_f16_e32 v47, s12, v47
.LBB259_70:
	v_pk_add_f16 v48, v6, v16
	v_pk_max_f16 v49, v79, v79
	s_and_b64 vcc, exec, s[0:1]
	v_pk_min_f16 v48, v49, v48
	v_pk_add_f16 v49, v7, v17
	s_nop 0
	v_pk_min_f16 v48, v48, v49
	s_nop 0
	;; [unrolled: 40-line block ×3, first 2 shown]
	v_lshrrev_b32_e32 v49, 16, v48
	v_min3_f16 v47, v47, v48, v49
	v_lshl_add_u64 v[48:49], v[40:41], 1, v[22:23]
	global_store_short v[48:49], v47, off
	s_cbranch_vccnz .LBB259_76
; %bb.75:
	v_lshl_add_u64 v[20:21], v[38:39], 1, v[20:21]
	flat_load_ushort v20, v[20:21]
	s_waitcnt vmcnt(0) lgkmcnt(0)
	v_mul_f16_e32 v46, s12, v20
.LBB259_76:
	v_pk_add_f16 v16, v24, v16
	v_pk_max_f16 v20, v82, v82
	v_pk_add_f16 v17, v25, v17
	v_pk_min_f16 v16, v20, v16
	s_and_b64 vcc, exec, s[0:1]
	v_pk_min_f16 v16, v16, v17
	s_nop 0
	v_lshrrev_b32_e32 v17, 16, v16
	v_min3_f16 v20, v46, v16, v17
	v_lshl_add_u64 v[16:17], v[38:39], 1, v[22:23]
	global_store_short v[16:17], v20, off
	v_add_u32_e32 v20, 32, v115
	v_mad_i64_i32 v[16:17], s[8:9], v20, s14, 0
	v_lshl_add_u64 v[16:17], v[16:17], 1, s[6:7]
	v_mov_b32_e32 v22, 0
	v_mov_b32_e32 v23, 0
	s_cbranch_vccnz .LBB259_78
; %bb.77:
	v_lshl_add_u64 v[46:47], v[28:29], 1, v[16:17]
	flat_load_ushort v21, v[46:47]
	s_waitcnt vmcnt(0) lgkmcnt(0)
	v_mul_f16_e32 v23, s12, v21
.LBB259_78:
	v_pk_add_f16 v21, v30, v18
	v_pk_max_f16 v46, v84, v84
	s_and_b64 vcc, exec, s[0:1]
	v_pk_min_f16 v21, v46, v21
	v_pk_add_f16 v46, v31, v19
	s_nop 0
	v_pk_min_f16 v46, v21, v46
	v_mad_i64_i32 v[20:21], s[8:9], v20, s15, 0
	v_lshl_add_u64 v[20:21], v[20:21], 1, s[2:3]
	v_lshrrev_b32_e32 v47, 16, v46
	v_min3_f16 v23, v23, v46, v47
	v_lshl_add_u64 v[46:47], v[28:29], 1, v[20:21]
	global_store_short v[46:47], v23, off
	s_cbranch_vccnz .LBB259_80
; %bb.79:
	v_lshl_add_u64 v[22:23], v[32:33], 1, v[16:17]
	flat_load_ushort v22, v[22:23]
	s_waitcnt vmcnt(0) lgkmcnt(0)
	v_mul_f16_e32 v22, s12, v22
.LBB259_80:
	v_pk_add_f16 v23, v8, v18
	v_pk_max_f16 v46, v83, v83
	s_and_b64 vcc, exec, s[0:1]
	v_pk_min_f16 v23, v46, v23
	v_pk_add_f16 v46, v9, v19
	s_nop 0
	v_pk_min_f16 v23, v23, v46
	s_nop 0
	v_lshrrev_b32_e32 v46, 16, v23
	v_min3_f16 v46, v22, v23, v46
	v_lshl_add_u64 v[22:23], v[32:33], 1, v[20:21]
	global_store_short v[22:23], v46, off
	v_mov_b32_e32 v22, 0
	v_mov_b32_e32 v23, 0
	s_cbranch_vccnz .LBB259_82
; %bb.81:
	v_lshl_add_u64 v[46:47], v[34:35], 1, v[16:17]
	flat_load_ushort v23, v[46:47]
	s_waitcnt vmcnt(0) lgkmcnt(0)
	v_mul_f16_e32 v23, s12, v23
.LBB259_82:
	v_pk_add_f16 v46, v10, v18
	v_pk_max_f16 v47, v85, v85
	s_and_b64 vcc, exec, s[0:1]
	v_pk_min_f16 v46, v47, v46
	v_pk_add_f16 v47, v11, v19
	s_nop 0
	v_pk_min_f16 v46, v46, v47
	s_nop 0
	v_lshrrev_b32_e32 v47, 16, v46
	v_min3_f16 v23, v23, v46, v47
	v_lshl_add_u64 v[46:47], v[34:35], 1, v[20:21]
	global_store_short v[46:47], v23, off
	s_cbranch_vccnz .LBB259_84
; %bb.83:
	v_lshl_add_u64 v[22:23], v[36:37], 1, v[16:17]
	flat_load_ushort v22, v[22:23]
	s_waitcnt vmcnt(0) lgkmcnt(0)
	v_mul_f16_e32 v22, s12, v22
.LBB259_84:
	v_pk_add_f16 v23, v4, v18
	v_pk_max_f16 v46, v86, v86
	s_and_b64 vcc, exec, s[0:1]
	v_pk_min_f16 v23, v46, v23
	v_pk_add_f16 v46, v5, v19
	s_nop 0
	v_pk_min_f16 v23, v23, v46
	s_nop 0
	v_lshrrev_b32_e32 v46, 16, v23
	v_min3_f16 v46, v22, v23, v46
	v_lshl_add_u64 v[22:23], v[36:37], 1, v[20:21]
	global_store_short v[22:23], v46, off
	v_mov_b32_e32 v22, 0
	v_mov_b32_e32 v23, 0
	s_cbranch_vccnz .LBB259_86
; %bb.85:
	v_lshl_add_u64 v[46:47], v[44:45], 1, v[16:17]
	flat_load_ushort v23, v[46:47]
	s_waitcnt vmcnt(0) lgkmcnt(0)
	v_mul_f16_e32 v23, s12, v23
.LBB259_86:
	v_pk_add_f16 v46, v6, v18
	v_pk_max_f16 v47, v87, v87
	s_and_b64 vcc, exec, s[0:1]
	v_pk_min_f16 v46, v47, v46
	v_pk_add_f16 v47, v7, v19
	s_nop 0
	v_pk_min_f16 v46, v46, v47
	s_nop 0
	;; [unrolled: 40-line block ×3, first 2 shown]
	v_lshrrev_b32_e32 v47, 16, v46
	v_min3_f16 v23, v23, v46, v47
	v_lshl_add_u64 v[46:47], v[40:41], 1, v[20:21]
	global_store_short v[46:47], v23, off
	s_cbranch_vccnz .LBB259_92
; %bb.91:
	v_lshl_add_u64 v[16:17], v[38:39], 1, v[16:17]
	flat_load_ushort v16, v[16:17]
	s_waitcnt vmcnt(0) lgkmcnt(0)
	v_mul_f16_e32 v22, s12, v16
.LBB259_92:
	v_pk_add_f16 v16, v24, v18
	v_pk_max_f16 v17, v94, v94
	s_and_b64 vcc, exec, s[0:1]
	v_pk_min_f16 v16, v17, v16
	v_pk_add_f16 v17, v25, v19
	s_nop 0
	v_pk_min_f16 v16, v16, v17
	s_nop 0
	v_lshrrev_b32_e32 v17, 16, v16
	v_min3_f16 v18, v22, v16, v17
	v_lshl_add_u64 v[16:17], v[38:39], 1, v[20:21]
	global_store_short v[16:17], v18, off
	v_add_u32_e32 v18, 40, v115
	v_mad_i64_i32 v[16:17], s[8:9], v18, s14, 0
	v_lshl_add_u64 v[16:17], v[16:17], 1, s[6:7]
	v_mov_b32_e32 v20, 0
	v_mov_b32_e32 v21, 0
	s_cbranch_vccnz .LBB259_94
; %bb.93:
	v_lshl_add_u64 v[22:23], v[28:29], 1, v[16:17]
	flat_load_ushort v19, v[22:23]
	s_waitcnt vmcnt(0) lgkmcnt(0)
	v_mul_f16_e32 v21, s12, v19
.LBB259_94:
	v_pk_add_f16 v19, v30, v12
	v_pk_max_f16 v22, v90, v90
	s_and_b64 vcc, exec, s[0:1]
	v_pk_min_f16 v19, v22, v19
	v_pk_add_f16 v22, v31, v13
	s_nop 0
	v_pk_min_f16 v22, v19, v22
	v_mad_i64_i32 v[18:19], s[8:9], v18, s15, 0
	v_lshl_add_u64 v[18:19], v[18:19], 1, s[2:3]
	v_lshrrev_b32_e32 v23, 16, v22
	v_min3_f16 v21, v21, v22, v23
	v_lshl_add_u64 v[22:23], v[28:29], 1, v[18:19]
	global_store_short v[22:23], v21, off
	s_cbranch_vccnz .LBB259_96
; %bb.95:
	v_lshl_add_u64 v[20:21], v[32:33], 1, v[16:17]
	flat_load_ushort v20, v[20:21]
	s_waitcnt vmcnt(0) lgkmcnt(0)
	v_mul_f16_e32 v20, s12, v20
.LBB259_96:
	v_pk_add_f16 v21, v8, v12
	v_pk_max_f16 v22, v88, v88
	s_and_b64 vcc, exec, s[0:1]
	v_pk_min_f16 v21, v22, v21
	v_pk_add_f16 v22, v9, v13
	s_nop 0
	v_pk_min_f16 v21, v21, v22
	s_nop 0
	v_lshrrev_b32_e32 v22, 16, v21
	v_min3_f16 v22, v20, v21, v22
	v_lshl_add_u64 v[20:21], v[32:33], 1, v[18:19]
	global_store_short v[20:21], v22, off
	v_mov_b32_e32 v20, 0
	v_mov_b32_e32 v21, 0
	s_cbranch_vccnz .LBB259_98
; %bb.97:
	v_lshl_add_u64 v[22:23], v[34:35], 1, v[16:17]
	flat_load_ushort v21, v[22:23]
	s_waitcnt vmcnt(0) lgkmcnt(0)
	v_mul_f16_e32 v21, s12, v21
.LBB259_98:
	v_pk_add_f16 v22, v10, v12
	v_pk_max_f16 v23, v91, v91
	s_and_b64 vcc, exec, s[0:1]
	v_pk_min_f16 v22, v23, v22
	v_pk_add_f16 v23, v11, v13
	s_nop 0
	v_pk_min_f16 v22, v22, v23
	s_nop 0
	v_lshrrev_b32_e32 v23, 16, v22
	v_min3_f16 v21, v21, v22, v23
	v_lshl_add_u64 v[22:23], v[34:35], 1, v[18:19]
	global_store_short v[22:23], v21, off
	s_cbranch_vccnz .LBB259_100
; %bb.99:
	v_lshl_add_u64 v[20:21], v[36:37], 1, v[16:17]
	flat_load_ushort v20, v[20:21]
	s_waitcnt vmcnt(0) lgkmcnt(0)
	v_mul_f16_e32 v20, s12, v20
.LBB259_100:
	v_pk_add_f16 v21, v4, v12
	v_pk_max_f16 v22, v93, v93
	s_and_b64 vcc, exec, s[0:1]
	v_pk_min_f16 v21, v22, v21
	v_pk_add_f16 v22, v5, v13
	s_nop 0
	v_pk_min_f16 v21, v21, v22
	s_nop 0
	v_lshrrev_b32_e32 v22, 16, v21
	v_min3_f16 v22, v20, v21, v22
	v_lshl_add_u64 v[20:21], v[36:37], 1, v[18:19]
	global_store_short v[20:21], v22, off
	v_mov_b32_e32 v20, 0
	v_mov_b32_e32 v21, 0
	s_cbranch_vccnz .LBB259_102
; %bb.101:
	v_lshl_add_u64 v[22:23], v[44:45], 1, v[16:17]
	flat_load_ushort v21, v[22:23]
	s_waitcnt vmcnt(0) lgkmcnt(0)
	v_mul_f16_e32 v21, s12, v21
.LBB259_102:
	v_pk_add_f16 v22, v6, v12
	v_pk_max_f16 v23, v95, v95
	s_and_b64 vcc, exec, s[0:1]
	v_pk_min_f16 v22, v23, v22
	v_pk_add_f16 v23, v7, v13
	s_nop 0
	v_pk_min_f16 v22, v22, v23
	s_nop 0
	;; [unrolled: 40-line block ×3, first 2 shown]
	v_lshrrev_b32_e32 v23, 16, v22
	v_min3_f16 v21, v21, v22, v23
	v_lshl_add_u64 v[22:23], v[40:41], 1, v[18:19]
	global_store_short v[22:23], v21, off
	s_cbranch_vccnz .LBB259_108
; %bb.107:
	v_lshl_add_u64 v[16:17], v[38:39], 1, v[16:17]
	flat_load_ushort v16, v[16:17]
	s_waitcnt vmcnt(0) lgkmcnt(0)
	v_mul_f16_e32 v20, s12, v16
.LBB259_108:
	v_pk_add_f16 v12, v24, v12
	v_pk_max_f16 v16, v98, v98
	v_pk_add_f16 v13, v25, v13
	v_pk_min_f16 v12, v16, v12
	s_and_b64 vcc, exec, s[0:1]
	v_pk_min_f16 v12, v12, v13
	s_nop 0
	v_lshrrev_b32_e32 v13, 16, v12
	v_min3_f16 v16, v20, v12, v13
	v_lshl_add_u64 v[12:13], v[38:39], 1, v[18:19]
	global_store_short v[12:13], v16, off
	v_add_u32_e32 v16, 48, v115
	v_mad_i64_i32 v[12:13], s[8:9], v16, s14, 0
	v_lshl_add_u64 v[12:13], v[12:13], 1, s[6:7]
	v_mov_b32_e32 v18, 0
	v_mov_b32_e32 v19, 0
	s_cbranch_vccnz .LBB259_110
; %bb.109:
	v_lshl_add_u64 v[20:21], v[28:29], 1, v[12:13]
	flat_load_ushort v17, v[20:21]
	s_waitcnt vmcnt(0) lgkmcnt(0)
	v_mul_f16_e32 v19, s12, v17
.LBB259_110:
	v_pk_add_f16 v17, v30, v14
	v_pk_max_f16 v20, v106, v106
	s_and_b64 vcc, exec, s[0:1]
	v_pk_min_f16 v17, v20, v17
	v_pk_add_f16 v20, v31, v15
	s_nop 0
	v_pk_min_f16 v20, v17, v20
	v_mad_i64_i32 v[16:17], s[8:9], v16, s15, 0
	v_lshl_add_u64 v[16:17], v[16:17], 1, s[2:3]
	v_lshrrev_b32_e32 v21, 16, v20
	v_min3_f16 v19, v19, v20, v21
	v_lshl_add_u64 v[20:21], v[28:29], 1, v[16:17]
	global_store_short v[20:21], v19, off
	s_cbranch_vccnz .LBB259_112
; %bb.111:
	v_lshl_add_u64 v[18:19], v[32:33], 1, v[12:13]
	flat_load_ushort v18, v[18:19]
	s_waitcnt vmcnt(0) lgkmcnt(0)
	v_mul_f16_e32 v18, s12, v18
.LBB259_112:
	v_pk_add_f16 v19, v8, v14
	v_pk_max_f16 v20, v105, v105
	s_and_b64 vcc, exec, s[0:1]
	v_pk_min_f16 v19, v20, v19
	v_pk_add_f16 v20, v9, v15
	s_nop 0
	v_pk_min_f16 v19, v19, v20
	s_nop 0
	v_lshrrev_b32_e32 v20, 16, v19
	v_min3_f16 v20, v18, v19, v20
	v_lshl_add_u64 v[18:19], v[32:33], 1, v[16:17]
	global_store_short v[18:19], v20, off
	v_mov_b32_e32 v18, 0
	v_mov_b32_e32 v19, 0
	s_cbranch_vccnz .LBB259_114
; %bb.113:
	v_lshl_add_u64 v[20:21], v[34:35], 1, v[12:13]
	flat_load_ushort v19, v[20:21]
	s_waitcnt vmcnt(0) lgkmcnt(0)
	v_mul_f16_e32 v19, s12, v19
.LBB259_114:
	v_pk_add_f16 v20, v10, v14
	v_pk_max_f16 v21, v104, v104
	s_and_b64 vcc, exec, s[0:1]
	v_pk_min_f16 v20, v21, v20
	v_pk_add_f16 v21, v11, v15
	s_nop 0
	v_pk_min_f16 v20, v20, v21
	s_nop 0
	v_lshrrev_b32_e32 v21, 16, v20
	v_min3_f16 v19, v19, v20, v21
	v_lshl_add_u64 v[20:21], v[34:35], 1, v[16:17]
	global_store_short v[20:21], v19, off
	s_cbranch_vccnz .LBB259_116
; %bb.115:
	v_lshl_add_u64 v[18:19], v[36:37], 1, v[12:13]
	flat_load_ushort v18, v[18:19]
	s_waitcnt vmcnt(0) lgkmcnt(0)
	v_mul_f16_e32 v18, s12, v18
.LBB259_116:
	v_pk_add_f16 v19, v4, v14
	v_pk_max_f16 v20, v103, v103
	s_and_b64 vcc, exec, s[0:1]
	v_pk_min_f16 v19, v20, v19
	v_pk_add_f16 v20, v5, v15
	s_nop 0
	v_pk_min_f16 v19, v19, v20
	s_nop 0
	v_lshrrev_b32_e32 v20, 16, v19
	v_min3_f16 v20, v18, v19, v20
	v_lshl_add_u64 v[18:19], v[36:37], 1, v[16:17]
	global_store_short v[18:19], v20, off
	v_mov_b32_e32 v18, 0
	v_mov_b32_e32 v19, 0
	s_cbranch_vccnz .LBB259_118
; %bb.117:
	v_lshl_add_u64 v[20:21], v[44:45], 1, v[12:13]
	flat_load_ushort v19, v[20:21]
	s_waitcnt vmcnt(0) lgkmcnt(0)
	v_mul_f16_e32 v19, s12, v19
.LBB259_118:
	v_pk_add_f16 v20, v6, v14
	v_pk_max_f16 v21, v102, v102
	s_and_b64 vcc, exec, s[0:1]
	v_pk_min_f16 v20, v21, v20
	v_pk_add_f16 v21, v7, v15
	s_nop 0
	v_pk_min_f16 v20, v20, v21
	s_nop 0
	;; [unrolled: 40-line block ×3, first 2 shown]
	v_lshrrev_b32_e32 v21, 16, v20
	v_min3_f16 v19, v19, v20, v21
	v_lshl_add_u64 v[20:21], v[40:41], 1, v[16:17]
	global_store_short v[20:21], v19, off
	s_cbranch_vccnz .LBB259_124
; %bb.123:
	v_lshl_add_u64 v[12:13], v[38:39], 1, v[12:13]
	flat_load_ushort v12, v[12:13]
	s_waitcnt vmcnt(0) lgkmcnt(0)
	v_mul_f16_e32 v18, s12, v12
.LBB259_124:
	v_pk_add_f16 v12, v24, v14
	v_pk_max_f16 v13, v99, v99
	s_and_b64 vcc, exec, s[0:1]
	v_pk_min_f16 v12, v13, v12
	v_pk_add_f16 v13, v25, v15
	s_nop 0
	v_pk_min_f16 v12, v12, v13
	s_nop 0
	v_lshrrev_b32_e32 v13, 16, v12
	v_min3_f16 v14, v18, v12, v13
	v_lshl_add_u64 v[12:13], v[38:39], 1, v[16:17]
	global_store_short v[12:13], v14, off
	v_add_u32_e32 v14, 56, v115
	v_mad_i64_i32 v[12:13], s[8:9], v14, s14, 0
	v_lshl_add_u64 v[12:13], v[12:13], 1, s[6:7]
	v_mov_b32_e32 v16, 0
	v_mov_b32_e32 v17, 0
	s_cbranch_vccnz .LBB259_126
; %bb.125:
	v_lshl_add_u64 v[18:19], v[28:29], 1, v[12:13]
	flat_load_ushort v15, v[18:19]
	s_waitcnt vmcnt(0) lgkmcnt(0)
	v_mul_f16_e32 v17, s12, v15
.LBB259_126:
	v_pk_add_f16 v15, v30, v26
	v_pk_max_f16 v18, v108, v108
	s_and_b64 vcc, exec, s[0:1]
	v_pk_min_f16 v15, v18, v15
	v_pk_add_f16 v18, v31, v27
	s_nop 0
	v_pk_min_f16 v18, v15, v18
	v_mad_i64_i32 v[14:15], s[6:7], v14, s15, 0
	v_lshl_add_u64 v[14:15], v[14:15], 1, s[2:3]
	v_lshrrev_b32_e32 v19, 16, v18
	v_min3_f16 v17, v17, v18, v19
	v_lshl_add_u64 v[18:19], v[28:29], 1, v[14:15]
	global_store_short v[18:19], v17, off
	s_cbranch_vccnz .LBB259_128
; %bb.127:
	v_lshl_add_u64 v[16:17], v[32:33], 1, v[12:13]
	flat_load_ushort v16, v[16:17]
	s_waitcnt vmcnt(0) lgkmcnt(0)
	v_mul_f16_e32 v16, s12, v16
.LBB259_128:
	v_pk_add_f16 v8, v8, v26
	v_pk_max_f16 v17, v107, v107
	v_pk_add_f16 v9, v9, v27
	v_pk_min_f16 v8, v17, v8
	s_and_b64 vcc, exec, s[0:1]
	v_pk_min_f16 v8, v8, v9
	s_nop 0
	v_lshrrev_b32_e32 v9, 16, v8
	v_min3_f16 v16, v16, v8, v9
	v_lshl_add_u64 v[8:9], v[32:33], 1, v[14:15]
	global_store_short v[8:9], v16, off
	v_mov_b32_e32 v8, 0
	v_mov_b32_e32 v9, 0
	s_cbranch_vccnz .LBB259_130
; %bb.129:
	v_lshl_add_u64 v[16:17], v[34:35], 1, v[12:13]
	flat_load_ushort v9, v[16:17]
	s_waitcnt vmcnt(0) lgkmcnt(0)
	v_mul_f16_e32 v9, s12, v9
.LBB259_130:
	v_pk_add_f16 v10, v10, v26
	v_pk_max_f16 v16, v109, v109
	v_pk_add_f16 v11, v11, v27
	v_pk_min_f16 v10, v16, v10
	s_and_b64 vcc, exec, s[0:1]
	v_pk_min_f16 v10, v10, v11
	s_nop 0
	v_lshrrev_b32_e32 v11, 16, v10
	v_min3_f16 v9, v9, v10, v11
	v_lshl_add_u64 v[10:11], v[34:35], 1, v[14:15]
	global_store_short v[10:11], v9, off
	s_cbranch_vccnz .LBB259_132
; %bb.131:
	v_lshl_add_u64 v[8:9], v[36:37], 1, v[12:13]
	flat_load_ushort v8, v[8:9]
	s_waitcnt vmcnt(0) lgkmcnt(0)
	v_mul_f16_e32 v8, s12, v8
.LBB259_132:
	v_pk_add_f16 v4, v4, v26
	v_pk_max_f16 v9, v110, v110
	v_pk_add_f16 v5, v5, v27
	v_pk_min_f16 v4, v9, v4
	s_and_b64 vcc, exec, s[0:1]
	v_pk_min_f16 v4, v4, v5
	s_nop 0
	v_lshrrev_b32_e32 v5, 16, v4
	v_min3_f16 v8, v8, v4, v5
	v_lshl_add_u64 v[4:5], v[36:37], 1, v[14:15]
	global_store_short v[4:5], v8, off
	v_mov_b32_e32 v4, 0
	v_mov_b32_e32 v5, 0
	s_cbranch_vccnz .LBB259_134
; %bb.133:
	v_lshl_add_u64 v[8:9], v[44:45], 1, v[12:13]
	flat_load_ushort v5, v[8:9]
	s_waitcnt vmcnt(0) lgkmcnt(0)
	v_mul_f16_e32 v5, s12, v5
.LBB259_134:
	v_pk_add_f16 v6, v6, v26
	v_pk_max_f16 v8, v111, v111
	v_pk_add_f16 v7, v7, v27
	v_pk_min_f16 v6, v8, v6
	s_and_b64 vcc, exec, s[0:1]
	v_pk_min_f16 v6, v6, v7
	s_nop 0
	v_lshrrev_b32_e32 v7, 16, v6
	v_min3_f16 v5, v5, v6, v7
	v_lshl_add_u64 v[6:7], v[44:45], 1, v[14:15]
	global_store_short v[6:7], v5, off
	s_cbranch_vccnz .LBB259_136
; %bb.135:
	v_lshl_add_u64 v[4:5], v[42:43], 1, v[12:13]
	flat_load_ushort v4, v[4:5]
	s_waitcnt vmcnt(0) lgkmcnt(0)
	v_mul_f16_e32 v4, s12, v4
.LBB259_136:
	v_pk_add_f16 v0, v0, v26
	v_pk_max_f16 v5, v112, v112
	v_pk_add_f16 v2, v2, v26
	v_pk_min_f16 v0, v5, v0
	v_pk_max_f16 v5, v113, v113
	v_pk_add_f16 v1, v1, v27
	v_pk_min_f16 v2, v5, v2
	v_pk_min_f16 v0, v0, v1
	v_pk_add_f16 v1, v3, v27
	s_mov_b64 vcc, s[4:5]
	v_pk_min_f16 v2, v2, v1
	v_lshrrev_b32_e32 v1, 16, v0
	v_min3_f16 v3, v4, v0, v1
	v_lshl_add_u64 v[0:1], v[42:43], 1, v[14:15]
	global_store_short v[0:1], v3, off
	v_min_f16_sdwa v0, v2, v2 dst_sel:DWORD dst_unused:UNUSED_PAD src0_sel:DWORD src1_sel:WORD_1
	v_max_f16_e32 v0, v0, v0
	s_cbranch_vccz .LBB259_139
; %bb.137:
	v_min_f16_e32 v1, 0, v0
	v_lshl_add_u64 v[2:3], v[40:41], 1, v[14:15]
	s_mov_b32 s2, 0
	global_store_short v[2:3], v1, off
	s_cbranch_execz .LBB259_140
; %bb.138:
	v_mov_b32_e32 v0, s2
	s_branch .LBB259_141
.LBB259_139:
                                        ; implicit-def: $sgpr2
.LBB259_140:
	v_lshlrev_b64 v[2:3], 1, v[40:41]
	v_lshl_add_u64 v[4:5], v[12:13], 0, v[2:3]
	flat_load_ushort v1, v[4:5]
	v_lshl_add_u64 v[2:3], v[14:15], 0, v[2:3]
	s_waitcnt vmcnt(0) lgkmcnt(0)
	v_mul_f16_e32 v1, s12, v1
	v_min_f16_e32 v0, v1, v0
	global_store_short v[2:3], v0, off
	v_lshl_add_u64 v[0:1], v[38:39], 1, v[12:13]
	flat_load_ushort v0, v[0:1]
	s_waitcnt vmcnt(0) lgkmcnt(0)
	v_mul_f16_e32 v0, s12, v0
.LBB259_141:
	v_pk_add_f16 v1, v24, v26
	v_pk_max_f16 v2, v114, v114
	s_nop 0
	v_pk_min_f16 v1, v2, v1
	v_pk_add_f16 v2, v25, v27
	s_nop 0
	v_pk_min_f16 v1, v1, v2
	s_nop 0
	v_lshrrev_b32_e32 v2, 16, v1
	v_min3_f16 v2, v0, v1, v2
	v_lshl_add_u64 v[0:1], v[38:39], 1, v[14:15]
	global_store_short v[0:1], v2, off
	s_endpgm
	.section	.rodata,"a",@progbits
	.p2align	6, 0x0
	.amdhsa_kernel _ZN12_GLOBAL__N_120geam_min_plus_kernelIDF16_Dv2_DF16_S1_Li32ELi8ELi256ELi64ELi4ELi64ELi4ELi4ELi64ELc78ELc78ELb1ELb0ELb1EDF16_KDF16_DF16_EEviiiT16_PT17_ilS5_ilS3_S5_ilPT18_ili26rocblas_geam_ex_operation_
		.amdhsa_group_segment_fixed_size 5120
		.amdhsa_private_segment_fixed_size 0
		.amdhsa_kernarg_size 128
		.amdhsa_user_sgpr_count 2
		.amdhsa_user_sgpr_dispatch_ptr 0
		.amdhsa_user_sgpr_queue_ptr 0
		.amdhsa_user_sgpr_kernarg_segment_ptr 1
		.amdhsa_user_sgpr_dispatch_id 0
		.amdhsa_user_sgpr_kernarg_preload_length 0
		.amdhsa_user_sgpr_kernarg_preload_offset 0
		.amdhsa_user_sgpr_private_segment_size 0
		.amdhsa_uses_dynamic_stack 0
		.amdhsa_enable_private_segment 0
		.amdhsa_system_sgpr_workgroup_id_x 1
		.amdhsa_system_sgpr_workgroup_id_y 0
		.amdhsa_system_sgpr_workgroup_id_z 1
		.amdhsa_system_sgpr_workgroup_info 0
		.amdhsa_system_vgpr_workitem_id 1
		.amdhsa_next_free_vgpr 122
		.amdhsa_next_free_sgpr 24
		.amdhsa_accum_offset 124
		.amdhsa_reserve_vcc 1
		.amdhsa_float_round_mode_32 0
		.amdhsa_float_round_mode_16_64 0
		.amdhsa_float_denorm_mode_32 3
		.amdhsa_float_denorm_mode_16_64 3
		.amdhsa_dx10_clamp 1
		.amdhsa_ieee_mode 1
		.amdhsa_fp16_overflow 0
		.amdhsa_tg_split 0
		.amdhsa_exception_fp_ieee_invalid_op 0
		.amdhsa_exception_fp_denorm_src 0
		.amdhsa_exception_fp_ieee_div_zero 0
		.amdhsa_exception_fp_ieee_overflow 0
		.amdhsa_exception_fp_ieee_underflow 0
		.amdhsa_exception_fp_ieee_inexact 0
		.amdhsa_exception_int_div_zero 0
	.end_amdhsa_kernel
	.section	.text._ZN12_GLOBAL__N_120geam_min_plus_kernelIDF16_Dv2_DF16_S1_Li32ELi8ELi256ELi64ELi4ELi64ELi4ELi4ELi64ELc78ELc78ELb1ELb0ELb1EDF16_KDF16_DF16_EEviiiT16_PT17_ilS5_ilS3_S5_ilPT18_ili26rocblas_geam_ex_operation_,"axG",@progbits,_ZN12_GLOBAL__N_120geam_min_plus_kernelIDF16_Dv2_DF16_S1_Li32ELi8ELi256ELi64ELi4ELi64ELi4ELi4ELi64ELc78ELc78ELb1ELb0ELb1EDF16_KDF16_DF16_EEviiiT16_PT17_ilS5_ilS3_S5_ilPT18_ili26rocblas_geam_ex_operation_,comdat
.Lfunc_end259:
	.size	_ZN12_GLOBAL__N_120geam_min_plus_kernelIDF16_Dv2_DF16_S1_Li32ELi8ELi256ELi64ELi4ELi64ELi4ELi4ELi64ELc78ELc78ELb1ELb0ELb1EDF16_KDF16_DF16_EEviiiT16_PT17_ilS5_ilS3_S5_ilPT18_ili26rocblas_geam_ex_operation_, .Lfunc_end259-_ZN12_GLOBAL__N_120geam_min_plus_kernelIDF16_Dv2_DF16_S1_Li32ELi8ELi256ELi64ELi4ELi64ELi4ELi4ELi64ELc78ELc78ELb1ELb0ELb1EDF16_KDF16_DF16_EEviiiT16_PT17_ilS5_ilS3_S5_ilPT18_ili26rocblas_geam_ex_operation_
                                        ; -- End function
	.section	.AMDGPU.csdata,"",@progbits
; Kernel info:
; codeLenInByte = 16672
; NumSgprs: 30
; NumVgprs: 122
; NumAgprs: 0
; TotalNumVgprs: 122
; ScratchSize: 0
; MemoryBound: 0
; FloatMode: 240
; IeeeMode: 1
; LDSByteSize: 5120 bytes/workgroup (compile time only)
; SGPRBlocks: 3
; VGPRBlocks: 15
; NumSGPRsForWavesPerEU: 30
; NumVGPRsForWavesPerEU: 122
; AccumOffset: 124
; Occupancy: 4
; WaveLimiterHint : 1
; COMPUTE_PGM_RSRC2:SCRATCH_EN: 0
; COMPUTE_PGM_RSRC2:USER_SGPR: 2
; COMPUTE_PGM_RSRC2:TRAP_HANDLER: 0
; COMPUTE_PGM_RSRC2:TGID_X_EN: 1
; COMPUTE_PGM_RSRC2:TGID_Y_EN: 0
; COMPUTE_PGM_RSRC2:TGID_Z_EN: 1
; COMPUTE_PGM_RSRC2:TIDIG_COMP_CNT: 1
; COMPUTE_PGM_RSRC3_GFX90A:ACCUM_OFFSET: 30
; COMPUTE_PGM_RSRC3_GFX90A:TG_SPLIT: 0
	.section	.text._ZN12_GLOBAL__N_120geam_min_plus_kernelIDF16_Dv2_DF16_S1_Li32ELi8ELi256ELi64ELi4ELi64ELi4ELi4ELi64ELc78ELc78ELb0ELb0ELb1EDF16_KDF16_DF16_EEviiiT16_PT17_ilS5_ilS3_S5_ilPT18_ili26rocblas_geam_ex_operation_,"axG",@progbits,_ZN12_GLOBAL__N_120geam_min_plus_kernelIDF16_Dv2_DF16_S1_Li32ELi8ELi256ELi64ELi4ELi64ELi4ELi4ELi64ELc78ELc78ELb0ELb0ELb1EDF16_KDF16_DF16_EEviiiT16_PT17_ilS5_ilS3_S5_ilPT18_ili26rocblas_geam_ex_operation_,comdat
	.globl	_ZN12_GLOBAL__N_120geam_min_plus_kernelIDF16_Dv2_DF16_S1_Li32ELi8ELi256ELi64ELi4ELi64ELi4ELi4ELi64ELc78ELc78ELb0ELb0ELb1EDF16_KDF16_DF16_EEviiiT16_PT17_ilS5_ilS3_S5_ilPT18_ili26rocblas_geam_ex_operation_ ; -- Begin function _ZN12_GLOBAL__N_120geam_min_plus_kernelIDF16_Dv2_DF16_S1_Li32ELi8ELi256ELi64ELi4ELi64ELi4ELi4ELi64ELc78ELc78ELb0ELb0ELb1EDF16_KDF16_DF16_EEviiiT16_PT17_ilS5_ilS3_S5_ilPT18_ili26rocblas_geam_ex_operation_
	.p2align	8
	.type	_ZN12_GLOBAL__N_120geam_min_plus_kernelIDF16_Dv2_DF16_S1_Li32ELi8ELi256ELi64ELi4ELi64ELi4ELi4ELi64ELc78ELc78ELb0ELb0ELb1EDF16_KDF16_DF16_EEviiiT16_PT17_ilS5_ilS3_S5_ilPT18_ili26rocblas_geam_ex_operation_,@function
_ZN12_GLOBAL__N_120geam_min_plus_kernelIDF16_Dv2_DF16_S1_Li32ELi8ELi256ELi64ELi4ELi64ELi4ELi4ELi64ELc78ELc78ELb0ELb0ELb1EDF16_KDF16_DF16_EEviiiT16_PT17_ilS5_ilS3_S5_ilPT18_ili26rocblas_geam_ex_operation_: ; @_ZN12_GLOBAL__N_120geam_min_plus_kernelIDF16_Dv2_DF16_S1_Li32ELi8ELi256ELi64ELi4ELi64ELi4ELi4ELi64ELc78ELc78ELb0ELb0ELb1EDF16_KDF16_DF16_EEviiiT16_PT17_ilS5_ilS3_S5_ilPT18_ili26rocblas_geam_ex_operation_
; %bb.0:
	s_load_dwordx2 s[18:19], s[0:1], 0x8
	s_load_dwordx4 s[4:7], s[0:1], 0x20
	s_waitcnt lgkmcnt(0)
	v_cmp_eq_f16_e64 s[8:9], s19, 0
	s_and_b64 vcc, exec, s[8:9]
	s_cbranch_vccnz .LBB260_3
; %bb.1:
	s_load_dwordx2 s[10:11], s[0:1], 0x10
	s_mul_i32 s5, s3, s5
	s_mul_hi_u32 s12, s3, s4
	s_add_i32 s5, s12, s5
	s_mul_i32 s4, s3, s4
	s_lshl_b64 s[4:5], s[4:5], 1
	s_waitcnt lgkmcnt(0)
	s_add_u32 s20, s10, s4
	s_addc_u32 s21, s11, s5
	s_andn2_b64 vcc, exec, s[8:9]
	s_cbranch_vccnz .LBB260_4
.LBB260_2:
	s_mov_b32 s17, 0
	s_mov_b64 s[22:23], 0
	s_cbranch_execz .LBB260_5
	s_branch .LBB260_6
.LBB260_3:
	s_mov_b64 s[20:21], 0
	s_andn2_b64 vcc, exec, s[8:9]
	s_cbranch_vccz .LBB260_2
.LBB260_4:
                                        ; implicit-def: $sgpr22_sgpr23
                                        ; implicit-def: $sgpr16_sgpr17
.LBB260_5:
	s_load_dwordx2 s[4:5], s[0:1], 0x38
	s_mov_b32 s17, 0
	s_waitcnt lgkmcnt(0)
	s_mul_i32 s5, s3, s5
	s_mul_hi_u32 s8, s3, s4
	s_add_i32 s5, s8, s5
	s_mul_i32 s4, s3, s4
	s_lshl_b64 s[4:5], s[4:5], 1
	s_add_u32 s22, s6, s4
	s_addc_u32 s23, s7, s5
.LBB260_6:
	s_load_dword s16, s[0:1], 0x40
	s_load_dwordx4 s[12:15], s[0:1], 0x58
	v_cmp_neq_f16_e64 s[6:7], s19, 0
	s_waitcnt lgkmcnt(0)
	v_cmp_eq_f16_e64 s[4:5], s16, 0
	s_and_b64 s[8:9], exec, s[4:5]
	s_mov_b64 vcc, s[8:9]
	s_cbranch_vccnz .LBB260_8
; %bb.7:
	s_load_dwordx2 s[4:5], s[0:1], 0x48
	s_mul_i32 s10, s3, s13
	s_mul_hi_u32 s11, s3, s12
	s_add_i32 s10, s11, s10
	s_mul_i32 s11, s17, s12
	s_add_i32 s11, s10, s11
	s_mul_i32 s10, s3, s12
	s_lshl_b64 s[10:11], s[10:11], 1
	s_waitcnt lgkmcnt(0)
	s_add_u32 s10, s4, s10
	s_addc_u32 s11, s5, s11
	s_branch .LBB260_9
.LBB260_8:
	s_mov_b64 s[10:11], 0
.LBB260_9:
	s_load_dword s4, s[0:1], 0x0
	s_load_dword s12, s[0:1], 0x18
	v_and_b32_e32 v42, 0x3ff, v0
	v_bfe_u32 v43, v0, 10, 10
	v_lshl_add_u32 v8, v43, 5, v42
	s_waitcnt lgkmcnt(0)
	s_add_i32 s4, s4, -1
	s_ashr_i32 s5, s4, 31
	s_lshr_b32 s5, s5, 24
	s_add_i32 s4, s4, s5
	s_ashr_i32 s24, s4, 8
	s_add_i32 s26, s24, 1
	v_cvt_f32_u32_e32 v1, s26
	v_lshrrev_b32_e32 v38, 6, v8
	s_ashr_i32 s13, s12, 31
	v_and_b32_e32 v36, 63, v8
	v_rcp_iflag_f32_e32 v0, v1
	s_nop 0
	v_mul_f32_e32 v0, 0x4f7ffffe, v0
	v_cvt_u32_f32_e32 v4, v0
	v_mad_i64_i32 v[0:1], s[4:5], s12, v38, 0
	s_not_b32 s4, s24
	v_readfirstlane_b32 s5, v4
	s_mul_i32 s4, s4, s5
	s_mul_hi_u32 s4, s5, s4
	s_add_i32 s5, s5, s4
	s_mul_hi_u32 s4, s2, s5
	s_mul_i32 s5, s4, s26
	s_sub_i32 s5, s2, s5
	s_add_i32 s24, s4, 1
	s_sub_i32 s25, s5, s26
	s_cmp_ge_u32 s5, s26
	s_cselect_b32 s4, s24, s4
	s_cselect_b32 s5, s25, s5
	s_add_i32 s24, s4, 1
	s_cmp_ge_u32 s5, s26
	s_cselect_b32 s25, s24, s4
	s_mul_i32 s26, s25, s26
	s_sub_i32 s4, s2, s26
	s_lshl_b32 s24, s4, 8
	v_lshl_add_u64 v[2:3], v[0:1], 1, s[20:21]
	v_or_b32_e32 v0, s24, v36
	v_cndmask_b32_e64 v1, 0, 1, s[6:7]
	v_cmp_ne_u32_e64 s[4:5], 1, v1
	s_andn2_b64 vcc, exec, s[6:7]
	v_ashrrev_i32_e32 v1, 31, v0
	s_cbranch_vccnz .LBB260_12
; %bb.10:
	v_lshl_add_u64 v[4:5], v[0:1], 1, v[2:3]
	flat_load_ushort v6, v[4:5]
	flat_load_ushort v7, v[4:5] offset:128
	s_waitcnt vmcnt(0) lgkmcnt(0)
	v_mul_f16_e32 v4, s19, v6
	v_mul_f16_e32 v5, s19, v7
	s_and_b64 vcc, exec, s[4:5]
	s_cbranch_vccnz .LBB260_13
.LBB260_11:
	v_lshl_add_u64 v[2:3], v[0:1], 1, v[2:3]
	flat_load_ushort v6, v[2:3] offset:256
	flat_load_ushort v7, v[2:3] offset:384
	s_waitcnt vmcnt(0) lgkmcnt(0)
	v_mul_f16_e32 v6, s19, v6
	v_mul_f16_e32 v7, s19, v7
	s_branch .LBB260_14
.LBB260_12:
	v_mov_b32_e32 v4, 0
	v_mov_b32_e32 v5, 0
	s_and_b64 vcc, exec, s[4:5]
	s_cbranch_vccz .LBB260_11
.LBB260_13:
	v_mov_b32_e32 v6, 0
	v_mov_b32_e32 v7, 0
.LBB260_14:
	s_load_dword s27, s[0:1], 0x30
	v_and_b32_e32 v2, 3, v42
	v_lshrrev_b32_e32 v8, 2, v8
	s_lshl_b32 s25, s25, 6
	s_and_b64 vcc, exec, s[4:5]
	v_add_u32_e32 v34, s25, v8
	v_lshlrev_b32_e32 v32, 1, v2
	s_cbranch_vccnz .LBB260_16
; %bb.15:
	s_waitcnt lgkmcnt(0)
	v_mad_i64_i32 v[2:3], s[28:29], v34, s27, 0
	v_lshl_add_u64 v[2:3], v[2:3], 1, s[22:23]
	v_mov_b32_e32 v33, 0
	v_lshl_add_u64 v[2:3], v[2:3], 0, v[32:33]
	flat_load_ushort v2, v[2:3]
	s_waitcnt vmcnt(0) lgkmcnt(0)
	v_mul_f16_e32 v9, s19, v2
	s_branch .LBB260_17
.LBB260_16:
	v_mov_b32_e32 v9, 0
.LBB260_17:
	v_add_u32_e32 v2, 4, v38
	v_mad_i64_i32 v[2:3], s[28:29], s12, v2, 0
	s_and_b64 vcc, exec, s[4:5]
	v_lshl_add_u64 v[2:3], v[2:3], 1, s[20:21]
	s_cbranch_vccnz .LBB260_21
; %bb.18:
	v_lshl_add_u64 v[10:11], v[0:1], 1, v[2:3]
	flat_load_ushort v12, v[10:11]
	flat_load_ushort v13, v[10:11] offset:128
	s_waitcnt vmcnt(0) lgkmcnt(0)
	v_mul_f16_e32 v35, s19, v12
	v_mul_f16_e32 v37, s19, v13
	s_and_b64 vcc, exec, s[4:5]
	s_cbranch_vccnz .LBB260_22
.LBB260_19:
	v_lshl_add_u64 v[0:1], v[0:1], 1, v[2:3]
	flat_load_ushort v2, v[0:1] offset:256
	flat_load_ushort v3, v[0:1] offset:384
	s_waitcnt vmcnt(0) lgkmcnt(0)
	v_mul_f16_e32 v39, s19, v2
	v_mul_f16_e32 v40, s19, v3
	s_and_b64 vcc, exec, s[4:5]
	s_cbranch_vccnz .LBB260_23
.LBB260_20:
	s_waitcnt lgkmcnt(0)
	v_mad_i64_i32 v[0:1], s[28:29], v34, s27, 0
	v_lshl_add_u64 v[0:1], v[0:1], 1, s[22:23]
	v_mov_b32_e32 v33, 0
	v_lshl_add_u64 v[0:1], v[0:1], 0, v[32:33]
	flat_load_ushort v0, v[0:1] offset:8
	s_waitcnt vmcnt(0) lgkmcnt(0)
	v_mul_f16_e32 v41, s19, v0
	s_branch .LBB260_24
.LBB260_21:
	v_mov_b32_e32 v35, 0
	v_mov_b32_e32 v37, 0
	s_and_b64 vcc, exec, s[4:5]
	s_cbranch_vccz .LBB260_19
.LBB260_22:
	v_mov_b32_e32 v39, 0
	v_mov_b32_e32 v40, 0
	s_and_b64 vcc, exec, s[4:5]
	s_cbranch_vccz .LBB260_20
.LBB260_23:
	v_mov_b32_e32 v41, 0
.LBB260_24:
	v_lshlrev_b32_e32 v0, 1, v38
	v_lshl_add_u32 v46, v36, 3, v0
	v_lshl_or_b32 v33, v8, 3, v32
	v_lshlrev_b32_e32 v44, 3, v42
	ds_write_b16 v46, v4
	ds_write_b16 v46, v5 offset:512
	ds_write_b16 v46, v6 offset:1024
	;; [unrolled: 1-line block ×4, first 2 shown]
	s_waitcnt lgkmcnt(0)
	s_barrier
	ds_read2_b64 v[16:19], v44 offset1:32
	ds_read2_b64 v[12:15], v44 offset0:64 offset1:96
	ds_read2_b64 v[4:7], v44 offset0:128 offset1:160
	v_lshlrev_b32_e32 v45, 3, v43
	v_add_u32_e32 v47, 0x1000, v45
	ds_read2_b64 v[28:31], v47 offset1:8
	ds_read2_b64 v[0:3], v44 offset0:192 offset1:224
	ds_read2_b64 v[24:27], v47 offset0:16 offset1:24
	;; [unrolled: 1-line block ×4, first 2 shown]
	s_movk_i32 s28, 0x7c00
	s_waitcnt lgkmcnt(4)
	v_pk_add_f16 v50, v12, v28
	v_pk_add_f16 v48, v16, v28
	v_pk_min_f16 v51, v50, s28 op_sel_hi:[1,0]
	v_pk_add_f16 v50, v14, v28
	v_pk_add_f16 v49, v18, v28
	v_pk_min_f16 v52, v50, s28 op_sel_hi:[1,0]
	v_pk_add_f16 v50, v4, v28
	v_pk_min_f16 v48, v48, s28 op_sel_hi:[1,0]
	v_pk_min_f16 v53, v50, s28 op_sel_hi:[1,0]
	v_pk_add_f16 v50, v6, v28
	v_pk_min_f16 v49, v49, s28 op_sel_hi:[1,0]
	v_pk_min_f16 v54, v50, s28 op_sel_hi:[1,0]
	s_waitcnt lgkmcnt(3)
	v_pk_add_f16 v50, v0, v28
	v_pk_add_f16 v28, v2, v28
	v_pk_min_f16 v55, v50, s28 op_sel_hi:[1,0]
	v_pk_add_f16 v50, v16, v30
	v_pk_min_f16 v28, v28, s28 op_sel_hi:[1,0]
	v_pk_min_f16 v56, v50, s28 op_sel_hi:[1,0]
	v_pk_add_f16 v50, v18, v30
	s_cmp_lt_i32 s18, 9
	v_pk_min_f16 v57, v50, s28 op_sel_hi:[1,0]
	v_pk_add_f16 v50, v12, v30
	ds_write_b16 v46, v35 offset:2048
	ds_write_b16 v46, v37 offset:2560
	ds_write_b16 v46, v39 offset:3072
	ds_write_b16 v46, v40 offset:3584
	ds_write_b16 v33, v41 offset:4608
	v_pk_min_f16 v58, v50, s28 op_sel_hi:[1,0]
	v_pk_add_f16 v50, v14, v30
	s_waitcnt lgkmcnt(0)
	v_pk_min_f16 v59, v50, s28 op_sel_hi:[1,0]
	v_pk_add_f16 v50, v4, v30
	s_barrier
	v_pk_min_f16 v60, v50, s28 op_sel_hi:[1,0]
	v_pk_add_f16 v50, v6, v30
	s_nop 0
	v_pk_min_f16 v61, v50, s28 op_sel_hi:[1,0]
	v_pk_add_f16 v50, v0, v30
	v_pk_add_f16 v30, v2, v30
	v_pk_min_f16 v62, v50, s28 op_sel_hi:[1,0]
	v_pk_add_f16 v50, v16, v24
	v_pk_min_f16 v30, v30, s28 op_sel_hi:[1,0]
	v_pk_min_f16 v63, v50, s28 op_sel_hi:[1,0]
	v_pk_add_f16 v50, v18, v24
	s_nop 0
	v_pk_min_f16 v64, v50, s28 op_sel_hi:[1,0]
	v_pk_add_f16 v50, v12, v24
	s_nop 0
	v_pk_min_f16 v65, v50, s28 op_sel_hi:[1,0]
	v_pk_add_f16 v50, v14, v24
	s_nop 0
	v_pk_min_f16 v66, v50, s28 op_sel_hi:[1,0]
	v_pk_add_f16 v50, v4, v24
	s_nop 0
	v_pk_min_f16 v67, v50, s28 op_sel_hi:[1,0]
	v_pk_add_f16 v50, v6, v24
	s_nop 0
	v_pk_min_f16 v68, v50, s28 op_sel_hi:[1,0]
	v_pk_add_f16 v50, v0, v24
	v_pk_add_f16 v24, v2, v24
	v_pk_min_f16 v69, v50, s28 op_sel_hi:[1,0]
	v_pk_add_f16 v50, v16, v26
	v_pk_min_f16 v24, v24, s28 op_sel_hi:[1,0]
	v_pk_min_f16 v70, v50, s28 op_sel_hi:[1,0]
	v_pk_add_f16 v50, v18, v26
	s_nop 0
	v_pk_min_f16 v71, v50, s28 op_sel_hi:[1,0]
	v_pk_add_f16 v50, v12, v26
	s_nop 0
	v_pk_min_f16 v72, v50, s28 op_sel_hi:[1,0]
	v_pk_add_f16 v50, v14, v26
	s_nop 0
	v_pk_min_f16 v73, v50, s28 op_sel_hi:[1,0]
	v_pk_add_f16 v50, v4, v26
	s_nop 0
	;; [unrolled: 21-line block ×4, first 2 shown]
	v_pk_min_f16 v122, v50, s28 op_sel_hi:[1,0]
	v_pk_add_f16 v50, v6, v22
	s_nop 0
	v_pk_min_f16 v123, v50, s28 op_sel_hi:[1,0]
	v_pk_add_f16 v50, v0, v22
	v_pk_add_f16 v22, v2, v22
	v_pk_min_f16 v124, v50, s28 op_sel_hi:[1,0]
	v_pk_add_f16 v50, v16, v8
	v_pk_min_f16 v22, v22, s28 op_sel_hi:[1,0]
	v_pk_min_f16 v125, v50, s28 op_sel_hi:[1,0]
	v_pk_add_f16 v50, v18, v8
	s_nop 0
	v_pk_min_f16 v126, v50, s28 op_sel_hi:[1,0]
	v_pk_add_f16 v50, v12, v8
	s_nop 0
	;; [unrolled: 3-line block ×3, first 2 shown]
	v_pk_min_f16 v128, v50, s28 op_sel_hi:[1,0]
	v_pk_add_f16 v50, v4, v8
	v_pk_add_f16 v4, v4, v10
	v_pk_min_f16 v129, v50, s28 op_sel_hi:[1,0]
	v_pk_add_f16 v50, v6, v8
	s_nop 0
	v_pk_min_f16 v130, v50, s28 op_sel_hi:[1,0]
	v_pk_add_f16 v50, v0, v8
	v_pk_add_f16 v8, v2, v8
	;; [unrolled: 1-line block ×3, first 2 shown]
	v_pk_min_f16 v132, v8, s28 op_sel_hi:[1,0]
	v_pk_add_f16 v8, v16, v10
	v_pk_min_f16 v131, v50, s28 op_sel_hi:[1,0]
	v_pk_min_f16 v16, v8, s28 op_sel_hi:[1,0]
	v_pk_add_f16 v8, v18, v10
	s_nop 0
	v_pk_min_f16 v18, v8, s28 op_sel_hi:[1,0]
	v_pk_add_f16 v8, v12, v10
	s_nop 0
	;; [unrolled: 3-line block ×3, first 2 shown]
	v_pk_min_f16 v14, v8, s28 op_sel_hi:[1,0]
	v_pk_min_f16 v8, v4, s28 op_sel_hi:[1,0]
	v_pk_add_f16 v4, v6, v10
	s_nop 0
	v_pk_min_f16 v6, v4, s28 op_sel_hi:[1,0]
	v_pk_min_f16 v4, v0, s28 op_sel_hi:[1,0]
	v_pk_add_f16 v0, v2, v10
	v_pk_add_f16 v2, v17, v29
	v_pk_min_f16 v0, v0, s28 op_sel_hi:[1,0]
	v_pk_min_f16 v50, v48, v2
	v_pk_add_f16 v2, v19, v29
	s_nop 0
	v_pk_min_f16 v114, v49, v2
	v_pk_add_f16 v2, v13, v29
	s_nop 0
	;; [unrolled: 3-line block ×53, first 2 shown]
	v_pk_min_f16 v61, v130, v2
	v_pk_add_f16 v2, v1, v9
	v_pk_add_f16 v1, v1, v11
	v_pk_min_f16 v60, v131, v2
	v_pk_add_f16 v2, v3, v9
	v_pk_min_f16 v53, v4, v1
	v_pk_min_f16 v58, v132, v2
	v_pk_add_f16 v2, v17, v11
	v_pk_add_f16 v1, v3, v11
	v_pk_min_f16 v59, v16, v2
	v_pk_add_f16 v2, v19, v11
	v_pk_min_f16 v67, v0, v1
	v_pk_min_f16 v57, v18, v2
	v_pk_add_f16 v2, v13, v11
	s_nop 0
	v_pk_min_f16 v56, v12, v2
	v_pk_add_f16 v2, v15, v11
	s_nop 0
	;; [unrolled: 3-line block ×4, first 2 shown]
	v_pk_min_f16 v52, v6, v2
	s_cbranch_scc1 .LBB260_42
; %bb.25:
	v_mov_b32_e32 v0, 0x800
	v_lshl_add_u32 v115, v42, 3, v0
	v_mov_b32_e32 v0, 0x1200
	v_add_u32_e32 v48, 0x1000, v33
	v_add_u32_e32 v51, 0x1200, v33
	v_lshl_add_u32 v116, v43, 3, v0
	v_mad_i64_i32 v[0:1], s[28:29], s27, v34, 0
	v_mov_b32_e32 v33, 0
	v_lshl_add_u64 v[0:1], v[0:1], 1, v[32:33]
	v_lshl_add_u64 v[0:1], v[0:1], 0, s[22:23]
	;; [unrolled: 1-line block ×3, first 2 shown]
	v_add_u32_e32 v0, 12, v38
	v_mad_i64_i32 v[0:1], s[22:23], v0, s12, 0
	v_lshlrev_b64 v[34:35], 1, v[0:1]
	v_lshl_or_b32 v0, s2, 8, v36
	s_lshl_b32 s2, s26, 8
	v_subrev_u32_e32 v0, s2, v0
	v_ashrrev_i32_e32 v1, 31, v0
	v_lshl_add_u64 v[36:37], v[0:1], 1, s[20:21]
	v_add_u32_e32 v0, 8, v38
	s_lshl_b64 s[20:21], s[12:13], 4
	v_mad_i64_i32 v[0:1], s[12:13], v0, s12, 0
	v_add_u32_e32 v49, 0x800, v46
	s_add_i32 s18, s18, -8
	v_lshlrev_b64 v[38:39], 1, v[0:1]
	s_mov_b32 s2, 0
	s_and_b64 s[6:7], exec, s[6:7]
	s_branch .LBB260_28
.LBB260_26:                             ;   in Loop: Header=BB260_28 Depth=1
	flat_load_ushort v0, v[32:33] offset:8
	s_waitcnt vmcnt(0) lgkmcnt(0)
	v_mul_f16_e32 v28, s19, v0
.LBB260_27:                             ;   in Loop: Header=BB260_28 Depth=1
	ds_read2_b64 v[8:11], v44 offset1:32
	ds_read2_b64 v[4:7], v44 offset0:64 offset1:96
	ds_read2_b64 v[0:3], v44 offset0:128 offset1:160
	ds_read2_b64 v[120:123], v47 offset1:8
	ds_read2_b64 v[12:15], v44 offset0:192 offset1:224
	ds_read2_b64 v[24:27], v47 offset0:16 offset1:24
	;; [unrolled: 1-line block ×4, first 2 shown]
	s_waitcnt lgkmcnt(4)
	v_pk_add_f16 v112, v8, v120
	v_pk_max_f16 v111, v111, v111
	v_pk_max_f16 v110, v110, v110
	v_pk_min_f16 v111, v111, v112
	v_pk_add_f16 v112, v10, v120
	v_pk_max_f16 v109, v109, v109
	v_pk_min_f16 v110, v110, v112
	v_pk_add_f16 v112, v4, v120
	;; [unrolled: 3-line block ×5, first 2 shown]
	v_pk_max_f16 v105, v105, v105
	v_pk_min_f16 v106, v106, v112
	s_waitcnt lgkmcnt(3)
	v_pk_add_f16 v112, v12, v120
	v_pk_max_f16 v104, v104, v104
	v_pk_min_f16 v105, v105, v112
	v_pk_add_f16 v112, v14, v120
	v_pk_max_f16 v103, v103, v103
	v_pk_min_f16 v104, v104, v112
	;; [unrolled: 3-line block ×10, first 2 shown]
	s_waitcnt lgkmcnt(2)
	v_pk_add_f16 v112, v8, v24
	v_pk_max_f16 v94, v94, v94
	v_pk_min_f16 v95, v95, v112
	v_pk_add_f16 v112, v10, v24
	v_pk_max_f16 v93, v93, v93
	v_pk_min_f16 v94, v94, v112
	;; [unrolled: 3-line block ×6, first 2 shown]
	v_pk_add_f16 v112, v12, v24
	v_pk_add_f16 v24, v14, v24
	v_pk_max_f16 v87, v87, v87
	v_pk_min_f16 v24, v88, v24
	v_pk_add_f16 v88, v8, v26
	v_pk_max_f16 v86, v86, v86
	v_pk_min_f16 v87, v87, v88
	;; [unrolled: 3-line block ×7, first 2 shown]
	v_pk_add_f16 v88, v12, v26
	v_pk_add_f16 v26, v14, v26
	v_pk_max_f16 v79, v79, v79
	v_pk_min_f16 v26, v80, v26
	s_waitcnt lgkmcnt(1)
	v_pk_add_f16 v80, v8, v20
	v_pk_max_f16 v78, v78, v78
	v_pk_min_f16 v79, v79, v80
	v_pk_add_f16 v80, v10, v20
	v_pk_max_f16 v77, v77, v77
	v_pk_min_f16 v78, v78, v80
	;; [unrolled: 3-line block ×6, first 2 shown]
	v_pk_add_f16 v80, v12, v20
	v_pk_add_f16 v20, v14, v20
	v_pk_max_f16 v71, v71, v71
	v_pk_min_f16 v20, v72, v20
	v_pk_add_f16 v72, v8, v22
	v_pk_max_f16 v70, v70, v70
	v_pk_min_f16 v71, v71, v72
	;; [unrolled: 3-line block ×7, first 2 shown]
	v_pk_add_f16 v72, v12, v22
	v_pk_add_f16 v22, v14, v22
	v_pk_max_f16 v63, v63, v63
	v_pk_min_f16 v22, v64, v22
	s_waitcnt lgkmcnt(0)
	v_pk_add_f16 v64, v8, v16
	v_pk_max_f16 v62, v62, v62
	v_pk_min_f16 v63, v63, v64
	v_pk_add_f16 v64, v10, v16
	v_pk_max_f16 v61, v61, v61
	v_pk_min_f16 v62, v62, v64
	;; [unrolled: 3-line block ×5, first 2 shown]
	v_pk_add_f16 v64, v2, v16
	v_pk_add_f16 v8, v8, v18
	v_pk_min_f16 v58, v58, v64
	v_pk_add_f16 v64, v12, v16
	v_pk_add_f16 v16, v14, v16
	;; [unrolled: 1-line block ×9, first 2 shown]
	v_pk_max_f16 v18, v31, v31
	v_pk_max_f16 v50, v50, v50
	v_pk_min_f16 v14, v18, v14
	v_pk_add_f16 v18, v9, v121
	v_pk_min_f16 v0, v50, v0
	v_pk_min_f16 v50, v111, v18
	v_pk_add_f16 v18, v11, v121
	v_pk_max_f16 v89, v89, v89
	v_pk_min_f16 v114, v110, v18
	v_pk_add_f16 v18, v5, v121
	v_pk_min_f16 v89, v89, v112
	v_pk_min_f16 v113, v109, v18
	v_pk_add_f16 v18, v7, v121
	;; [unrolled: 6-line block ×6, first 2 shown]
	v_pk_max_f16 v54, v54, v54
	v_pk_min_f16 v104, v100, v18
	v_pk_add_f16 v18, v1, v123
	v_pk_max_f16 v30, v30, v30
	v_pk_min_f16 v103, v99, v18
	v_pk_add_f16 v18, v3, v123
	;; [unrolled: 3-line block ×3, first 2 shown]
	v_pk_min_f16 v10, v54, v10
	v_pk_min_f16 v101, v97, v18
	v_pk_add_f16 v18, v15, v123
	v_pk_max_f16 v53, v53, v53
	v_pk_min_f16 v100, v96, v18
	v_pk_add_f16 v18, v9, v25
	v_pk_max_f16 v52, v52, v52
	v_pk_min_f16 v99, v95, v18
	v_pk_add_f16 v18, v11, v25
	v_pk_min_f16 v2, v30, v2
	v_pk_min_f16 v98, v94, v18
	v_pk_add_f16 v18, v5, v25
	v_pk_max_f16 v29, v29, v29
	v_pk_min_f16 v97, v93, v18
	v_pk_add_f16 v18, v7, v25
	v_pk_max_f16 v56, v56, v56
	v_pk_min_f16 v96, v92, v18
	v_pk_add_f16 v18, v1, v25
	v_pk_min_f16 v8, v55, v8
	v_pk_min_f16 v95, v91, v18
	v_pk_add_f16 v18, v3, v25
	v_pk_min_f16 v4, v53, v4
	;; [unrolled: 3-line block ×5, first 2 shown]
	v_pk_min_f16 v91, v87, v18
	v_pk_add_f16 v18, v11, v27
	s_add_i32 s2, s2, 8
	v_pk_min_f16 v90, v86, v18
	v_pk_add_f16 v18, v5, v27
	v_lshl_add_u64 v[32:33], v[32:33], 0, 16
	v_pk_min_f16 v89, v85, v18
	v_pk_add_f16 v18, v7, v27
	s_cmp_ge_i32 s2, s18
	v_pk_min_f16 v88, v84, v18
	v_pk_add_f16 v18, v1, v27
	v_lshl_add_u64 v[36:37], v[36:37], 0, s[20:21]
	v_pk_min_f16 v87, v83, v18
	v_pk_add_f16 v18, v3, v27
	ds_write_b16 v49, v117
	ds_write_b16 v49, v118 offset:512
	ds_write_b16 v49, v40 offset:1024
	;; [unrolled: 1-line block ×3, first 2 shown]
	ds_write_b16 v51, v28
	v_pk_min_f16 v86, v82, v18
	v_pk_add_f16 v18, v13, v27
	s_waitcnt lgkmcnt(0)
	v_pk_min_f16 v85, v81, v18
	v_pk_add_f16 v18, v15, v27
	s_barrier
	v_pk_min_f16 v83, v26, v18
	v_pk_add_f16 v18, v9, v21
	s_nop 0
	v_pk_min_f16 v84, v79, v18
	v_pk_add_f16 v18, v11, v21
	s_nop 0
	;; [unrolled: 3-line block ×16, first 2 shown]
	v_pk_min_f16 v68, v22, v18
	v_pk_add_f16 v18, v9, v17
	v_pk_add_f16 v9, v9, v19
	v_pk_min_f16 v66, v63, v18
	v_pk_add_f16 v18, v11, v17
	s_nop 0
	v_pk_min_f16 v65, v62, v18
	v_pk_add_f16 v18, v5, v17
	v_pk_add_f16 v5, v5, v19
	v_pk_min_f16 v64, v61, v18
	v_pk_add_f16 v18, v7, v17
	v_pk_min_f16 v56, v4, v5
	v_pk_min_f16 v63, v60, v18
	v_pk_add_f16 v18, v1, v17
	v_pk_add_f16 v1, v1, v19
	v_pk_min_f16 v62, v59, v18
	v_pk_min_f16 v54, v0, v1
	v_pk_add_f16 v0, v3, v19
	v_pk_add_f16 v18, v3, v17
	v_pk_min_f16 v52, v2, v0
	v_pk_add_f16 v0, v13, v19
	v_pk_min_f16 v61, v58, v18
	v_pk_add_f16 v18, v13, v17
	v_pk_add_f16 v17, v15, v17
	v_pk_min_f16 v59, v8, v9
	v_pk_add_f16 v8, v11, v19
	;; [unrolled: 3-line block ×3, first 2 shown]
	v_pk_min_f16 v60, v57, v18
	v_pk_min_f16 v58, v16, v17
	;; [unrolled: 1-line block ×5, first 2 shown]
	s_cbranch_scc1 .LBB260_42
.LBB260_28:                             ; =>This Inner Loop Header: Depth=1
	s_and_b64 vcc, exec, s[4:5]
	v_lshl_add_u64 v[0:1], v[36:37], 0, v[38:39]
	s_cbranch_vccnz .LBB260_32
; %bb.29:                               ;   in Loop: Header=BB260_28 Depth=1
	flat_load_ushort v2, v[0:1]
	flat_load_ushort v3, v[0:1] offset:128
	s_waitcnt vmcnt(0) lgkmcnt(0)
	v_mul_f16_e32 v40, s19, v2
	v_mul_f16_e32 v41, s19, v3
	s_and_b64 vcc, exec, s[4:5]
	s_cbranch_vccnz .LBB260_33
.LBB260_30:                             ;   in Loop: Header=BB260_28 Depth=1
	flat_load_ushort v2, v[0:1] offset:256
	flat_load_ushort v3, v[0:1] offset:384
	s_waitcnt vmcnt(0) lgkmcnt(0)
	v_mul_f16_e32 v117, s19, v2
	v_mul_f16_e32 v118, s19, v3
	s_and_b64 vcc, exec, s[4:5]
	s_cbranch_vccnz .LBB260_34
.LBB260_31:                             ;   in Loop: Header=BB260_28 Depth=1
	flat_load_ushort v0, v[32:33]
	s_waitcnt vmcnt(0) lgkmcnt(0)
	v_mul_f16_e32 v119, s19, v0
	s_branch .LBB260_35
.LBB260_32:                             ;   in Loop: Header=BB260_28 Depth=1
	v_mov_b32_e32 v40, 0
	v_mov_b32_e32 v41, 0
	s_and_b64 vcc, exec, s[4:5]
	s_cbranch_vccz .LBB260_30
.LBB260_33:                             ;   in Loop: Header=BB260_28 Depth=1
	v_mov_b32_e32 v117, 0
	v_mov_b32_e32 v118, 0
	s_and_b64 vcc, exec, s[4:5]
	s_cbranch_vccz .LBB260_31
.LBB260_34:                             ;   in Loop: Header=BB260_28 Depth=1
	v_mov_b32_e32 v119, 0
.LBB260_35:                             ;   in Loop: Header=BB260_28 Depth=1
	ds_read2_b64 v[12:15], v115 offset1:32
	ds_read2_b64 v[8:11], v115 offset0:64 offset1:96
	ds_read2_b64 v[4:7], v115 offset0:128 offset1:160
	;; [unrolled: 1-line block ×3, first 2 shown]
	ds_read2_b64 v[28:31], v116 offset1:8
	ds_read2_b64 v[24:27], v116 offset0:16 offset1:24
	ds_read2_b64 v[20:23], v116 offset0:32 offset1:40
	;; [unrolled: 1-line block ×3, first 2 shown]
	ds_write_b16 v46, v40
	ds_write_b16 v46, v41 offset:512
	ds_write_b16 v46, v117 offset:1024
	;; [unrolled: 1-line block ×3, first 2 shown]
	ds_write_b16 v48, v119
	v_lshl_add_u64 v[40:41], v[36:37], 0, v[34:35]
	s_mov_b64 vcc, s[6:7]
	s_waitcnt lgkmcnt(0)
	s_barrier
	s_cbranch_vccz .LBB260_38
; %bb.36:                               ;   in Loop: Header=BB260_28 Depth=1
	flat_load_ushort v117, v[40:41]
	flat_load_ushort v118, v[40:41] offset:128
	s_waitcnt vmcnt(0) lgkmcnt(0)
	v_mul_f16_e32 v117, s19, v117
	v_mul_f16_e32 v118, s19, v118
	s_and_b64 vcc, exec, s[4:5]
	s_cbranch_vccnz .LBB260_39
.LBB260_37:                             ;   in Loop: Header=BB260_28 Depth=1
	flat_load_ushort v119, v[40:41] offset:256
	flat_load_ushort v120, v[40:41] offset:384
	s_waitcnt vmcnt(0) lgkmcnt(0)
	v_mul_f16_e32 v40, s19, v119
	v_mul_f16_e32 v41, s19, v120
	s_branch .LBB260_40
.LBB260_38:                             ;   in Loop: Header=BB260_28 Depth=1
	v_mov_b32_e32 v117, 0
	v_mov_b32_e32 v118, 0
	s_and_b64 vcc, exec, s[4:5]
	s_cbranch_vccz .LBB260_37
.LBB260_39:                             ;   in Loop: Header=BB260_28 Depth=1
	v_mov_b32_e32 v40, 0
	v_mov_b32_e32 v41, 0
.LBB260_40:                             ;   in Loop: Header=BB260_28 Depth=1
	v_pk_add_f16 v119, v12, v28
	v_pk_max_f16 v50, v50, v50
	v_pk_max_f16 v114, v114, v114
	v_pk_min_f16 v50, v50, v119
	v_pk_add_f16 v119, v14, v28
	v_pk_max_f16 v113, v113, v113
	v_pk_min_f16 v114, v114, v119
	v_pk_add_f16 v119, v8, v28
	v_pk_max_f16 v112, v112, v112
	v_pk_min_f16 v113, v113, v119
	v_pk_add_f16 v119, v10, v28
	v_pk_max_f16 v111, v111, v111
	v_pk_min_f16 v112, v112, v119
	v_pk_add_f16 v119, v4, v28
	v_pk_max_f16 v110, v110, v110
	v_pk_min_f16 v119, v111, v119
	v_pk_add_f16 v111, v6, v28
	v_pk_max_f16 v108, v108, v108
	v_pk_min_f16 v120, v110, v111
	v_pk_add_f16 v110, v0, v28
	v_pk_add_f16 v28, v2, v28
	v_pk_max_f16 v107, v107, v107
	v_pk_min_f16 v28, v108, v28
	v_pk_add_f16 v108, v12, v30
	v_pk_max_f16 v106, v106, v106
	v_pk_min_f16 v122, v107, v108
	v_pk_add_f16 v107, v14, v30
	v_pk_max_f16 v105, v105, v105
	v_pk_min_f16 v123, v106, v107
	v_pk_add_f16 v106, v8, v30
	v_pk_max_f16 v104, v104, v104
	v_pk_min_f16 v124, v105, v106
	v_pk_add_f16 v105, v10, v30
	v_pk_max_f16 v103, v103, v103
	v_pk_min_f16 v125, v104, v105
	v_pk_add_f16 v104, v4, v30
	v_pk_max_f16 v102, v102, v102
	v_pk_min_f16 v126, v103, v104
	v_pk_add_f16 v103, v6, v30
	v_pk_max_f16 v100, v100, v100
	v_pk_min_f16 v127, v102, v103
	v_pk_add_f16 v102, v0, v30
	v_pk_add_f16 v30, v2, v30
	v_pk_max_f16 v99, v99, v99
	v_pk_min_f16 v30, v100, v30
	v_pk_add_f16 v100, v12, v24
	;; [unrolled: 22-line block ×6, first 2 shown]
	v_pk_max_f16 v65, v65, v65
	v_pk_min_f16 v157, v66, v68
	v_pk_add_f16 v66, v14, v16
	v_pk_max_f16 v64, v64, v64
	v_pk_min_f16 v158, v65, v66
	v_pk_add_f16 v65, v8, v16
	;; [unrolled: 3-line block ×5, first 2 shown]
	v_pk_add_f16 v12, v12, v18
	v_pk_min_f16 v162, v61, v62
	v_pk_add_f16 v61, v0, v16
	v_pk_add_f16 v16, v2, v16
	;; [unrolled: 1-line block ×9, first 2 shown]
	v_pk_max_f16 v18, v67, v67
	v_pk_max_f16 v109, v109, v109
	v_pk_min_f16 v2, v18, v2
	v_pk_add_f16 v18, v13, v29
	v_pk_min_f16 v121, v109, v110
	v_pk_min_f16 v111, v50, v18
	v_pk_add_f16 v18, v15, v29
	v_pk_max_f16 v101, v101, v101
	v_pk_min_f16 v110, v114, v18
	v_pk_add_f16 v18, v9, v29
	v_pk_min_f16 v128, v101, v102
	v_pk_min_f16 v109, v113, v18
	v_pk_add_f16 v18, v11, v29
	;; [unrolled: 6-line block ×7, first 2 shown]
	v_pk_max_f16 v58, v58, v58
	v_pk_min_f16 v98, v127, v18
	v_pk_add_f16 v18, v1, v31
	v_pk_max_f16 v52, v52, v52
	v_pk_min_f16 v97, v128, v18
	v_pk_add_f16 v18, v3, v31
	v_pk_min_f16 v16, v58, v16
	v_pk_min_f16 v96, v30, v18
	v_pk_add_f16 v18, v13, v25
	v_pk_max_f16 v58, v59, v59
	v_pk_min_f16 v95, v129, v18
	v_pk_add_f16 v18, v15, v25
	v_pk_max_f16 v56, v56, v56
	;; [unrolled: 3-line block ×3, first 2 shown]
	v_pk_min_f16 v93, v131, v18
	v_pk_add_f16 v18, v11, v25
	v_pk_min_f16 v6, v52, v6
	v_pk_min_f16 v92, v132, v18
	v_pk_add_f16 v18, v5, v25
	v_pk_max_f16 v52, v53, v53
	v_pk_min_f16 v91, v133, v18
	v_pk_add_f16 v18, v7, v25
	v_pk_min_f16 v12, v58, v12
	v_pk_min_f16 v90, v134, v18
	v_pk_add_f16 v18, v1, v25
	v_pk_max_f16 v57, v57, v57
	;; [unrolled: 6-line block ×3, first 2 shown]
	v_pk_min_f16 v87, v136, v18
	v_pk_add_f16 v18, v15, v27
	v_pk_min_f16 v4, v54, v4
	v_pk_min_f16 v86, v137, v18
	v_pk_add_f16 v18, v9, v27
	v_pk_min_f16 v0, v52, v0
	;; [unrolled: 3-line block ×4, first 2 shown]
	v_pk_min_f16 v83, v140, v18
	v_pk_add_f16 v18, v7, v27
	s_and_b64 vcc, exec, s[4:5]
	v_pk_min_f16 v82, v141, v18
	v_pk_add_f16 v18, v1, v27
	s_nop 0
	v_pk_min_f16 v81, v142, v18
	v_pk_add_f16 v18, v3, v27
	s_nop 0
	;; [unrolled: 3-line block ×18, first 2 shown]
	v_pk_min_f16 v64, v22, v18
	v_pk_add_f16 v18, v13, v17
	v_pk_add_f16 v13, v13, v19
	v_pk_min_f16 v63, v157, v18
	v_pk_add_f16 v18, v15, v17
	v_pk_min_f16 v55, v12, v13
	v_pk_min_f16 v62, v158, v18
	v_pk_add_f16 v18, v9, v17
	v_pk_add_f16 v9, v9, v19
	v_pk_min_f16 v61, v159, v18
	v_pk_add_f16 v18, v11, v17
	v_pk_add_f16 v12, v15, v19
	;; [unrolled: 3-line block ×3, first 2 shown]
	v_pk_min_f16 v59, v161, v18
	v_pk_add_f16 v18, v7, v17
	v_pk_min_f16 v53, v8, v9
	v_pk_min_f16 v58, v162, v18
	v_pk_add_f16 v18, v1, v17
	v_pk_add_f16 v1, v1, v19
	;; [unrolled: 1-line block ×4, first 2 shown]
	v_pk_min_f16 v50, v4, v5
	v_pk_add_f16 v4, v7, v19
	v_pk_min_f16 v29, v0, v1
	v_pk_add_f16 v0, v3, v19
	v_pk_min_f16 v57, v163, v18
	v_pk_min_f16 v56, v16, v17
	;; [unrolled: 1-line block ×6, first 2 shown]
	s_cbranch_vccz .LBB260_26
; %bb.41:                               ;   in Loop: Header=BB260_28 Depth=1
	v_mov_b32_e32 v28, 0
	s_branch .LBB260_27
.LBB260_42:
	s_load_dword s6, s[0:1], 0x50
	ds_read_b64 v[30:31], v44 offset:2048
	ds_read_b64 v[46:47], v45 offset:4608
	v_add_u32_e32 v115, s25, v43
	v_cmp_neq_f16_e64 s[4:5], s16, 0
	v_add_u32_e32 v28, s24, v42
	s_waitcnt lgkmcnt(0)
	v_mad_i64_i32 v[0:1], s[12:13], v115, s6, 0
	v_ashrrev_i32_e32 v29, 31, v28
	v_lshl_add_u64 v[48:49], v[0:1], 1, s[10:11]
	s_and_b64 vcc, exec, s[4:5]
	v_mov_b32_e32 v36, 0
	v_mov_b32_e32 v34, 0
	s_cbranch_vccz .LBB260_44
; %bb.43:
	v_lshl_add_u64 v[0:1], v[28:29], 1, v[48:49]
	flat_load_ushort v0, v[0:1]
	s_waitcnt vmcnt(0) lgkmcnt(0)
	v_mul_f16_e32 v34, s16, v0
.LBB260_44:
	v_add_u32_e32 v0, 0x800, v44
	ds_read2_b64 v[8:11], v0 offset0:32 offset1:64
	ds_read2_b64 v[4:7], v0 offset0:96 offset1:128
	;; [unrolled: 1-line block ×3, first 2 shown]
	ds_read_b64 v[24:25], v44 offset:3840
	s_load_dword s7, s[0:1], 0x68
	s_load_dwordx2 s[12:13], s[0:1], 0x70
	v_add_u32_e32 v12, 0x1000, v45
	ds_read2_b64 v[20:23], v12 offset0:72 offset1:80
	ds_read2_b64 v[16:19], v12 offset0:88 offset1:96
	;; [unrolled: 1-line block ×3, first 2 shown]
	ds_read_b64 v[26:27], v45 offset:5056
	v_pk_add_f16 v32, v30, v46
	v_pk_max_f16 v33, v50, v50
	s_waitcnt lgkmcnt(0)
	s_mul_i32 s0, s3, s13
	s_mul_hi_u32 s1, s3, s12
	s_add_i32 s0, s1, s0
	s_mul_i32 s1, s17, s12
	s_add_i32 s1, s0, s1
	s_mul_i32 s0, s3, s12
	s_lshl_b64 s[0:1], s[0:1], 1
	s_add_u32 s2, s14, s0
	v_pk_min_f16 v32, v33, v32
	v_pk_add_f16 v33, v31, v47
	s_addc_u32 s3, s15, s1
	v_pk_min_f16 v35, v32, v33
	v_mad_i64_i32 v[38:39], s[0:1], v115, s7, 0
	v_add_u32_e32 v32, 32, v28
	v_lshl_add_u64 v[50:51], v[38:39], 1, s[2:3]
	v_lshrrev_b32_e32 v37, 16, v35
	v_cndmask_b32_e64 v38, 0, 1, s[4:5]
	v_ashrrev_i32_e32 v33, 31, v32
	v_min3_f16 v37, v34, v35, v37
	v_lshl_add_u64 v[34:35], v[28:29], 1, v[50:51]
	v_cmp_ne_u32_e64 s[0:1], 1, v38
	s_andn2_b64 vcc, exec, s[4:5]
	global_store_short v[34:35], v37, off
	s_cbranch_vccnz .LBB260_46
; %bb.45:
	v_lshl_add_u64 v[34:35], v[32:33], 1, v[48:49]
	flat_load_ushort v34, v[34:35]
	s_waitcnt vmcnt(0) lgkmcnt(0)
	v_mul_f16_e32 v36, s16, v34
.LBB260_46:
	v_pk_add_f16 v34, v8, v46
	v_pk_max_f16 v35, v114, v114
	s_and_b64 vcc, exec, s[0:1]
	v_pk_min_f16 v34, v35, v34
	v_pk_add_f16 v35, v9, v47
	v_mov_b32_e32 v39, 0
	v_pk_min_f16 v37, v34, v35
	v_add_u32_e32 v34, 64, v28
	v_lshrrev_b32_e32 v38, 16, v37
	v_min3_f16 v38, v36, v37, v38
	v_lshl_add_u64 v[36:37], v[32:33], 1, v[50:51]
	v_ashrrev_i32_e32 v35, 31, v34
	global_store_short v[36:37], v38, off
	v_mov_b32_e32 v38, 0
	s_cbranch_vccnz .LBB260_48
; %bb.47:
	v_lshl_add_u64 v[36:37], v[34:35], 1, v[48:49]
	flat_load_ushort v36, v[36:37]
	s_waitcnt vmcnt(0) lgkmcnt(0)
	v_mul_f16_e32 v39, s16, v36
.LBB260_48:
	v_pk_add_f16 v36, v10, v46
	v_pk_max_f16 v37, v113, v113
	s_and_b64 vcc, exec, s[0:1]
	v_pk_min_f16 v36, v37, v36
	v_pk_add_f16 v37, v11, v47
	s_nop 0
	v_pk_min_f16 v40, v36, v37
	v_add_u32_e32 v36, 0x60, v28
	v_lshrrev_b32_e32 v41, 16, v40
	v_ashrrev_i32_e32 v37, 31, v36
	v_min3_f16 v39, v39, v40, v41
	v_lshl_add_u64 v[40:41], v[34:35], 1, v[50:51]
	global_store_short v[40:41], v39, off
	s_cbranch_vccnz .LBB260_50
; %bb.49:
	v_lshl_add_u64 v[38:39], v[36:37], 1, v[48:49]
	flat_load_ushort v38, v[38:39]
	s_waitcnt vmcnt(0) lgkmcnt(0)
	v_mul_f16_e32 v38, s16, v38
.LBB260_50:
	v_pk_add_f16 v39, v4, v46
	v_pk_max_f16 v40, v112, v112
	v_add_u32_e32 v44, 0x80, v28
	v_pk_min_f16 v39, v40, v39
	v_pk_add_f16 v40, v5, v47
	v_ashrrev_i32_e32 v45, 31, v44
	v_pk_min_f16 v39, v39, v40
	s_and_b64 vcc, exec, s[0:1]
	v_lshrrev_b32_e32 v40, 16, v39
	v_min3_f16 v40, v38, v39, v40
	v_lshl_add_u64 v[38:39], v[36:37], 1, v[50:51]
	global_store_short v[38:39], v40, off
	v_mov_b32_e32 v38, 0
	v_mov_b32_e32 v39, 0
	s_cbranch_vccnz .LBB260_52
; %bb.51:
	v_lshl_add_u64 v[40:41], v[44:45], 1, v[48:49]
	flat_load_ushort v39, v[40:41]
	s_waitcnt vmcnt(0) lgkmcnt(0)
	v_mul_f16_e32 v39, s16, v39
.LBB260_52:
	v_pk_add_f16 v40, v6, v46
	v_pk_max_f16 v41, v111, v111
	v_add_u32_e32 v42, 0xa0, v28
	v_pk_min_f16 v40, v41, v40
	v_pk_add_f16 v41, v7, v47
	v_ashrrev_i32_e32 v43, 31, v42
	v_pk_min_f16 v40, v40, v41
	s_and_b64 vcc, exec, s[0:1]
	v_lshrrev_b32_e32 v41, 16, v40
	v_min3_f16 v39, v39, v40, v41
	v_lshl_add_u64 v[40:41], v[44:45], 1, v[50:51]
	global_store_short v[40:41], v39, off
	s_cbranch_vccnz .LBB260_54
; %bb.53:
	v_lshl_add_u64 v[38:39], v[42:43], 1, v[48:49]
	flat_load_ushort v38, v[38:39]
	s_waitcnt vmcnt(0) lgkmcnt(0)
	v_mul_f16_e32 v38, s16, v38
.LBB260_54:
	v_pk_add_f16 v39, v0, v46
	v_pk_max_f16 v40, v110, v110
	s_and_b64 vcc, exec, s[0:1]
	v_pk_min_f16 v39, v40, v39
	v_pk_add_f16 v40, v1, v47
	v_mov_b32_e32 v111, 0
	v_pk_min_f16 v39, v39, v40
	v_add_u32_e32 v40, 0xc0, v28
	v_lshrrev_b32_e32 v110, 16, v39
	v_min3_f16 v110, v38, v39, v110
	v_lshl_add_u64 v[38:39], v[42:43], 1, v[50:51]
	v_ashrrev_i32_e32 v41, 31, v40
	global_store_short v[38:39], v110, off
	v_mov_b32_e32 v110, 0
	s_cbranch_vccnz .LBB260_56
; %bb.55:
	v_lshl_add_u64 v[38:39], v[40:41], 1, v[48:49]
	flat_load_ushort v38, v[38:39]
	s_waitcnt vmcnt(0) lgkmcnt(0)
	v_mul_f16_e32 v111, s16, v38
.LBB260_56:
	v_pk_add_f16 v38, v2, v46
	v_pk_max_f16 v39, v109, v109
	s_and_b64 vcc, exec, s[0:1]
	v_pk_min_f16 v38, v39, v38
	v_pk_add_f16 v39, v3, v47
	s_nop 0
	v_pk_min_f16 v109, v38, v39
	v_add_u32_e32 v38, 0xe0, v28
	v_lshrrev_b32_e32 v112, 16, v109
	v_ashrrev_i32_e32 v39, 31, v38
	v_min3_f16 v109, v111, v109, v112
	v_lshl_add_u64 v[112:113], v[40:41], 1, v[50:51]
	global_store_short v[112:113], v109, off
	s_cbranch_vccnz .LBB260_58
; %bb.57:
	v_lshl_add_u64 v[48:49], v[38:39], 1, v[48:49]
	flat_load_ushort v48, v[48:49]
	s_waitcnt vmcnt(0) lgkmcnt(0)
	v_mul_f16_e32 v110, s16, v48
.LBB260_58:
	v_pk_add_f16 v46, v24, v46
	v_pk_max_f16 v48, v108, v108
	v_pk_add_f16 v47, v25, v47
	v_pk_min_f16 v46, v48, v46
	s_and_b64 vcc, exec, s[0:1]
	v_pk_min_f16 v46, v46, v47
	s_nop 0
	v_lshrrev_b32_e32 v47, 16, v46
	v_min3_f16 v48, v110, v46, v47
	v_lshl_add_u64 v[46:47], v[38:39], 1, v[50:51]
	global_store_short v[46:47], v48, off
	v_add_u32_e32 v48, 8, v115
	v_mad_i64_i32 v[46:47], s[4:5], v48, s6, 0
	v_lshl_add_u64 v[46:47], v[46:47], 1, s[10:11]
	v_mov_b32_e32 v50, 0
	v_mov_b32_e32 v51, 0
	s_cbranch_vccnz .LBB260_60
; %bb.59:
	v_lshl_add_u64 v[108:109], v[28:29], 1, v[46:47]
	flat_load_ushort v49, v[108:109]
	s_waitcnt vmcnt(0) lgkmcnt(0)
	v_mul_f16_e32 v51, s16, v49
.LBB260_60:
	v_pk_add_f16 v49, v30, v20
	v_pk_max_f16 v107, v107, v107
	s_and_b64 vcc, exec, s[0:1]
	v_pk_min_f16 v49, v107, v49
	v_pk_add_f16 v107, v31, v21
	s_nop 0
	v_pk_min_f16 v107, v49, v107
	v_mad_i64_i32 v[48:49], s[4:5], v48, s7, 0
	v_lshl_add_u64 v[48:49], v[48:49], 1, s[2:3]
	v_lshrrev_b32_e32 v108, 16, v107
	v_min3_f16 v51, v51, v107, v108
	v_lshl_add_u64 v[108:109], v[28:29], 1, v[48:49]
	global_store_short v[108:109], v51, off
	s_cbranch_vccnz .LBB260_62
; %bb.61:
	v_lshl_add_u64 v[50:51], v[32:33], 1, v[46:47]
	flat_load_ushort v50, v[50:51]
	s_waitcnt vmcnt(0) lgkmcnt(0)
	v_mul_f16_e32 v50, s16, v50
.LBB260_62:
	v_pk_add_f16 v51, v8, v20
	v_pk_max_f16 v106, v106, v106
	s_and_b64 vcc, exec, s[0:1]
	v_pk_min_f16 v51, v106, v51
	v_pk_add_f16 v106, v9, v21
	s_nop 0
	v_pk_min_f16 v51, v51, v106
	s_nop 0
	v_lshrrev_b32_e32 v106, 16, v51
	v_min3_f16 v106, v50, v51, v106
	v_lshl_add_u64 v[50:51], v[32:33], 1, v[48:49]
	global_store_short v[50:51], v106, off
	v_mov_b32_e32 v50, 0
	v_mov_b32_e32 v51, 0
	s_cbranch_vccnz .LBB260_64
; %bb.63:
	v_lshl_add_u64 v[106:107], v[34:35], 1, v[46:47]
	flat_load_ushort v51, v[106:107]
	s_waitcnt vmcnt(0) lgkmcnt(0)
	v_mul_f16_e32 v51, s16, v51
.LBB260_64:
	v_pk_add_f16 v106, v10, v20
	v_pk_max_f16 v105, v105, v105
	s_and_b64 vcc, exec, s[0:1]
	v_pk_min_f16 v105, v105, v106
	v_pk_add_f16 v106, v11, v21
	s_nop 0
	v_pk_min_f16 v105, v105, v106
	s_nop 0
	v_lshrrev_b32_e32 v106, 16, v105
	v_min3_f16 v51, v51, v105, v106
	v_lshl_add_u64 v[106:107], v[34:35], 1, v[48:49]
	global_store_short v[106:107], v51, off
	s_cbranch_vccnz .LBB260_66
; %bb.65:
	v_lshl_add_u64 v[50:51], v[36:37], 1, v[46:47]
	flat_load_ushort v50, v[50:51]
	s_waitcnt vmcnt(0) lgkmcnt(0)
	v_mul_f16_e32 v50, s16, v50
.LBB260_66:
	v_pk_add_f16 v51, v4, v20
	v_pk_max_f16 v104, v104, v104
	s_and_b64 vcc, exec, s[0:1]
	v_pk_min_f16 v51, v104, v51
	v_pk_add_f16 v104, v5, v21
	s_nop 0
	v_pk_min_f16 v51, v51, v104
	s_nop 0
	v_lshrrev_b32_e32 v104, 16, v51
	v_min3_f16 v104, v50, v51, v104
	v_lshl_add_u64 v[50:51], v[36:37], 1, v[48:49]
	global_store_short v[50:51], v104, off
	v_mov_b32_e32 v50, 0
	v_mov_b32_e32 v51, 0
	s_cbranch_vccnz .LBB260_68
; %bb.67:
	v_lshl_add_u64 v[104:105], v[44:45], 1, v[46:47]
	flat_load_ushort v51, v[104:105]
	s_waitcnt vmcnt(0) lgkmcnt(0)
	v_mul_f16_e32 v51, s16, v51
.LBB260_68:
	v_pk_add_f16 v104, v6, v20
	v_pk_max_f16 v103, v103, v103
	s_and_b64 vcc, exec, s[0:1]
	v_pk_min_f16 v103, v103, v104
	v_pk_add_f16 v104, v7, v21
	s_nop 0
	v_pk_min_f16 v103, v103, v104
	s_nop 0
	;; [unrolled: 40-line block ×3, first 2 shown]
	v_lshrrev_b32_e32 v102, 16, v101
	v_min3_f16 v51, v51, v101, v102
	v_lshl_add_u64 v[102:103], v[40:41], 1, v[48:49]
	global_store_short v[102:103], v51, off
	s_cbranch_vccnz .LBB260_74
; %bb.73:
	v_lshl_add_u64 v[46:47], v[38:39], 1, v[46:47]
	flat_load_ushort v46, v[46:47]
	s_waitcnt vmcnt(0) lgkmcnt(0)
	v_mul_f16_e32 v50, s16, v46
.LBB260_74:
	v_pk_add_f16 v20, v24, v20
	v_pk_max_f16 v46, v100, v100
	v_pk_add_f16 v21, v25, v21
	v_pk_min_f16 v20, v46, v20
	s_and_b64 vcc, exec, s[0:1]
	v_pk_min_f16 v20, v20, v21
	s_nop 0
	v_lshrrev_b32_e32 v21, 16, v20
	v_min3_f16 v46, v50, v20, v21
	v_lshl_add_u64 v[20:21], v[38:39], 1, v[48:49]
	global_store_short v[20:21], v46, off
	v_add_u32_e32 v46, 16, v115
	v_mad_i64_i32 v[20:21], s[4:5], v46, s6, 0
	v_lshl_add_u64 v[20:21], v[20:21], 1, s[10:11]
	v_mov_b32_e32 v48, 0
	v_mov_b32_e32 v49, 0
	s_cbranch_vccnz .LBB260_76
; %bb.75:
	v_lshl_add_u64 v[50:51], v[28:29], 1, v[20:21]
	flat_load_ushort v47, v[50:51]
	s_waitcnt vmcnt(0) lgkmcnt(0)
	v_mul_f16_e32 v49, s16, v47
.LBB260_76:
	v_pk_add_f16 v47, v30, v22
	v_pk_max_f16 v50, v99, v99
	s_and_b64 vcc, exec, s[0:1]
	v_pk_min_f16 v47, v50, v47
	v_pk_add_f16 v50, v31, v23
	s_nop 0
	v_pk_min_f16 v50, v47, v50
	v_mad_i64_i32 v[46:47], s[4:5], v46, s7, 0
	v_lshl_add_u64 v[46:47], v[46:47], 1, s[2:3]
	v_lshrrev_b32_e32 v51, 16, v50
	v_min3_f16 v49, v49, v50, v51
	v_lshl_add_u64 v[50:51], v[28:29], 1, v[46:47]
	global_store_short v[50:51], v49, off
	s_cbranch_vccnz .LBB260_78
; %bb.77:
	v_lshl_add_u64 v[48:49], v[32:33], 1, v[20:21]
	flat_load_ushort v48, v[48:49]
	s_waitcnt vmcnt(0) lgkmcnt(0)
	v_mul_f16_e32 v48, s16, v48
.LBB260_78:
	v_pk_add_f16 v49, v8, v22
	v_pk_max_f16 v50, v98, v98
	s_and_b64 vcc, exec, s[0:1]
	v_pk_min_f16 v49, v50, v49
	v_pk_add_f16 v50, v9, v23
	s_nop 0
	v_pk_min_f16 v49, v49, v50
	s_nop 0
	v_lshrrev_b32_e32 v50, 16, v49
	v_min3_f16 v50, v48, v49, v50
	v_lshl_add_u64 v[48:49], v[32:33], 1, v[46:47]
	global_store_short v[48:49], v50, off
	v_mov_b32_e32 v48, 0
	v_mov_b32_e32 v49, 0
	s_cbranch_vccnz .LBB260_80
; %bb.79:
	v_lshl_add_u64 v[50:51], v[34:35], 1, v[20:21]
	flat_load_ushort v49, v[50:51]
	s_waitcnt vmcnt(0) lgkmcnt(0)
	v_mul_f16_e32 v49, s16, v49
.LBB260_80:
	v_pk_add_f16 v50, v10, v22
	v_pk_max_f16 v51, v97, v97
	s_and_b64 vcc, exec, s[0:1]
	v_pk_min_f16 v50, v51, v50
	v_pk_add_f16 v51, v11, v23
	s_nop 0
	v_pk_min_f16 v50, v50, v51
	s_nop 0
	v_lshrrev_b32_e32 v51, 16, v50
	v_min3_f16 v49, v49, v50, v51
	v_lshl_add_u64 v[50:51], v[34:35], 1, v[46:47]
	global_store_short v[50:51], v49, off
	s_cbranch_vccnz .LBB260_82
; %bb.81:
	v_lshl_add_u64 v[48:49], v[36:37], 1, v[20:21]
	flat_load_ushort v48, v[48:49]
	s_waitcnt vmcnt(0) lgkmcnt(0)
	v_mul_f16_e32 v48, s16, v48
.LBB260_82:
	v_pk_add_f16 v49, v4, v22
	v_pk_max_f16 v50, v96, v96
	s_and_b64 vcc, exec, s[0:1]
	v_pk_min_f16 v49, v50, v49
	v_pk_add_f16 v50, v5, v23
	s_nop 0
	v_pk_min_f16 v49, v49, v50
	s_nop 0
	v_lshrrev_b32_e32 v50, 16, v49
	v_min3_f16 v50, v48, v49, v50
	v_lshl_add_u64 v[48:49], v[36:37], 1, v[46:47]
	global_store_short v[48:49], v50, off
	v_mov_b32_e32 v48, 0
	v_mov_b32_e32 v49, 0
	s_cbranch_vccnz .LBB260_84
; %bb.83:
	v_lshl_add_u64 v[50:51], v[44:45], 1, v[20:21]
	flat_load_ushort v49, v[50:51]
	s_waitcnt vmcnt(0) lgkmcnt(0)
	v_mul_f16_e32 v49, s16, v49
.LBB260_84:
	v_pk_add_f16 v50, v6, v22
	v_pk_max_f16 v51, v95, v95
	s_and_b64 vcc, exec, s[0:1]
	v_pk_min_f16 v50, v51, v50
	v_pk_add_f16 v51, v7, v23
	s_nop 0
	v_pk_min_f16 v50, v50, v51
	s_nop 0
	;; [unrolled: 40-line block ×3, first 2 shown]
	v_lshrrev_b32_e32 v51, 16, v50
	v_min3_f16 v49, v49, v50, v51
	v_lshl_add_u64 v[50:51], v[40:41], 1, v[46:47]
	global_store_short v[50:51], v49, off
	s_cbranch_vccnz .LBB260_90
; %bb.89:
	v_lshl_add_u64 v[20:21], v[38:39], 1, v[20:21]
	flat_load_ushort v20, v[20:21]
	s_waitcnt vmcnt(0) lgkmcnt(0)
	v_mul_f16_e32 v48, s16, v20
.LBB260_90:
	v_pk_add_f16 v20, v24, v22
	v_pk_max_f16 v21, v92, v92
	s_and_b64 vcc, exec, s[0:1]
	v_pk_min_f16 v20, v21, v20
	v_pk_add_f16 v21, v25, v23
	s_nop 0
	v_pk_min_f16 v20, v20, v21
	s_nop 0
	v_lshrrev_b32_e32 v21, 16, v20
	v_min3_f16 v22, v48, v20, v21
	v_lshl_add_u64 v[20:21], v[38:39], 1, v[46:47]
	global_store_short v[20:21], v22, off
	v_add_u32_e32 v22, 24, v115
	v_mad_i64_i32 v[20:21], s[4:5], v22, s6, 0
	v_lshl_add_u64 v[20:21], v[20:21], 1, s[10:11]
	v_mov_b32_e32 v46, 0
	v_mov_b32_e32 v47, 0
	s_cbranch_vccnz .LBB260_92
; %bb.91:
	v_lshl_add_u64 v[48:49], v[28:29], 1, v[20:21]
	flat_load_ushort v23, v[48:49]
	s_waitcnt vmcnt(0) lgkmcnt(0)
	v_mul_f16_e32 v47, s16, v23
.LBB260_92:
	v_pk_add_f16 v23, v30, v16
	v_pk_max_f16 v48, v91, v91
	s_and_b64 vcc, exec, s[0:1]
	v_pk_min_f16 v23, v48, v23
	v_pk_add_f16 v48, v31, v17
	s_nop 0
	v_pk_min_f16 v48, v23, v48
	v_mad_i64_i32 v[22:23], s[4:5], v22, s7, 0
	v_lshl_add_u64 v[22:23], v[22:23], 1, s[2:3]
	v_lshrrev_b32_e32 v49, 16, v48
	v_min3_f16 v47, v47, v48, v49
	v_lshl_add_u64 v[48:49], v[28:29], 1, v[22:23]
	global_store_short v[48:49], v47, off
	s_cbranch_vccnz .LBB260_94
; %bb.93:
	v_lshl_add_u64 v[46:47], v[32:33], 1, v[20:21]
	flat_load_ushort v46, v[46:47]
	s_waitcnt vmcnt(0) lgkmcnt(0)
	v_mul_f16_e32 v46, s16, v46
.LBB260_94:
	v_pk_add_f16 v47, v8, v16
	v_pk_max_f16 v48, v90, v90
	s_and_b64 vcc, exec, s[0:1]
	v_pk_min_f16 v47, v48, v47
	v_pk_add_f16 v48, v9, v17
	s_nop 0
	v_pk_min_f16 v47, v47, v48
	s_nop 0
	v_lshrrev_b32_e32 v48, 16, v47
	v_min3_f16 v48, v46, v47, v48
	v_lshl_add_u64 v[46:47], v[32:33], 1, v[22:23]
	global_store_short v[46:47], v48, off
	v_mov_b32_e32 v46, 0
	v_mov_b32_e32 v47, 0
	s_cbranch_vccnz .LBB260_96
; %bb.95:
	v_lshl_add_u64 v[48:49], v[34:35], 1, v[20:21]
	flat_load_ushort v47, v[48:49]
	s_waitcnt vmcnt(0) lgkmcnt(0)
	v_mul_f16_e32 v47, s16, v47
.LBB260_96:
	v_pk_add_f16 v48, v10, v16
	v_pk_max_f16 v49, v89, v89
	s_and_b64 vcc, exec, s[0:1]
	v_pk_min_f16 v48, v49, v48
	v_pk_add_f16 v49, v11, v17
	s_nop 0
	v_pk_min_f16 v48, v48, v49
	s_nop 0
	v_lshrrev_b32_e32 v49, 16, v48
	v_min3_f16 v47, v47, v48, v49
	v_lshl_add_u64 v[48:49], v[34:35], 1, v[22:23]
	global_store_short v[48:49], v47, off
	s_cbranch_vccnz .LBB260_98
; %bb.97:
	v_lshl_add_u64 v[46:47], v[36:37], 1, v[20:21]
	flat_load_ushort v46, v[46:47]
	s_waitcnt vmcnt(0) lgkmcnt(0)
	v_mul_f16_e32 v46, s16, v46
.LBB260_98:
	v_pk_add_f16 v47, v4, v16
	v_pk_max_f16 v48, v88, v88
	s_and_b64 vcc, exec, s[0:1]
	v_pk_min_f16 v47, v48, v47
	v_pk_add_f16 v48, v5, v17
	s_nop 0
	v_pk_min_f16 v47, v47, v48
	s_nop 0
	v_lshrrev_b32_e32 v48, 16, v47
	v_min3_f16 v48, v46, v47, v48
	v_lshl_add_u64 v[46:47], v[36:37], 1, v[22:23]
	global_store_short v[46:47], v48, off
	v_mov_b32_e32 v46, 0
	v_mov_b32_e32 v47, 0
	s_cbranch_vccnz .LBB260_100
; %bb.99:
	v_lshl_add_u64 v[48:49], v[44:45], 1, v[20:21]
	flat_load_ushort v47, v[48:49]
	s_waitcnt vmcnt(0) lgkmcnt(0)
	v_mul_f16_e32 v47, s16, v47
.LBB260_100:
	v_pk_add_f16 v48, v6, v16
	v_pk_max_f16 v49, v87, v87
	s_and_b64 vcc, exec, s[0:1]
	v_pk_min_f16 v48, v49, v48
	v_pk_add_f16 v49, v7, v17
	s_nop 0
	v_pk_min_f16 v48, v48, v49
	s_nop 0
	;; [unrolled: 40-line block ×3, first 2 shown]
	v_lshrrev_b32_e32 v49, 16, v48
	v_min3_f16 v47, v47, v48, v49
	v_lshl_add_u64 v[48:49], v[40:41], 1, v[22:23]
	global_store_short v[48:49], v47, off
	s_cbranch_vccnz .LBB260_106
; %bb.105:
	v_lshl_add_u64 v[20:21], v[38:39], 1, v[20:21]
	flat_load_ushort v20, v[20:21]
	s_waitcnt vmcnt(0) lgkmcnt(0)
	v_mul_f16_e32 v46, s16, v20
.LBB260_106:
	v_pk_add_f16 v16, v24, v16
	v_pk_max_f16 v20, v83, v83
	v_pk_add_f16 v17, v25, v17
	v_pk_min_f16 v16, v20, v16
	s_and_b64 vcc, exec, s[0:1]
	v_pk_min_f16 v16, v16, v17
	s_nop 0
	v_lshrrev_b32_e32 v17, 16, v16
	v_min3_f16 v20, v46, v16, v17
	v_lshl_add_u64 v[16:17], v[38:39], 1, v[22:23]
	global_store_short v[16:17], v20, off
	v_add_u32_e32 v20, 32, v115
	v_mad_i64_i32 v[16:17], s[4:5], v20, s6, 0
	v_lshl_add_u64 v[16:17], v[16:17], 1, s[10:11]
	v_mov_b32_e32 v22, 0
	v_mov_b32_e32 v23, 0
	s_cbranch_vccnz .LBB260_108
; %bb.107:
	v_lshl_add_u64 v[46:47], v[28:29], 1, v[16:17]
	flat_load_ushort v21, v[46:47]
	s_waitcnt vmcnt(0) lgkmcnt(0)
	v_mul_f16_e32 v23, s16, v21
.LBB260_108:
	v_pk_add_f16 v21, v30, v18
	v_pk_max_f16 v46, v84, v84
	s_and_b64 vcc, exec, s[0:1]
	v_pk_min_f16 v21, v46, v21
	v_pk_add_f16 v46, v31, v19
	s_nop 0
	v_pk_min_f16 v46, v21, v46
	v_mad_i64_i32 v[20:21], s[4:5], v20, s7, 0
	v_lshl_add_u64 v[20:21], v[20:21], 1, s[2:3]
	v_lshrrev_b32_e32 v47, 16, v46
	v_min3_f16 v23, v23, v46, v47
	v_lshl_add_u64 v[46:47], v[28:29], 1, v[20:21]
	global_store_short v[46:47], v23, off
	s_cbranch_vccnz .LBB260_110
; %bb.109:
	v_lshl_add_u64 v[22:23], v[32:33], 1, v[16:17]
	flat_load_ushort v22, v[22:23]
	s_waitcnt vmcnt(0) lgkmcnt(0)
	v_mul_f16_e32 v22, s16, v22
.LBB260_110:
	v_pk_add_f16 v23, v8, v18
	v_pk_max_f16 v46, v82, v82
	s_and_b64 vcc, exec, s[0:1]
	v_pk_min_f16 v23, v46, v23
	v_pk_add_f16 v46, v9, v19
	s_nop 0
	v_pk_min_f16 v23, v23, v46
	s_nop 0
	v_lshrrev_b32_e32 v46, 16, v23
	v_min3_f16 v46, v22, v23, v46
	v_lshl_add_u64 v[22:23], v[32:33], 1, v[20:21]
	global_store_short v[22:23], v46, off
	v_mov_b32_e32 v22, 0
	v_mov_b32_e32 v23, 0
	s_cbranch_vccnz .LBB260_112
; %bb.111:
	v_lshl_add_u64 v[46:47], v[34:35], 1, v[16:17]
	flat_load_ushort v23, v[46:47]
	s_waitcnt vmcnt(0) lgkmcnt(0)
	v_mul_f16_e32 v23, s16, v23
.LBB260_112:
	v_pk_add_f16 v46, v10, v18
	v_pk_max_f16 v47, v81, v81
	s_and_b64 vcc, exec, s[0:1]
	v_pk_min_f16 v46, v47, v46
	v_pk_add_f16 v47, v11, v19
	s_nop 0
	v_pk_min_f16 v46, v46, v47
	s_nop 0
	v_lshrrev_b32_e32 v47, 16, v46
	v_min3_f16 v23, v23, v46, v47
	v_lshl_add_u64 v[46:47], v[34:35], 1, v[20:21]
	global_store_short v[46:47], v23, off
	s_cbranch_vccnz .LBB260_114
; %bb.113:
	v_lshl_add_u64 v[22:23], v[36:37], 1, v[16:17]
	flat_load_ushort v22, v[22:23]
	s_waitcnt vmcnt(0) lgkmcnt(0)
	v_mul_f16_e32 v22, s16, v22
.LBB260_114:
	v_pk_add_f16 v23, v4, v18
	v_pk_max_f16 v46, v80, v80
	s_and_b64 vcc, exec, s[0:1]
	v_pk_min_f16 v23, v46, v23
	v_pk_add_f16 v46, v5, v19
	s_nop 0
	v_pk_min_f16 v23, v23, v46
	s_nop 0
	v_lshrrev_b32_e32 v46, 16, v23
	v_min3_f16 v46, v22, v23, v46
	v_lshl_add_u64 v[22:23], v[36:37], 1, v[20:21]
	global_store_short v[22:23], v46, off
	v_mov_b32_e32 v22, 0
	v_mov_b32_e32 v23, 0
	s_cbranch_vccnz .LBB260_116
; %bb.115:
	v_lshl_add_u64 v[46:47], v[44:45], 1, v[16:17]
	flat_load_ushort v23, v[46:47]
	s_waitcnt vmcnt(0) lgkmcnt(0)
	v_mul_f16_e32 v23, s16, v23
.LBB260_116:
	v_pk_add_f16 v46, v6, v18
	v_pk_max_f16 v47, v79, v79
	s_and_b64 vcc, exec, s[0:1]
	v_pk_min_f16 v46, v47, v46
	v_pk_add_f16 v47, v7, v19
	s_nop 0
	v_pk_min_f16 v46, v46, v47
	s_nop 0
	v_lshrrev_b32_e32 v47, 16, v46
	v_min3_f16 v23, v23, v46, v47
	v_lshl_add_u64 v[46:47], v[44:45], 1, v[20:21]
	global_store_short v[46:47], v23, off
	s_cbranch_vccnz .LBB260_118
; %bb.117:
	v_lshl_add_u64 v[22:23], v[42:43], 1, v[16:17]
	flat_load_ushort v22, v[22:23]
	s_waitcnt vmcnt(0) lgkmcnt(0)
	v_mul_f16_e32 v22, s16, v22
.LBB260_118:
	v_pk_add_f16 v23, v0, v18
	v_pk_max_f16 v46, v78, v78
	s_and_b64 vcc, exec, s[0:1]
	v_pk_min_f16 v23, v46, v23
	v_pk_add_f16 v46, v1, v19
	s_nop 0
	v_pk_min_f16 v23, v23, v46
	s_nop 0
	v_lshrrev_b32_e32 v46, 16, v23
	v_min3_f16 v46, v22, v23, v46
	v_lshl_add_u64 v[22:23], v[42:43], 1, v[20:21]
	global_store_short v[22:23], v46, off
	v_mov_b32_e32 v22, 0
	v_mov_b32_e32 v23, 0
	s_cbranch_vccnz .LBB260_120
; %bb.119:
	v_lshl_add_u64 v[46:47], v[40:41], 1, v[16:17]
	flat_load_ushort v23, v[46:47]
	s_waitcnt vmcnt(0) lgkmcnt(0)
	v_mul_f16_e32 v23, s16, v23
.LBB260_120:
	v_pk_add_f16 v46, v2, v18
	v_pk_max_f16 v47, v77, v77
	s_and_b64 vcc, exec, s[0:1]
	v_pk_min_f16 v46, v47, v46
	v_pk_add_f16 v47, v3, v19
	s_nop 0
	v_pk_min_f16 v46, v46, v47
	s_nop 0
	v_lshrrev_b32_e32 v47, 16, v46
	v_min3_f16 v23, v23, v46, v47
	v_lshl_add_u64 v[46:47], v[40:41], 1, v[20:21]
	global_store_short v[46:47], v23, off
	s_cbranch_vccnz .LBB260_122
; %bb.121:
	v_lshl_add_u64 v[16:17], v[38:39], 1, v[16:17]
	flat_load_ushort v16, v[16:17]
	s_waitcnt vmcnt(0) lgkmcnt(0)
	v_mul_f16_e32 v22, s16, v16
.LBB260_122:
	v_pk_add_f16 v16, v24, v18
	v_pk_max_f16 v17, v76, v76
	s_and_b64 vcc, exec, s[0:1]
	v_pk_min_f16 v16, v17, v16
	v_pk_add_f16 v17, v25, v19
	s_nop 0
	v_pk_min_f16 v16, v16, v17
	s_nop 0
	v_lshrrev_b32_e32 v17, 16, v16
	v_min3_f16 v18, v22, v16, v17
	v_lshl_add_u64 v[16:17], v[38:39], 1, v[20:21]
	global_store_short v[16:17], v18, off
	v_add_u32_e32 v18, 40, v115
	v_mad_i64_i32 v[16:17], s[4:5], v18, s6, 0
	v_lshl_add_u64 v[16:17], v[16:17], 1, s[10:11]
	v_mov_b32_e32 v20, 0
	v_mov_b32_e32 v21, 0
	s_cbranch_vccnz .LBB260_124
; %bb.123:
	v_lshl_add_u64 v[22:23], v[28:29], 1, v[16:17]
	flat_load_ushort v19, v[22:23]
	s_waitcnt vmcnt(0) lgkmcnt(0)
	v_mul_f16_e32 v21, s16, v19
.LBB260_124:
	v_pk_add_f16 v19, v30, v12
	v_pk_max_f16 v22, v75, v75
	s_and_b64 vcc, exec, s[0:1]
	v_pk_min_f16 v19, v22, v19
	v_pk_add_f16 v22, v31, v13
	s_nop 0
	v_pk_min_f16 v22, v19, v22
	v_mad_i64_i32 v[18:19], s[4:5], v18, s7, 0
	v_lshl_add_u64 v[18:19], v[18:19], 1, s[2:3]
	v_lshrrev_b32_e32 v23, 16, v22
	v_min3_f16 v21, v21, v22, v23
	v_lshl_add_u64 v[22:23], v[28:29], 1, v[18:19]
	global_store_short v[22:23], v21, off
	s_cbranch_vccnz .LBB260_126
; %bb.125:
	v_lshl_add_u64 v[20:21], v[32:33], 1, v[16:17]
	flat_load_ushort v20, v[20:21]
	s_waitcnt vmcnt(0) lgkmcnt(0)
	v_mul_f16_e32 v20, s16, v20
.LBB260_126:
	v_pk_add_f16 v21, v8, v12
	v_pk_max_f16 v22, v74, v74
	s_and_b64 vcc, exec, s[0:1]
	v_pk_min_f16 v21, v22, v21
	v_pk_add_f16 v22, v9, v13
	s_nop 0
	v_pk_min_f16 v21, v21, v22
	s_nop 0
	v_lshrrev_b32_e32 v22, 16, v21
	v_min3_f16 v22, v20, v21, v22
	v_lshl_add_u64 v[20:21], v[32:33], 1, v[18:19]
	global_store_short v[20:21], v22, off
	v_mov_b32_e32 v20, 0
	v_mov_b32_e32 v21, 0
	s_cbranch_vccnz .LBB260_128
; %bb.127:
	v_lshl_add_u64 v[22:23], v[34:35], 1, v[16:17]
	flat_load_ushort v21, v[22:23]
	s_waitcnt vmcnt(0) lgkmcnt(0)
	v_mul_f16_e32 v21, s16, v21
.LBB260_128:
	v_pk_add_f16 v22, v10, v12
	v_pk_max_f16 v23, v73, v73
	s_and_b64 vcc, exec, s[0:1]
	v_pk_min_f16 v22, v23, v22
	v_pk_add_f16 v23, v11, v13
	s_nop 0
	v_pk_min_f16 v22, v22, v23
	s_nop 0
	v_lshrrev_b32_e32 v23, 16, v22
	v_min3_f16 v21, v21, v22, v23
	v_lshl_add_u64 v[22:23], v[34:35], 1, v[18:19]
	global_store_short v[22:23], v21, off
	s_cbranch_vccnz .LBB260_130
; %bb.129:
	v_lshl_add_u64 v[20:21], v[36:37], 1, v[16:17]
	flat_load_ushort v20, v[20:21]
	s_waitcnt vmcnt(0) lgkmcnt(0)
	v_mul_f16_e32 v20, s16, v20
.LBB260_130:
	v_pk_add_f16 v21, v4, v12
	v_pk_max_f16 v22, v72, v72
	s_and_b64 vcc, exec, s[0:1]
	v_pk_min_f16 v21, v22, v21
	v_pk_add_f16 v22, v5, v13
	s_nop 0
	v_pk_min_f16 v21, v21, v22
	s_nop 0
	v_lshrrev_b32_e32 v22, 16, v21
	v_min3_f16 v22, v20, v21, v22
	v_lshl_add_u64 v[20:21], v[36:37], 1, v[18:19]
	global_store_short v[20:21], v22, off
	v_mov_b32_e32 v20, 0
	v_mov_b32_e32 v21, 0
	s_cbranch_vccnz .LBB260_132
; %bb.131:
	v_lshl_add_u64 v[22:23], v[44:45], 1, v[16:17]
	flat_load_ushort v21, v[22:23]
	s_waitcnt vmcnt(0) lgkmcnt(0)
	v_mul_f16_e32 v21, s16, v21
.LBB260_132:
	v_pk_add_f16 v22, v6, v12
	v_pk_max_f16 v23, v71, v71
	s_and_b64 vcc, exec, s[0:1]
	v_pk_min_f16 v22, v23, v22
	v_pk_add_f16 v23, v7, v13
	s_nop 0
	v_pk_min_f16 v22, v22, v23
	s_nop 0
	;; [unrolled: 40-line block ×3, first 2 shown]
	v_lshrrev_b32_e32 v23, 16, v22
	v_min3_f16 v21, v21, v22, v23
	v_lshl_add_u64 v[22:23], v[40:41], 1, v[18:19]
	global_store_short v[22:23], v21, off
	s_cbranch_vccnz .LBB260_138
; %bb.137:
	v_lshl_add_u64 v[16:17], v[38:39], 1, v[16:17]
	flat_load_ushort v16, v[16:17]
	s_waitcnt vmcnt(0) lgkmcnt(0)
	v_mul_f16_e32 v20, s16, v16
.LBB260_138:
	v_pk_add_f16 v12, v24, v12
	v_pk_max_f16 v16, v68, v68
	v_pk_add_f16 v13, v25, v13
	v_pk_min_f16 v12, v16, v12
	s_and_b64 vcc, exec, s[0:1]
	v_pk_min_f16 v12, v12, v13
	s_nop 0
	v_lshrrev_b32_e32 v13, 16, v12
	v_min3_f16 v16, v20, v12, v13
	v_lshl_add_u64 v[12:13], v[38:39], 1, v[18:19]
	global_store_short v[12:13], v16, off
	v_add_u32_e32 v16, 48, v115
	v_mad_i64_i32 v[12:13], s[4:5], v16, s6, 0
	v_lshl_add_u64 v[12:13], v[12:13], 1, s[10:11]
	v_mov_b32_e32 v18, 0
	v_mov_b32_e32 v19, 0
	s_cbranch_vccnz .LBB260_140
; %bb.139:
	v_lshl_add_u64 v[20:21], v[28:29], 1, v[12:13]
	flat_load_ushort v17, v[20:21]
	s_waitcnt vmcnt(0) lgkmcnt(0)
	v_mul_f16_e32 v19, s16, v17
.LBB260_140:
	v_pk_add_f16 v17, v30, v14
	v_pk_max_f16 v20, v66, v66
	s_and_b64 vcc, exec, s[0:1]
	v_pk_min_f16 v17, v20, v17
	v_pk_add_f16 v20, v31, v15
	s_nop 0
	v_pk_min_f16 v20, v17, v20
	v_mad_i64_i32 v[16:17], s[4:5], v16, s7, 0
	v_lshl_add_u64 v[16:17], v[16:17], 1, s[2:3]
	v_lshrrev_b32_e32 v21, 16, v20
	v_min3_f16 v19, v19, v20, v21
	v_lshl_add_u64 v[20:21], v[28:29], 1, v[16:17]
	global_store_short v[20:21], v19, off
	s_cbranch_vccnz .LBB260_142
; %bb.141:
	v_lshl_add_u64 v[18:19], v[32:33], 1, v[12:13]
	flat_load_ushort v18, v[18:19]
	s_waitcnt vmcnt(0) lgkmcnt(0)
	v_mul_f16_e32 v18, s16, v18
.LBB260_142:
	v_pk_add_f16 v19, v8, v14
	v_pk_max_f16 v20, v65, v65
	s_and_b64 vcc, exec, s[0:1]
	v_pk_min_f16 v19, v20, v19
	v_pk_add_f16 v20, v9, v15
	s_nop 0
	v_pk_min_f16 v19, v19, v20
	s_nop 0
	v_lshrrev_b32_e32 v20, 16, v19
	v_min3_f16 v20, v18, v19, v20
	v_lshl_add_u64 v[18:19], v[32:33], 1, v[16:17]
	global_store_short v[18:19], v20, off
	v_mov_b32_e32 v18, 0
	v_mov_b32_e32 v19, 0
	s_cbranch_vccnz .LBB260_144
; %bb.143:
	v_lshl_add_u64 v[20:21], v[34:35], 1, v[12:13]
	flat_load_ushort v19, v[20:21]
	s_waitcnt vmcnt(0) lgkmcnt(0)
	v_mul_f16_e32 v19, s16, v19
.LBB260_144:
	v_pk_add_f16 v20, v10, v14
	v_pk_max_f16 v21, v64, v64
	s_and_b64 vcc, exec, s[0:1]
	v_pk_min_f16 v20, v21, v20
	v_pk_add_f16 v21, v11, v15
	s_nop 0
	v_pk_min_f16 v20, v20, v21
	s_nop 0
	v_lshrrev_b32_e32 v21, 16, v20
	v_min3_f16 v19, v19, v20, v21
	v_lshl_add_u64 v[20:21], v[34:35], 1, v[16:17]
	global_store_short v[20:21], v19, off
	s_cbranch_vccnz .LBB260_146
; %bb.145:
	v_lshl_add_u64 v[18:19], v[36:37], 1, v[12:13]
	flat_load_ushort v18, v[18:19]
	s_waitcnt vmcnt(0) lgkmcnt(0)
	v_mul_f16_e32 v18, s16, v18
.LBB260_146:
	v_pk_add_f16 v19, v4, v14
	v_pk_max_f16 v20, v63, v63
	s_and_b64 vcc, exec, s[0:1]
	v_pk_min_f16 v19, v20, v19
	v_pk_add_f16 v20, v5, v15
	s_nop 0
	v_pk_min_f16 v19, v19, v20
	s_nop 0
	v_lshrrev_b32_e32 v20, 16, v19
	v_min3_f16 v20, v18, v19, v20
	v_lshl_add_u64 v[18:19], v[36:37], 1, v[16:17]
	global_store_short v[18:19], v20, off
	v_mov_b32_e32 v18, 0
	v_mov_b32_e32 v19, 0
	s_cbranch_vccnz .LBB260_148
; %bb.147:
	v_lshl_add_u64 v[20:21], v[44:45], 1, v[12:13]
	flat_load_ushort v19, v[20:21]
	s_waitcnt vmcnt(0) lgkmcnt(0)
	v_mul_f16_e32 v19, s16, v19
.LBB260_148:
	v_pk_add_f16 v20, v6, v14
	v_pk_max_f16 v21, v62, v62
	s_and_b64 vcc, exec, s[0:1]
	v_pk_min_f16 v20, v21, v20
	v_pk_add_f16 v21, v7, v15
	s_nop 0
	v_pk_min_f16 v20, v20, v21
	s_nop 0
	;; [unrolled: 40-line block ×3, first 2 shown]
	v_lshrrev_b32_e32 v21, 16, v20
	v_min3_f16 v19, v19, v20, v21
	v_lshl_add_u64 v[20:21], v[40:41], 1, v[16:17]
	global_store_short v[20:21], v19, off
	s_cbranch_vccnz .LBB260_154
; %bb.153:
	v_lshl_add_u64 v[12:13], v[38:39], 1, v[12:13]
	flat_load_ushort v12, v[12:13]
	s_waitcnt vmcnt(0) lgkmcnt(0)
	v_mul_f16_e32 v18, s16, v12
.LBB260_154:
	v_pk_add_f16 v12, v24, v14
	v_pk_max_f16 v13, v58, v58
	s_and_b64 vcc, exec, s[0:1]
	v_pk_min_f16 v12, v13, v12
	v_pk_add_f16 v13, v25, v15
	s_nop 0
	v_pk_min_f16 v12, v12, v13
	s_nop 0
	v_lshrrev_b32_e32 v13, 16, v12
	v_min3_f16 v14, v18, v12, v13
	v_lshl_add_u64 v[12:13], v[38:39], 1, v[16:17]
	global_store_short v[12:13], v14, off
	v_add_u32_e32 v14, 56, v115
	v_mad_i64_i32 v[12:13], s[4:5], v14, s6, 0
	v_lshl_add_u64 v[12:13], v[12:13], 1, s[10:11]
	v_mov_b32_e32 v16, 0
	v_mov_b32_e32 v17, 0
	s_cbranch_vccnz .LBB260_156
; %bb.155:
	v_lshl_add_u64 v[18:19], v[28:29], 1, v[12:13]
	flat_load_ushort v15, v[18:19]
	s_waitcnt vmcnt(0) lgkmcnt(0)
	v_mul_f16_e32 v17, s16, v15
.LBB260_156:
	v_pk_add_f16 v15, v30, v26
	v_pk_max_f16 v18, v59, v59
	s_and_b64 vcc, exec, s[0:1]
	v_pk_min_f16 v15, v18, v15
	v_pk_add_f16 v18, v31, v27
	s_nop 0
	v_pk_min_f16 v18, v15, v18
	v_mad_i64_i32 v[14:15], s[4:5], v14, s7, 0
	v_lshl_add_u64 v[14:15], v[14:15], 1, s[2:3]
	v_lshrrev_b32_e32 v19, 16, v18
	v_min3_f16 v17, v17, v18, v19
	v_lshl_add_u64 v[18:19], v[28:29], 1, v[14:15]
	global_store_short v[18:19], v17, off
	s_cbranch_vccnz .LBB260_158
; %bb.157:
	v_lshl_add_u64 v[16:17], v[32:33], 1, v[12:13]
	flat_load_ushort v16, v[16:17]
	s_waitcnt vmcnt(0) lgkmcnt(0)
	v_mul_f16_e32 v16, s16, v16
.LBB260_158:
	v_pk_add_f16 v8, v8, v26
	v_pk_max_f16 v17, v57, v57
	v_pk_add_f16 v9, v9, v27
	v_pk_min_f16 v8, v17, v8
	s_and_b64 vcc, exec, s[0:1]
	v_pk_min_f16 v8, v8, v9
	s_nop 0
	v_lshrrev_b32_e32 v9, 16, v8
	v_min3_f16 v16, v16, v8, v9
	v_lshl_add_u64 v[8:9], v[32:33], 1, v[14:15]
	global_store_short v[8:9], v16, off
	v_mov_b32_e32 v8, 0
	v_mov_b32_e32 v9, 0
	s_cbranch_vccnz .LBB260_160
; %bb.159:
	v_lshl_add_u64 v[16:17], v[34:35], 1, v[12:13]
	flat_load_ushort v9, v[16:17]
	s_waitcnt vmcnt(0) lgkmcnt(0)
	v_mul_f16_e32 v9, s16, v9
.LBB260_160:
	v_pk_add_f16 v10, v10, v26
	v_pk_max_f16 v16, v56, v56
	v_pk_add_f16 v11, v11, v27
	v_pk_min_f16 v10, v16, v10
	s_and_b64 vcc, exec, s[0:1]
	v_pk_min_f16 v10, v10, v11
	s_nop 0
	v_lshrrev_b32_e32 v11, 16, v10
	v_min3_f16 v9, v9, v10, v11
	v_lshl_add_u64 v[10:11], v[34:35], 1, v[14:15]
	global_store_short v[10:11], v9, off
	s_cbranch_vccnz .LBB260_162
; %bb.161:
	v_lshl_add_u64 v[8:9], v[36:37], 1, v[12:13]
	flat_load_ushort v8, v[8:9]
	s_waitcnt vmcnt(0) lgkmcnt(0)
	v_mul_f16_e32 v8, s16, v8
.LBB260_162:
	v_pk_add_f16 v4, v4, v26
	v_pk_max_f16 v9, v55, v55
	v_pk_add_f16 v5, v5, v27
	v_pk_min_f16 v4, v9, v4
	s_and_b64 vcc, exec, s[0:1]
	v_pk_min_f16 v4, v4, v5
	s_nop 0
	v_lshrrev_b32_e32 v5, 16, v4
	v_min3_f16 v8, v8, v4, v5
	v_lshl_add_u64 v[4:5], v[36:37], 1, v[14:15]
	global_store_short v[4:5], v8, off
	v_mov_b32_e32 v4, 0
	v_mov_b32_e32 v5, 0
	s_cbranch_vccnz .LBB260_164
; %bb.163:
	v_lshl_add_u64 v[8:9], v[44:45], 1, v[12:13]
	flat_load_ushort v5, v[8:9]
	s_waitcnt vmcnt(0) lgkmcnt(0)
	v_mul_f16_e32 v5, s16, v5
.LBB260_164:
	v_pk_add_f16 v6, v6, v26
	v_pk_max_f16 v8, v54, v54
	v_pk_add_f16 v7, v7, v27
	v_pk_min_f16 v6, v8, v6
	s_and_b64 vcc, exec, s[0:1]
	v_pk_min_f16 v6, v6, v7
	s_nop 0
	v_lshrrev_b32_e32 v7, 16, v6
	v_min3_f16 v5, v5, v6, v7
	v_lshl_add_u64 v[6:7], v[44:45], 1, v[14:15]
	global_store_short v[6:7], v5, off
	s_cbranch_vccnz .LBB260_166
; %bb.165:
	v_lshl_add_u64 v[4:5], v[42:43], 1, v[12:13]
	flat_load_ushort v4, v[4:5]
	s_waitcnt vmcnt(0) lgkmcnt(0)
	v_mul_f16_e32 v4, s16, v4
.LBB260_166:
	v_pk_add_f16 v0, v0, v26
	v_pk_max_f16 v5, v52, v52
	v_pk_add_f16 v2, v2, v26
	v_pk_min_f16 v0, v5, v0
	v_pk_max_f16 v5, v53, v53
	v_pk_add_f16 v1, v1, v27
	v_pk_min_f16 v2, v5, v2
	v_pk_min_f16 v0, v0, v1
	v_pk_add_f16 v1, v3, v27
	s_mov_b64 vcc, s[8:9]
	v_pk_min_f16 v2, v2, v1
	v_lshrrev_b32_e32 v1, 16, v0
	v_min3_f16 v3, v4, v0, v1
	v_lshl_add_u64 v[0:1], v[42:43], 1, v[14:15]
	global_store_short v[0:1], v3, off
	v_min_f16_sdwa v0, v2, v2 dst_sel:DWORD dst_unused:UNUSED_PAD src0_sel:DWORD src1_sel:WORD_1
	v_max_f16_e32 v0, v0, v0
	s_cbranch_vccz .LBB260_169
; %bb.167:
	v_min_f16_e32 v1, 0, v0
	v_lshl_add_u64 v[2:3], v[40:41], 1, v[14:15]
	s_mov_b32 s2, 0
	global_store_short v[2:3], v1, off
	s_cbranch_execz .LBB260_170
; %bb.168:
	v_mov_b32_e32 v0, s2
	s_branch .LBB260_171
.LBB260_169:
                                        ; implicit-def: $sgpr2
.LBB260_170:
	v_lshlrev_b64 v[2:3], 1, v[40:41]
	v_lshl_add_u64 v[4:5], v[12:13], 0, v[2:3]
	flat_load_ushort v1, v[4:5]
	v_lshl_add_u64 v[2:3], v[14:15], 0, v[2:3]
	s_waitcnt vmcnt(0) lgkmcnt(0)
	v_mul_f16_e32 v1, s16, v1
	v_min_f16_e32 v0, v1, v0
	global_store_short v[2:3], v0, off
	v_lshl_add_u64 v[0:1], v[38:39], 1, v[12:13]
	flat_load_ushort v0, v[0:1]
	s_waitcnt vmcnt(0) lgkmcnt(0)
	v_mul_f16_e32 v0, s16, v0
.LBB260_171:
	v_pk_add_f16 v1, v24, v26
	v_pk_max_f16 v2, v67, v67
	s_nop 0
	v_pk_min_f16 v1, v2, v1
	v_pk_add_f16 v2, v25, v27
	s_nop 0
	v_pk_min_f16 v1, v1, v2
	s_nop 0
	v_lshrrev_b32_e32 v2, 16, v1
	v_min3_f16 v2, v0, v1, v2
	v_lshl_add_u64 v[0:1], v[38:39], 1, v[14:15]
	global_store_short v[0:1], v2, off
	s_endpgm
	.section	.rodata,"a",@progbits
	.p2align	6, 0x0
	.amdhsa_kernel _ZN12_GLOBAL__N_120geam_min_plus_kernelIDF16_Dv2_DF16_S1_Li32ELi8ELi256ELi64ELi4ELi64ELi4ELi4ELi64ELc78ELc78ELb0ELb0ELb1EDF16_KDF16_DF16_EEviiiT16_PT17_ilS5_ilS3_S5_ilPT18_ili26rocblas_geam_ex_operation_
		.amdhsa_group_segment_fixed_size 5120
		.amdhsa_private_segment_fixed_size 0
		.amdhsa_kernarg_size 128
		.amdhsa_user_sgpr_count 2
		.amdhsa_user_sgpr_dispatch_ptr 0
		.amdhsa_user_sgpr_queue_ptr 0
		.amdhsa_user_sgpr_kernarg_segment_ptr 1
		.amdhsa_user_sgpr_dispatch_id 0
		.amdhsa_user_sgpr_kernarg_preload_length 0
		.amdhsa_user_sgpr_kernarg_preload_offset 0
		.amdhsa_user_sgpr_private_segment_size 0
		.amdhsa_uses_dynamic_stack 0
		.amdhsa_enable_private_segment 0
		.amdhsa_system_sgpr_workgroup_id_x 1
		.amdhsa_system_sgpr_workgroup_id_y 0
		.amdhsa_system_sgpr_workgroup_id_z 1
		.amdhsa_system_sgpr_workgroup_info 0
		.amdhsa_system_vgpr_workitem_id 1
		.amdhsa_next_free_vgpr 164
		.amdhsa_next_free_sgpr 30
		.amdhsa_accum_offset 164
		.amdhsa_reserve_vcc 1
		.amdhsa_float_round_mode_32 0
		.amdhsa_float_round_mode_16_64 0
		.amdhsa_float_denorm_mode_32 3
		.amdhsa_float_denorm_mode_16_64 3
		.amdhsa_dx10_clamp 1
		.amdhsa_ieee_mode 1
		.amdhsa_fp16_overflow 0
		.amdhsa_tg_split 0
		.amdhsa_exception_fp_ieee_invalid_op 0
		.amdhsa_exception_fp_denorm_src 0
		.amdhsa_exception_fp_ieee_div_zero 0
		.amdhsa_exception_fp_ieee_overflow 0
		.amdhsa_exception_fp_ieee_underflow 0
		.amdhsa_exception_fp_ieee_inexact 0
		.amdhsa_exception_int_div_zero 0
	.end_amdhsa_kernel
	.section	.text._ZN12_GLOBAL__N_120geam_min_plus_kernelIDF16_Dv2_DF16_S1_Li32ELi8ELi256ELi64ELi4ELi64ELi4ELi4ELi64ELc78ELc78ELb0ELb0ELb1EDF16_KDF16_DF16_EEviiiT16_PT17_ilS5_ilS3_S5_ilPT18_ili26rocblas_geam_ex_operation_,"axG",@progbits,_ZN12_GLOBAL__N_120geam_min_plus_kernelIDF16_Dv2_DF16_S1_Li32ELi8ELi256ELi64ELi4ELi64ELi4ELi4ELi64ELc78ELc78ELb0ELb0ELb1EDF16_KDF16_DF16_EEviiiT16_PT17_ilS5_ilS3_S5_ilPT18_ili26rocblas_geam_ex_operation_,comdat
.Lfunc_end260:
	.size	_ZN12_GLOBAL__N_120geam_min_plus_kernelIDF16_Dv2_DF16_S1_Li32ELi8ELi256ELi64ELi4ELi64ELi4ELi4ELi64ELc78ELc78ELb0ELb0ELb1EDF16_KDF16_DF16_EEviiiT16_PT17_ilS5_ilS3_S5_ilPT18_ili26rocblas_geam_ex_operation_, .Lfunc_end260-_ZN12_GLOBAL__N_120geam_min_plus_kernelIDF16_Dv2_DF16_S1_Li32ELi8ELi256ELi64ELi4ELi64ELi4ELi4ELi64ELc78ELc78ELb0ELb0ELb1EDF16_KDF16_DF16_EEviiiT16_PT17_ilS5_ilS3_S5_ilPT18_ili26rocblas_geam_ex_operation_
                                        ; -- End function
	.section	.AMDGPU.csdata,"",@progbits
; Kernel info:
; codeLenInByte = 17140
; NumSgprs: 36
; NumVgprs: 164
; NumAgprs: 0
; TotalNumVgprs: 164
; ScratchSize: 0
; MemoryBound: 0
; FloatMode: 240
; IeeeMode: 1
; LDSByteSize: 5120 bytes/workgroup (compile time only)
; SGPRBlocks: 4
; VGPRBlocks: 20
; NumSGPRsForWavesPerEU: 36
; NumVGPRsForWavesPerEU: 164
; AccumOffset: 164
; Occupancy: 3
; WaveLimiterHint : 1
; COMPUTE_PGM_RSRC2:SCRATCH_EN: 0
; COMPUTE_PGM_RSRC2:USER_SGPR: 2
; COMPUTE_PGM_RSRC2:TRAP_HANDLER: 0
; COMPUTE_PGM_RSRC2:TGID_X_EN: 1
; COMPUTE_PGM_RSRC2:TGID_Y_EN: 0
; COMPUTE_PGM_RSRC2:TGID_Z_EN: 1
; COMPUTE_PGM_RSRC2:TIDIG_COMP_CNT: 1
; COMPUTE_PGM_RSRC3_GFX90A:ACCUM_OFFSET: 40
; COMPUTE_PGM_RSRC3_GFX90A:TG_SPLIT: 0
	.section	.text._ZN12_GLOBAL__N_120geam_min_plus_kernelIDF16_Dv2_DF16_S1_Li32ELi8ELi256ELi64ELi4ELi64ELi4ELi4ELi64ELc78ELc78ELb0ELb1ELb1EPKDF16_S2_DF16_EEviiiT16_PT17_ilS6_ilS4_S6_ilPT18_ili26rocblas_geam_ex_operation_,"axG",@progbits,_ZN12_GLOBAL__N_120geam_min_plus_kernelIDF16_Dv2_DF16_S1_Li32ELi8ELi256ELi64ELi4ELi64ELi4ELi4ELi64ELc78ELc78ELb0ELb1ELb1EPKDF16_S2_DF16_EEviiiT16_PT17_ilS6_ilS4_S6_ilPT18_ili26rocblas_geam_ex_operation_,comdat
	.globl	_ZN12_GLOBAL__N_120geam_min_plus_kernelIDF16_Dv2_DF16_S1_Li32ELi8ELi256ELi64ELi4ELi64ELi4ELi4ELi64ELc78ELc78ELb0ELb1ELb1EPKDF16_S2_DF16_EEviiiT16_PT17_ilS6_ilS4_S6_ilPT18_ili26rocblas_geam_ex_operation_ ; -- Begin function _ZN12_GLOBAL__N_120geam_min_plus_kernelIDF16_Dv2_DF16_S1_Li32ELi8ELi256ELi64ELi4ELi64ELi4ELi4ELi64ELc78ELc78ELb0ELb1ELb1EPKDF16_S2_DF16_EEviiiT16_PT17_ilS6_ilS4_S6_ilPT18_ili26rocblas_geam_ex_operation_
	.p2align	8
	.type	_ZN12_GLOBAL__N_120geam_min_plus_kernelIDF16_Dv2_DF16_S1_Li32ELi8ELi256ELi64ELi4ELi64ELi4ELi4ELi64ELc78ELc78ELb0ELb1ELb1EPKDF16_S2_DF16_EEviiiT16_PT17_ilS6_ilS4_S6_ilPT18_ili26rocblas_geam_ex_operation_,@function
_ZN12_GLOBAL__N_120geam_min_plus_kernelIDF16_Dv2_DF16_S1_Li32ELi8ELi256ELi64ELi4ELi64ELi4ELi4ELi64ELc78ELc78ELb0ELb1ELb1EPKDF16_S2_DF16_EEviiiT16_PT17_ilS6_ilS4_S6_ilPT18_ili26rocblas_geam_ex_operation_: ; @_ZN12_GLOBAL__N_120geam_min_plus_kernelIDF16_Dv2_DF16_S1_Li32ELi8ELi256ELi64ELi4ELi64ELi4ELi4ELi64ELc78ELc78ELb0ELb1ELb1EPKDF16_S2_DF16_EEviiiT16_PT17_ilS6_ilS4_S6_ilPT18_ili26rocblas_geam_ex_operation_
; %bb.0:
	s_load_dwordx4 s[4:7], s[0:1], 0x10
	s_load_dwordx4 s[8:11], s[0:1], 0x28
	;; [unrolled: 1-line block ×3, first 2 shown]
	s_load_dwordx2 s[20:21], s[0:1], 0x50
	s_mov_b32 s18, s3
	s_mov_b32 s19, 0
	s_lshl_b64 s[16:17], s[18:19], 1
	s_waitcnt lgkmcnt(0)
	s_add_u32 s4, s4, s16
	s_addc_u32 s5, s5, s17
	v_mov_b32_e32 v1, 0
	global_load_ushort v46, v1, s[4:5]
	s_add_u32 s4, s14, s16
	s_addc_u32 s5, s15, s17
	global_load_ushort v52, v1, s[4:5]
	s_mov_b64 s[30:31], 0
	s_mov_b64 s[28:29], 0
	s_waitcnt vmcnt(1)
	v_cmp_eq_f16_e32 vcc, 0, v46
	v_cmp_neq_f16_e64 s[4:5], 0, v46
	s_cbranch_vccnz .LBB261_2
; %bb.1:
	s_mul_i32 s3, s18, s9
	s_mul_hi_u32 s9, s18, s8
	s_add_i32 s9, s9, s3
	s_mul_i32 s8, s18, s8
	s_lshl_b64 s[8:9], s[8:9], 1
	s_add_u32 s28, s6, s8
	s_addc_u32 s29, s7, s9
.LBB261_2:
	s_andn2_b64 vcc, exec, s[4:5]
	s_cbranch_vccnz .LBB261_4
; %bb.3:
	s_mul_i32 s3, s18, s13
	s_mul_hi_u32 s4, s18, s12
	s_add_i32 s5, s4, s3
	s_mul_i32 s4, s18, s12
	s_lshl_b64 s[4:5], s[4:5], 1
	s_add_u32 s30, s10, s4
	s_addc_u32 s31, s11, s5
.LBB261_4:
	s_load_dwordx4 s[24:27], s[0:1], 0x60
	s_waitcnt vmcnt(0)
	v_cmp_eq_f16_e32 vcc, 0, v52
	v_cmp_neq_f16_e64 s[16:17], 0, v52
	s_cbranch_vccnz .LBB261_6
; %bb.5:
	s_waitcnt lgkmcnt(0)
	s_mul_i32 s3, s18, s25
	s_mul_hi_u32 s4, s18, s24
	s_add_i32 s5, s4, s3
	s_mul_i32 s4, s18, s24
	s_lshl_b64 s[4:5], s[4:5], 1
	s_add_u32 s24, s20, s4
	s_addc_u32 s25, s21, s5
	s_branch .LBB261_7
.LBB261_6:
	s_waitcnt lgkmcnt(0)
	s_mov_b64 s[24:25], 0
.LBB261_7:
	s_load_dwordx4 s[20:23], s[0:1], 0x0
	v_and_b32_e32 v44, 0x3ff, v0
	v_bfe_u32 v45, v0, 10, 10
	s_waitcnt lgkmcnt(0)
	s_load_dword s23, s[0:1], 0x20
	v_lshl_add_u32 v7, v45, 5, v44
	s_add_i32 s14, s20, -1
	s_ashr_i32 s3, s14, 31
	s_lshr_b32 s3, s3, 24
	s_add_i32 s3, s14, s3
	s_ashr_i32 s3, s3, 8
	s_add_i32 s4, s3, 1
	v_cvt_f32_u32_e32 v1, s4
	s_not_b32 s3, s3
	v_and_b32_e32 v2, 63, v7
	v_lshrrev_b32_e32 v47, 6, v7
	v_rcp_iflag_f32_e32 v0, v1
	v_cmp_le_i32_e64 s[12:13], s22, v47
	v_cmp_eq_f16_e32 vcc, 0, v46
	v_mov_b32_e32 v4, 0x7c00
	v_mul_f32_e32 v0, 0x4f7ffffe, v0
	v_cvt_u32_f32_e32 v0, v0
	s_nop 0
	v_readfirstlane_b32 s5, v0
	s_mul_i32 s3, s3, s5
	s_mul_hi_u32 s3, s5, s3
	s_add_i32 s5, s5, s3
	s_mul_hi_u32 s3, s2, s5
	s_mul_i32 s5, s3, s4
	s_sub_i32 s5, s2, s5
	s_add_i32 s6, s3, 1
	s_sub_i32 s7, s5, s4
	s_cmp_ge_u32 s5, s4
	s_cselect_b32 s3, s6, s3
	s_cselect_b32 s5, s7, s5
	s_add_i32 s6, s3, 1
	s_cmp_ge_u32 s5, s4
	s_cselect_b32 s15, s6, s3
	s_mul_i32 s3, s15, s4
	s_sub_i32 s2, s2, s3
	s_add_i32 s34, s22, -1
	s_lshl_b32 s19, s2, 8
	v_min_i32_e32 v0, s34, v47
	v_or_b32_e32 v32, s19, v2
	s_waitcnt lgkmcnt(0)
	v_mad_i64_i32 v[0:1], s[2:3], s23, v0, 0
	v_cmp_le_i32_e64 s[4:5], s20, v32
	s_or_b64 s[2:3], s[4:5], s[12:13]
	v_cndmask_b32_e64 v3, 0, v4, s[2:3]
	s_or_b64 s[2:3], vcc, s[2:3]
	v_lshl_add_u64 v[0:1], v[0:1], 1, s[28:29]
	s_xor_b64 s[6:7], s[2:3], -1
	v_ashrrev_i32_e32 v33, 31, v32
	s_and_saveexec_b64 s[2:3], s[6:7]
	s_cbranch_execz .LBB261_9
; %bb.8:
	v_lshl_add_u64 v[8:9], v[32:33], 1, v[0:1]
	flat_load_ushort v3, v[8:9]
	s_waitcnt vmcnt(0) lgkmcnt(0)
	v_mul_f16_e32 v3, v46, v3
.LBB261_9:
	s_or_b64 exec, exec, s[2:3]
	v_or_b32_e32 v5, 64, v32
	v_cmp_le_i32_e64 s[6:7], s20, v5
	s_or_b64 s[2:3], s[6:7], s[12:13]
	v_min_i32_e32 v34, s14, v5
	v_cndmask_b32_e64 v4, 0, v4, s[2:3]
	s_or_b64 s[2:3], vcc, s[2:3]
	s_xor_b64 s[8:9], s[2:3], -1
	v_ashrrev_i32_e32 v35, 31, v34
	s_and_saveexec_b64 s[2:3], s[8:9]
	s_cbranch_execz .LBB261_11
; %bb.10:
	v_lshl_add_u64 v[4:5], v[34:35], 1, v[0:1]
	flat_load_ushort v4, v[4:5]
	s_waitcnt vmcnt(0) lgkmcnt(0)
	v_mul_f16_e32 v4, v46, v4
.LBB261_11:
	s_or_b64 exec, exec, s[2:3]
	v_or_b32_e32 v5, 0x80, v32
	v_cmp_le_i32_e64 s[8:9], s20, v5
	v_mov_b32_e32 v6, 0x7c00
	s_or_b64 s[2:3], s[8:9], s[12:13]
	v_min_i32_e32 v36, s14, v5
	v_cndmask_b32_e64 v5, 0, v6, s[2:3]
	s_or_b64 s[2:3], vcc, s[2:3]
	s_xor_b64 s[10:11], s[2:3], -1
	v_ashrrev_i32_e32 v37, 31, v36
	s_and_saveexec_b64 s[2:3], s[10:11]
	s_cbranch_execz .LBB261_13
; %bb.12:
	v_lshl_add_u64 v[8:9], v[36:37], 1, v[0:1]
	flat_load_ushort v5, v[8:9]
	s_waitcnt vmcnt(0) lgkmcnt(0)
	v_mul_f16_e32 v5, v46, v5
.LBB261_13:
	s_or_b64 exec, exec, s[2:3]
	v_or_b32_e32 v8, 0xc0, v32
	v_cmp_le_i32_e64 s[10:11], s20, v8
	s_or_b64 s[2:3], s[10:11], s[12:13]
	v_min_i32_e32 v38, s14, v8
	v_cndmask_b32_e64 v6, 0, v6, s[2:3]
	s_or_b64 s[2:3], vcc, s[2:3]
	s_xor_b64 s[12:13], s[2:3], -1
	v_ashrrev_i32_e32 v39, 31, v38
	s_and_saveexec_b64 s[2:3], s[12:13]
	s_cbranch_execz .LBB261_15
; %bb.14:
	v_lshl_add_u64 v[0:1], v[38:39], 1, v[0:1]
	flat_load_ushort v0, v[0:1]
	s_waitcnt vmcnt(0) lgkmcnt(0)
	v_mul_f16_e32 v6, v46, v0
.LBB261_15:
	s_or_b64 exec, exec, s[2:3]
	v_lshrrev_b32_e32 v7, 2, v7
	s_lshl_b32 s33, s15, 6
	s_load_dword s36, s[0:1], 0x38
	v_and_b32_e32 v50, 3, v44
	v_add_u32_e32 v41, s33, v7
	v_cmp_le_i32_e64 s[2:3], s22, v50
	v_cmp_le_i32_e64 s[12:13], s21, v41
	v_mov_b32_e32 v9, 0x7c00
	s_or_b64 s[2:3], s[2:3], s[12:13]
	v_cndmask_b32_e64 v8, 0, v9, s[2:3]
	s_or_b64 s[2:3], vcc, s[2:3]
	s_xor_b64 s[14:15], s[2:3], -1
	s_and_saveexec_b64 s[2:3], s[14:15]
	s_cbranch_execz .LBB261_17
; %bb.16:
	v_min_u32_e32 v8, s34, v50
	s_waitcnt lgkmcnt(0)
	v_mad_i64_i32 v[0:1], s[14:15], v41, s36, 0
	v_lshl_add_u64 v[0:1], v[0:1], 1, s[30:31]
	v_lshlrev_b32_e32 v10, 1, v8
	v_mov_b32_e32 v11, 0
	v_lshl_add_u64 v[0:1], v[0:1], 0, v[10:11]
	flat_load_ushort v0, v[0:1]
	s_waitcnt vmcnt(0) lgkmcnt(0)
	v_mul_f16_e32 v8, v46, v0
.LBB261_17:
	s_or_b64 exec, exec, s[2:3]
	v_add_u32_e32 v0, 4, v47
	v_cmp_le_i32_e64 s[14:15], s22, v0
	v_min_i32_e32 v0, s34, v0
	v_mad_i64_i32 v[0:1], s[2:3], s23, v0, 0
	s_or_b64 s[2:3], s[4:5], s[14:15]
	s_nop 0
	v_cndmask_b32_e64 v42, 0, v9, s[2:3]
	s_or_b64 s[2:3], vcc, s[2:3]
	v_lshl_add_u64 v[0:1], v[0:1], 1, s[28:29]
	s_xor_b64 s[38:39], s[2:3], -1
	s_and_saveexec_b64 s[2:3], s[38:39]
	s_cbranch_execz .LBB261_19
; %bb.18:
	v_lshl_add_u64 v[10:11], v[32:33], 1, v[0:1]
	flat_load_ushort v9, v[10:11]
	s_waitcnt vmcnt(0) lgkmcnt(0)
	v_mul_f16_e32 v42, v46, v9
.LBB261_19:
	s_or_b64 exec, exec, s[2:3]
	v_mov_b32_e32 v9, 0x7c00
	s_or_b64 s[2:3], s[6:7], s[14:15]
	v_cndmask_b32_e64 v43, 0, v9, s[2:3]
	s_or_b64 s[2:3], vcc, s[2:3]
	s_xor_b64 s[38:39], s[2:3], -1
	s_and_saveexec_b64 s[2:3], s[38:39]
	s_cbranch_execz .LBB261_21
; %bb.20:
	v_lshl_add_u64 v[10:11], v[34:35], 1, v[0:1]
	flat_load_ushort v10, v[10:11]
	s_waitcnt vmcnt(0) lgkmcnt(0)
	v_mul_f16_e32 v43, v46, v10
.LBB261_21:
	s_or_b64 exec, exec, s[2:3]
	s_or_b64 s[2:3], s[8:9], s[14:15]
	v_cndmask_b32_e64 v118, 0, v9, s[2:3]
	s_or_b64 s[2:3], vcc, s[2:3]
	s_xor_b64 s[38:39], s[2:3], -1
	s_and_saveexec_b64 s[2:3], s[38:39]
	s_cbranch_execz .LBB261_23
; %bb.22:
	v_lshl_add_u64 v[10:11], v[36:37], 1, v[0:1]
	flat_load_ushort v9, v[10:11]
	s_waitcnt vmcnt(0) lgkmcnt(0)
	v_mul_f16_e32 v118, v46, v9
.LBB261_23:
	s_or_b64 exec, exec, s[2:3]
	v_mov_b32_e32 v9, 0x7c00
	s_or_b64 s[2:3], s[10:11], s[14:15]
	v_cndmask_b32_e64 v119, 0, v9, s[2:3]
	s_or_b64 s[2:3], vcc, s[2:3]
	s_xor_b64 s[14:15], s[2:3], -1
	s_and_saveexec_b64 s[2:3], s[14:15]
	s_cbranch_execz .LBB261_25
; %bb.24:
	v_lshl_add_u64 v[0:1], v[38:39], 1, v[0:1]
	flat_load_ushort v0, v[0:1]
	s_waitcnt vmcnt(0) lgkmcnt(0)
	v_mul_f16_e32 v119, v46, v0
.LBB261_25:
	s_or_b64 exec, exec, s[2:3]
	v_or_b32_e32 v0, 4, v50
	v_cmp_le_i32_e64 s[2:3], s22, v0
	s_or_b64 s[2:3], s[2:3], s[12:13]
	s_movk_i32 s14, 0x7c00
	v_cndmask_b32_e64 v120, 0, v9, s[2:3]
	s_or_b64 s[2:3], vcc, s[2:3]
	s_xor_b64 s[38:39], s[2:3], -1
	s_and_saveexec_b64 s[2:3], s[38:39]
	s_cbranch_execz .LBB261_27
; %bb.26:
	v_min_u32_e32 v9, s34, v0
	s_waitcnt lgkmcnt(0)
	v_mad_i64_i32 v[0:1], s[38:39], v41, s36, 0
	v_lshl_add_u64 v[0:1], v[0:1], 1, s[30:31]
	v_lshlrev_b32_e32 v10, 1, v9
	v_mov_b32_e32 v11, 0
	v_lshl_add_u64 v[0:1], v[0:1], 0, v[10:11]
	flat_load_ushort v0, v[0:1]
	s_waitcnt vmcnt(0) lgkmcnt(0)
	v_mul_f16_e32 v120, v46, v0
.LBB261_27:
	s_or_b64 exec, exec, s[2:3]
	v_lshlrev_b32_e32 v0, 1, v47
	v_lshlrev_b32_e32 v40, 1, v50
	;; [unrolled: 1-line block ×3, first 2 shown]
	v_lshl_add_u32 v51, v2, 3, v0
	v_lshl_or_b32 v121, v7, 3, v40
	v_lshlrev_b32_e32 v48, 3, v44
	v_add_u32_e32 v94, 0x1000, v49
	ds_write_b16 v51, v3
	ds_write_b16 v51, v4 offset:512
	ds_write_b16 v51, v5 offset:1024
	;; [unrolled: 1-line block ×4, first 2 shown]
	s_waitcnt lgkmcnt(0)
	s_barrier
	ds_read2_b64 v[16:19], v48 offset1:32
	ds_read2_b64 v[12:15], v48 offset0:64 offset1:96
	ds_read2_b64 v[0:3], v48 offset0:128 offset1:160
	ds_read2_b64 v[28:31], v94 offset1:8
	ds_read2_b64 v[4:7], v48 offset0:192 offset1:224
	ds_read2_b64 v[24:27], v94 offset0:16 offset1:24
	;; [unrolled: 1-line block ×4, first 2 shown]
	s_cmp_lt_i32 s22, 9
	s_waitcnt lgkmcnt(4)
	v_pk_add_f16 v53, v16, v28
	v_pk_add_f16 v54, v18, v28
	s_waitcnt lgkmcnt(1)
	v_pk_add_f16 v83, v12, v20
	v_pk_min_f16 v53, v53, s14 op_sel_hi:[1,0]
	v_pk_min_f16 v122, v83, s14 op_sel_hi:[1,0]
	v_pk_add_f16 v83, v14, v20
	v_pk_add_f16 v55, v12, v28
	v_pk_min_f16 v123, v83, s14 op_sel_hi:[1,0]
	v_pk_add_f16 v83, v0, v20
	v_pk_add_f16 v56, v14, v28
	;; [unrolled: 3-line block ×11, first 2 shown]
	v_pk_min_f16 v133, v83, s14 op_sel_hi:[1,0]
	s_waitcnt lgkmcnt(0)
	v_pk_add_f16 v83, v16, v8
	v_pk_add_f16 v65, v2, v30
	v_pk_min_f16 v134, v83, s14 op_sel_hi:[1,0]
	v_pk_add_f16 v83, v18, v8
	v_pk_add_f16 v66, v4, v30
	v_pk_min_f16 v135, v83, s14 op_sel_hi:[1,0]
	;; [unrolled: 3-line block ×5, first 2 shown]
	v_pk_add_f16 v83, v2, v8
	v_pk_add_f16 v69, v12, v24
	;; [unrolled: 1-line block ×19, first 2 shown]
	v_pk_min_f16 v139, v83, s14 op_sel_hi:[1,0]
	v_pk_add_f16 v83, v4, v8
	v_pk_add_f16 v8, v6, v8
	;; [unrolled: 1-line block ×11, first 2 shown]
	v_pk_min_f16 v54, v54, s14 op_sel_hi:[1,0]
	v_pk_min_f16 v117, v53, v10
	v_pk_add_f16 v10, v19, v29
	v_pk_min_f16 v55, v55, s14 op_sel_hi:[1,0]
	v_pk_min_f16 v116, v54, v10
	v_pk_add_f16 v10, v13, v29
	;; [unrolled: 3-line block ×45, first 2 shown]
	ds_write_b16 v51, v42 offset:2048
	ds_write_b16 v51, v43 offset:2560
	;; [unrolled: 1-line block ×5, first 2 shown]
	v_pk_min_f16 v71, v132, v10
	v_pk_add_f16 v10, v5, v23
	s_waitcnt lgkmcnt(0)
	v_pk_min_f16 v70, v133, v10
	v_pk_add_f16 v10, v7, v23
	s_barrier
	v_pk_min_f16 v69, v22, v10
	v_pk_add_f16 v10, v17, v9
	s_nop 0
	v_pk_min_f16 v68, v134, v10
	v_pk_add_f16 v10, v19, v9
	s_nop 0
	;; [unrolled: 3-line block ×4, first 2 shown]
	v_pk_min_f16 v65, v137, v10
	v_pk_add_f16 v10, v1, v9
	v_pk_add_f16 v1, v1, v11
	v_pk_min_f16 v64, v138, v10
	v_pk_add_f16 v10, v3, v9
	v_pk_min_f16 v55, v0, v1
	v_pk_min_f16 v63, v139, v10
	v_pk_add_f16 v10, v5, v9
	v_pk_add_f16 v9, v7, v9
	;; [unrolled: 1-line block ×3, first 2 shown]
	v_pk_min_f16 v61, v8, v9
	v_pk_add_f16 v8, v17, v11
	v_pk_min_f16 v54, v2, v0
	v_pk_min_f16 v60, v16, v8
	v_pk_add_f16 v8, v19, v11
	v_pk_add_f16 v0, v5, v11
	v_pk_min_f16 v59, v18, v8
	v_pk_add_f16 v8, v13, v11
	v_pk_min_f16 v53, v4, v0
	v_pk_min_f16 v58, v12, v8
	v_pk_add_f16 v8, v15, v11
	v_pk_add_f16 v0, v7, v11
	v_pk_min_f16 v62, v140, v10
	v_pk_min_f16 v56, v14, v8
	v_pk_min_f16 v57, v6, v0
	s_cbranch_scc1 .LBB261_50
; %bb.28:
	v_mov_b32_e32 v0, 0x800
	v_add_u32_e32 v118, 0x1000, v121
	v_add_u32_e32 v120, 0x1200, v121
	v_lshl_add_u32 v121, v44, 3, v0
	v_mov_b32_e32 v0, 0x1200
	v_lshl_add_u32 v122, v45, 3, v0
	v_mad_i64_i32 v[0:1], s[2:3], s36, v41, 0
	v_mov_b32_e32 v41, 0
	v_lshl_add_u64 v[0:1], v[0:1], 1, v[40:41]
	v_lshl_add_u64 v[0:1], v[0:1], 0, s[30:31]
	v_add_u32_e32 v119, 0x800, v51
	s_add_i32 s35, s22, -8
	v_lshl_add_u64 v[40:41], v[0:1], 0, 24
	s_mov_b32 s30, 0
	v_mov_b32_e32 v123, 0x7c00
	s_branch .LBB261_30
.LBB261_29:                             ;   in Loop: Header=BB261_30 Depth=1
	s_or_b64 exec, exec, s[2:3]
	ds_read2_b64 v[8:11], v48 offset1:32
	ds_read2_b64 v[4:7], v48 offset0:64 offset1:96
	ds_read2_b64 v[0:3], v48 offset0:128 offset1:160
	ds_read2_b64 v[128:131], v94 offset1:8
	ds_read2_b64 v[12:15], v48 offset0:192 offset1:224
	ds_read2_b64 v[24:27], v94 offset0:16 offset1:24
	;; [unrolled: 1-line block ×4, first 2 shown]
	s_waitcnt lgkmcnt(4)
	v_pk_add_f16 v113, v8, v128
	v_pk_max_f16 v112, v112, v112
	v_pk_max_f16 v111, v111, v111
	v_pk_min_f16 v112, v112, v113
	v_pk_add_f16 v113, v10, v128
	v_pk_max_f16 v110, v110, v110
	v_pk_min_f16 v111, v111, v113
	v_pk_add_f16 v113, v4, v128
	;; [unrolled: 3-line block ×5, first 2 shown]
	v_pk_max_f16 v106, v106, v106
	v_pk_min_f16 v107, v107, v113
	s_waitcnt lgkmcnt(3)
	v_pk_add_f16 v113, v12, v128
	v_pk_max_f16 v105, v105, v105
	v_pk_min_f16 v106, v106, v113
	v_pk_add_f16 v113, v14, v128
	v_pk_max_f16 v104, v104, v104
	v_pk_min_f16 v105, v105, v113
	;; [unrolled: 3-line block ×10, first 2 shown]
	s_waitcnt lgkmcnt(2)
	v_pk_add_f16 v113, v8, v24
	v_pk_max_f16 v95, v95, v95
	v_pk_min_f16 v96, v96, v113
	v_pk_add_f16 v113, v10, v24
	v_pk_max_f16 v93, v93, v93
	v_pk_min_f16 v95, v95, v113
	v_pk_add_f16 v113, v4, v24
	v_pk_max_f16 v92, v92, v92
	v_pk_min_f16 v93, v93, v113
	v_pk_add_f16 v113, v6, v24
	v_pk_max_f16 v91, v91, v91
	v_pk_min_f16 v92, v92, v113
	v_pk_add_f16 v113, v0, v24
	v_pk_max_f16 v90, v90, v90
	v_pk_min_f16 v91, v91, v113
	v_pk_add_f16 v113, v2, v24
	v_pk_max_f16 v88, v88, v88
	v_pk_min_f16 v90, v90, v113
	v_pk_add_f16 v113, v12, v24
	v_pk_add_f16 v24, v14, v24
	v_pk_max_f16 v87, v87, v87
	v_pk_min_f16 v24, v88, v24
	v_pk_add_f16 v88, v8, v26
	v_pk_max_f16 v86, v86, v86
	v_pk_min_f16 v87, v87, v88
	v_pk_add_f16 v88, v10, v26
	v_pk_max_f16 v85, v85, v85
	v_pk_min_f16 v86, v86, v88
	v_pk_add_f16 v88, v4, v26
	v_pk_max_f16 v84, v84, v84
	v_pk_min_f16 v85, v85, v88
	v_pk_add_f16 v88, v6, v26
	v_pk_max_f16 v83, v83, v83
	v_pk_min_f16 v84, v84, v88
	v_pk_add_f16 v88, v0, v26
	v_pk_max_f16 v82, v82, v82
	v_pk_min_f16 v83, v83, v88
	v_pk_add_f16 v88, v2, v26
	v_pk_max_f16 v80, v80, v80
	v_pk_min_f16 v82, v82, v88
	v_pk_add_f16 v88, v12, v26
	v_pk_add_f16 v26, v14, v26
	v_pk_max_f16 v79, v79, v79
	v_pk_min_f16 v26, v80, v26
	s_waitcnt lgkmcnt(1)
	v_pk_add_f16 v80, v8, v20
	v_pk_max_f16 v78, v78, v78
	v_pk_min_f16 v79, v79, v80
	v_pk_add_f16 v80, v10, v20
	v_pk_max_f16 v77, v77, v77
	v_pk_min_f16 v78, v78, v80
	;; [unrolled: 3-line block ×6, first 2 shown]
	v_pk_add_f16 v80, v12, v20
	v_pk_add_f16 v20, v14, v20
	v_pk_max_f16 v71, v71, v71
	v_pk_min_f16 v20, v72, v20
	v_pk_add_f16 v72, v8, v22
	v_pk_max_f16 v70, v70, v70
	v_pk_min_f16 v71, v71, v72
	;; [unrolled: 3-line block ×7, first 2 shown]
	v_pk_add_f16 v72, v12, v22
	v_pk_add_f16 v22, v14, v22
	v_pk_max_f16 v63, v63, v63
	v_pk_min_f16 v22, v64, v22
	s_waitcnt lgkmcnt(0)
	v_pk_add_f16 v64, v8, v16
	v_pk_max_f16 v62, v62, v62
	v_pk_min_f16 v63, v63, v64
	v_pk_add_f16 v64, v10, v16
	v_pk_max_f16 v61, v61, v61
	v_pk_min_f16 v62, v62, v64
	;; [unrolled: 3-line block ×5, first 2 shown]
	v_pk_add_f16 v64, v2, v16
	v_pk_add_f16 v8, v8, v18
	v_pk_min_f16 v58, v58, v64
	v_pk_add_f16 v64, v12, v16
	v_pk_add_f16 v16, v14, v16
	;; [unrolled: 1-line block ×9, first 2 shown]
	v_pk_max_f16 v18, v29, v29
	v_pk_max_f16 v89, v89, v89
	v_pk_min_f16 v14, v18, v14
	v_pk_add_f16 v18, v9, v129
	v_pk_min_f16 v89, v89, v113
	v_pk_min_f16 v117, v112, v18
	v_pk_add_f16 v18, v11, v129
	v_pk_max_f16 v81, v81, v81
	v_pk_min_f16 v116, v111, v18
	v_pk_add_f16 v18, v5, v129
	v_pk_min_f16 v81, v81, v88
	v_pk_min_f16 v115, v110, v18
	v_pk_add_f16 v18, v7, v129
	v_pk_max_f16 v73, v73, v73
	v_pk_min_f16 v114, v109, v18
	v_pk_add_f16 v18, v1, v129
	v_pk_min_f16 v73, v73, v80
	v_pk_min_f16 v113, v108, v18
	v_pk_add_f16 v18, v3, v129
	v_pk_max_f16 v65, v65, v65
	v_pk_min_f16 v112, v107, v18
	v_pk_add_f16 v18, v13, v129
	v_pk_min_f16 v65, v65, v72
	v_pk_min_f16 v111, v106, v18
	v_pk_add_f16 v18, v15, v129
	v_pk_max_f16 v42, v42, v42
	v_pk_min_f16 v110, v105, v18
	v_pk_add_f16 v18, v9, v131
	v_pk_max_f16 v55, v55, v55
	v_pk_min_f16 v109, v104, v18
	v_pk_add_f16 v18, v11, v131
	v_pk_min_f16 v0, v42, v0
	v_pk_min_f16 v108, v103, v18
	v_pk_add_f16 v18, v5, v131
	v_pk_max_f16 v31, v31, v31
	v_pk_min_f16 v107, v102, v18
	v_pk_add_f16 v18, v7, v131
	v_pk_max_f16 v57, v57, v57
	v_pk_min_f16 v106, v101, v18
	v_pk_add_f16 v18, v1, v131
	v_pk_min_f16 v8, v55, v8
	v_pk_min_f16 v105, v100, v18
	v_pk_add_f16 v18, v3, v131
	;; [unrolled: 9-line block ×3, first 2 shown]
	v_pk_max_f16 v30, v30, v30
	v_pk_min_f16 v101, v96, v18
	v_pk_add_f16 v18, v11, v25
	v_pk_min_f16 v57, v57, v64
	v_pk_min_f16 v100, v95, v18
	v_pk_add_f16 v18, v5, v25
	v_pk_max_f16 v56, v56, v56
	v_pk_min_f16 v99, v93, v18
	v_pk_add_f16 v18, v7, v25
	v_pk_min_f16 v10, v54, v10
	v_pk_min_f16 v98, v92, v18
	v_pk_add_f16 v18, v1, v25
	v_pk_min_f16 v4, v53, v4
	v_pk_min_f16 v97, v91, v18
	v_pk_add_f16 v18, v3, v25
	v_pk_max_f16 v43, v43, v43
	v_pk_min_f16 v96, v90, v18
	v_pk_add_f16 v18, v13, v25
	v_pk_min_f16 v12, v30, v12
	v_pk_min_f16 v95, v89, v18
	v_pk_add_f16 v18, v15, v25
	v_pk_min_f16 v16, v56, v16
	;; [unrolled: 3-line block ×3, first 2 shown]
	v_pk_min_f16 v92, v87, v18
	v_pk_add_f16 v18, v11, v27
	s_add_i32 s30, s30, 8
	v_pk_min_f16 v91, v86, v18
	v_pk_add_f16 v18, v5, v27
	s_cmp_ge_i32 s30, s35
	v_pk_min_f16 v90, v85, v18
	v_pk_add_f16 v18, v7, v27
	v_lshl_add_u64 v[40:41], v[40:41], 0, 16
	v_pk_min_f16 v89, v84, v18
	v_pk_add_f16 v18, v1, v27
	ds_write_b16 v119, v124
	ds_write_b16 v119, v125 offset:512
	ds_write_b16 v119, v126 offset:1024
	;; [unrolled: 1-line block ×3, first 2 shown]
	ds_write_b16 v120, v28
	v_pk_min_f16 v88, v83, v18
	v_pk_add_f16 v18, v3, v27
	s_waitcnt lgkmcnt(0)
	v_pk_min_f16 v87, v82, v18
	v_pk_add_f16 v18, v13, v27
	s_barrier
	v_pk_min_f16 v86, v81, v18
	v_pk_add_f16 v18, v15, v27
	s_nop 0
	v_pk_min_f16 v85, v26, v18
	v_pk_add_f16 v18, v9, v21
	s_nop 0
	;; [unrolled: 3-line block ×17, first 2 shown]
	v_pk_min_f16 v69, v22, v18
	v_pk_add_f16 v18, v9, v17
	v_pk_add_f16 v9, v9, v19
	v_pk_min_f16 v68, v63, v18
	v_pk_add_f16 v18, v11, v17
	s_nop 0
	v_pk_min_f16 v67, v62, v18
	v_pk_add_f16 v18, v5, v17
	v_pk_add_f16 v5, v5, v19
	v_pk_min_f16 v66, v61, v18
	v_pk_add_f16 v18, v7, v17
	s_nop 0
	v_pk_min_f16 v65, v60, v18
	v_pk_add_f16 v18, v1, v17
	v_pk_add_f16 v1, v1, v19
	v_pk_min_f16 v64, v59, v18
	v_pk_min_f16 v55, v0, v1
	v_pk_add_f16 v0, v3, v19
	v_pk_add_f16 v18, v3, v17
	v_pk_min_f16 v54, v2, v0
	v_pk_add_f16 v0, v13, v19
	v_pk_min_f16 v63, v58, v18
	v_pk_add_f16 v18, v13, v17
	v_pk_add_f16 v17, v15, v17
	v_pk_min_f16 v60, v8, v9
	v_pk_add_f16 v8, v11, v19
	v_pk_min_f16 v58, v4, v5
	;; [unrolled: 2-line block ×4, first 2 shown]
	v_pk_min_f16 v61, v16, v17
	v_pk_min_f16 v59, v10, v8
	v_pk_min_f16 v56, v6, v4
	v_pk_min_f16 v57, v14, v0
	s_cbranch_scc1 .LBB261_50
.LBB261_30:                             ; =>This Inner Loop Header: Depth=1
	v_add_u32_e32 v42, s30, v47
	v_add_u32_e32 v0, 8, v42
	v_cmp_le_i32_e64 s[14:15], s22, v0
	v_min_i32_e32 v0, s34, v0
	v_mad_i64_i32 v[0:1], s[2:3], v0, s23, 0
	s_or_b64 s[2:3], s[4:5], s[14:15]
	s_nop 0
	v_cndmask_b32_e64 v43, 0, v123, s[2:3]
	s_or_b64 s[2:3], vcc, s[2:3]
	v_lshl_add_u64 v[0:1], v[0:1], 1, s[28:29]
	s_xor_b64 s[36:37], s[2:3], -1
	s_and_saveexec_b64 s[2:3], s[36:37]
	s_cbranch_execz .LBB261_32
; %bb.31:                               ;   in Loop: Header=BB261_30 Depth=1
	v_lshl_add_u64 v[2:3], v[32:33], 1, v[0:1]
	flat_load_ushort v2, v[2:3]
	s_waitcnt vmcnt(0) lgkmcnt(0)
	v_mul_f16_e32 v43, v46, v2
.LBB261_32:                             ;   in Loop: Header=BB261_30 Depth=1
	s_or_b64 exec, exec, s[2:3]
	s_or_b64 s[2:3], s[6:7], s[14:15]
	v_cndmask_b32_e64 v124, 0, v123, s[2:3]
	s_or_b64 s[2:3], vcc, s[2:3]
	s_xor_b64 s[36:37], s[2:3], -1
	s_and_saveexec_b64 s[2:3], s[36:37]
	s_cbranch_execz .LBB261_34
; %bb.33:                               ;   in Loop: Header=BB261_30 Depth=1
	v_lshl_add_u64 v[2:3], v[34:35], 1, v[0:1]
	flat_load_ushort v2, v[2:3]
	s_waitcnt vmcnt(0) lgkmcnt(0)
	v_mul_f16_e32 v124, v46, v2
.LBB261_34:                             ;   in Loop: Header=BB261_30 Depth=1
	s_or_b64 exec, exec, s[2:3]
	s_or_b64 s[2:3], s[8:9], s[14:15]
	v_cndmask_b32_e64 v125, 0, v123, s[2:3]
	s_or_b64 s[2:3], vcc, s[2:3]
	;; [unrolled: 13-line block ×3, first 2 shown]
	s_xor_b64 s[14:15], s[2:3], -1
	s_and_saveexec_b64 s[2:3], s[14:15]
	s_cbranch_execz .LBB261_38
; %bb.37:                               ;   in Loop: Header=BB261_30 Depth=1
	v_lshl_add_u64 v[0:1], v[38:39], 1, v[0:1]
	flat_load_ushort v0, v[0:1]
	s_waitcnt vmcnt(0) lgkmcnt(0)
	v_mul_f16_e32 v126, v46, v0
.LBB261_38:                             ;   in Loop: Header=BB261_30 Depth=1
	s_or_b64 exec, exec, s[2:3]
	v_add_u32_e32 v128, s30, v50
	v_add_u32_e32 v0, 8, v128
	v_cmp_le_i32_e64 s[2:3], s22, v0
	s_or_b64 s[2:3], s[2:3], s[12:13]
	s_nop 0
	v_cndmask_b32_e64 v127, 0, v123, s[2:3]
	s_or_b64 s[2:3], vcc, s[2:3]
	s_xor_b64 s[2:3], s[2:3], -1
	s_and_saveexec_b64 s[14:15], s[2:3]
	s_cbranch_execz .LBB261_40
; %bb.39:                               ;   in Loop: Header=BB261_30 Depth=1
	v_add_co_u32_e64 v0, s[2:3], -8, v40
	s_nop 1
	v_addc_co_u32_e64 v1, s[2:3], -1, v41, s[2:3]
	flat_load_ushort v0, v[0:1]
	s_waitcnt vmcnt(0) lgkmcnt(0)
	v_mul_f16_e32 v127, v46, v0
.LBB261_40:                             ;   in Loop: Header=BB261_30 Depth=1
	s_or_b64 exec, exec, s[14:15]
	ds_read2_b64 v[12:15], v121 offset1:32
	ds_read2_b64 v[8:11], v121 offset0:64 offset1:96
	ds_read2_b64 v[4:7], v121 offset0:128 offset1:160
	;; [unrolled: 1-line block ×3, first 2 shown]
	ds_read2_b64 v[28:31], v122 offset1:8
	ds_read2_b64 v[24:27], v122 offset0:16 offset1:24
	ds_read2_b64 v[20:23], v122 offset0:32 offset1:40
	;; [unrolled: 1-line block ×3, first 2 shown]
	v_add_u32_e32 v42, 12, v42
	v_cmp_le_i32_e64 s[14:15], s22, v42
	v_min_i32_e32 v42, s34, v42
	ds_write_b16 v51, v43
	ds_write_b16 v51, v124 offset:512
	ds_write_b16 v51, v125 offset:1024
	;; [unrolled: 1-line block ×3, first 2 shown]
	ds_write_b16 v118, v127
	v_mad_i64_i32 v[42:43], s[2:3], v42, s23, 0
	s_or_b64 s[2:3], s[4:5], s[14:15]
	s_nop 0
	v_cndmask_b32_e64 v124, 0, v123, s[2:3]
	s_or_b64 s[2:3], vcc, s[2:3]
	v_lshl_add_u64 v[42:43], v[42:43], 1, s[28:29]
	s_xor_b64 s[2:3], s[2:3], -1
	s_waitcnt lgkmcnt(0)
	s_barrier
	s_and_saveexec_b64 s[36:37], s[2:3]
	s_xor_b64 s[2:3], exec, s[36:37]
	s_cbranch_execz .LBB261_42
; %bb.41:                               ;   in Loop: Header=BB261_30 Depth=1
	v_lshl_add_u64 v[124:125], v[32:33], 1, v[42:43]
	flat_load_ushort v124, v[124:125]
	s_waitcnt vmcnt(0) lgkmcnt(0)
	v_mul_f16_e32 v124, v46, v124
.LBB261_42:                             ;   in Loop: Header=BB261_30 Depth=1
	s_or_b64 exec, exec, s[2:3]
	s_or_b64 s[2:3], s[6:7], s[14:15]
	v_cndmask_b32_e64 v125, 0, v123, s[2:3]
	s_or_b64 s[2:3], vcc, s[2:3]
	s_xor_b64 s[36:37], s[2:3], -1
	s_and_saveexec_b64 s[2:3], s[36:37]
	s_cbranch_execz .LBB261_44
; %bb.43:                               ;   in Loop: Header=BB261_30 Depth=1
	v_lshl_add_u64 v[126:127], v[34:35], 1, v[42:43]
	flat_load_ushort v125, v[126:127]
	s_waitcnt vmcnt(0) lgkmcnt(0)
	v_mul_f16_e32 v125, v46, v125
.LBB261_44:                             ;   in Loop: Header=BB261_30 Depth=1
	s_or_b64 exec, exec, s[2:3]
	s_or_b64 s[2:3], s[8:9], s[14:15]
	v_cndmask_b32_e64 v126, 0, v123, s[2:3]
	s_or_b64 s[2:3], vcc, s[2:3]
	s_xor_b64 s[36:37], s[2:3], -1
	s_and_saveexec_b64 s[2:3], s[36:37]
	;; [unrolled: 13-line block ×3, first 2 shown]
	s_cbranch_execz .LBB261_48
; %bb.47:                               ;   in Loop: Header=BB261_30 Depth=1
	v_lshl_add_u64 v[42:43], v[38:39], 1, v[42:43]
	flat_load_ushort v42, v[42:43]
	s_waitcnt vmcnt(0) lgkmcnt(0)
	v_mul_f16_e32 v127, v46, v42
.LBB261_48:                             ;   in Loop: Header=BB261_30 Depth=1
	s_or_b64 exec, exec, s[2:3]
	v_pk_add_f16 v42, v12, v28
	v_pk_max_f16 v43, v117, v117
	v_pk_max_f16 v116, v116, v116
	v_pk_min_f16 v42, v43, v42
	v_pk_add_f16 v43, v14, v28
	v_pk_max_f16 v115, v115, v115
	v_pk_min_f16 v43, v116, v43
	v_pk_add_f16 v116, v8, v28
	v_pk_max_f16 v114, v114, v114
	v_pk_min_f16 v115, v115, v116
	v_pk_add_f16 v116, v10, v28
	v_pk_max_f16 v113, v113, v113
	v_pk_min_f16 v114, v114, v116
	v_pk_add_f16 v116, v4, v28
	v_pk_max_f16 v112, v112, v112
	v_pk_min_f16 v113, v113, v116
	v_pk_add_f16 v116, v6, v28
	v_pk_max_f16 v110, v110, v110
	v_pk_min_f16 v116, v112, v116
	v_pk_add_f16 v112, v0, v28
	v_pk_add_f16 v28, v2, v28
	v_pk_max_f16 v109, v109, v109
	v_pk_min_f16 v28, v110, v28
	v_pk_add_f16 v110, v12, v30
	v_pk_max_f16 v108, v108, v108
	v_pk_min_f16 v129, v109, v110
	v_pk_add_f16 v109, v14, v30
	v_pk_max_f16 v107, v107, v107
	v_pk_min_f16 v130, v108, v109
	v_pk_add_f16 v108, v8, v30
	v_pk_max_f16 v106, v106, v106
	v_pk_min_f16 v131, v107, v108
	v_pk_add_f16 v107, v10, v30
	v_pk_max_f16 v105, v105, v105
	v_pk_min_f16 v132, v106, v107
	v_pk_add_f16 v106, v4, v30
	v_pk_max_f16 v104, v104, v104
	v_pk_min_f16 v133, v105, v106
	v_pk_add_f16 v105, v6, v30
	v_pk_max_f16 v102, v102, v102
	v_pk_min_f16 v134, v104, v105
	v_pk_add_f16 v104, v0, v30
	v_pk_add_f16 v30, v2, v30
	v_pk_max_f16 v101, v101, v101
	v_pk_min_f16 v30, v102, v30
	v_pk_add_f16 v102, v12, v24
	;; [unrolled: 22-line block ×6, first 2 shown]
	v_pk_max_f16 v67, v67, v67
	v_pk_min_f16 v164, v68, v69
	v_pk_add_f16 v68, v14, v16
	v_pk_max_f16 v66, v66, v66
	v_pk_min_f16 v165, v67, v68
	v_pk_add_f16 v67, v8, v16
	;; [unrolled: 3-line block ×5, first 2 shown]
	v_pk_add_f16 v12, v12, v18
	v_pk_min_f16 v169, v63, v64
	v_pk_add_f16 v63, v0, v16
	v_pk_add_f16 v16, v2, v16
	;; [unrolled: 1-line block ×9, first 2 shown]
	v_pk_max_f16 v18, v57, v57
	v_pk_max_f16 v111, v111, v111
	v_pk_min_f16 v2, v18, v2
	v_pk_add_f16 v18, v13, v29
	v_pk_min_f16 v117, v111, v112
	v_pk_min_f16 v112, v42, v18
	v_pk_add_f16 v18, v15, v29
	v_pk_max_f16 v103, v103, v103
	v_pk_min_f16 v111, v43, v18
	v_pk_add_f16 v18, v9, v29
	v_pk_min_f16 v135, v103, v104
	v_pk_min_f16 v110, v115, v18
	v_pk_add_f16 v18, v11, v29
	;; [unrolled: 6-line block ×10, first 2 shown]
	v_pk_max_f16 v58, v58, v58
	v_pk_min_f16 v92, v139, v18
	v_pk_add_f16 v18, v5, v25
	v_pk_max_f16 v53, v53, v53
	v_pk_min_f16 v91, v140, v18
	v_pk_add_f16 v18, v7, v25
	v_pk_min_f16 v8, v58, v8
	v_pk_min_f16 v90, v141, v18
	v_pk_add_f16 v18, v1, v25
	v_pk_min_f16 v0, v53, v0
	v_pk_min_f16 v89, v142, v18
	v_pk_add_f16 v18, v3, v25
	v_pk_max_f16 v55, v55, v55
	v_pk_min_f16 v88, v24, v18
	v_pk_add_f16 v18, v13, v27
	v_pk_max_f16 v56, v56, v56
	v_pk_min_f16 v87, v143, v18
	v_pk_add_f16 v18, v15, v27
	v_pk_min_f16 v4, v55, v4
	v_pk_min_f16 v86, v144, v18
	v_pk_add_f16 v18, v9, v27
	v_pk_max_f16 v54, v54, v54
	v_pk_min_f16 v85, v145, v18
	v_pk_add_f16 v18, v11, v27
	v_pk_min_f16 v10, v56, v10
	v_pk_min_f16 v84, v146, v18
	v_pk_add_f16 v18, v5, v27
	v_pk_min_f16 v6, v54, v6
	v_pk_min_f16 v83, v147, v18
	v_pk_add_f16 v18, v7, v27
	s_nop 0
	v_pk_min_f16 v82, v148, v18
	v_pk_add_f16 v18, v1, v27
	s_nop 0
	;; [unrolled: 3-line block ×19, first 2 shown]
	v_pk_min_f16 v64, v22, v18
	v_pk_add_f16 v18, v13, v17
	v_pk_add_f16 v13, v13, v19
	v_pk_min_f16 v63, v164, v18
	v_pk_add_f16 v18, v15, v17
	v_pk_min_f16 v55, v12, v13
	v_pk_min_f16 v62, v165, v18
	v_pk_add_f16 v18, v9, v17
	v_pk_add_f16 v9, v9, v19
	v_pk_min_f16 v61, v166, v18
	v_pk_add_f16 v18, v11, v17
	v_pk_add_f16 v12, v15, v19
	;; [unrolled: 3-line block ×3, first 2 shown]
	v_pk_min_f16 v59, v168, v18
	v_pk_add_f16 v18, v7, v17
	v_pk_min_f16 v53, v8, v9
	v_pk_min_f16 v58, v169, v18
	v_pk_add_f16 v18, v1, v17
	v_pk_add_f16 v1, v1, v19
	;; [unrolled: 1-line block ×3, first 2 shown]
	v_pk_min_f16 v30, v0, v1
	v_pk_add_f16 v0, v3, v19
	v_pk_add_f16 v8, v11, v19
	v_pk_min_f16 v29, v2, v0
	v_add_u32_e32 v0, 12, v128
	v_cmp_le_i32_e64 s[2:3], s22, v0
	s_or_b64 s[2:3], s[2:3], s[12:13]
	v_pk_min_f16 v42, v4, v5
	v_pk_add_f16 v4, v7, v19
	v_cndmask_b32_e64 v28, 0, v123, s[2:3]
	s_or_b64 s[2:3], vcc, s[2:3]
	v_pk_min_f16 v57, v170, v18
	v_pk_min_f16 v56, v16, v17
	v_pk_min_f16 v54, v14, v12
	v_pk_min_f16 v43, v10, v8
	v_pk_min_f16 v31, v6, v4
	s_xor_b64 s[14:15], s[2:3], -1
	s_and_saveexec_b64 s[2:3], s[14:15]
	s_cbranch_execz .LBB261_29
; %bb.49:                               ;   in Loop: Header=BB261_30 Depth=1
	flat_load_ushort v0, v[40:41]
	s_waitcnt vmcnt(0) lgkmcnt(0)
	v_mul_f16_e32 v28, v46, v0
	s_branch .LBB261_29
.LBB261_50:
	s_load_dwordx2 s[2:3], s[0:1], 0x78
	s_load_dword s29, s[0:1], 0x58
	s_load_dword s28, s[0:1], 0x70
	v_add_u32_e32 v0, 0x800, v48
	v_add_u32_e32 v4, 0x1000, v49
	s_waitcnt lgkmcnt(0)
	s_mul_i32 s1, s18, s3
	s_mul_hi_u32 s3, s18, s2
	s_mul_i32 s0, s18, s2
	s_add_i32 s1, s3, s1
	ds_read2_b64 v[16:19], v0 offset1:32
	ds_read2_b64 v[12:15], v0 offset0:64 offset1:96
	ds_read2_b64 v[8:11], v0 offset0:128 offset1:160
	;; [unrolled: 1-line block ×7, first 2 shown]
	s_lshl_b64 s[0:1], s[0:1], 1
	s_add_u32 s22, s26, s0
	v_add_u32_e32 v94, s33, v45
	s_addc_u32 s23, s27, s1
	v_mad_i64_i32 v[34:35], s[0:1], v94, s29, 0
	v_add_u32_e32 v32, s19, v44
	v_lshl_add_u64 v[50:51], v[34:35], 1, s[24:25]
	v_mad_i64_i32 v[34:35], s[0:1], v94, s28, 0
	v_cmp_gt_i32_e64 s[4:5], s20, v32
	v_cmp_gt_i32_e64 s[18:19], s21, v94
	v_lshl_add_u64 v[48:49], v[34:35], 1, s[22:23]
	v_cndmask_b32_e64 v34, 0, 1, s[16:17]
	v_ashrrev_i32_e32 v33, 31, v32
	s_and_b64 s[2:3], s[4:5], s[18:19]
	v_cmp_ne_u32_e64 s[0:1], 1, v34
	s_and_saveexec_b64 s[6:7], s[2:3]
	s_xor_b64 s[2:3], exec, s[6:7]
	s_cbranch_execz .LBB261_55
; %bb.51:
	s_and_b64 vcc, exec, s[0:1]
	s_cbranch_vccnz .LBB261_53
; %bb.52:
	v_lshl_add_u64 v[34:35], v[32:33], 1, v[50:51]
	flat_load_ushort v34, v[34:35]
	s_waitcnt vmcnt(0) lgkmcnt(0)
	v_mul_f16_e32 v34, v52, v34
	s_branch .LBB261_54
.LBB261_53:
	v_mov_b32_e32 v34, 0
.LBB261_54:
	s_waitcnt lgkmcnt(3)
	v_pk_add_f16 v35, v16, v28
	v_pk_max_f16 v36, v117, v117
	s_nop 0
	v_pk_min_f16 v35, v36, v35
	v_pk_add_f16 v36, v17, v29
	s_nop 0
	v_pk_min_f16 v35, v35, v36
	s_nop 0
	v_lshrrev_b32_e32 v36, 16, v35
	v_min3_f16 v36, v34, v35, v36
	v_lshl_add_u64 v[34:35], v[32:33], 1, v[48:49]
	global_store_short v[34:35], v36, off
.LBB261_55:
	s_or_b64 exec, exec, s[2:3]
	v_add_u32_e32 v34, 32, v32
	v_cmp_gt_i32_e64 s[2:3], s20, v34
	v_ashrrev_i32_e32 v35, 31, v34
	s_and_b64 s[8:9], s[2:3], s[18:19]
	s_and_saveexec_b64 s[6:7], s[8:9]
	s_cbranch_execz .LBB261_60
; %bb.56:
	s_and_b64 vcc, exec, s[0:1]
	s_cbranch_vccnz .LBB261_58
; %bb.57:
	v_lshl_add_u64 v[36:37], v[34:35], 1, v[50:51]
	flat_load_ushort v36, v[36:37]
	s_waitcnt vmcnt(0) lgkmcnt(0)
	v_mul_f16_e32 v36, v52, v36
	s_branch .LBB261_59
.LBB261_58:
	v_mov_b32_e32 v36, 0
.LBB261_59:
	s_waitcnt lgkmcnt(3)
	v_pk_add_f16 v37, v18, v28
	v_pk_max_f16 v38, v116, v116
	s_nop 0
	v_pk_min_f16 v37, v38, v37
	v_pk_add_f16 v38, v19, v29
	s_nop 0
	v_pk_min_f16 v37, v37, v38
	s_nop 0
	v_lshrrev_b32_e32 v38, 16, v37
	v_min3_f16 v38, v36, v37, v38
	v_lshl_add_u64 v[36:37], v[34:35], 1, v[48:49]
	global_store_short v[36:37], v38, off
.LBB261_60:
	s_or_b64 exec, exec, s[6:7]
	v_add_u32_e32 v36, 64, v32
	v_cmp_gt_i32_e64 s[6:7], s20, v36
	v_ashrrev_i32_e32 v37, 31, v36
	s_and_b64 s[10:11], s[6:7], s[18:19]
	s_and_saveexec_b64 s[8:9], s[10:11]
	;; [unrolled: 33-line block ×7, first 2 shown]
	s_cbranch_execz .LBB261_90
; %bb.86:
	s_and_b64 vcc, exec, s[0:1]
	s_cbranch_vccnz .LBB261_88
; %bb.87:
	v_lshl_add_u64 v[50:51], v[46:47], 1, v[50:51]
	flat_load_ushort v50, v[50:51]
	s_waitcnt vmcnt(0) lgkmcnt(0)
	v_mul_f16_e32 v50, v52, v50
	s_branch .LBB261_89
.LBB261_88:
	v_mov_b32_e32 v50, 0
.LBB261_89:
	s_waitcnt lgkmcnt(3)
	v_pk_add_f16 v28, v2, v28
	v_pk_max_f16 v51, v110, v110
	v_pk_add_f16 v29, v3, v29
	v_pk_min_f16 v28, v51, v28
	s_nop 0
	v_pk_min_f16 v28, v28, v29
	s_nop 0
	v_lshrrev_b32_e32 v29, 16, v28
	v_min3_f16 v50, v50, v28, v29
	v_lshl_add_u64 v[28:29], v[46:47], 1, v[48:49]
	global_store_short v[28:29], v50, off
.LBB261_90:
	s_or_b64 exec, exec, s[18:19]
	v_add_u32_e32 v50, 8, v94
	s_waitcnt lgkmcnt(3)
	v_mad_i64_i32 v[28:29], s[26:27], v50, s29, 0
	v_cmp_gt_i32_e64 s[18:19], s21, v50
	v_lshl_add_u64 v[48:49], v[28:29], 1, s[24:25]
	v_mad_i64_i32 v[28:29], s[26:27], v50, s28, 0
	v_lshl_add_u64 v[28:29], v[28:29], 1, s[22:23]
	s_and_b64 s[30:31], s[4:5], s[18:19]
	s_and_saveexec_b64 s[26:27], s[30:31]
	s_cbranch_execnz .LBB261_98
; %bb.91:
	s_or_b64 exec, exec, s[26:27]
	s_and_b64 s[30:31], s[2:3], s[18:19]
	s_and_saveexec_b64 s[26:27], s[30:31]
	s_cbranch_execnz .LBB261_102
.LBB261_92:
	s_or_b64 exec, exec, s[26:27]
	s_and_b64 s[30:31], s[6:7], s[18:19]
	s_and_saveexec_b64 s[26:27], s[30:31]
	s_cbranch_execnz .LBB261_106
.LBB261_93:
	s_or_b64 exec, exec, s[26:27]
	s_and_b64 s[30:31], s[8:9], s[18:19]
	s_and_saveexec_b64 s[26:27], s[30:31]
	s_cbranch_execnz .LBB261_110
.LBB261_94:
	s_or_b64 exec, exec, s[26:27]
	s_and_b64 s[30:31], s[10:11], s[18:19]
	s_and_saveexec_b64 s[26:27], s[30:31]
	s_cbranch_execnz .LBB261_114
.LBB261_95:
	s_or_b64 exec, exec, s[26:27]
	s_and_b64 s[30:31], s[12:13], s[18:19]
	s_and_saveexec_b64 s[26:27], s[30:31]
	s_cbranch_execnz .LBB261_118
.LBB261_96:
	s_or_b64 exec, exec, s[26:27]
	s_and_b64 s[30:31], s[14:15], s[18:19]
	s_and_saveexec_b64 s[26:27], s[30:31]
	s_cbranch_execnz .LBB261_122
.LBB261_97:
	s_or_b64 exec, exec, s[26:27]
	s_and_b64 s[26:27], s[16:17], s[18:19]
	s_and_saveexec_b64 s[18:19], s[26:27]
	s_cbranch_execnz .LBB261_126
	s_branch .LBB261_130
.LBB261_98:
	s_and_b64 vcc, exec, s[0:1]
	s_cbranch_vccnz .LBB261_100
; %bb.99:
	v_lshl_add_u64 v[50:51], v[32:33], 1, v[48:49]
	flat_load_ushort v50, v[50:51]
	s_waitcnt vmcnt(0) lgkmcnt(0)
	v_mul_f16_e32 v50, v52, v50
	s_branch .LBB261_101
.LBB261_100:
	v_mov_b32_e32 v50, 0
.LBB261_101:
	v_pk_add_f16 v51, v16, v30
	v_pk_max_f16 v109, v109, v109
	s_nop 0
	v_pk_min_f16 v51, v109, v51
	v_pk_add_f16 v109, v17, v31
	s_nop 0
	v_pk_min_f16 v51, v51, v109
	s_nop 0
	v_lshrrev_b32_e32 v109, 16, v51
	v_min3_f16 v109, v50, v51, v109
	v_lshl_add_u64 v[50:51], v[32:33], 1, v[28:29]
	global_store_short v[50:51], v109, off
	s_or_b64 exec, exec, s[26:27]
	s_and_b64 s[30:31], s[2:3], s[18:19]
	s_and_saveexec_b64 s[26:27], s[30:31]
	s_cbranch_execz .LBB261_92
.LBB261_102:
	s_and_b64 vcc, exec, s[0:1]
	s_cbranch_vccnz .LBB261_104
; %bb.103:
	v_lshl_add_u64 v[50:51], v[34:35], 1, v[48:49]
	flat_load_ushort v50, v[50:51]
	s_waitcnt vmcnt(0) lgkmcnt(0)
	v_mul_f16_e32 v50, v52, v50
	s_branch .LBB261_105
.LBB261_104:
	v_mov_b32_e32 v50, 0
.LBB261_105:
	v_pk_add_f16 v51, v18, v30
	v_pk_max_f16 v108, v108, v108
	s_nop 0
	v_pk_min_f16 v51, v108, v51
	v_pk_add_f16 v108, v19, v31
	s_nop 0
	v_pk_min_f16 v51, v51, v108
	s_nop 0
	v_lshrrev_b32_e32 v108, 16, v51
	v_min3_f16 v108, v50, v51, v108
	v_lshl_add_u64 v[50:51], v[34:35], 1, v[28:29]
	global_store_short v[50:51], v108, off
	s_or_b64 exec, exec, s[26:27]
	s_and_b64 s[30:31], s[6:7], s[18:19]
	s_and_saveexec_b64 s[26:27], s[30:31]
	s_cbranch_execz .LBB261_93
.LBB261_106:
	s_and_b64 vcc, exec, s[0:1]
	s_cbranch_vccnz .LBB261_108
; %bb.107:
	v_lshl_add_u64 v[50:51], v[36:37], 1, v[48:49]
	flat_load_ushort v50, v[50:51]
	s_waitcnt vmcnt(0) lgkmcnt(0)
	v_mul_f16_e32 v50, v52, v50
	s_branch .LBB261_109
.LBB261_108:
	v_mov_b32_e32 v50, 0
.LBB261_109:
	v_pk_add_f16 v51, v12, v30
	v_pk_max_f16 v107, v107, v107
	s_nop 0
	v_pk_min_f16 v51, v107, v51
	v_pk_add_f16 v107, v13, v31
	s_nop 0
	v_pk_min_f16 v51, v51, v107
	s_nop 0
	v_lshrrev_b32_e32 v107, 16, v51
	v_min3_f16 v107, v50, v51, v107
	v_lshl_add_u64 v[50:51], v[36:37], 1, v[28:29]
	global_store_short v[50:51], v107, off
	s_or_b64 exec, exec, s[26:27]
	s_and_b64 s[30:31], s[8:9], s[18:19]
	s_and_saveexec_b64 s[26:27], s[30:31]
	s_cbranch_execz .LBB261_94
.LBB261_110:
	s_and_b64 vcc, exec, s[0:1]
	s_cbranch_vccnz .LBB261_112
; %bb.111:
	v_lshl_add_u64 v[50:51], v[38:39], 1, v[48:49]
	flat_load_ushort v50, v[50:51]
	s_waitcnt vmcnt(0) lgkmcnt(0)
	v_mul_f16_e32 v50, v52, v50
	s_branch .LBB261_113
.LBB261_112:
	v_mov_b32_e32 v50, 0
.LBB261_113:
	v_pk_add_f16 v51, v14, v30
	v_pk_max_f16 v106, v106, v106
	s_nop 0
	v_pk_min_f16 v51, v106, v51
	v_pk_add_f16 v106, v15, v31
	s_nop 0
	v_pk_min_f16 v51, v51, v106
	s_nop 0
	v_lshrrev_b32_e32 v106, 16, v51
	v_min3_f16 v106, v50, v51, v106
	v_lshl_add_u64 v[50:51], v[38:39], 1, v[28:29]
	global_store_short v[50:51], v106, off
	s_or_b64 exec, exec, s[26:27]
	s_and_b64 s[30:31], s[10:11], s[18:19]
	s_and_saveexec_b64 s[26:27], s[30:31]
	s_cbranch_execz .LBB261_95
.LBB261_114:
	s_and_b64 vcc, exec, s[0:1]
	s_cbranch_vccnz .LBB261_116
; %bb.115:
	v_lshl_add_u64 v[50:51], v[40:41], 1, v[48:49]
	flat_load_ushort v50, v[50:51]
	s_waitcnt vmcnt(0) lgkmcnt(0)
	v_mul_f16_e32 v50, v52, v50
	s_branch .LBB261_117
.LBB261_116:
	v_mov_b32_e32 v50, 0
.LBB261_117:
	v_pk_add_f16 v51, v8, v30
	v_pk_max_f16 v105, v105, v105
	s_nop 0
	v_pk_min_f16 v51, v105, v51
	v_pk_add_f16 v105, v9, v31
	s_nop 0
	v_pk_min_f16 v51, v51, v105
	s_nop 0
	v_lshrrev_b32_e32 v105, 16, v51
	v_min3_f16 v105, v50, v51, v105
	v_lshl_add_u64 v[50:51], v[40:41], 1, v[28:29]
	global_store_short v[50:51], v105, off
	s_or_b64 exec, exec, s[26:27]
	s_and_b64 s[30:31], s[12:13], s[18:19]
	s_and_saveexec_b64 s[26:27], s[30:31]
	s_cbranch_execz .LBB261_96
.LBB261_118:
	s_and_b64 vcc, exec, s[0:1]
	s_cbranch_vccnz .LBB261_120
; %bb.119:
	v_lshl_add_u64 v[50:51], v[42:43], 1, v[48:49]
	flat_load_ushort v50, v[50:51]
	s_waitcnt vmcnt(0) lgkmcnt(0)
	v_mul_f16_e32 v50, v52, v50
	s_branch .LBB261_121
.LBB261_120:
	v_mov_b32_e32 v50, 0
.LBB261_121:
	v_pk_add_f16 v51, v10, v30
	v_pk_max_f16 v104, v104, v104
	s_nop 0
	v_pk_min_f16 v51, v104, v51
	v_pk_add_f16 v104, v11, v31
	s_nop 0
	v_pk_min_f16 v51, v51, v104
	s_nop 0
	v_lshrrev_b32_e32 v104, 16, v51
	v_min3_f16 v104, v50, v51, v104
	v_lshl_add_u64 v[50:51], v[42:43], 1, v[28:29]
	global_store_short v[50:51], v104, off
	s_or_b64 exec, exec, s[26:27]
	s_and_b64 s[30:31], s[14:15], s[18:19]
	s_and_saveexec_b64 s[26:27], s[30:31]
	s_cbranch_execz .LBB261_97
.LBB261_122:
	s_and_b64 vcc, exec, s[0:1]
	s_cbranch_vccnz .LBB261_124
; %bb.123:
	v_lshl_add_u64 v[50:51], v[44:45], 1, v[48:49]
	flat_load_ushort v50, v[50:51]
	s_waitcnt vmcnt(0) lgkmcnt(0)
	v_mul_f16_e32 v50, v52, v50
	s_branch .LBB261_125
.LBB261_124:
	v_mov_b32_e32 v50, 0
.LBB261_125:
	v_pk_add_f16 v51, v0, v30
	v_pk_max_f16 v103, v103, v103
	s_nop 0
	v_pk_min_f16 v51, v103, v51
	v_pk_add_f16 v103, v1, v31
	s_nop 0
	v_pk_min_f16 v51, v51, v103
	s_nop 0
	v_lshrrev_b32_e32 v103, 16, v51
	v_min3_f16 v103, v50, v51, v103
	v_lshl_add_u64 v[50:51], v[44:45], 1, v[28:29]
	global_store_short v[50:51], v103, off
	s_or_b64 exec, exec, s[26:27]
	s_and_b64 s[26:27], s[16:17], s[18:19]
	s_and_saveexec_b64 s[18:19], s[26:27]
	s_cbranch_execz .LBB261_130
.LBB261_126:
	s_and_b64 vcc, exec, s[0:1]
	s_cbranch_vccnz .LBB261_128
; %bb.127:
	v_lshl_add_u64 v[48:49], v[46:47], 1, v[48:49]
	flat_load_ushort v48, v[48:49]
	s_waitcnt vmcnt(0) lgkmcnt(0)
	v_mul_f16_e32 v48, v52, v48
	s_branch .LBB261_129
.LBB261_128:
	v_mov_b32_e32 v48, 0
.LBB261_129:
	v_pk_add_f16 v30, v2, v30
	v_pk_max_f16 v49, v102, v102
	v_pk_add_f16 v31, v3, v31
	v_pk_min_f16 v30, v49, v30
	v_lshl_add_u64 v[28:29], v[46:47], 1, v[28:29]
	v_pk_min_f16 v30, v30, v31
	s_nop 0
	v_lshrrev_b32_e32 v31, 16, v30
	v_min3_f16 v30, v48, v30, v31
	global_store_short v[28:29], v30, off
.LBB261_130:
	s_or_b64 exec, exec, s[18:19]
	v_add_u32_e32 v48, 16, v94
	v_mad_i64_i32 v[28:29], s[26:27], v48, s29, 0
	v_cmp_gt_i32_e64 s[18:19], s21, v48
	v_lshl_add_u64 v[30:31], v[28:29], 1, s[24:25]
	v_mad_i64_i32 v[28:29], s[26:27], v48, s28, 0
	v_lshl_add_u64 v[28:29], v[28:29], 1, s[22:23]
	s_and_b64 s[30:31], s[4:5], s[18:19]
	s_and_saveexec_b64 s[26:27], s[30:31]
	s_cbranch_execnz .LBB261_138
; %bb.131:
	s_or_b64 exec, exec, s[26:27]
	s_and_b64 s[30:31], s[2:3], s[18:19]
	s_and_saveexec_b64 s[26:27], s[30:31]
	s_cbranch_execnz .LBB261_142
.LBB261_132:
	s_or_b64 exec, exec, s[26:27]
	s_and_b64 s[30:31], s[6:7], s[18:19]
	s_and_saveexec_b64 s[26:27], s[30:31]
	s_cbranch_execnz .LBB261_146
.LBB261_133:
	s_or_b64 exec, exec, s[26:27]
	s_and_b64 s[30:31], s[8:9], s[18:19]
	s_and_saveexec_b64 s[26:27], s[30:31]
	s_cbranch_execnz .LBB261_150
.LBB261_134:
	s_or_b64 exec, exec, s[26:27]
	s_and_b64 s[30:31], s[10:11], s[18:19]
	s_and_saveexec_b64 s[26:27], s[30:31]
	s_cbranch_execnz .LBB261_154
.LBB261_135:
	s_or_b64 exec, exec, s[26:27]
	s_and_b64 s[30:31], s[12:13], s[18:19]
	s_and_saveexec_b64 s[26:27], s[30:31]
	s_cbranch_execnz .LBB261_158
.LBB261_136:
	s_or_b64 exec, exec, s[26:27]
	s_and_b64 s[30:31], s[14:15], s[18:19]
	s_and_saveexec_b64 s[26:27], s[30:31]
	s_cbranch_execnz .LBB261_162
.LBB261_137:
	s_or_b64 exec, exec, s[26:27]
	s_and_b64 s[26:27], s[16:17], s[18:19]
	s_and_saveexec_b64 s[18:19], s[26:27]
	s_cbranch_execnz .LBB261_166
	s_branch .LBB261_170
.LBB261_138:
	s_and_b64 vcc, exec, s[0:1]
	s_cbranch_vccnz .LBB261_140
; %bb.139:
	v_lshl_add_u64 v[48:49], v[32:33], 1, v[30:31]
	flat_load_ushort v48, v[48:49]
	s_waitcnt vmcnt(0) lgkmcnt(0)
	v_mul_f16_e32 v48, v52, v48
	s_branch .LBB261_141
.LBB261_140:
	v_mov_b32_e32 v48, 0
.LBB261_141:
	s_waitcnt lgkmcnt(2)
	v_pk_add_f16 v49, v16, v24
	v_pk_max_f16 v50, v101, v101
	s_nop 0
	v_pk_min_f16 v49, v50, v49
	v_pk_add_f16 v50, v17, v25
	s_nop 0
	v_pk_min_f16 v49, v49, v50
	s_nop 0
	v_lshrrev_b32_e32 v50, 16, v49
	v_min3_f16 v50, v48, v49, v50
	v_lshl_add_u64 v[48:49], v[32:33], 1, v[28:29]
	global_store_short v[48:49], v50, off
	s_or_b64 exec, exec, s[26:27]
	s_and_b64 s[30:31], s[2:3], s[18:19]
	s_and_saveexec_b64 s[26:27], s[30:31]
	s_cbranch_execz .LBB261_132
.LBB261_142:
	s_and_b64 vcc, exec, s[0:1]
	s_cbranch_vccnz .LBB261_144
; %bb.143:
	v_lshl_add_u64 v[48:49], v[34:35], 1, v[30:31]
	flat_load_ushort v48, v[48:49]
	s_waitcnt vmcnt(0) lgkmcnt(0)
	v_mul_f16_e32 v48, v52, v48
	s_branch .LBB261_145
.LBB261_144:
	v_mov_b32_e32 v48, 0
.LBB261_145:
	s_waitcnt lgkmcnt(2)
	v_pk_add_f16 v49, v18, v24
	v_pk_max_f16 v50, v100, v100
	s_nop 0
	v_pk_min_f16 v49, v50, v49
	v_pk_add_f16 v50, v19, v25
	s_nop 0
	v_pk_min_f16 v49, v49, v50
	s_nop 0
	v_lshrrev_b32_e32 v50, 16, v49
	v_min3_f16 v50, v48, v49, v50
	v_lshl_add_u64 v[48:49], v[34:35], 1, v[28:29]
	global_store_short v[48:49], v50, off
	s_or_b64 exec, exec, s[26:27]
	s_and_b64 s[30:31], s[6:7], s[18:19]
	s_and_saveexec_b64 s[26:27], s[30:31]
	s_cbranch_execz .LBB261_133
.LBB261_146:
	s_and_b64 vcc, exec, s[0:1]
	s_cbranch_vccnz .LBB261_148
; %bb.147:
	v_lshl_add_u64 v[48:49], v[36:37], 1, v[30:31]
	flat_load_ushort v48, v[48:49]
	s_waitcnt vmcnt(0) lgkmcnt(0)
	v_mul_f16_e32 v48, v52, v48
	s_branch .LBB261_149
.LBB261_148:
	v_mov_b32_e32 v48, 0
.LBB261_149:
	s_waitcnt lgkmcnt(2)
	v_pk_add_f16 v49, v12, v24
	v_pk_max_f16 v50, v99, v99
	s_nop 0
	v_pk_min_f16 v49, v50, v49
	v_pk_add_f16 v50, v13, v25
	s_nop 0
	v_pk_min_f16 v49, v49, v50
	s_nop 0
	v_lshrrev_b32_e32 v50, 16, v49
	v_min3_f16 v50, v48, v49, v50
	v_lshl_add_u64 v[48:49], v[36:37], 1, v[28:29]
	global_store_short v[48:49], v50, off
	s_or_b64 exec, exec, s[26:27]
	s_and_b64 s[30:31], s[8:9], s[18:19]
	s_and_saveexec_b64 s[26:27], s[30:31]
	s_cbranch_execz .LBB261_134
.LBB261_150:
	s_and_b64 vcc, exec, s[0:1]
	s_cbranch_vccnz .LBB261_152
; %bb.151:
	v_lshl_add_u64 v[48:49], v[38:39], 1, v[30:31]
	flat_load_ushort v48, v[48:49]
	s_waitcnt vmcnt(0) lgkmcnt(0)
	v_mul_f16_e32 v48, v52, v48
	s_branch .LBB261_153
.LBB261_152:
	v_mov_b32_e32 v48, 0
.LBB261_153:
	s_waitcnt lgkmcnt(2)
	v_pk_add_f16 v49, v14, v24
	v_pk_max_f16 v50, v98, v98
	s_nop 0
	v_pk_min_f16 v49, v50, v49
	v_pk_add_f16 v50, v15, v25
	s_nop 0
	v_pk_min_f16 v49, v49, v50
	s_nop 0
	v_lshrrev_b32_e32 v50, 16, v49
	v_min3_f16 v50, v48, v49, v50
	v_lshl_add_u64 v[48:49], v[38:39], 1, v[28:29]
	global_store_short v[48:49], v50, off
	s_or_b64 exec, exec, s[26:27]
	s_and_b64 s[30:31], s[10:11], s[18:19]
	s_and_saveexec_b64 s[26:27], s[30:31]
	s_cbranch_execz .LBB261_135
.LBB261_154:
	s_and_b64 vcc, exec, s[0:1]
	s_cbranch_vccnz .LBB261_156
; %bb.155:
	v_lshl_add_u64 v[48:49], v[40:41], 1, v[30:31]
	flat_load_ushort v48, v[48:49]
	s_waitcnt vmcnt(0) lgkmcnt(0)
	v_mul_f16_e32 v48, v52, v48
	s_branch .LBB261_157
.LBB261_156:
	v_mov_b32_e32 v48, 0
.LBB261_157:
	s_waitcnt lgkmcnt(2)
	v_pk_add_f16 v49, v8, v24
	v_pk_max_f16 v50, v97, v97
	s_nop 0
	v_pk_min_f16 v49, v50, v49
	v_pk_add_f16 v50, v9, v25
	s_nop 0
	v_pk_min_f16 v49, v49, v50
	s_nop 0
	v_lshrrev_b32_e32 v50, 16, v49
	v_min3_f16 v50, v48, v49, v50
	v_lshl_add_u64 v[48:49], v[40:41], 1, v[28:29]
	global_store_short v[48:49], v50, off
	s_or_b64 exec, exec, s[26:27]
	s_and_b64 s[30:31], s[12:13], s[18:19]
	s_and_saveexec_b64 s[26:27], s[30:31]
	s_cbranch_execz .LBB261_136
.LBB261_158:
	s_and_b64 vcc, exec, s[0:1]
	s_cbranch_vccnz .LBB261_160
; %bb.159:
	v_lshl_add_u64 v[48:49], v[42:43], 1, v[30:31]
	flat_load_ushort v48, v[48:49]
	s_waitcnt vmcnt(0) lgkmcnt(0)
	v_mul_f16_e32 v48, v52, v48
	s_branch .LBB261_161
.LBB261_160:
	v_mov_b32_e32 v48, 0
.LBB261_161:
	s_waitcnt lgkmcnt(2)
	v_pk_add_f16 v49, v10, v24
	v_pk_max_f16 v50, v96, v96
	s_nop 0
	v_pk_min_f16 v49, v50, v49
	v_pk_add_f16 v50, v11, v25
	s_nop 0
	v_pk_min_f16 v49, v49, v50
	s_nop 0
	v_lshrrev_b32_e32 v50, 16, v49
	v_min3_f16 v50, v48, v49, v50
	v_lshl_add_u64 v[48:49], v[42:43], 1, v[28:29]
	global_store_short v[48:49], v50, off
	s_or_b64 exec, exec, s[26:27]
	s_and_b64 s[30:31], s[14:15], s[18:19]
	s_and_saveexec_b64 s[26:27], s[30:31]
	s_cbranch_execz .LBB261_137
.LBB261_162:
	s_and_b64 vcc, exec, s[0:1]
	s_cbranch_vccnz .LBB261_164
; %bb.163:
	v_lshl_add_u64 v[48:49], v[44:45], 1, v[30:31]
	flat_load_ushort v48, v[48:49]
	s_waitcnt vmcnt(0) lgkmcnt(0)
	v_mul_f16_e32 v48, v52, v48
	s_branch .LBB261_165
.LBB261_164:
	v_mov_b32_e32 v48, 0
.LBB261_165:
	s_waitcnt lgkmcnt(2)
	v_pk_add_f16 v49, v0, v24
	v_pk_max_f16 v50, v95, v95
	s_nop 0
	v_pk_min_f16 v49, v50, v49
	v_pk_add_f16 v50, v1, v25
	s_nop 0
	v_pk_min_f16 v49, v49, v50
	s_nop 0
	v_lshrrev_b32_e32 v50, 16, v49
	v_min3_f16 v50, v48, v49, v50
	v_lshl_add_u64 v[48:49], v[44:45], 1, v[28:29]
	global_store_short v[48:49], v50, off
	s_or_b64 exec, exec, s[26:27]
	s_and_b64 s[26:27], s[16:17], s[18:19]
	s_and_saveexec_b64 s[18:19], s[26:27]
	s_cbranch_execz .LBB261_170
.LBB261_166:
	s_and_b64 vcc, exec, s[0:1]
	s_cbranch_vccnz .LBB261_168
; %bb.167:
	v_lshl_add_u64 v[30:31], v[46:47], 1, v[30:31]
	flat_load_ushort v30, v[30:31]
	s_waitcnt vmcnt(0) lgkmcnt(0)
	v_mul_f16_e32 v30, v52, v30
	s_branch .LBB261_169
.LBB261_168:
	v_mov_b32_e32 v30, 0
.LBB261_169:
	s_waitcnt lgkmcnt(2)
	v_pk_add_f16 v24, v2, v24
	v_pk_max_f16 v31, v93, v93
	v_pk_add_f16 v25, v3, v25
	v_pk_min_f16 v24, v31, v24
	s_nop 0
	v_pk_min_f16 v24, v24, v25
	s_nop 0
	v_lshrrev_b32_e32 v25, 16, v24
	v_min3_f16 v30, v30, v24, v25
	v_lshl_add_u64 v[24:25], v[46:47], 1, v[28:29]
	global_store_short v[24:25], v30, off
.LBB261_170:
	s_or_b64 exec, exec, s[18:19]
	v_add_u32_e32 v30, 24, v94
	s_waitcnt lgkmcnt(2)
	v_mad_i64_i32 v[24:25], s[26:27], v30, s29, 0
	v_cmp_gt_i32_e64 s[18:19], s21, v30
	v_lshl_add_u64 v[28:29], v[24:25], 1, s[24:25]
	v_mad_i64_i32 v[24:25], s[26:27], v30, s28, 0
	v_lshl_add_u64 v[24:25], v[24:25], 1, s[22:23]
	s_and_b64 s[30:31], s[4:5], s[18:19]
	s_and_saveexec_b64 s[26:27], s[30:31]
	s_cbranch_execnz .LBB261_178
; %bb.171:
	s_or_b64 exec, exec, s[26:27]
	s_and_b64 s[30:31], s[2:3], s[18:19]
	s_and_saveexec_b64 s[26:27], s[30:31]
	s_cbranch_execnz .LBB261_182
.LBB261_172:
	s_or_b64 exec, exec, s[26:27]
	s_and_b64 s[30:31], s[6:7], s[18:19]
	s_and_saveexec_b64 s[26:27], s[30:31]
	s_cbranch_execnz .LBB261_186
.LBB261_173:
	s_or_b64 exec, exec, s[26:27]
	s_and_b64 s[30:31], s[8:9], s[18:19]
	s_and_saveexec_b64 s[26:27], s[30:31]
	s_cbranch_execnz .LBB261_190
.LBB261_174:
	s_or_b64 exec, exec, s[26:27]
	s_and_b64 s[30:31], s[10:11], s[18:19]
	s_and_saveexec_b64 s[26:27], s[30:31]
	s_cbranch_execnz .LBB261_194
.LBB261_175:
	s_or_b64 exec, exec, s[26:27]
	s_and_b64 s[30:31], s[12:13], s[18:19]
	s_and_saveexec_b64 s[26:27], s[30:31]
	s_cbranch_execnz .LBB261_198
.LBB261_176:
	s_or_b64 exec, exec, s[26:27]
	s_and_b64 s[30:31], s[14:15], s[18:19]
	s_and_saveexec_b64 s[26:27], s[30:31]
	s_cbranch_execnz .LBB261_202
.LBB261_177:
	s_or_b64 exec, exec, s[26:27]
	s_and_b64 s[26:27], s[16:17], s[18:19]
	s_and_saveexec_b64 s[18:19], s[26:27]
	s_cbranch_execnz .LBB261_206
	s_branch .LBB261_210
.LBB261_178:
	s_and_b64 vcc, exec, s[0:1]
	s_cbranch_vccnz .LBB261_180
; %bb.179:
	v_lshl_add_u64 v[30:31], v[32:33], 1, v[28:29]
	flat_load_ushort v30, v[30:31]
	s_waitcnt vmcnt(0) lgkmcnt(0)
	v_mul_f16_e32 v30, v52, v30
	s_branch .LBB261_181
.LBB261_180:
	v_mov_b32_e32 v30, 0
.LBB261_181:
	v_pk_add_f16 v31, v16, v26
	v_pk_max_f16 v48, v92, v92
	s_nop 0
	v_pk_min_f16 v31, v48, v31
	v_pk_add_f16 v48, v17, v27
	s_nop 0
	v_pk_min_f16 v31, v31, v48
	s_nop 0
	v_lshrrev_b32_e32 v48, 16, v31
	v_min3_f16 v48, v30, v31, v48
	v_lshl_add_u64 v[30:31], v[32:33], 1, v[24:25]
	global_store_short v[30:31], v48, off
	s_or_b64 exec, exec, s[26:27]
	s_and_b64 s[30:31], s[2:3], s[18:19]
	s_and_saveexec_b64 s[26:27], s[30:31]
	s_cbranch_execz .LBB261_172
.LBB261_182:
	s_and_b64 vcc, exec, s[0:1]
	s_cbranch_vccnz .LBB261_184
; %bb.183:
	v_lshl_add_u64 v[30:31], v[34:35], 1, v[28:29]
	flat_load_ushort v30, v[30:31]
	s_waitcnt vmcnt(0) lgkmcnt(0)
	v_mul_f16_e32 v30, v52, v30
	s_branch .LBB261_185
.LBB261_184:
	v_mov_b32_e32 v30, 0
.LBB261_185:
	v_pk_add_f16 v31, v18, v26
	v_pk_max_f16 v48, v91, v91
	s_nop 0
	v_pk_min_f16 v31, v48, v31
	v_pk_add_f16 v48, v19, v27
	s_nop 0
	v_pk_min_f16 v31, v31, v48
	s_nop 0
	v_lshrrev_b32_e32 v48, 16, v31
	v_min3_f16 v48, v30, v31, v48
	v_lshl_add_u64 v[30:31], v[34:35], 1, v[24:25]
	global_store_short v[30:31], v48, off
	s_or_b64 exec, exec, s[26:27]
	s_and_b64 s[30:31], s[6:7], s[18:19]
	s_and_saveexec_b64 s[26:27], s[30:31]
	s_cbranch_execz .LBB261_173
.LBB261_186:
	s_and_b64 vcc, exec, s[0:1]
	s_cbranch_vccnz .LBB261_188
; %bb.187:
	v_lshl_add_u64 v[30:31], v[36:37], 1, v[28:29]
	flat_load_ushort v30, v[30:31]
	s_waitcnt vmcnt(0) lgkmcnt(0)
	v_mul_f16_e32 v30, v52, v30
	s_branch .LBB261_189
.LBB261_188:
	v_mov_b32_e32 v30, 0
.LBB261_189:
	v_pk_add_f16 v31, v12, v26
	v_pk_max_f16 v48, v90, v90
	s_nop 0
	v_pk_min_f16 v31, v48, v31
	v_pk_add_f16 v48, v13, v27
	s_nop 0
	v_pk_min_f16 v31, v31, v48
	s_nop 0
	v_lshrrev_b32_e32 v48, 16, v31
	v_min3_f16 v48, v30, v31, v48
	v_lshl_add_u64 v[30:31], v[36:37], 1, v[24:25]
	global_store_short v[30:31], v48, off
	s_or_b64 exec, exec, s[26:27]
	s_and_b64 s[30:31], s[8:9], s[18:19]
	s_and_saveexec_b64 s[26:27], s[30:31]
	s_cbranch_execz .LBB261_174
.LBB261_190:
	s_and_b64 vcc, exec, s[0:1]
	s_cbranch_vccnz .LBB261_192
; %bb.191:
	v_lshl_add_u64 v[30:31], v[38:39], 1, v[28:29]
	flat_load_ushort v30, v[30:31]
	s_waitcnt vmcnt(0) lgkmcnt(0)
	v_mul_f16_e32 v30, v52, v30
	s_branch .LBB261_193
.LBB261_192:
	v_mov_b32_e32 v30, 0
.LBB261_193:
	v_pk_add_f16 v31, v14, v26
	v_pk_max_f16 v48, v89, v89
	s_nop 0
	v_pk_min_f16 v31, v48, v31
	v_pk_add_f16 v48, v15, v27
	s_nop 0
	v_pk_min_f16 v31, v31, v48
	s_nop 0
	v_lshrrev_b32_e32 v48, 16, v31
	v_min3_f16 v48, v30, v31, v48
	v_lshl_add_u64 v[30:31], v[38:39], 1, v[24:25]
	global_store_short v[30:31], v48, off
	s_or_b64 exec, exec, s[26:27]
	s_and_b64 s[30:31], s[10:11], s[18:19]
	s_and_saveexec_b64 s[26:27], s[30:31]
	s_cbranch_execz .LBB261_175
.LBB261_194:
	s_and_b64 vcc, exec, s[0:1]
	s_cbranch_vccnz .LBB261_196
; %bb.195:
	v_lshl_add_u64 v[30:31], v[40:41], 1, v[28:29]
	flat_load_ushort v30, v[30:31]
	s_waitcnt vmcnt(0) lgkmcnt(0)
	v_mul_f16_e32 v30, v52, v30
	s_branch .LBB261_197
.LBB261_196:
	v_mov_b32_e32 v30, 0
.LBB261_197:
	v_pk_add_f16 v31, v8, v26
	v_pk_max_f16 v48, v88, v88
	s_nop 0
	v_pk_min_f16 v31, v48, v31
	v_pk_add_f16 v48, v9, v27
	s_nop 0
	v_pk_min_f16 v31, v31, v48
	s_nop 0
	v_lshrrev_b32_e32 v48, 16, v31
	v_min3_f16 v48, v30, v31, v48
	v_lshl_add_u64 v[30:31], v[40:41], 1, v[24:25]
	global_store_short v[30:31], v48, off
	s_or_b64 exec, exec, s[26:27]
	s_and_b64 s[30:31], s[12:13], s[18:19]
	s_and_saveexec_b64 s[26:27], s[30:31]
	s_cbranch_execz .LBB261_176
.LBB261_198:
	s_and_b64 vcc, exec, s[0:1]
	s_cbranch_vccnz .LBB261_200
; %bb.199:
	v_lshl_add_u64 v[30:31], v[42:43], 1, v[28:29]
	flat_load_ushort v30, v[30:31]
	s_waitcnt vmcnt(0) lgkmcnt(0)
	v_mul_f16_e32 v30, v52, v30
	s_branch .LBB261_201
.LBB261_200:
	v_mov_b32_e32 v30, 0
.LBB261_201:
	v_pk_add_f16 v31, v10, v26
	v_pk_max_f16 v48, v87, v87
	s_nop 0
	v_pk_min_f16 v31, v48, v31
	v_pk_add_f16 v48, v11, v27
	s_nop 0
	v_pk_min_f16 v31, v31, v48
	s_nop 0
	v_lshrrev_b32_e32 v48, 16, v31
	v_min3_f16 v48, v30, v31, v48
	v_lshl_add_u64 v[30:31], v[42:43], 1, v[24:25]
	global_store_short v[30:31], v48, off
	s_or_b64 exec, exec, s[26:27]
	s_and_b64 s[30:31], s[14:15], s[18:19]
	s_and_saveexec_b64 s[26:27], s[30:31]
	s_cbranch_execz .LBB261_177
.LBB261_202:
	s_and_b64 vcc, exec, s[0:1]
	s_cbranch_vccnz .LBB261_204
; %bb.203:
	v_lshl_add_u64 v[30:31], v[44:45], 1, v[28:29]
	flat_load_ushort v30, v[30:31]
	s_waitcnt vmcnt(0) lgkmcnt(0)
	v_mul_f16_e32 v30, v52, v30
	s_branch .LBB261_205
.LBB261_204:
	v_mov_b32_e32 v30, 0
.LBB261_205:
	v_pk_add_f16 v31, v0, v26
	v_pk_max_f16 v48, v86, v86
	s_nop 0
	v_pk_min_f16 v31, v48, v31
	v_pk_add_f16 v48, v1, v27
	s_nop 0
	v_pk_min_f16 v31, v31, v48
	s_nop 0
	v_lshrrev_b32_e32 v48, 16, v31
	v_min3_f16 v48, v30, v31, v48
	v_lshl_add_u64 v[30:31], v[44:45], 1, v[24:25]
	global_store_short v[30:31], v48, off
	s_or_b64 exec, exec, s[26:27]
	s_and_b64 s[26:27], s[16:17], s[18:19]
	s_and_saveexec_b64 s[18:19], s[26:27]
	s_cbranch_execz .LBB261_210
.LBB261_206:
	s_and_b64 vcc, exec, s[0:1]
	s_cbranch_vccnz .LBB261_208
; %bb.207:
	v_lshl_add_u64 v[28:29], v[46:47], 1, v[28:29]
	flat_load_ushort v28, v[28:29]
	s_waitcnt vmcnt(0) lgkmcnt(0)
	v_mul_f16_e32 v28, v52, v28
	s_branch .LBB261_209
.LBB261_208:
	v_mov_b32_e32 v28, 0
.LBB261_209:
	v_pk_add_f16 v26, v2, v26
	v_pk_max_f16 v29, v85, v85
	v_pk_add_f16 v27, v3, v27
	v_pk_min_f16 v26, v29, v26
	v_lshl_add_u64 v[24:25], v[46:47], 1, v[24:25]
	v_pk_min_f16 v26, v26, v27
	s_nop 0
	v_lshrrev_b32_e32 v27, 16, v26
	v_min3_f16 v26, v28, v26, v27
	global_store_short v[24:25], v26, off
.LBB261_210:
	s_or_b64 exec, exec, s[18:19]
	v_add_u32_e32 v28, 32, v94
	v_mad_i64_i32 v[24:25], s[26:27], v28, s29, 0
	v_cmp_gt_i32_e64 s[18:19], s21, v28
	v_lshl_add_u64 v[26:27], v[24:25], 1, s[24:25]
	v_mad_i64_i32 v[24:25], s[26:27], v28, s28, 0
	v_lshl_add_u64 v[24:25], v[24:25], 1, s[22:23]
	s_and_b64 s[30:31], s[4:5], s[18:19]
	s_and_saveexec_b64 s[26:27], s[30:31]
	s_cbranch_execnz .LBB261_218
; %bb.211:
	s_or_b64 exec, exec, s[26:27]
	s_and_b64 s[30:31], s[2:3], s[18:19]
	s_and_saveexec_b64 s[26:27], s[30:31]
	s_cbranch_execnz .LBB261_222
.LBB261_212:
	s_or_b64 exec, exec, s[26:27]
	s_and_b64 s[30:31], s[6:7], s[18:19]
	s_and_saveexec_b64 s[26:27], s[30:31]
	s_cbranch_execnz .LBB261_226
.LBB261_213:
	s_or_b64 exec, exec, s[26:27]
	s_and_b64 s[30:31], s[8:9], s[18:19]
	s_and_saveexec_b64 s[26:27], s[30:31]
	s_cbranch_execnz .LBB261_230
.LBB261_214:
	s_or_b64 exec, exec, s[26:27]
	s_and_b64 s[30:31], s[10:11], s[18:19]
	s_and_saveexec_b64 s[26:27], s[30:31]
	s_cbranch_execnz .LBB261_234
.LBB261_215:
	s_or_b64 exec, exec, s[26:27]
	s_and_b64 s[30:31], s[12:13], s[18:19]
	s_and_saveexec_b64 s[26:27], s[30:31]
	s_cbranch_execnz .LBB261_238
.LBB261_216:
	s_or_b64 exec, exec, s[26:27]
	s_and_b64 s[30:31], s[14:15], s[18:19]
	s_and_saveexec_b64 s[26:27], s[30:31]
	s_cbranch_execnz .LBB261_242
.LBB261_217:
	s_or_b64 exec, exec, s[26:27]
	s_and_b64 s[26:27], s[16:17], s[18:19]
	s_and_saveexec_b64 s[18:19], s[26:27]
	s_cbranch_execnz .LBB261_246
	s_branch .LBB261_250
.LBB261_218:
	s_and_b64 vcc, exec, s[0:1]
	s_cbranch_vccnz .LBB261_220
; %bb.219:
	v_lshl_add_u64 v[28:29], v[32:33], 1, v[26:27]
	flat_load_ushort v28, v[28:29]
	s_waitcnt vmcnt(0) lgkmcnt(0)
	v_mul_f16_e32 v28, v52, v28
	s_branch .LBB261_221
.LBB261_220:
	v_mov_b32_e32 v28, 0
.LBB261_221:
	s_waitcnt lgkmcnt(1)
	v_pk_add_f16 v29, v16, v20
	v_pk_max_f16 v30, v84, v84
	s_nop 0
	v_pk_min_f16 v29, v30, v29
	v_pk_add_f16 v30, v17, v21
	s_nop 0
	v_pk_min_f16 v29, v29, v30
	s_nop 0
	v_lshrrev_b32_e32 v30, 16, v29
	v_min3_f16 v30, v28, v29, v30
	v_lshl_add_u64 v[28:29], v[32:33], 1, v[24:25]
	global_store_short v[28:29], v30, off
	s_or_b64 exec, exec, s[26:27]
	s_and_b64 s[30:31], s[2:3], s[18:19]
	s_and_saveexec_b64 s[26:27], s[30:31]
	s_cbranch_execz .LBB261_212
.LBB261_222:
	s_and_b64 vcc, exec, s[0:1]
	s_cbranch_vccnz .LBB261_224
; %bb.223:
	v_lshl_add_u64 v[28:29], v[34:35], 1, v[26:27]
	flat_load_ushort v28, v[28:29]
	s_waitcnt vmcnt(0) lgkmcnt(0)
	v_mul_f16_e32 v28, v52, v28
	s_branch .LBB261_225
.LBB261_224:
	v_mov_b32_e32 v28, 0
.LBB261_225:
	s_waitcnt lgkmcnt(1)
	v_pk_add_f16 v29, v18, v20
	v_pk_max_f16 v30, v83, v83
	s_nop 0
	v_pk_min_f16 v29, v30, v29
	v_pk_add_f16 v30, v19, v21
	s_nop 0
	v_pk_min_f16 v29, v29, v30
	s_nop 0
	v_lshrrev_b32_e32 v30, 16, v29
	v_min3_f16 v30, v28, v29, v30
	v_lshl_add_u64 v[28:29], v[34:35], 1, v[24:25]
	global_store_short v[28:29], v30, off
	s_or_b64 exec, exec, s[26:27]
	s_and_b64 s[30:31], s[6:7], s[18:19]
	s_and_saveexec_b64 s[26:27], s[30:31]
	s_cbranch_execz .LBB261_213
.LBB261_226:
	s_and_b64 vcc, exec, s[0:1]
	s_cbranch_vccnz .LBB261_228
; %bb.227:
	v_lshl_add_u64 v[28:29], v[36:37], 1, v[26:27]
	flat_load_ushort v28, v[28:29]
	s_waitcnt vmcnt(0) lgkmcnt(0)
	v_mul_f16_e32 v28, v52, v28
	s_branch .LBB261_229
.LBB261_228:
	v_mov_b32_e32 v28, 0
.LBB261_229:
	s_waitcnt lgkmcnt(1)
	v_pk_add_f16 v29, v12, v20
	v_pk_max_f16 v30, v82, v82
	s_nop 0
	v_pk_min_f16 v29, v30, v29
	v_pk_add_f16 v30, v13, v21
	s_nop 0
	v_pk_min_f16 v29, v29, v30
	s_nop 0
	v_lshrrev_b32_e32 v30, 16, v29
	v_min3_f16 v30, v28, v29, v30
	v_lshl_add_u64 v[28:29], v[36:37], 1, v[24:25]
	global_store_short v[28:29], v30, off
	s_or_b64 exec, exec, s[26:27]
	s_and_b64 s[30:31], s[8:9], s[18:19]
	s_and_saveexec_b64 s[26:27], s[30:31]
	s_cbranch_execz .LBB261_214
.LBB261_230:
	s_and_b64 vcc, exec, s[0:1]
	s_cbranch_vccnz .LBB261_232
; %bb.231:
	v_lshl_add_u64 v[28:29], v[38:39], 1, v[26:27]
	flat_load_ushort v28, v[28:29]
	s_waitcnt vmcnt(0) lgkmcnt(0)
	v_mul_f16_e32 v28, v52, v28
	s_branch .LBB261_233
.LBB261_232:
	v_mov_b32_e32 v28, 0
.LBB261_233:
	s_waitcnt lgkmcnt(1)
	v_pk_add_f16 v29, v14, v20
	v_pk_max_f16 v30, v81, v81
	s_nop 0
	v_pk_min_f16 v29, v30, v29
	v_pk_add_f16 v30, v15, v21
	s_nop 0
	v_pk_min_f16 v29, v29, v30
	s_nop 0
	v_lshrrev_b32_e32 v30, 16, v29
	v_min3_f16 v30, v28, v29, v30
	v_lshl_add_u64 v[28:29], v[38:39], 1, v[24:25]
	global_store_short v[28:29], v30, off
	s_or_b64 exec, exec, s[26:27]
	s_and_b64 s[30:31], s[10:11], s[18:19]
	s_and_saveexec_b64 s[26:27], s[30:31]
	s_cbranch_execz .LBB261_215
.LBB261_234:
	s_and_b64 vcc, exec, s[0:1]
	s_cbranch_vccnz .LBB261_236
; %bb.235:
	v_lshl_add_u64 v[28:29], v[40:41], 1, v[26:27]
	flat_load_ushort v28, v[28:29]
	s_waitcnt vmcnt(0) lgkmcnt(0)
	v_mul_f16_e32 v28, v52, v28
	s_branch .LBB261_237
.LBB261_236:
	v_mov_b32_e32 v28, 0
.LBB261_237:
	s_waitcnt lgkmcnt(1)
	v_pk_add_f16 v29, v8, v20
	v_pk_max_f16 v30, v80, v80
	s_nop 0
	v_pk_min_f16 v29, v30, v29
	v_pk_add_f16 v30, v9, v21
	s_nop 0
	v_pk_min_f16 v29, v29, v30
	s_nop 0
	v_lshrrev_b32_e32 v30, 16, v29
	v_min3_f16 v30, v28, v29, v30
	v_lshl_add_u64 v[28:29], v[40:41], 1, v[24:25]
	global_store_short v[28:29], v30, off
	s_or_b64 exec, exec, s[26:27]
	s_and_b64 s[30:31], s[12:13], s[18:19]
	s_and_saveexec_b64 s[26:27], s[30:31]
	s_cbranch_execz .LBB261_216
.LBB261_238:
	s_and_b64 vcc, exec, s[0:1]
	s_cbranch_vccnz .LBB261_240
; %bb.239:
	v_lshl_add_u64 v[28:29], v[42:43], 1, v[26:27]
	flat_load_ushort v28, v[28:29]
	s_waitcnt vmcnt(0) lgkmcnt(0)
	v_mul_f16_e32 v28, v52, v28
	s_branch .LBB261_241
.LBB261_240:
	v_mov_b32_e32 v28, 0
.LBB261_241:
	s_waitcnt lgkmcnt(1)
	v_pk_add_f16 v29, v10, v20
	v_pk_max_f16 v30, v79, v79
	s_nop 0
	v_pk_min_f16 v29, v30, v29
	v_pk_add_f16 v30, v11, v21
	s_nop 0
	v_pk_min_f16 v29, v29, v30
	s_nop 0
	v_lshrrev_b32_e32 v30, 16, v29
	v_min3_f16 v30, v28, v29, v30
	v_lshl_add_u64 v[28:29], v[42:43], 1, v[24:25]
	global_store_short v[28:29], v30, off
	s_or_b64 exec, exec, s[26:27]
	s_and_b64 s[30:31], s[14:15], s[18:19]
	s_and_saveexec_b64 s[26:27], s[30:31]
	s_cbranch_execz .LBB261_217
.LBB261_242:
	s_and_b64 vcc, exec, s[0:1]
	s_cbranch_vccnz .LBB261_244
; %bb.243:
	v_lshl_add_u64 v[28:29], v[44:45], 1, v[26:27]
	flat_load_ushort v28, v[28:29]
	s_waitcnt vmcnt(0) lgkmcnt(0)
	v_mul_f16_e32 v28, v52, v28
	s_branch .LBB261_245
.LBB261_244:
	v_mov_b32_e32 v28, 0
.LBB261_245:
	s_waitcnt lgkmcnt(1)
	v_pk_add_f16 v29, v0, v20
	v_pk_max_f16 v30, v78, v78
	s_nop 0
	v_pk_min_f16 v29, v30, v29
	v_pk_add_f16 v30, v1, v21
	s_nop 0
	v_pk_min_f16 v29, v29, v30
	s_nop 0
	v_lshrrev_b32_e32 v30, 16, v29
	v_min3_f16 v30, v28, v29, v30
	v_lshl_add_u64 v[28:29], v[44:45], 1, v[24:25]
	global_store_short v[28:29], v30, off
	s_or_b64 exec, exec, s[26:27]
	s_and_b64 s[26:27], s[16:17], s[18:19]
	s_and_saveexec_b64 s[18:19], s[26:27]
	s_cbranch_execz .LBB261_250
.LBB261_246:
	s_and_b64 vcc, exec, s[0:1]
	s_cbranch_vccnz .LBB261_248
; %bb.247:
	v_lshl_add_u64 v[26:27], v[46:47], 1, v[26:27]
	flat_load_ushort v26, v[26:27]
	s_waitcnt vmcnt(0) lgkmcnt(0)
	v_mul_f16_e32 v26, v52, v26
	s_branch .LBB261_249
.LBB261_248:
	v_mov_b32_e32 v26, 0
.LBB261_249:
	s_waitcnt lgkmcnt(1)
	v_pk_add_f16 v20, v2, v20
	v_pk_max_f16 v27, v77, v77
	v_pk_add_f16 v21, v3, v21
	v_pk_min_f16 v20, v27, v20
	s_nop 0
	v_pk_min_f16 v20, v20, v21
	s_nop 0
	v_lshrrev_b32_e32 v21, 16, v20
	v_min3_f16 v26, v26, v20, v21
	v_lshl_add_u64 v[20:21], v[46:47], 1, v[24:25]
	global_store_short v[20:21], v26, off
.LBB261_250:
	s_or_b64 exec, exec, s[18:19]
	v_add_u32_e32 v26, 40, v94
	s_waitcnt lgkmcnt(1)
	v_mad_i64_i32 v[20:21], s[26:27], v26, s29, 0
	v_cmp_gt_i32_e64 s[18:19], s21, v26
	v_lshl_add_u64 v[24:25], v[20:21], 1, s[24:25]
	v_mad_i64_i32 v[20:21], s[26:27], v26, s28, 0
	v_lshl_add_u64 v[20:21], v[20:21], 1, s[22:23]
	s_and_b64 s[30:31], s[4:5], s[18:19]
	s_and_saveexec_b64 s[26:27], s[30:31]
	s_cbranch_execnz .LBB261_258
; %bb.251:
	s_or_b64 exec, exec, s[26:27]
	s_and_b64 s[30:31], s[2:3], s[18:19]
	s_and_saveexec_b64 s[26:27], s[30:31]
	s_cbranch_execnz .LBB261_262
.LBB261_252:
	s_or_b64 exec, exec, s[26:27]
	s_and_b64 s[30:31], s[6:7], s[18:19]
	s_and_saveexec_b64 s[26:27], s[30:31]
	s_cbranch_execnz .LBB261_266
.LBB261_253:
	s_or_b64 exec, exec, s[26:27]
	s_and_b64 s[30:31], s[8:9], s[18:19]
	s_and_saveexec_b64 s[26:27], s[30:31]
	s_cbranch_execnz .LBB261_270
.LBB261_254:
	s_or_b64 exec, exec, s[26:27]
	s_and_b64 s[30:31], s[10:11], s[18:19]
	s_and_saveexec_b64 s[26:27], s[30:31]
	s_cbranch_execnz .LBB261_274
.LBB261_255:
	s_or_b64 exec, exec, s[26:27]
	s_and_b64 s[30:31], s[12:13], s[18:19]
	s_and_saveexec_b64 s[26:27], s[30:31]
	s_cbranch_execnz .LBB261_278
.LBB261_256:
	s_or_b64 exec, exec, s[26:27]
	s_and_b64 s[30:31], s[14:15], s[18:19]
	s_and_saveexec_b64 s[26:27], s[30:31]
	s_cbranch_execnz .LBB261_282
.LBB261_257:
	s_or_b64 exec, exec, s[26:27]
	s_and_b64 s[26:27], s[16:17], s[18:19]
	s_and_saveexec_b64 s[18:19], s[26:27]
	s_cbranch_execnz .LBB261_286
	s_branch .LBB261_290
.LBB261_258:
	s_and_b64 vcc, exec, s[0:1]
	s_cbranch_vccnz .LBB261_260
; %bb.259:
	v_lshl_add_u64 v[26:27], v[32:33], 1, v[24:25]
	flat_load_ushort v26, v[26:27]
	s_waitcnt vmcnt(0) lgkmcnt(0)
	v_mul_f16_e32 v26, v52, v26
	s_branch .LBB261_261
.LBB261_260:
	v_mov_b32_e32 v26, 0
.LBB261_261:
	v_pk_add_f16 v27, v16, v22
	v_pk_max_f16 v28, v76, v76
	s_nop 0
	v_pk_min_f16 v27, v28, v27
	v_pk_add_f16 v28, v17, v23
	s_nop 0
	v_pk_min_f16 v27, v27, v28
	s_nop 0
	v_lshrrev_b32_e32 v28, 16, v27
	v_min3_f16 v28, v26, v27, v28
	v_lshl_add_u64 v[26:27], v[32:33], 1, v[20:21]
	global_store_short v[26:27], v28, off
	s_or_b64 exec, exec, s[26:27]
	s_and_b64 s[30:31], s[2:3], s[18:19]
	s_and_saveexec_b64 s[26:27], s[30:31]
	s_cbranch_execz .LBB261_252
.LBB261_262:
	s_and_b64 vcc, exec, s[0:1]
	s_cbranch_vccnz .LBB261_264
; %bb.263:
	v_lshl_add_u64 v[26:27], v[34:35], 1, v[24:25]
	flat_load_ushort v26, v[26:27]
	s_waitcnt vmcnt(0) lgkmcnt(0)
	v_mul_f16_e32 v26, v52, v26
	s_branch .LBB261_265
.LBB261_264:
	v_mov_b32_e32 v26, 0
.LBB261_265:
	v_pk_add_f16 v27, v18, v22
	v_pk_max_f16 v28, v75, v75
	s_nop 0
	v_pk_min_f16 v27, v28, v27
	v_pk_add_f16 v28, v19, v23
	s_nop 0
	v_pk_min_f16 v27, v27, v28
	s_nop 0
	v_lshrrev_b32_e32 v28, 16, v27
	v_min3_f16 v28, v26, v27, v28
	v_lshl_add_u64 v[26:27], v[34:35], 1, v[20:21]
	global_store_short v[26:27], v28, off
	s_or_b64 exec, exec, s[26:27]
	s_and_b64 s[30:31], s[6:7], s[18:19]
	s_and_saveexec_b64 s[26:27], s[30:31]
	s_cbranch_execz .LBB261_253
.LBB261_266:
	s_and_b64 vcc, exec, s[0:1]
	s_cbranch_vccnz .LBB261_268
; %bb.267:
	v_lshl_add_u64 v[26:27], v[36:37], 1, v[24:25]
	flat_load_ushort v26, v[26:27]
	s_waitcnt vmcnt(0) lgkmcnt(0)
	v_mul_f16_e32 v26, v52, v26
	s_branch .LBB261_269
.LBB261_268:
	v_mov_b32_e32 v26, 0
.LBB261_269:
	v_pk_add_f16 v27, v12, v22
	v_pk_max_f16 v28, v74, v74
	s_nop 0
	v_pk_min_f16 v27, v28, v27
	v_pk_add_f16 v28, v13, v23
	s_nop 0
	v_pk_min_f16 v27, v27, v28
	s_nop 0
	v_lshrrev_b32_e32 v28, 16, v27
	v_min3_f16 v28, v26, v27, v28
	v_lshl_add_u64 v[26:27], v[36:37], 1, v[20:21]
	global_store_short v[26:27], v28, off
	s_or_b64 exec, exec, s[26:27]
	s_and_b64 s[30:31], s[8:9], s[18:19]
	s_and_saveexec_b64 s[26:27], s[30:31]
	s_cbranch_execz .LBB261_254
.LBB261_270:
	s_and_b64 vcc, exec, s[0:1]
	s_cbranch_vccnz .LBB261_272
; %bb.271:
	v_lshl_add_u64 v[26:27], v[38:39], 1, v[24:25]
	flat_load_ushort v26, v[26:27]
	s_waitcnt vmcnt(0) lgkmcnt(0)
	v_mul_f16_e32 v26, v52, v26
	s_branch .LBB261_273
.LBB261_272:
	v_mov_b32_e32 v26, 0
.LBB261_273:
	v_pk_add_f16 v27, v14, v22
	v_pk_max_f16 v28, v73, v73
	s_nop 0
	v_pk_min_f16 v27, v28, v27
	v_pk_add_f16 v28, v15, v23
	s_nop 0
	v_pk_min_f16 v27, v27, v28
	s_nop 0
	v_lshrrev_b32_e32 v28, 16, v27
	v_min3_f16 v28, v26, v27, v28
	v_lshl_add_u64 v[26:27], v[38:39], 1, v[20:21]
	global_store_short v[26:27], v28, off
	s_or_b64 exec, exec, s[26:27]
	s_and_b64 s[30:31], s[10:11], s[18:19]
	s_and_saveexec_b64 s[26:27], s[30:31]
	s_cbranch_execz .LBB261_255
.LBB261_274:
	s_and_b64 vcc, exec, s[0:1]
	s_cbranch_vccnz .LBB261_276
; %bb.275:
	v_lshl_add_u64 v[26:27], v[40:41], 1, v[24:25]
	flat_load_ushort v26, v[26:27]
	s_waitcnt vmcnt(0) lgkmcnt(0)
	v_mul_f16_e32 v26, v52, v26
	s_branch .LBB261_277
.LBB261_276:
	v_mov_b32_e32 v26, 0
.LBB261_277:
	v_pk_add_f16 v27, v8, v22
	v_pk_max_f16 v28, v72, v72
	s_nop 0
	v_pk_min_f16 v27, v28, v27
	v_pk_add_f16 v28, v9, v23
	s_nop 0
	v_pk_min_f16 v27, v27, v28
	s_nop 0
	v_lshrrev_b32_e32 v28, 16, v27
	v_min3_f16 v28, v26, v27, v28
	v_lshl_add_u64 v[26:27], v[40:41], 1, v[20:21]
	global_store_short v[26:27], v28, off
	s_or_b64 exec, exec, s[26:27]
	s_and_b64 s[30:31], s[12:13], s[18:19]
	s_and_saveexec_b64 s[26:27], s[30:31]
	s_cbranch_execz .LBB261_256
.LBB261_278:
	s_and_b64 vcc, exec, s[0:1]
	s_cbranch_vccnz .LBB261_280
; %bb.279:
	v_lshl_add_u64 v[26:27], v[42:43], 1, v[24:25]
	flat_load_ushort v26, v[26:27]
	s_waitcnt vmcnt(0) lgkmcnt(0)
	v_mul_f16_e32 v26, v52, v26
	s_branch .LBB261_281
.LBB261_280:
	v_mov_b32_e32 v26, 0
.LBB261_281:
	v_pk_add_f16 v27, v10, v22
	v_pk_max_f16 v28, v71, v71
	s_nop 0
	v_pk_min_f16 v27, v28, v27
	v_pk_add_f16 v28, v11, v23
	s_nop 0
	v_pk_min_f16 v27, v27, v28
	s_nop 0
	v_lshrrev_b32_e32 v28, 16, v27
	v_min3_f16 v28, v26, v27, v28
	v_lshl_add_u64 v[26:27], v[42:43], 1, v[20:21]
	global_store_short v[26:27], v28, off
	s_or_b64 exec, exec, s[26:27]
	s_and_b64 s[30:31], s[14:15], s[18:19]
	s_and_saveexec_b64 s[26:27], s[30:31]
	s_cbranch_execz .LBB261_257
.LBB261_282:
	s_and_b64 vcc, exec, s[0:1]
	s_cbranch_vccnz .LBB261_284
; %bb.283:
	v_lshl_add_u64 v[26:27], v[44:45], 1, v[24:25]
	flat_load_ushort v26, v[26:27]
	s_waitcnt vmcnt(0) lgkmcnt(0)
	v_mul_f16_e32 v26, v52, v26
	s_branch .LBB261_285
.LBB261_284:
	v_mov_b32_e32 v26, 0
.LBB261_285:
	v_pk_add_f16 v27, v0, v22
	v_pk_max_f16 v28, v70, v70
	s_nop 0
	v_pk_min_f16 v27, v28, v27
	v_pk_add_f16 v28, v1, v23
	s_nop 0
	v_pk_min_f16 v27, v27, v28
	s_nop 0
	v_lshrrev_b32_e32 v28, 16, v27
	v_min3_f16 v28, v26, v27, v28
	v_lshl_add_u64 v[26:27], v[44:45], 1, v[20:21]
	global_store_short v[26:27], v28, off
	s_or_b64 exec, exec, s[26:27]
	s_and_b64 s[26:27], s[16:17], s[18:19]
	s_and_saveexec_b64 s[18:19], s[26:27]
	s_cbranch_execz .LBB261_290
.LBB261_286:
	s_and_b64 vcc, exec, s[0:1]
	s_cbranch_vccnz .LBB261_288
; %bb.287:
	v_lshl_add_u64 v[24:25], v[46:47], 1, v[24:25]
	flat_load_ushort v24, v[24:25]
	s_waitcnt vmcnt(0) lgkmcnt(0)
	v_mul_f16_e32 v24, v52, v24
	s_branch .LBB261_289
.LBB261_288:
	v_mov_b32_e32 v24, 0
.LBB261_289:
	v_pk_add_f16 v22, v2, v22
	v_pk_max_f16 v25, v69, v69
	v_pk_add_f16 v23, v3, v23
	v_pk_min_f16 v22, v25, v22
	v_lshl_add_u64 v[20:21], v[46:47], 1, v[20:21]
	v_pk_min_f16 v22, v22, v23
	s_nop 0
	v_lshrrev_b32_e32 v23, 16, v22
	v_min3_f16 v22, v24, v22, v23
	global_store_short v[20:21], v22, off
.LBB261_290:
	s_or_b64 exec, exec, s[18:19]
	v_add_u32_e32 v24, 48, v94
	v_mad_i64_i32 v[20:21], s[26:27], v24, s29, 0
	v_cmp_gt_i32_e64 s[18:19], s21, v24
	v_lshl_add_u64 v[22:23], v[20:21], 1, s[24:25]
	v_mad_i64_i32 v[20:21], s[26:27], v24, s28, 0
	v_lshl_add_u64 v[20:21], v[20:21], 1, s[22:23]
	s_and_b64 s[30:31], s[4:5], s[18:19]
	s_and_saveexec_b64 s[26:27], s[30:31]
	s_cbranch_execnz .LBB261_298
; %bb.291:
	s_or_b64 exec, exec, s[26:27]
	s_and_b64 s[30:31], s[2:3], s[18:19]
	s_and_saveexec_b64 s[26:27], s[30:31]
	s_cbranch_execnz .LBB261_302
.LBB261_292:
	s_or_b64 exec, exec, s[26:27]
	s_and_b64 s[30:31], s[6:7], s[18:19]
	s_and_saveexec_b64 s[26:27], s[30:31]
	s_cbranch_execnz .LBB261_306
.LBB261_293:
	s_or_b64 exec, exec, s[26:27]
	s_and_b64 s[30:31], s[8:9], s[18:19]
	s_and_saveexec_b64 s[26:27], s[30:31]
	s_cbranch_execnz .LBB261_310
.LBB261_294:
	s_or_b64 exec, exec, s[26:27]
	s_and_b64 s[30:31], s[10:11], s[18:19]
	s_and_saveexec_b64 s[26:27], s[30:31]
	s_cbranch_execnz .LBB261_314
.LBB261_295:
	s_or_b64 exec, exec, s[26:27]
	s_and_b64 s[30:31], s[12:13], s[18:19]
	s_and_saveexec_b64 s[26:27], s[30:31]
	s_cbranch_execnz .LBB261_318
.LBB261_296:
	s_or_b64 exec, exec, s[26:27]
	s_and_b64 s[30:31], s[14:15], s[18:19]
	s_and_saveexec_b64 s[26:27], s[30:31]
	s_cbranch_execnz .LBB261_322
.LBB261_297:
	s_or_b64 exec, exec, s[26:27]
	s_and_b64 s[26:27], s[16:17], s[18:19]
	s_and_saveexec_b64 s[18:19], s[26:27]
	s_cbranch_execnz .LBB261_326
	s_branch .LBB261_330
.LBB261_298:
	s_and_b64 vcc, exec, s[0:1]
	s_cbranch_vccnz .LBB261_300
; %bb.299:
	v_lshl_add_u64 v[24:25], v[32:33], 1, v[22:23]
	flat_load_ushort v24, v[24:25]
	s_waitcnt vmcnt(0) lgkmcnt(0)
	v_mul_f16_e32 v24, v52, v24
	s_branch .LBB261_301
.LBB261_300:
	v_mov_b32_e32 v24, 0
.LBB261_301:
	s_waitcnt lgkmcnt(0)
	v_pk_add_f16 v25, v16, v4
	v_pk_max_f16 v26, v68, v68
	s_nop 0
	v_pk_min_f16 v25, v26, v25
	v_pk_add_f16 v26, v17, v5
	s_nop 0
	v_pk_min_f16 v25, v25, v26
	s_nop 0
	v_lshrrev_b32_e32 v26, 16, v25
	v_min3_f16 v26, v24, v25, v26
	v_lshl_add_u64 v[24:25], v[32:33], 1, v[20:21]
	global_store_short v[24:25], v26, off
	s_or_b64 exec, exec, s[26:27]
	s_and_b64 s[30:31], s[2:3], s[18:19]
	s_and_saveexec_b64 s[26:27], s[30:31]
	s_cbranch_execz .LBB261_292
.LBB261_302:
	s_and_b64 vcc, exec, s[0:1]
	s_cbranch_vccnz .LBB261_304
; %bb.303:
	v_lshl_add_u64 v[24:25], v[34:35], 1, v[22:23]
	flat_load_ushort v24, v[24:25]
	s_waitcnt vmcnt(0) lgkmcnt(0)
	v_mul_f16_e32 v24, v52, v24
	s_branch .LBB261_305
.LBB261_304:
	v_mov_b32_e32 v24, 0
.LBB261_305:
	s_waitcnt lgkmcnt(0)
	v_pk_add_f16 v25, v18, v4
	v_pk_max_f16 v26, v67, v67
	s_nop 0
	v_pk_min_f16 v25, v26, v25
	v_pk_add_f16 v26, v19, v5
	s_nop 0
	v_pk_min_f16 v25, v25, v26
	s_nop 0
	v_lshrrev_b32_e32 v26, 16, v25
	v_min3_f16 v26, v24, v25, v26
	v_lshl_add_u64 v[24:25], v[34:35], 1, v[20:21]
	global_store_short v[24:25], v26, off
	s_or_b64 exec, exec, s[26:27]
	s_and_b64 s[30:31], s[6:7], s[18:19]
	s_and_saveexec_b64 s[26:27], s[30:31]
	s_cbranch_execz .LBB261_293
.LBB261_306:
	s_and_b64 vcc, exec, s[0:1]
	s_cbranch_vccnz .LBB261_308
; %bb.307:
	v_lshl_add_u64 v[24:25], v[36:37], 1, v[22:23]
	flat_load_ushort v24, v[24:25]
	s_waitcnt vmcnt(0) lgkmcnt(0)
	v_mul_f16_e32 v24, v52, v24
	s_branch .LBB261_309
.LBB261_308:
	v_mov_b32_e32 v24, 0
.LBB261_309:
	s_waitcnt lgkmcnt(0)
	v_pk_add_f16 v25, v12, v4
	v_pk_max_f16 v26, v66, v66
	s_nop 0
	v_pk_min_f16 v25, v26, v25
	v_pk_add_f16 v26, v13, v5
	s_nop 0
	v_pk_min_f16 v25, v25, v26
	s_nop 0
	v_lshrrev_b32_e32 v26, 16, v25
	v_min3_f16 v26, v24, v25, v26
	v_lshl_add_u64 v[24:25], v[36:37], 1, v[20:21]
	global_store_short v[24:25], v26, off
	s_or_b64 exec, exec, s[26:27]
	s_and_b64 s[30:31], s[8:9], s[18:19]
	s_and_saveexec_b64 s[26:27], s[30:31]
	s_cbranch_execz .LBB261_294
.LBB261_310:
	s_and_b64 vcc, exec, s[0:1]
	s_cbranch_vccnz .LBB261_312
; %bb.311:
	v_lshl_add_u64 v[24:25], v[38:39], 1, v[22:23]
	flat_load_ushort v24, v[24:25]
	s_waitcnt vmcnt(0) lgkmcnt(0)
	v_mul_f16_e32 v24, v52, v24
	s_branch .LBB261_313
.LBB261_312:
	v_mov_b32_e32 v24, 0
.LBB261_313:
	s_waitcnt lgkmcnt(0)
	v_pk_add_f16 v25, v14, v4
	v_pk_max_f16 v26, v65, v65
	s_nop 0
	v_pk_min_f16 v25, v26, v25
	v_pk_add_f16 v26, v15, v5
	s_nop 0
	v_pk_min_f16 v25, v25, v26
	s_nop 0
	v_lshrrev_b32_e32 v26, 16, v25
	v_min3_f16 v26, v24, v25, v26
	v_lshl_add_u64 v[24:25], v[38:39], 1, v[20:21]
	global_store_short v[24:25], v26, off
	s_or_b64 exec, exec, s[26:27]
	s_and_b64 s[30:31], s[10:11], s[18:19]
	s_and_saveexec_b64 s[26:27], s[30:31]
	s_cbranch_execz .LBB261_295
.LBB261_314:
	s_and_b64 vcc, exec, s[0:1]
	s_cbranch_vccnz .LBB261_316
; %bb.315:
	v_lshl_add_u64 v[24:25], v[40:41], 1, v[22:23]
	flat_load_ushort v24, v[24:25]
	s_waitcnt vmcnt(0) lgkmcnt(0)
	v_mul_f16_e32 v24, v52, v24
	s_branch .LBB261_317
.LBB261_316:
	v_mov_b32_e32 v24, 0
.LBB261_317:
	s_waitcnt lgkmcnt(0)
	v_pk_add_f16 v25, v8, v4
	v_pk_max_f16 v26, v64, v64
	s_nop 0
	v_pk_min_f16 v25, v26, v25
	v_pk_add_f16 v26, v9, v5
	s_nop 0
	v_pk_min_f16 v25, v25, v26
	s_nop 0
	v_lshrrev_b32_e32 v26, 16, v25
	v_min3_f16 v26, v24, v25, v26
	v_lshl_add_u64 v[24:25], v[40:41], 1, v[20:21]
	global_store_short v[24:25], v26, off
	s_or_b64 exec, exec, s[26:27]
	s_and_b64 s[30:31], s[12:13], s[18:19]
	s_and_saveexec_b64 s[26:27], s[30:31]
	s_cbranch_execz .LBB261_296
.LBB261_318:
	s_and_b64 vcc, exec, s[0:1]
	s_cbranch_vccnz .LBB261_320
; %bb.319:
	v_lshl_add_u64 v[24:25], v[42:43], 1, v[22:23]
	flat_load_ushort v24, v[24:25]
	s_waitcnt vmcnt(0) lgkmcnt(0)
	v_mul_f16_e32 v24, v52, v24
	s_branch .LBB261_321
.LBB261_320:
	v_mov_b32_e32 v24, 0
.LBB261_321:
	s_waitcnt lgkmcnt(0)
	v_pk_add_f16 v25, v10, v4
	v_pk_max_f16 v26, v63, v63
	s_nop 0
	v_pk_min_f16 v25, v26, v25
	v_pk_add_f16 v26, v11, v5
	s_nop 0
	v_pk_min_f16 v25, v25, v26
	s_nop 0
	v_lshrrev_b32_e32 v26, 16, v25
	v_min3_f16 v26, v24, v25, v26
	v_lshl_add_u64 v[24:25], v[42:43], 1, v[20:21]
	global_store_short v[24:25], v26, off
	s_or_b64 exec, exec, s[26:27]
	s_and_b64 s[30:31], s[14:15], s[18:19]
	s_and_saveexec_b64 s[26:27], s[30:31]
	s_cbranch_execz .LBB261_297
.LBB261_322:
	s_and_b64 vcc, exec, s[0:1]
	s_cbranch_vccnz .LBB261_324
; %bb.323:
	v_lshl_add_u64 v[24:25], v[44:45], 1, v[22:23]
	flat_load_ushort v24, v[24:25]
	s_waitcnt vmcnt(0) lgkmcnt(0)
	v_mul_f16_e32 v24, v52, v24
	s_branch .LBB261_325
.LBB261_324:
	v_mov_b32_e32 v24, 0
.LBB261_325:
	s_waitcnt lgkmcnt(0)
	v_pk_add_f16 v25, v0, v4
	v_pk_max_f16 v26, v62, v62
	s_nop 0
	v_pk_min_f16 v25, v26, v25
	v_pk_add_f16 v26, v1, v5
	s_nop 0
	v_pk_min_f16 v25, v25, v26
	s_nop 0
	v_lshrrev_b32_e32 v26, 16, v25
	v_min3_f16 v26, v24, v25, v26
	v_lshl_add_u64 v[24:25], v[44:45], 1, v[20:21]
	global_store_short v[24:25], v26, off
	s_or_b64 exec, exec, s[26:27]
	s_and_b64 s[26:27], s[16:17], s[18:19]
	s_and_saveexec_b64 s[18:19], s[26:27]
	s_cbranch_execz .LBB261_330
.LBB261_326:
	s_and_b64 vcc, exec, s[0:1]
	s_cbranch_vccnz .LBB261_328
; %bb.327:
	v_lshl_add_u64 v[22:23], v[46:47], 1, v[22:23]
	flat_load_ushort v22, v[22:23]
	s_waitcnt vmcnt(0) lgkmcnt(0)
	v_mul_f16_e32 v22, v52, v22
	s_branch .LBB261_329
.LBB261_328:
	v_mov_b32_e32 v22, 0
.LBB261_329:
	s_waitcnt lgkmcnt(0)
	v_pk_add_f16 v4, v2, v4
	v_pk_max_f16 v23, v61, v61
	v_pk_add_f16 v5, v3, v5
	v_pk_min_f16 v4, v23, v4
	s_nop 0
	v_pk_min_f16 v4, v4, v5
	s_nop 0
	v_lshrrev_b32_e32 v5, 16, v4
	v_min3_f16 v22, v22, v4, v5
	v_lshl_add_u64 v[4:5], v[46:47], 1, v[20:21]
	global_store_short v[4:5], v22, off
.LBB261_330:
	s_or_b64 exec, exec, s[18:19]
	v_add_u32_e32 v22, 56, v94
	v_cmp_gt_i32_e64 s[18:19], s21, v22
	s_waitcnt lgkmcnt(0)
	v_mad_i64_i32 v[4:5], s[20:21], v22, s29, 0
	v_lshl_add_u64 v[20:21], v[4:5], 1, s[24:25]
	v_mad_i64_i32 v[4:5], s[20:21], v22, s28, 0
	v_lshl_add_u64 v[4:5], v[4:5], 1, s[22:23]
	s_and_b64 s[20:21], s[4:5], s[18:19]
	s_and_saveexec_b64 s[4:5], s[20:21]
	s_cbranch_execnz .LBB261_339
; %bb.331:
	s_or_b64 exec, exec, s[4:5]
	s_and_b64 s[4:5], s[2:3], s[18:19]
	s_and_saveexec_b64 s[2:3], s[4:5]
	s_cbranch_execnz .LBB261_343
.LBB261_332:
	s_or_b64 exec, exec, s[2:3]
	s_and_b64 s[4:5], s[6:7], s[18:19]
	s_and_saveexec_b64 s[2:3], s[4:5]
	s_cbranch_execnz .LBB261_347
.LBB261_333:
	s_or_b64 exec, exec, s[2:3]
	s_and_b64 s[4:5], s[8:9], s[18:19]
	s_and_saveexec_b64 s[2:3], s[4:5]
	s_cbranch_execnz .LBB261_351
.LBB261_334:
	s_or_b64 exec, exec, s[2:3]
	s_and_b64 s[4:5], s[10:11], s[18:19]
	s_and_saveexec_b64 s[2:3], s[4:5]
	s_cbranch_execnz .LBB261_355
.LBB261_335:
	s_or_b64 exec, exec, s[2:3]
	s_and_b64 s[4:5], s[12:13], s[18:19]
	s_and_saveexec_b64 s[2:3], s[4:5]
	s_cbranch_execnz .LBB261_359
.LBB261_336:
	s_or_b64 exec, exec, s[2:3]
	s_and_b64 s[4:5], s[14:15], s[18:19]
	s_and_saveexec_b64 s[2:3], s[4:5]
	s_cbranch_execnz .LBB261_363
.LBB261_337:
	s_or_b64 exec, exec, s[2:3]
	s_and_b64 s[2:3], s[16:17], s[18:19]
	s_and_saveexec_b64 s[4:5], s[2:3]
	s_cbranch_execnz .LBB261_367
.LBB261_338:
	s_endpgm
.LBB261_339:
	s_and_b64 vcc, exec, s[0:1]
	s_cbranch_vccnz .LBB261_341
; %bb.340:
	v_lshl_add_u64 v[22:23], v[32:33], 1, v[20:21]
	flat_load_ushort v22, v[22:23]
	s_waitcnt vmcnt(0) lgkmcnt(0)
	v_mul_f16_e32 v22, v52, v22
	s_branch .LBB261_342
.LBB261_341:
	v_mov_b32_e32 v22, 0
.LBB261_342:
	v_pk_add_f16 v16, v16, v6
	v_pk_max_f16 v23, v60, v60
	v_pk_add_f16 v17, v17, v7
	v_pk_min_f16 v16, v23, v16
	s_nop 0
	v_pk_min_f16 v16, v16, v17
	s_nop 0
	v_lshrrev_b32_e32 v17, 16, v16
	v_min3_f16 v22, v22, v16, v17
	v_lshl_add_u64 v[16:17], v[32:33], 1, v[4:5]
	global_store_short v[16:17], v22, off
	s_or_b64 exec, exec, s[4:5]
	s_and_b64 s[4:5], s[2:3], s[18:19]
	s_and_saveexec_b64 s[2:3], s[4:5]
	s_cbranch_execz .LBB261_332
.LBB261_343:
	s_and_b64 vcc, exec, s[0:1]
	s_cbranch_vccnz .LBB261_345
; %bb.344:
	v_lshl_add_u64 v[16:17], v[34:35], 1, v[20:21]
	flat_load_ushort v16, v[16:17]
	s_waitcnt vmcnt(0) lgkmcnt(0)
	v_mul_f16_e32 v16, v52, v16
	s_branch .LBB261_346
.LBB261_345:
	v_mov_b32_e32 v16, 0
.LBB261_346:
	v_pk_add_f16 v17, v18, v6
	v_pk_max_f16 v18, v59, v59
	s_nop 0
	v_pk_min_f16 v17, v18, v17
	v_pk_add_f16 v18, v19, v7
	s_nop 0
	v_pk_min_f16 v17, v17, v18
	s_nop 0
	v_lshrrev_b32_e32 v18, 16, v17
	v_min3_f16 v18, v16, v17, v18
	v_lshl_add_u64 v[16:17], v[34:35], 1, v[4:5]
	global_store_short v[16:17], v18, off
	s_or_b64 exec, exec, s[2:3]
	s_and_b64 s[4:5], s[6:7], s[18:19]
	s_and_saveexec_b64 s[2:3], s[4:5]
	s_cbranch_execz .LBB261_333
.LBB261_347:
	s_and_b64 vcc, exec, s[0:1]
	s_cbranch_vccnz .LBB261_349
; %bb.348:
	v_lshl_add_u64 v[16:17], v[36:37], 1, v[20:21]
	flat_load_ushort v16, v[16:17]
	s_waitcnt vmcnt(0) lgkmcnt(0)
	v_mul_f16_e32 v16, v52, v16
	s_branch .LBB261_350
.LBB261_349:
	v_mov_b32_e32 v16, 0
.LBB261_350:
	v_pk_add_f16 v12, v12, v6
	v_pk_max_f16 v17, v58, v58
	v_pk_add_f16 v13, v13, v7
	v_pk_min_f16 v12, v17, v12
	s_nop 0
	v_pk_min_f16 v12, v12, v13
	s_nop 0
	v_lshrrev_b32_e32 v13, 16, v12
	v_min3_f16 v16, v16, v12, v13
	v_lshl_add_u64 v[12:13], v[36:37], 1, v[4:5]
	global_store_short v[12:13], v16, off
	s_or_b64 exec, exec, s[2:3]
	s_and_b64 s[4:5], s[8:9], s[18:19]
	s_and_saveexec_b64 s[2:3], s[4:5]
	s_cbranch_execz .LBB261_334
.LBB261_351:
	s_and_b64 vcc, exec, s[0:1]
	s_cbranch_vccnz .LBB261_353
; %bb.352:
	v_lshl_add_u64 v[12:13], v[38:39], 1, v[20:21]
	flat_load_ushort v12, v[12:13]
	s_waitcnt vmcnt(0) lgkmcnt(0)
	v_mul_f16_e32 v12, v52, v12
	s_branch .LBB261_354
.LBB261_353:
	v_mov_b32_e32 v12, 0
.LBB261_354:
	v_pk_add_f16 v13, v14, v6
	v_pk_max_f16 v14, v56, v56
	s_nop 0
	v_pk_min_f16 v13, v14, v13
	v_pk_add_f16 v14, v15, v7
	s_nop 0
	v_pk_min_f16 v13, v13, v14
	s_nop 0
	v_lshrrev_b32_e32 v14, 16, v13
	v_min3_f16 v14, v12, v13, v14
	v_lshl_add_u64 v[12:13], v[38:39], 1, v[4:5]
	global_store_short v[12:13], v14, off
	s_or_b64 exec, exec, s[2:3]
	s_and_b64 s[4:5], s[10:11], s[18:19]
	s_and_saveexec_b64 s[2:3], s[4:5]
	s_cbranch_execz .LBB261_335
.LBB261_355:
	s_and_b64 vcc, exec, s[0:1]
	s_cbranch_vccnz .LBB261_357
; %bb.356:
	v_lshl_add_u64 v[12:13], v[40:41], 1, v[20:21]
	flat_load_ushort v12, v[12:13]
	s_waitcnt vmcnt(0) lgkmcnt(0)
	v_mul_f16_e32 v12, v52, v12
	s_branch .LBB261_358
.LBB261_357:
	v_mov_b32_e32 v12, 0
.LBB261_358:
	v_pk_add_f16 v8, v8, v6
	v_pk_max_f16 v13, v55, v55
	v_pk_add_f16 v9, v9, v7
	v_pk_min_f16 v8, v13, v8
	s_nop 0
	v_pk_min_f16 v8, v8, v9
	s_nop 0
	v_lshrrev_b32_e32 v9, 16, v8
	v_min3_f16 v12, v12, v8, v9
	v_lshl_add_u64 v[8:9], v[40:41], 1, v[4:5]
	global_store_short v[8:9], v12, off
	s_or_b64 exec, exec, s[2:3]
	s_and_b64 s[4:5], s[12:13], s[18:19]
	s_and_saveexec_b64 s[2:3], s[4:5]
	s_cbranch_execz .LBB261_336
.LBB261_359:
	s_and_b64 vcc, exec, s[0:1]
	s_cbranch_vccnz .LBB261_361
; %bb.360:
	v_lshl_add_u64 v[8:9], v[42:43], 1, v[20:21]
	flat_load_ushort v8, v[8:9]
	s_waitcnt vmcnt(0) lgkmcnt(0)
	v_mul_f16_e32 v8, v52, v8
	s_branch .LBB261_362
.LBB261_361:
	v_mov_b32_e32 v8, 0
.LBB261_362:
	v_pk_add_f16 v9, v10, v6
	v_pk_max_f16 v10, v54, v54
	s_nop 0
	v_pk_min_f16 v9, v10, v9
	v_pk_add_f16 v10, v11, v7
	s_nop 0
	v_pk_min_f16 v9, v9, v10
	s_nop 0
	v_lshrrev_b32_e32 v10, 16, v9
	v_min3_f16 v10, v8, v9, v10
	v_lshl_add_u64 v[8:9], v[42:43], 1, v[4:5]
	global_store_short v[8:9], v10, off
	s_or_b64 exec, exec, s[2:3]
	s_and_b64 s[4:5], s[14:15], s[18:19]
	s_and_saveexec_b64 s[2:3], s[4:5]
	s_cbranch_execz .LBB261_337
.LBB261_363:
	s_and_b64 vcc, exec, s[0:1]
	s_cbranch_vccnz .LBB261_365
; %bb.364:
	v_lshl_add_u64 v[8:9], v[44:45], 1, v[20:21]
	flat_load_ushort v8, v[8:9]
	s_waitcnt vmcnt(0) lgkmcnt(0)
	v_mul_f16_e32 v8, v52, v8
	s_branch .LBB261_366
.LBB261_365:
	v_mov_b32_e32 v8, 0
.LBB261_366:
	v_pk_add_f16 v0, v0, v6
	v_pk_max_f16 v9, v53, v53
	v_pk_add_f16 v1, v1, v7
	v_pk_min_f16 v0, v9, v0
	s_nop 0
	v_pk_min_f16 v0, v0, v1
	s_nop 0
	v_lshrrev_b32_e32 v1, 16, v0
	v_min3_f16 v8, v8, v0, v1
	v_lshl_add_u64 v[0:1], v[44:45], 1, v[4:5]
	global_store_short v[0:1], v8, off
	s_or_b64 exec, exec, s[2:3]
	s_and_b64 s[2:3], s[16:17], s[18:19]
	s_and_saveexec_b64 s[4:5], s[2:3]
	s_cbranch_execz .LBB261_338
.LBB261_367:
	s_and_b64 vcc, exec, s[0:1]
	s_cbranch_vccnz .LBB261_369
; %bb.368:
	v_lshl_add_u64 v[0:1], v[46:47], 1, v[20:21]
	flat_load_ushort v0, v[0:1]
	s_waitcnt vmcnt(0) lgkmcnt(0)
	v_mul_f16_e32 v0, v52, v0
	s_branch .LBB261_370
.LBB261_369:
	v_mov_b32_e32 v0, 0
.LBB261_370:
	v_pk_add_f16 v1, v2, v6
	v_pk_max_f16 v2, v57, v57
	s_nop 0
	v_pk_min_f16 v1, v2, v1
	v_pk_add_f16 v2, v3, v7
	s_nop 0
	v_pk_min_f16 v1, v1, v2
	s_nop 0
	v_lshrrev_b32_e32 v2, 16, v1
	v_min3_f16 v2, v0, v1, v2
	v_lshl_add_u64 v[0:1], v[46:47], 1, v[4:5]
	global_store_short v[0:1], v2, off
	s_endpgm
	.section	.rodata,"a",@progbits
	.p2align	6, 0x0
	.amdhsa_kernel _ZN12_GLOBAL__N_120geam_min_plus_kernelIDF16_Dv2_DF16_S1_Li32ELi8ELi256ELi64ELi4ELi64ELi4ELi4ELi64ELc78ELc78ELb0ELb1ELb1EPKDF16_S2_DF16_EEviiiT16_PT17_ilS6_ilS4_S6_ilPT18_ili26rocblas_geam_ex_operation_
		.amdhsa_group_segment_fixed_size 5120
		.amdhsa_private_segment_fixed_size 0
		.amdhsa_kernarg_size 136
		.amdhsa_user_sgpr_count 2
		.amdhsa_user_sgpr_dispatch_ptr 0
		.amdhsa_user_sgpr_queue_ptr 0
		.amdhsa_user_sgpr_kernarg_segment_ptr 1
		.amdhsa_user_sgpr_dispatch_id 0
		.amdhsa_user_sgpr_kernarg_preload_length 0
		.amdhsa_user_sgpr_kernarg_preload_offset 0
		.amdhsa_user_sgpr_private_segment_size 0
		.amdhsa_uses_dynamic_stack 0
		.amdhsa_enable_private_segment 0
		.amdhsa_system_sgpr_workgroup_id_x 1
		.amdhsa_system_sgpr_workgroup_id_y 0
		.amdhsa_system_sgpr_workgroup_id_z 1
		.amdhsa_system_sgpr_workgroup_info 0
		.amdhsa_system_vgpr_workitem_id 1
		.amdhsa_next_free_vgpr 171
		.amdhsa_next_free_sgpr 40
		.amdhsa_accum_offset 172
		.amdhsa_reserve_vcc 1
		.amdhsa_float_round_mode_32 0
		.amdhsa_float_round_mode_16_64 0
		.amdhsa_float_denorm_mode_32 3
		.amdhsa_float_denorm_mode_16_64 3
		.amdhsa_dx10_clamp 1
		.amdhsa_ieee_mode 1
		.amdhsa_fp16_overflow 0
		.amdhsa_tg_split 0
		.amdhsa_exception_fp_ieee_invalid_op 0
		.amdhsa_exception_fp_denorm_src 0
		.amdhsa_exception_fp_ieee_div_zero 0
		.amdhsa_exception_fp_ieee_overflow 0
		.amdhsa_exception_fp_ieee_underflow 0
		.amdhsa_exception_fp_ieee_inexact 0
		.amdhsa_exception_int_div_zero 0
	.end_amdhsa_kernel
	.section	.text._ZN12_GLOBAL__N_120geam_min_plus_kernelIDF16_Dv2_DF16_S1_Li32ELi8ELi256ELi64ELi4ELi64ELi4ELi4ELi64ELc78ELc78ELb0ELb1ELb1EPKDF16_S2_DF16_EEviiiT16_PT17_ilS6_ilS4_S6_ilPT18_ili26rocblas_geam_ex_operation_,"axG",@progbits,_ZN12_GLOBAL__N_120geam_min_plus_kernelIDF16_Dv2_DF16_S1_Li32ELi8ELi256ELi64ELi4ELi64ELi4ELi4ELi64ELc78ELc78ELb0ELb1ELb1EPKDF16_S2_DF16_EEviiiT16_PT17_ilS6_ilS4_S6_ilPT18_ili26rocblas_geam_ex_operation_,comdat
.Lfunc_end261:
	.size	_ZN12_GLOBAL__N_120geam_min_plus_kernelIDF16_Dv2_DF16_S1_Li32ELi8ELi256ELi64ELi4ELi64ELi4ELi4ELi64ELc78ELc78ELb0ELb1ELb1EPKDF16_S2_DF16_EEviiiT16_PT17_ilS6_ilS4_S6_ilPT18_ili26rocblas_geam_ex_operation_, .Lfunc_end261-_ZN12_GLOBAL__N_120geam_min_plus_kernelIDF16_Dv2_DF16_S1_Li32ELi8ELi256ELi64ELi4ELi64ELi4ELi4ELi64ELc78ELc78ELb0ELb1ELb1EPKDF16_S2_DF16_EEviiiT16_PT17_ilS6_ilS4_S6_ilPT18_ili26rocblas_geam_ex_operation_
                                        ; -- End function
	.section	.AMDGPU.csdata,"",@progbits
; Kernel info:
; codeLenInByte = 20176
; NumSgprs: 46
; NumVgprs: 171
; NumAgprs: 0
; TotalNumVgprs: 171
; ScratchSize: 0
; MemoryBound: 0
; FloatMode: 240
; IeeeMode: 1
; LDSByteSize: 5120 bytes/workgroup (compile time only)
; SGPRBlocks: 5
; VGPRBlocks: 21
; NumSGPRsForWavesPerEU: 46
; NumVGPRsForWavesPerEU: 171
; AccumOffset: 172
; Occupancy: 2
; WaveLimiterHint : 0
; COMPUTE_PGM_RSRC2:SCRATCH_EN: 0
; COMPUTE_PGM_RSRC2:USER_SGPR: 2
; COMPUTE_PGM_RSRC2:TRAP_HANDLER: 0
; COMPUTE_PGM_RSRC2:TGID_X_EN: 1
; COMPUTE_PGM_RSRC2:TGID_Y_EN: 0
; COMPUTE_PGM_RSRC2:TGID_Z_EN: 1
; COMPUTE_PGM_RSRC2:TIDIG_COMP_CNT: 1
; COMPUTE_PGM_RSRC3_GFX90A:ACCUM_OFFSET: 42
; COMPUTE_PGM_RSRC3_GFX90A:TG_SPLIT: 0
	.section	.text._ZN12_GLOBAL__N_120geam_min_plus_kernelIDF16_Dv2_DF16_S1_Li32ELi8ELi256ELi64ELi4ELi64ELi4ELi4ELi64ELc78ELc78ELb1ELb1ELb1EDF16_KDF16_DF16_EEviiiT16_PT17_ilS5_ilS3_S5_ilPT18_ili26rocblas_geam_ex_operation_,"axG",@progbits,_ZN12_GLOBAL__N_120geam_min_plus_kernelIDF16_Dv2_DF16_S1_Li32ELi8ELi256ELi64ELi4ELi64ELi4ELi4ELi64ELc78ELc78ELb1ELb1ELb1EDF16_KDF16_DF16_EEviiiT16_PT17_ilS5_ilS3_S5_ilPT18_ili26rocblas_geam_ex_operation_,comdat
	.globl	_ZN12_GLOBAL__N_120geam_min_plus_kernelIDF16_Dv2_DF16_S1_Li32ELi8ELi256ELi64ELi4ELi64ELi4ELi4ELi64ELc78ELc78ELb1ELb1ELb1EDF16_KDF16_DF16_EEviiiT16_PT17_ilS5_ilS3_S5_ilPT18_ili26rocblas_geam_ex_operation_ ; -- Begin function _ZN12_GLOBAL__N_120geam_min_plus_kernelIDF16_Dv2_DF16_S1_Li32ELi8ELi256ELi64ELi4ELi64ELi4ELi4ELi64ELc78ELc78ELb1ELb1ELb1EDF16_KDF16_DF16_EEviiiT16_PT17_ilS5_ilS3_S5_ilPT18_ili26rocblas_geam_ex_operation_
	.p2align	8
	.type	_ZN12_GLOBAL__N_120geam_min_plus_kernelIDF16_Dv2_DF16_S1_Li32ELi8ELi256ELi64ELi4ELi64ELi4ELi4ELi64ELc78ELc78ELb1ELb1ELb1EDF16_KDF16_DF16_EEviiiT16_PT17_ilS5_ilS3_S5_ilPT18_ili26rocblas_geam_ex_operation_,@function
_ZN12_GLOBAL__N_120geam_min_plus_kernelIDF16_Dv2_DF16_S1_Li32ELi8ELi256ELi64ELi4ELi64ELi4ELi4ELi64ELc78ELc78ELb1ELb1ELb1EDF16_KDF16_DF16_EEviiiT16_PT17_ilS5_ilS3_S5_ilPT18_ili26rocblas_geam_ex_operation_: ; @_ZN12_GLOBAL__N_120geam_min_plus_kernelIDF16_Dv2_DF16_S1_Li32ELi8ELi256ELi64ELi4ELi64ELi4ELi4ELi64ELc78ELc78ELb1ELb1ELb1EDF16_KDF16_DF16_EEviiiT16_PT17_ilS5_ilS3_S5_ilPT18_ili26rocblas_geam_ex_operation_
; %bb.0:
	s_load_dwordx4 s[20:23], s[0:1], 0x0
	s_load_dwordx4 s[4:7], s[0:1], 0x20
	s_waitcnt lgkmcnt(0)
	v_cmp_eq_f16_e64 s[8:9], s23, 0
	s_and_b64 vcc, exec, s[8:9]
	s_cbranch_vccnz .LBB262_3
; %bb.1:
	s_load_dwordx2 s[10:11], s[0:1], 0x10
	s_mul_i32 s5, s3, s5
	s_mul_hi_u32 s12, s3, s4
	s_add_i32 s5, s12, s5
	s_mul_i32 s4, s3, s4
	s_lshl_b64 s[4:5], s[4:5], 1
	s_waitcnt lgkmcnt(0)
	s_add_u32 s26, s10, s4
	s_addc_u32 s27, s11, s5
	s_andn2_b64 vcc, exec, s[8:9]
	s_cbranch_vccnz .LBB262_4
.LBB262_2:
	s_mov_b32 s19, 0
	s_mov_b64 s[28:29], 0
	s_cbranch_execz .LBB262_5
	s_branch .LBB262_6
.LBB262_3:
	s_mov_b64 s[26:27], 0
	s_andn2_b64 vcc, exec, s[8:9]
	s_cbranch_vccz .LBB262_2
.LBB262_4:
                                        ; implicit-def: $sgpr28_sgpr29
                                        ; implicit-def: $sgpr18_sgpr19
.LBB262_5:
	s_load_dwordx2 s[4:5], s[0:1], 0x38
	s_mov_b32 s19, 0
	s_waitcnt lgkmcnt(0)
	s_mul_i32 s5, s3, s5
	s_mul_hi_u32 s8, s3, s4
	s_add_i32 s5, s8, s5
	s_mul_i32 s4, s3, s4
	s_lshl_b64 s[4:5], s[4:5], 1
	s_add_u32 s28, s6, s4
	s_addc_u32 s29, s7, s5
.LBB262_6:
	s_load_dword s33, s[0:1], 0x40
	s_load_dwordx4 s[12:15], s[0:1], 0x58
	s_waitcnt lgkmcnt(0)
	v_cmp_eq_f16_e64 s[4:5], s33, 0
	v_cmp_neq_f16_e64 s[16:17], s33, 0
	s_and_b64 vcc, exec, s[4:5]
	s_cbranch_vccnz .LBB262_8
; %bb.7:
	s_load_dwordx2 s[4:5], s[0:1], 0x48
	s_mul_i32 s6, s3, s13
	s_mul_hi_u32 s7, s3, s12
	s_add_i32 s6, s7, s6
	s_mul_i32 s7, s19, s12
	s_add_i32 s7, s6, s7
	s_mul_i32 s6, s3, s12
	s_lshl_b64 s[6:7], s[6:7], 1
	s_waitcnt lgkmcnt(0)
	s_add_u32 s24, s4, s6
	s_addc_u32 s25, s5, s7
	s_branch .LBB262_9
.LBB262_8:
	s_mov_b64 s[24:25], 0
.LBB262_9:
	s_add_i32 s4, s20, -1
	s_ashr_i32 s5, s4, 31
	s_lshr_b32 s5, s5, 24
	s_add_i32 s4, s4, s5
	s_ashr_i32 s4, s4, 8
	s_add_i32 s5, s4, 1
	v_cvt_f32_u32_e32 v1, s5
	v_and_b32_e32 v42, 0x3ff, v0
	v_bfe_u32 v43, v0, 10, 10
	s_not_b32 s4, s4
	v_rcp_iflag_f32_e32 v1, v1
	s_load_dword s30, s[0:1], 0x18
	v_lshl_add_u32 v7, v43, 5, v42
	v_and_b32_e32 v2, 63, v7
	v_mul_f32_e32 v0, 0x4f7ffffe, v1
	v_cvt_u32_f32_e32 v0, v0
	v_lshrrev_b32_e32 v44, 6, v7
	v_mov_b32_e32 v3, 0x7c00
	v_mov_b32_e32 v4, 0x7c00
	v_readfirstlane_b32 s6, v0
	s_mul_i32 s4, s4, s6
	s_mul_hi_u32 s4, s6, s4
	s_add_i32 s6, s6, s4
	s_mul_hi_u32 s4, s2, s6
	s_mul_i32 s6, s4, s5
	s_sub_i32 s6, s2, s6
	s_add_i32 s7, s4, 1
	s_sub_i32 s8, s6, s5
	s_cmp_ge_u32 s6, s5
	s_cselect_b32 s4, s7, s4
	s_cselect_b32 s6, s8, s6
	s_add_i32 s7, s4, 1
	s_cmp_ge_u32 s6, s5
	s_cselect_b32 s12, s7, s4
	s_mul_i32 s4, s12, s5
	s_sub_i32 s2, s2, s4
	s_lshl_b32 s2, s2, 8
	v_or_b32_e32 v32, s2, v2
	v_cmp_le_i32_e64 s[8:9], s22, v44
	s_waitcnt lgkmcnt(0)
	v_mad_i64_i32 v[0:1], s[4:5], s30, v44, 0
	v_cmp_le_i32_e32 vcc, s20, v32
	s_or_b64 s[4:5], vcc, s[8:9]
	v_lshl_add_u64 v[0:1], v[0:1], 1, s[26:27]
	s_xor_b64 s[6:7], s[4:5], -1
	v_ashrrev_i32_e32 v33, 31, v32
	s_and_saveexec_b64 s[4:5], s[6:7]
	s_cbranch_execz .LBB262_11
; %bb.10:
	v_lshl_add_u64 v[4:5], v[32:33], 1, v[0:1]
	flat_load_ushort v4, v[4:5]
.LBB262_11:
	s_or_b64 exec, exec, s[4:5]
	v_or_b32_e32 v5, 64, v32
	v_cmp_le_i32_e64 s[10:11], s20, v5
	s_or_b64 s[4:5], s[10:11], s[8:9]
	s_xor_b64 s[6:7], s[4:5], -1
	s_and_saveexec_b64 s[4:5], s[6:7]
	s_cbranch_execz .LBB262_13
; %bb.12:
	v_lshl_add_u64 v[8:9], v[32:33], 1, v[0:1]
	flat_load_ushort v3, v[8:9] offset:128
.LBB262_13:
	s_or_b64 exec, exec, s[4:5]
	v_or_b32_e32 v5, 0x80, v32
	v_cmp_le_i32_e64 s[4:5], s20, v5
	s_or_b64 s[6:7], s[4:5], s[8:9]
	s_ashr_i32 s31, s30, 31
	s_xor_b64 s[34:35], s[6:7], -1
	v_mov_b32_e32 v5, 0x7c00
	v_mov_b32_e32 v6, 0x7c00
	s_and_saveexec_b64 s[6:7], s[34:35]
	s_cbranch_execz .LBB262_15
; %bb.14:
	v_lshl_add_u64 v[8:9], v[32:33], 1, v[0:1]
	flat_load_ushort v6, v[8:9] offset:256
.LBB262_15:
	s_or_b64 exec, exec, s[6:7]
	v_or_b32_e32 v8, 0xc0, v32
	v_cmp_le_i32_e64 s[6:7], s20, v8
	s_or_b64 s[8:9], s[6:7], s[8:9]
	s_xor_b64 s[34:35], s[8:9], -1
	s_and_saveexec_b64 s[8:9], s[34:35]
	s_cbranch_execz .LBB262_17
; %bb.16:
	v_lshl_add_u64 v[0:1], v[32:33], 1, v[0:1]
	flat_load_ushort v5, v[0:1] offset:384
.LBB262_17:
	s_or_b64 exec, exec, s[8:9]
	s_load_dword s23, s[0:1], 0x30
	v_lshrrev_b32_e32 v7, 2, v7
	s_lshl_b32 s18, s12, 6
	v_add_u32_e32 v36, s18, v7
	v_and_b32_e32 v47, 3, v42
	v_cmp_le_i32_e64 s[12:13], s21, v36
	v_cmp_gt_i32_e64 s[8:9], s22, v47
	s_xor_b64 s[12:13], s[12:13], -1
	s_and_b64 s[34:35], s[8:9], s[12:13]
	v_mov_b32_e32 v37, 0x7c00
	v_lshlrev_b32_e32 v34, 1, v47
	v_mov_b32_e32 v8, 0x7c00
	s_and_saveexec_b64 s[8:9], s[34:35]
	s_cbranch_execz .LBB262_19
; %bb.18:
	s_waitcnt lgkmcnt(0)
	v_mad_i64_i32 v[0:1], s[34:35], v36, s23, 0
	v_lshl_add_u64 v[0:1], v[0:1], 1, s[28:29]
	v_mov_b32_e32 v35, 0
	v_lshl_add_u64 v[0:1], v[0:1], 0, v[34:35]
	flat_load_ushort v8, v[0:1]
.LBB262_19:
	s_or_b64 exec, exec, s[8:9]
	v_add_u32_e32 v0, 4, v44
	v_cmp_le_i32_e64 s[8:9], s22, v0
	v_mad_i64_i32 v[0:1], s[34:35], s30, v0, 0
	s_or_b64 s[34:35], vcc, s[8:9]
	v_lshl_add_u64 v[0:1], v[0:1], 1, s[26:27]
	s_xor_b64 s[36:37], s[34:35], -1
	s_and_saveexec_b64 s[34:35], s[36:37]
	s_cbranch_execz .LBB262_21
; %bb.20:
	v_lshl_add_u64 v[10:11], v[32:33], 1, v[0:1]
	flat_load_ushort v37, v[10:11]
.LBB262_21:
	s_or_b64 exec, exec, s[34:35]
	s_or_b64 s[34:35], s[10:11], s[8:9]
	s_xor_b64 s[36:37], s[34:35], -1
	v_mov_b32_e32 v38, 0x7c00
	v_mov_b32_e32 v39, 0x7c00
	s_and_saveexec_b64 s[34:35], s[36:37]
	s_cbranch_execz .LBB262_23
; %bb.22:
	v_lshl_add_u64 v[10:11], v[32:33], 1, v[0:1]
	flat_load_ushort v39, v[10:11] offset:128
.LBB262_23:
	s_or_b64 exec, exec, s[34:35]
	s_or_b64 s[34:35], s[4:5], s[8:9]
	s_xor_b64 s[36:37], s[34:35], -1
	s_and_saveexec_b64 s[34:35], s[36:37]
	s_cbranch_execz .LBB262_25
; %bb.24:
	v_lshl_add_u64 v[10:11], v[32:33], 1, v[0:1]
	flat_load_ushort v38, v[10:11] offset:256
.LBB262_25:
	s_or_b64 exec, exec, s[34:35]
	s_or_b64 s[8:9], s[6:7], s[8:9]
	s_xor_b64 s[34:35], s[8:9], -1
	v_mov_b32_e32 v35, 0x7c00
	v_mov_b32_e32 v40, 0x7c00
	s_and_saveexec_b64 s[8:9], s[34:35]
	s_cbranch_execz .LBB262_27
; %bb.26:
	v_lshl_add_u64 v[0:1], v[32:33], 1, v[0:1]
	flat_load_ushort v40, v[0:1] offset:384
.LBB262_27:
	s_or_b64 exec, exec, s[8:9]
	v_or_b32_e32 v0, 4, v47
	v_cmp_gt_i32_e64 s[8:9], s22, v0
	s_and_b64 s[34:35], s[8:9], s[12:13]
	s_and_saveexec_b64 s[8:9], s[34:35]
	s_cbranch_execz .LBB262_29
; %bb.28:
	s_waitcnt lgkmcnt(0)
	v_mad_i64_i32 v[0:1], s[34:35], v36, s23, 0
	v_lshl_add_u64 v[0:1], v[0:1], 1, s[28:29]
	v_mov_b32_e32 v35, 0
	v_lshl_add_u64 v[0:1], v[0:1], 0, v[34:35]
	flat_load_ushort v35, v[0:1] offset:8
.LBB262_29:
	s_or_b64 exec, exec, s[8:9]
	v_lshlrev_b32_e32 v0, 1, v44
	v_lshlrev_b32_e32 v46, 3, v43
	v_lshl_add_u32 v48, v2, 3, v0
	v_lshl_or_b32 v41, v7, 3, v34
	v_lshlrev_b32_e32 v45, 3, v42
	v_add_u32_e32 v49, 0x1000, v46
	s_waitcnt vmcnt(0) lgkmcnt(0)
	ds_write_b16 v48, v4
	ds_write_b16 v48, v3 offset:512
	ds_write_b16 v48, v6 offset:1024
	;; [unrolled: 1-line block ×4, first 2 shown]
	s_waitcnt lgkmcnt(0)
	s_barrier
	ds_read2_b64 v[16:19], v45 offset1:32
	ds_read2_b64 v[12:15], v45 offset0:64 offset1:96
	ds_read2_b64 v[4:7], v45 offset0:128 offset1:160
	ds_read2_b64 v[28:31], v49 offset1:8
	ds_read2_b64 v[0:3], v45 offset0:192 offset1:224
	ds_read2_b64 v[24:27], v49 offset0:16 offset1:24
	;; [unrolled: 1-line block ×4, first 2 shown]
	s_movk_i32 s8, 0x7c00
	s_waitcnt lgkmcnt(4)
	v_pk_add_f16 v50, v16, v28
	s_waitcnt lgkmcnt(3)
	v_pk_add_f16 v56, v0, v28
	;; [unrolled: 2-line block ×3, first 2 shown]
	v_pk_add_f16 v54, v4, v28
	v_pk_min_f16 v98, v81, s8 op_sel_hi:[1,0]
	v_pk_add_f16 v81, v4, v20
	v_pk_add_f16 v61, v4, v30
	v_pk_min_f16 v117, v81, s8 op_sel_hi:[1,0]
	v_pk_add_f16 v81, v6, v20
	;; [unrolled: 3-line block ×7, first 2 shown]
	v_pk_min_f16 v50, v50, s8 op_sel_hi:[1,0]
	v_pk_min_f16 v123, v81, s8 op_sel_hi:[1,0]
	v_pk_add_f16 v81, v4, v22
	v_pk_add_f16 v51, v18, v28
	v_pk_min_f16 v124, v81, s8 op_sel_hi:[1,0]
	v_pk_add_f16 v81, v6, v22
	v_pk_add_f16 v52, v12, v28
	;; [unrolled: 3-line block ×3, first 2 shown]
	v_pk_min_f16 v126, v81, s8 op_sel_hi:[1,0]
	s_waitcnt lgkmcnt(0)
	v_pk_add_f16 v81, v16, v8
	v_pk_add_f16 v55, v6, v28
	v_pk_min_f16 v127, v81, s8 op_sel_hi:[1,0]
	v_pk_add_f16 v81, v18, v8
	v_pk_add_f16 v28, v2, v28
	v_pk_min_f16 v128, v81, s8 op_sel_hi:[1,0]
	;; [unrolled: 3-line block ×5, first 2 shown]
	v_pk_add_f16 v81, v6, v8
	v_pk_min_f16 v134, v4, s8 op_sel_hi:[1,0]
	v_pk_min_f16 v132, v81, s8 op_sel_hi:[1,0]
	v_pk_add_f16 v81, v0, v8
	v_pk_add_f16 v4, v6, v10
	;; [unrolled: 1-line block ×25, first 2 shown]
	v_pk_min_f16 v6, v4, s8 op_sel_hi:[1,0]
	v_pk_min_f16 v4, v0, s8 op_sel_hi:[1,0]
	v_pk_add_f16 v0, v2, v10
	v_pk_add_f16 v2, v17, v29
	v_pk_min_f16 v51, v51, s8 op_sel_hi:[1,0]
	v_pk_min_f16 v116, v50, v2
	v_pk_add_f16 v2, v19, v29
	v_pk_min_f16 v52, v52, s8 op_sel_hi:[1,0]
	v_pk_min_f16 v115, v51, v2
	;; [unrolled: 3-line block ×38, first 2 shown]
	v_pk_add_f16 v2, v1, v21
	v_pk_add_f16 v16, v16, v10
	v_pk_min_f16 v77, v119, v2
	v_pk_add_f16 v2, v3, v21
	v_pk_min_f16 v16, v16, s8 op_sel_hi:[1,0]
	v_pk_min_f16 v76, v20, v2
	v_pk_add_f16 v2, v17, v23
	v_pk_add_f16 v18, v18, v10
	v_pk_min_f16 v75, v120, v2
	v_pk_add_f16 v2, v19, v23
	v_pk_min_f16 v18, v18, s8 op_sel_hi:[1,0]
	v_pk_min_f16 v74, v121, v2
	;; [unrolled: 6-line block ×4, first 2 shown]
	v_pk_add_f16 v2, v1, v23
	v_pk_min_f16 v0, v0, s8 op_sel_hi:[1,0]
	v_pk_min_f16 v69, v126, v2
	v_pk_add_f16 v2, v3, v23
	s_cmp_lt_i32 s22, 9
	v_pk_min_f16 v68, v22, v2
	v_pk_add_f16 v2, v17, v9
	ds_write_b16 v48, v37 offset:2048
	ds_write_b16 v48, v39 offset:2560
	;; [unrolled: 1-line block ×5, first 2 shown]
	v_pk_min_f16 v67, v127, v2
	v_pk_add_f16 v2, v19, v9
	s_waitcnt lgkmcnt(0)
	v_pk_min_f16 v66, v128, v2
	v_pk_add_f16 v2, v13, v9
	s_barrier
	v_pk_min_f16 v65, v129, v2
	v_pk_add_f16 v2, v15, v9
	s_nop 0
	v_pk_min_f16 v64, v130, v2
	v_pk_add_f16 v2, v5, v9
	s_nop 0
	;; [unrolled: 3-line block ×3, first 2 shown]
	v_pk_min_f16 v62, v132, v2
	v_pk_add_f16 v2, v1, v9
	v_pk_add_f16 v1, v1, v11
	v_pk_min_f16 v60, v133, v2
	v_pk_add_f16 v2, v3, v9
	v_pk_min_f16 v52, v4, v1
	v_pk_min_f16 v59, v8, v2
	v_pk_add_f16 v2, v17, v11
	v_pk_add_f16 v1, v3, v11
	v_pk_min_f16 v58, v16, v2
	v_pk_add_f16 v2, v19, v11
	v_pk_min_f16 v61, v0, v1
	v_pk_min_f16 v57, v18, v2
	v_pk_add_f16 v2, v13, v11
	s_nop 0
	v_pk_min_f16 v56, v12, v2
	v_pk_add_f16 v2, v15, v11
	s_nop 0
	;; [unrolled: 3-line block ×4, first 2 shown]
	v_pk_min_f16 v53, v6, v2
	s_cbranch_scc1 .LBB262_52
; %bb.30:
	v_mov_b32_e32 v0, 0x800
	v_lshl_add_u32 v117, v42, 3, v0
	v_mov_b32_e32 v0, 0x1200
	v_lshl_add_u32 v118, v43, 3, v0
	v_mad_i64_i32 v[0:1], s[8:9], s23, v36, 0
	v_mov_b32_e32 v35, 0
	v_lshl_add_u64 v[0:1], v[0:1], 1, v[34:35]
	v_lshl_add_u64 v[0:1], v[0:1], 0, s[28:29]
	v_lshl_add_u64 v[34:35], v[0:1], 0, 24
	v_add_u32_e32 v0, 8, v44
	v_mad_i64_i32 v[0:1], s[8:9], v0, s30, 0
	v_lshlrev_b64 v[36:37], 1, v[0:1]
	v_add_u32_e32 v0, 12, v44
	v_mad_i64_i32 v[0:1], s[8:9], v0, s30, 0
	v_add_u32_e32 v50, 0x1000, v41
	v_add_u32_e32 v51, 0x800, v48
	;; [unrolled: 1-line block ×3, first 2 shown]
	s_add_i32 s34, s22, -8
	v_lshl_add_u64 v[32:33], v[32:33], 1, s[26:27]
	s_lshl_b64 s[26:27], s[30:31], 4
	v_lshlrev_b64 v[38:39], 1, v[0:1]
	s_mov_b32 s23, 0
	s_branch .LBB262_32
.LBB262_31:                             ;   in Loop: Header=BB262_32 Depth=1
	s_or_b64 exec, exec, s[8:9]
	ds_read2_b64 v[8:11], v45 offset1:32
	ds_read2_b64 v[4:7], v45 offset0:64 offset1:96
	ds_read2_b64 v[0:3], v45 offset0:128 offset1:160
	ds_read2_b64 v[124:127], v49 offset1:8
	ds_read2_b64 v[12:15], v45 offset0:192 offset1:224
	ds_read2_b64 v[24:27], v49 offset0:16 offset1:24
	;; [unrolled: 1-line block ×4, first 2 shown]
	s_waitcnt lgkmcnt(0)
	v_pk_add_f16 v111, v8, v124
	v_pk_max_f16 v110, v110, v110
	v_pk_max_f16 v109, v109, v109
	v_pk_min_f16 v110, v110, v111
	v_pk_add_f16 v111, v10, v124
	v_pk_max_f16 v108, v108, v108
	v_pk_min_f16 v109, v109, v111
	v_pk_add_f16 v111, v4, v124
	;; [unrolled: 3-line block ×22, first 2 shown]
	v_pk_add_f16 v24, v14, v24
	v_pk_max_f16 v85, v85, v85
	v_pk_min_f16 v24, v86, v24
	v_pk_add_f16 v86, v8, v26
	v_pk_max_f16 v84, v84, v84
	v_pk_min_f16 v85, v85, v86
	v_pk_add_f16 v86, v10, v26
	v_pk_max_f16 v83, v83, v83
	v_pk_min_f16 v84, v84, v86
	v_pk_add_f16 v86, v4, v26
	v_pk_max_f16 v82, v82, v82
	v_pk_min_f16 v83, v83, v86
	v_pk_add_f16 v86, v6, v26
	v_pk_max_f16 v81, v81, v81
	v_pk_min_f16 v82, v82, v86
	v_pk_add_f16 v86, v0, v26
	v_pk_max_f16 v80, v80, v80
	v_pk_min_f16 v81, v81, v86
	v_pk_add_f16 v86, v2, v26
	v_pk_max_f16 v78, v78, v78
	v_pk_min_f16 v80, v80, v86
	v_pk_add_f16 v86, v12, v26
	v_pk_add_f16 v26, v14, v26
	v_pk_max_f16 v77, v77, v77
	v_pk_min_f16 v26, v78, v26
	v_pk_add_f16 v78, v8, v20
	v_pk_max_f16 v76, v76, v76
	v_pk_min_f16 v77, v77, v78
	v_pk_add_f16 v78, v10, v20
	v_pk_max_f16 v75, v75, v75
	v_pk_min_f16 v76, v76, v78
	v_pk_add_f16 v78, v4, v20
	v_pk_max_f16 v74, v74, v74
	v_pk_min_f16 v75, v75, v78
	v_pk_add_f16 v78, v6, v20
	v_pk_max_f16 v73, v73, v73
	v_pk_min_f16 v74, v74, v78
	v_pk_add_f16 v78, v0, v20
	v_pk_max_f16 v72, v72, v72
	v_pk_min_f16 v73, v73, v78
	v_pk_add_f16 v78, v2, v20
	v_pk_max_f16 v70, v70, v70
	v_pk_min_f16 v72, v72, v78
	v_pk_add_f16 v78, v12, v20
	;; [unrolled: 22-line block ×3, first 2 shown]
	v_pk_add_f16 v22, v14, v22
	v_pk_max_f16 v61, v61, v61
	v_pk_min_f16 v22, v62, v22
	v_pk_add_f16 v62, v8, v16
	v_pk_max_f16 v60, v60, v60
	v_pk_min_f16 v61, v61, v62
	;; [unrolled: 3-line block ×6, first 2 shown]
	v_pk_add_f16 v62, v2, v16
	v_pk_add_f16 v8, v8, v18
	v_pk_min_f16 v56, v56, v62
	v_pk_add_f16 v62, v12, v16
	v_pk_add_f16 v16, v14, v16
	;; [unrolled: 1-line block ×9, first 2 shown]
	v_pk_max_f16 v18, v28, v28
	v_pk_max_f16 v87, v87, v87
	v_pk_min_f16 v14, v18, v14
	v_pk_add_f16 v18, v9, v125
	v_pk_min_f16 v87, v87, v111
	v_pk_min_f16 v116, v110, v18
	v_pk_add_f16 v18, v11, v125
	v_pk_max_f16 v79, v79, v79
	v_pk_min_f16 v115, v109, v18
	v_pk_add_f16 v18, v5, v125
	v_pk_min_f16 v79, v79, v86
	v_pk_min_f16 v114, v108, v18
	v_pk_add_f16 v18, v7, v125
	;; [unrolled: 6-line block ×4, first 2 shown]
	v_pk_max_f16 v31, v31, v31
	v_pk_min_f16 v109, v103, v18
	v_pk_add_f16 v18, v9, v127
	v_pk_max_f16 v54, v54, v54
	v_pk_min_f16 v108, v102, v18
	v_pk_add_f16 v18, v11, v127
	v_pk_min_f16 v0, v31, v0
	v_pk_min_f16 v107, v101, v18
	v_pk_add_f16 v18, v5, v127
	v_pk_max_f16 v30, v30, v30
	v_pk_min_f16 v106, v100, v18
	v_pk_add_f16 v18, v7, v127
	v_pk_min_f16 v16, v54, v16
	v_pk_min_f16 v105, v99, v18
	v_pk_add_f16 v18, v1, v127
	v_pk_max_f16 v53, v53, v53
	v_pk_min_f16 v104, v97, v18
	v_pk_add_f16 v18, v3, v127
	v_pk_max_f16 v41, v41, v41
	v_pk_min_f16 v103, v96, v18
	v_pk_add_f16 v18, v13, v127
	v_pk_min_f16 v2, v30, v2
	v_pk_min_f16 v102, v95, v18
	v_pk_add_f16 v18, v15, v127
	v_pk_max_f16 v29, v29, v29
	v_pk_min_f16 v101, v94, v18
	v_pk_add_f16 v18, v9, v25
	v_pk_max_f16 v55, v55, v55
	v_pk_min_f16 v100, v93, v18
	v_pk_add_f16 v18, v11, v25
	v_pk_min_f16 v8, v53, v8
	v_pk_min_f16 v99, v92, v18
	v_pk_add_f16 v18, v5, v25
	v_pk_max_f16 v52, v52, v52
	v_pk_min_f16 v97, v91, v18
	v_pk_add_f16 v18, v7, v25
	v_pk_min_f16 v4, v41, v4
	v_pk_min_f16 v96, v90, v18
	v_pk_add_f16 v18, v1, v25
	v_pk_max_f16 v40, v40, v40
	v_pk_min_f16 v95, v89, v18
	v_pk_add_f16 v18, v3, v25
	v_pk_min_f16 v12, v29, v12
	v_pk_min_f16 v94, v88, v18
	v_pk_add_f16 v18, v13, v25
	v_pk_min_f16 v55, v55, v62
	;; [unrolled: 3-line block ×4, first 2 shown]
	v_pk_min_f16 v91, v85, v18
	v_pk_add_f16 v18, v11, v27
	s_add_i32 s23, s23, 8
	v_pk_min_f16 v90, v84, v18
	v_pk_add_f16 v18, v5, v27
	v_lshl_add_u64 v[34:35], v[34:35], 0, 16
	v_pk_min_f16 v89, v83, v18
	v_pk_add_f16 v18, v7, v27
	s_cmp_ge_i32 s23, s34
	v_pk_min_f16 v88, v82, v18
	v_pk_add_f16 v18, v1, v27
	v_lshl_add_u64 v[32:33], v[32:33], 0, s[26:27]
	v_pk_min_f16 v87, v81, v18
	v_pk_add_f16 v18, v3, v27
	s_waitcnt vmcnt(0)
	ds_write_b16 v51, v119
	ds_write_b16 v51, v121 offset:512
	ds_write_b16 v51, v120 offset:1024
	ds_write_b16 v51, v123 offset:1536
	ds_write_b16 v98, v122
	v_pk_min_f16 v86, v80, v18
	v_pk_add_f16 v18, v13, v27
	s_waitcnt lgkmcnt(0)
	v_pk_min_f16 v85, v79, v18
	v_pk_add_f16 v18, v15, v27
	s_barrier
	v_pk_min_f16 v84, v26, v18
	v_pk_add_f16 v18, v9, v21
	s_nop 0
	v_pk_min_f16 v83, v77, v18
	v_pk_add_f16 v18, v11, v21
	s_nop 0
	;; [unrolled: 3-line block ×16, first 2 shown]
	v_pk_min_f16 v68, v22, v18
	v_pk_add_f16 v18, v9, v17
	v_pk_add_f16 v9, v9, v19
	v_pk_min_f16 v67, v61, v18
	v_pk_add_f16 v18, v11, v17
	s_nop 0
	v_pk_min_f16 v66, v60, v18
	v_pk_add_f16 v18, v5, v17
	v_pk_add_f16 v5, v5, v19
	v_pk_min_f16 v65, v59, v18
	v_pk_add_f16 v18, v7, v17
	s_nop 0
	v_pk_min_f16 v64, v58, v18
	v_pk_add_f16 v18, v1, v17
	v_pk_add_f16 v1, v1, v19
	v_pk_min_f16 v63, v57, v18
	v_pk_min_f16 v54, v0, v1
	v_pk_add_f16 v0, v3, v19
	v_pk_add_f16 v18, v3, v17
	v_pk_min_f16 v53, v2, v0
	v_pk_add_f16 v0, v13, v19
	v_pk_min_f16 v62, v56, v18
	v_pk_add_f16 v18, v13, v17
	v_pk_add_f16 v17, v15, v17
	v_pk_min_f16 v58, v8, v9
	v_pk_add_f16 v8, v11, v19
	v_pk_min_f16 v56, v4, v5
	;; [unrolled: 2-line block ×4, first 2 shown]
	v_pk_min_f16 v59, v16, v17
	v_pk_min_f16 v57, v10, v8
	;; [unrolled: 1-line block ×4, first 2 shown]
	s_cbranch_scc1 .LBB262_52
.LBB262_32:                             ; =>This Inner Loop Header: Depth=1
	v_add_u32_e32 v40, s23, v44
	v_add_u32_e32 v0, 8, v40
	v_cmp_le_i32_e64 s[8:9], s22, v0
	s_or_b64 s[28:29], vcc, s[8:9]
	s_xor_b64 s[30:31], s[28:29], -1
	v_mov_b32_e32 v41, 0x7c00
	v_lshl_add_u64 v[0:1], v[32:33], 0, v[36:37]
	v_mov_b32_e32 v120, 0x7c00
	s_and_saveexec_b64 s[28:29], s[30:31]
	s_cbranch_execz .LBB262_34
; %bb.33:                               ;   in Loop: Header=BB262_32 Depth=1
	flat_load_ushort v120, v[0:1]
.LBB262_34:                             ;   in Loop: Header=BB262_32 Depth=1
	s_or_b64 exec, exec, s[28:29]
	s_or_b64 s[28:29], s[10:11], s[8:9]
	s_xor_b64 s[30:31], s[28:29], -1
	s_and_saveexec_b64 s[28:29], s[30:31]
	s_cbranch_execz .LBB262_36
; %bb.35:                               ;   in Loop: Header=BB262_32 Depth=1
	flat_load_ushort v41, v[0:1] offset:128
.LBB262_36:                             ;   in Loop: Header=BB262_32 Depth=1
	s_or_b64 exec, exec, s[28:29]
	s_or_b64 s[28:29], s[4:5], s[8:9]
	s_xor_b64 s[30:31], s[28:29], -1
	v_mov_b32_e32 v121, 0x7c00
	v_mov_b32_e32 v122, 0x7c00
	s_and_saveexec_b64 s[28:29], s[30:31]
	s_cbranch_execz .LBB262_38
; %bb.37:                               ;   in Loop: Header=BB262_32 Depth=1
	flat_load_ushort v122, v[0:1] offset:256
.LBB262_38:                             ;   in Loop: Header=BB262_32 Depth=1
	s_or_b64 exec, exec, s[28:29]
	s_or_b64 s[8:9], s[6:7], s[8:9]
	s_xor_b64 s[28:29], s[8:9], -1
	s_and_saveexec_b64 s[8:9], s[28:29]
	s_cbranch_execz .LBB262_40
; %bb.39:                               ;   in Loop: Header=BB262_32 Depth=1
	flat_load_ushort v121, v[0:1] offset:384
.LBB262_40:                             ;   in Loop: Header=BB262_32 Depth=1
	s_or_b64 exec, exec, s[8:9]
	v_add_u32_e32 v124, s23, v47
	v_add_u32_e32 v0, 8, v124
	v_cmp_gt_i32_e64 s[8:9], s22, v0
	s_and_b64 s[8:9], s[8:9], s[12:13]
	v_mov_b32_e32 v119, 0x7c00
	v_mov_b32_e32 v123, 0x7c00
	s_and_saveexec_b64 s[28:29], s[8:9]
	s_cbranch_execz .LBB262_42
; %bb.41:                               ;   in Loop: Header=BB262_32 Depth=1
	v_add_co_u32_e64 v0, s[8:9], -8, v34
	s_nop 1
	v_addc_co_u32_e64 v1, s[8:9], -1, v35, s[8:9]
	flat_load_ushort v123, v[0:1]
.LBB262_42:                             ;   in Loop: Header=BB262_32 Depth=1
	s_or_b64 exec, exec, s[28:29]
	ds_read2_b64 v[12:15], v117 offset1:32
	ds_read2_b64 v[8:11], v117 offset0:64 offset1:96
	ds_read2_b64 v[4:7], v117 offset0:128 offset1:160
	;; [unrolled: 1-line block ×3, first 2 shown]
	ds_read2_b64 v[28:31], v118 offset1:8
	ds_read2_b64 v[24:27], v118 offset0:16 offset1:24
	ds_read2_b64 v[20:23], v118 offset0:32 offset1:40
	;; [unrolled: 1-line block ×3, first 2 shown]
	v_add_u32_e32 v40, 12, v40
	v_cmp_le_i32_e64 s[8:9], s22, v40
	s_or_b64 s[28:29], vcc, s[8:9]
	s_waitcnt vmcnt(0) lgkmcnt(0)
	ds_write_b16 v48, v120
	ds_write_b16 v48, v41 offset:512
	ds_write_b16 v48, v122 offset:1024
	ds_write_b16 v48, v121 offset:1536
	ds_write_b16 v50, v123
	s_xor_b64 s[28:29], s[28:29], -1
	v_lshl_add_u64 v[40:41], v[32:33], 0, v[38:39]
	s_waitcnt lgkmcnt(0)
	s_barrier
	s_and_saveexec_b64 s[30:31], s[28:29]
	s_xor_b64 s[28:29], exec, s[30:31]
	s_cbranch_execz .LBB262_44
; %bb.43:                               ;   in Loop: Header=BB262_32 Depth=1
	flat_load_ushort v119, v[40:41]
.LBB262_44:                             ;   in Loop: Header=BB262_32 Depth=1
	s_or_b64 exec, exec, s[28:29]
	s_or_b64 s[28:29], s[10:11], s[8:9]
	s_xor_b64 s[30:31], s[28:29], -1
	v_mov_b32_e32 v120, 0x7c00
	v_mov_b32_e32 v121, 0x7c00
	s_and_saveexec_b64 s[28:29], s[30:31]
	s_cbranch_execz .LBB262_46
; %bb.45:                               ;   in Loop: Header=BB262_32 Depth=1
	flat_load_ushort v121, v[40:41] offset:128
.LBB262_46:                             ;   in Loop: Header=BB262_32 Depth=1
	s_or_b64 exec, exec, s[28:29]
	s_or_b64 s[28:29], s[4:5], s[8:9]
	s_xor_b64 s[30:31], s[28:29], -1
	s_and_saveexec_b64 s[28:29], s[30:31]
	s_cbranch_execz .LBB262_48
; %bb.47:                               ;   in Loop: Header=BB262_32 Depth=1
	flat_load_ushort v120, v[40:41] offset:256
.LBB262_48:                             ;   in Loop: Header=BB262_32 Depth=1
	s_or_b64 exec, exec, s[28:29]
	s_or_b64 s[8:9], s[6:7], s[8:9]
	s_xor_b64 s[28:29], s[8:9], -1
	v_mov_b32_e32 v122, 0x7c00
	v_mov_b32_e32 v123, 0x7c00
	s_and_saveexec_b64 s[8:9], s[28:29]
	s_cbranch_execz .LBB262_50
; %bb.49:                               ;   in Loop: Header=BB262_32 Depth=1
	flat_load_ushort v123, v[40:41] offset:384
.LBB262_50:                             ;   in Loop: Header=BB262_32 Depth=1
	s_or_b64 exec, exec, s[8:9]
	v_pk_add_f16 v40, v12, v28
	v_pk_max_f16 v41, v116, v116
	v_pk_max_f16 v115, v115, v115
	v_pk_min_f16 v40, v41, v40
	v_pk_add_f16 v41, v14, v28
	v_pk_max_f16 v114, v114, v114
	v_pk_min_f16 v41, v115, v41
	v_pk_add_f16 v115, v8, v28
	v_pk_max_f16 v113, v113, v113
	v_pk_min_f16 v114, v114, v115
	v_pk_add_f16 v115, v10, v28
	v_pk_max_f16 v112, v112, v112
	v_pk_min_f16 v113, v113, v115
	v_pk_add_f16 v115, v4, v28
	v_pk_max_f16 v111, v111, v111
	v_pk_min_f16 v112, v112, v115
	v_pk_add_f16 v115, v6, v28
	v_pk_max_f16 v109, v109, v109
	v_pk_min_f16 v111, v111, v115
	v_pk_add_f16 v115, v0, v28
	v_pk_add_f16 v28, v2, v28
	v_pk_max_f16 v108, v108, v108
	v_pk_min_f16 v28, v109, v28
	v_pk_add_f16 v109, v12, v30
	v_pk_max_f16 v107, v107, v107
	v_pk_min_f16 v116, v108, v109
	v_pk_add_f16 v108, v14, v30
	v_pk_max_f16 v106, v106, v106
	v_pk_min_f16 v125, v107, v108
	v_pk_add_f16 v107, v8, v30
	v_pk_max_f16 v105, v105, v105
	v_pk_min_f16 v126, v106, v107
	v_pk_add_f16 v106, v10, v30
	v_pk_max_f16 v104, v104, v104
	v_pk_min_f16 v127, v105, v106
	v_pk_add_f16 v105, v4, v30
	v_pk_max_f16 v103, v103, v103
	v_pk_min_f16 v128, v104, v105
	v_pk_add_f16 v104, v6, v30
	v_pk_max_f16 v101, v101, v101
	v_pk_min_f16 v129, v103, v104
	v_pk_add_f16 v103, v0, v30
	v_pk_add_f16 v30, v2, v30
	v_pk_max_f16 v100, v100, v100
	v_pk_min_f16 v30, v101, v30
	v_pk_add_f16 v101, v12, v24
	;; [unrolled: 22-line block ×6, first 2 shown]
	v_pk_max_f16 v66, v66, v66
	v_pk_min_f16 v159, v67, v68
	v_pk_add_f16 v67, v14, v16
	v_pk_max_f16 v65, v65, v65
	v_pk_min_f16 v160, v66, v67
	v_pk_add_f16 v66, v8, v16
	;; [unrolled: 3-line block ×5, first 2 shown]
	v_pk_add_f16 v12, v12, v18
	v_pk_min_f16 v164, v62, v63
	v_pk_add_f16 v62, v0, v16
	v_pk_add_f16 v16, v2, v16
	;; [unrolled: 1-line block ×9, first 2 shown]
	v_pk_max_f16 v18, v61, v61
	v_pk_max_f16 v110, v110, v110
	v_pk_min_f16 v2, v18, v2
	v_pk_add_f16 v18, v13, v29
	v_pk_min_f16 v115, v110, v115
	v_pk_min_f16 v110, v40, v18
	v_pk_add_f16 v18, v15, v29
	v_pk_max_f16 v102, v102, v102
	v_pk_min_f16 v109, v41, v18
	v_pk_add_f16 v18, v9, v29
	v_pk_min_f16 v130, v102, v103
	v_pk_min_f16 v108, v114, v18
	v_pk_add_f16 v18, v11, v29
	;; [unrolled: 6-line block ×10, first 2 shown]
	v_pk_max_f16 v56, v56, v56
	v_pk_min_f16 v90, v134, v18
	v_pk_add_f16 v18, v5, v25
	v_pk_max_f16 v52, v52, v52
	v_pk_min_f16 v89, v135, v18
	v_pk_add_f16 v18, v7, v25
	v_pk_min_f16 v8, v56, v8
	v_pk_min_f16 v88, v136, v18
	v_pk_add_f16 v18, v1, v25
	v_pk_min_f16 v0, v52, v0
	v_pk_min_f16 v87, v137, v18
	v_pk_add_f16 v18, v3, v25
	v_pk_max_f16 v54, v54, v54
	v_pk_min_f16 v86, v24, v18
	v_pk_add_f16 v18, v13, v27
	v_pk_max_f16 v55, v55, v55
	v_pk_min_f16 v85, v138, v18
	v_pk_add_f16 v18, v15, v27
	v_pk_min_f16 v4, v54, v4
	v_pk_min_f16 v84, v139, v18
	v_pk_add_f16 v18, v9, v27
	v_pk_max_f16 v53, v53, v53
	v_pk_min_f16 v83, v140, v18
	v_pk_add_f16 v18, v11, v27
	v_pk_min_f16 v10, v55, v10
	v_pk_min_f16 v82, v141, v18
	v_pk_add_f16 v18, v5, v27
	v_pk_min_f16 v6, v53, v6
	v_pk_min_f16 v81, v142, v18
	v_pk_add_f16 v18, v7, v27
	s_nop 0
	v_pk_min_f16 v80, v143, v18
	v_pk_add_f16 v18, v1, v27
	s_nop 0
	;; [unrolled: 3-line block ×19, first 2 shown]
	v_pk_min_f16 v62, v22, v18
	v_pk_add_f16 v18, v13, v17
	v_pk_add_f16 v13, v13, v19
	v_pk_min_f16 v61, v159, v18
	v_pk_add_f16 v18, v15, v17
	v_pk_min_f16 v53, v12, v13
	v_pk_min_f16 v60, v160, v18
	v_pk_add_f16 v18, v9, v17
	v_pk_add_f16 v9, v9, v19
	v_pk_min_f16 v59, v161, v18
	v_pk_add_f16 v18, v11, v17
	v_pk_add_f16 v12, v15, v19
	;; [unrolled: 3-line block ×3, first 2 shown]
	v_pk_min_f16 v57, v163, v18
	v_pk_add_f16 v18, v7, v17
	v_pk_min_f16 v41, v8, v9
	v_pk_min_f16 v56, v164, v18
	v_pk_add_f16 v18, v1, v17
	v_pk_add_f16 v1, v1, v19
	;; [unrolled: 1-line block ×3, first 2 shown]
	v_pk_min_f16 v29, v0, v1
	v_pk_add_f16 v0, v3, v19
	v_pk_add_f16 v8, v11, v19
	v_pk_min_f16 v28, v2, v0
	v_add_u32_e32 v0, 12, v124
	v_pk_min_f16 v31, v4, v5
	v_pk_add_f16 v4, v7, v19
	v_cmp_gt_i32_e64 s[8:9], s22, v0
	v_pk_min_f16 v55, v165, v18
	v_pk_min_f16 v54, v16, v17
	;; [unrolled: 1-line block ×5, first 2 shown]
	s_and_b64 s[28:29], s[8:9], s[12:13]
	s_and_saveexec_b64 s[8:9], s[28:29]
	s_cbranch_execz .LBB262_31
; %bb.51:                               ;   in Loop: Header=BB262_32 Depth=1
	flat_load_ushort v122, v[34:35]
	s_branch .LBB262_31
.LBB262_52:
	s_load_dwordx2 s[4:5], s[0:1], 0x70
	s_load_dword s29, s[0:1], 0x50
	s_load_dword s28, s[0:1], 0x68
	v_add_u32_e32 v0, 0x800, v45
	v_add_u32_e32 v4, 0x1000, v46
	s_waitcnt lgkmcnt(0)
	s_mul_i32 s0, s3, s5
	s_mul_hi_u32 s1, s3, s4
	s_mul_i32 s5, s19, s4
	s_add_i32 s0, s1, s0
	s_add_i32 s1, s0, s5
	s_mul_i32 s0, s3, s4
	ds_read2_b64 v[16:19], v0 offset1:32
	ds_read2_b64 v[12:15], v0 offset0:64 offset1:96
	ds_read2_b64 v[8:11], v0 offset0:128 offset1:160
	;; [unrolled: 1-line block ×7, first 2 shown]
	s_lshl_b64 s[0:1], s[0:1], 1
	s_add_u32 s22, s14, s0
	v_add_u32_e32 v98, s18, v43
	s_addc_u32 s23, s15, s1
	v_mad_i64_i32 v[34:35], s[0:1], v98, s29, 0
	v_add_u32_e32 v32, s2, v42
	v_lshl_add_u64 v[50:51], v[34:35], 1, s[24:25]
	v_mad_i64_i32 v[34:35], s[0:1], v98, s28, 0
	v_cmp_gt_i32_e64 s[2:3], s20, v32
	v_cmp_gt_i32_e64 s[18:19], s21, v98
	v_lshl_add_u64 v[48:49], v[34:35], 1, s[22:23]
	v_cndmask_b32_e64 v34, 0, 1, s[16:17]
	v_ashrrev_i32_e32 v33, 31, v32
	s_and_b64 s[4:5], s[2:3], s[18:19]
	v_cmp_ne_u32_e64 s[0:1], 1, v34
	s_and_saveexec_b64 s[6:7], s[4:5]
	s_xor_b64 s[4:5], exec, s[6:7]
	s_cbranch_execz .LBB262_57
; %bb.53:
	s_and_b64 vcc, exec, s[0:1]
	s_cbranch_vccnz .LBB262_55
; %bb.54:
	v_lshl_add_u64 v[34:35], v[32:33], 1, v[50:51]
	flat_load_ushort v34, v[34:35]
	s_waitcnt vmcnt(0) lgkmcnt(0)
	v_mul_f16_e32 v34, s33, v34
	s_branch .LBB262_56
.LBB262_55:
	v_mov_b32_e32 v34, 0
.LBB262_56:
	s_waitcnt lgkmcnt(3)
	v_pk_add_f16 v35, v16, v28
	v_pk_max_f16 v36, v116, v116
	s_nop 0
	v_pk_min_f16 v35, v36, v35
	v_pk_add_f16 v36, v17, v29
	s_nop 0
	v_pk_min_f16 v35, v35, v36
	s_nop 0
	v_lshrrev_b32_e32 v36, 16, v35
	v_min3_f16 v36, v34, v35, v36
	v_lshl_add_u64 v[34:35], v[32:33], 1, v[48:49]
	global_store_short v[34:35], v36, off
.LBB262_57:
	s_or_b64 exec, exec, s[4:5]
	v_add_u32_e32 v34, 32, v32
	v_cmp_gt_i32_e64 s[4:5], s20, v34
	v_ashrrev_i32_e32 v35, 31, v34
	s_and_b64 s[8:9], s[4:5], s[18:19]
	s_and_saveexec_b64 s[6:7], s[8:9]
	s_cbranch_execz .LBB262_62
; %bb.58:
	s_and_b64 vcc, exec, s[0:1]
	s_cbranch_vccnz .LBB262_60
; %bb.59:
	v_lshl_add_u64 v[36:37], v[34:35], 1, v[50:51]
	flat_load_ushort v36, v[36:37]
	s_waitcnt vmcnt(0) lgkmcnt(0)
	v_mul_f16_e32 v36, s33, v36
	s_branch .LBB262_61
.LBB262_60:
	v_mov_b32_e32 v36, 0
.LBB262_61:
	s_waitcnt lgkmcnt(3)
	v_pk_add_f16 v37, v18, v28
	v_pk_max_f16 v38, v115, v115
	s_nop 0
	v_pk_min_f16 v37, v38, v37
	v_pk_add_f16 v38, v19, v29
	s_nop 0
	v_pk_min_f16 v37, v37, v38
	s_nop 0
	v_lshrrev_b32_e32 v38, 16, v37
	v_min3_f16 v38, v36, v37, v38
	v_lshl_add_u64 v[36:37], v[34:35], 1, v[48:49]
	global_store_short v[36:37], v38, off
.LBB262_62:
	s_or_b64 exec, exec, s[6:7]
	v_add_u32_e32 v36, 64, v32
	v_cmp_gt_i32_e64 s[6:7], s20, v36
	v_ashrrev_i32_e32 v37, 31, v36
	s_and_b64 s[10:11], s[6:7], s[18:19]
	s_and_saveexec_b64 s[8:9], s[10:11]
	;; [unrolled: 33-line block ×7, first 2 shown]
	s_cbranch_execz .LBB262_92
; %bb.88:
	s_and_b64 vcc, exec, s[0:1]
	s_cbranch_vccnz .LBB262_90
; %bb.89:
	v_lshl_add_u64 v[50:51], v[46:47], 1, v[50:51]
	flat_load_ushort v50, v[50:51]
	s_waitcnt vmcnt(0) lgkmcnt(0)
	v_mul_f16_e32 v50, s33, v50
	s_branch .LBB262_91
.LBB262_90:
	v_mov_b32_e32 v50, 0
.LBB262_91:
	s_waitcnt lgkmcnt(3)
	v_pk_add_f16 v28, v2, v28
	v_pk_max_f16 v51, v109, v109
	v_pk_add_f16 v29, v3, v29
	v_pk_min_f16 v28, v51, v28
	s_nop 0
	v_pk_min_f16 v28, v28, v29
	s_nop 0
	v_lshrrev_b32_e32 v29, 16, v28
	v_min3_f16 v50, v50, v28, v29
	v_lshl_add_u64 v[28:29], v[46:47], 1, v[48:49]
	global_store_short v[28:29], v50, off
.LBB262_92:
	s_or_b64 exec, exec, s[18:19]
	v_add_u32_e32 v50, 8, v98
	s_waitcnt lgkmcnt(3)
	v_mad_i64_i32 v[28:29], s[26:27], v50, s29, 0
	v_cmp_gt_i32_e64 s[18:19], s21, v50
	v_lshl_add_u64 v[48:49], v[28:29], 1, s[24:25]
	v_mad_i64_i32 v[28:29], s[26:27], v50, s28, 0
	v_lshl_add_u64 v[28:29], v[28:29], 1, s[22:23]
	s_and_b64 s[30:31], s[2:3], s[18:19]
	s_and_saveexec_b64 s[26:27], s[30:31]
	s_cbranch_execnz .LBB262_100
; %bb.93:
	s_or_b64 exec, exec, s[26:27]
	s_and_b64 s[30:31], s[4:5], s[18:19]
	s_and_saveexec_b64 s[26:27], s[30:31]
	s_cbranch_execnz .LBB262_104
.LBB262_94:
	s_or_b64 exec, exec, s[26:27]
	s_and_b64 s[30:31], s[6:7], s[18:19]
	s_and_saveexec_b64 s[26:27], s[30:31]
	s_cbranch_execnz .LBB262_108
.LBB262_95:
	s_or_b64 exec, exec, s[26:27]
	s_and_b64 s[30:31], s[8:9], s[18:19]
	s_and_saveexec_b64 s[26:27], s[30:31]
	s_cbranch_execnz .LBB262_112
.LBB262_96:
	s_or_b64 exec, exec, s[26:27]
	s_and_b64 s[30:31], s[10:11], s[18:19]
	s_and_saveexec_b64 s[26:27], s[30:31]
	s_cbranch_execnz .LBB262_116
.LBB262_97:
	s_or_b64 exec, exec, s[26:27]
	s_and_b64 s[30:31], s[12:13], s[18:19]
	s_and_saveexec_b64 s[26:27], s[30:31]
	s_cbranch_execnz .LBB262_120
.LBB262_98:
	s_or_b64 exec, exec, s[26:27]
	s_and_b64 s[30:31], s[14:15], s[18:19]
	s_and_saveexec_b64 s[26:27], s[30:31]
	s_cbranch_execnz .LBB262_124
.LBB262_99:
	s_or_b64 exec, exec, s[26:27]
	s_and_b64 s[26:27], s[16:17], s[18:19]
	s_and_saveexec_b64 s[18:19], s[26:27]
	s_cbranch_execnz .LBB262_128
	s_branch .LBB262_132
.LBB262_100:
	s_and_b64 vcc, exec, s[0:1]
	s_cbranch_vccnz .LBB262_102
; %bb.101:
	v_lshl_add_u64 v[50:51], v[32:33], 1, v[48:49]
	flat_load_ushort v50, v[50:51]
	s_waitcnt vmcnt(0) lgkmcnt(0)
	v_mul_f16_e32 v50, s33, v50
	s_branch .LBB262_103
.LBB262_102:
	v_mov_b32_e32 v50, 0
.LBB262_103:
	v_pk_add_f16 v51, v16, v30
	v_pk_max_f16 v108, v108, v108
	s_nop 0
	v_pk_min_f16 v51, v108, v51
	v_pk_add_f16 v108, v17, v31
	s_nop 0
	v_pk_min_f16 v51, v51, v108
	s_nop 0
	v_lshrrev_b32_e32 v108, 16, v51
	v_min3_f16 v108, v50, v51, v108
	v_lshl_add_u64 v[50:51], v[32:33], 1, v[28:29]
	global_store_short v[50:51], v108, off
	s_or_b64 exec, exec, s[26:27]
	s_and_b64 s[30:31], s[4:5], s[18:19]
	s_and_saveexec_b64 s[26:27], s[30:31]
	s_cbranch_execz .LBB262_94
.LBB262_104:
	s_and_b64 vcc, exec, s[0:1]
	s_cbranch_vccnz .LBB262_106
; %bb.105:
	v_lshl_add_u64 v[50:51], v[34:35], 1, v[48:49]
	flat_load_ushort v50, v[50:51]
	s_waitcnt vmcnt(0) lgkmcnt(0)
	v_mul_f16_e32 v50, s33, v50
	s_branch .LBB262_107
.LBB262_106:
	v_mov_b32_e32 v50, 0
.LBB262_107:
	v_pk_add_f16 v51, v18, v30
	v_pk_max_f16 v107, v107, v107
	s_nop 0
	v_pk_min_f16 v51, v107, v51
	v_pk_add_f16 v107, v19, v31
	s_nop 0
	v_pk_min_f16 v51, v51, v107
	s_nop 0
	v_lshrrev_b32_e32 v107, 16, v51
	v_min3_f16 v107, v50, v51, v107
	v_lshl_add_u64 v[50:51], v[34:35], 1, v[28:29]
	global_store_short v[50:51], v107, off
	s_or_b64 exec, exec, s[26:27]
	s_and_b64 s[30:31], s[6:7], s[18:19]
	s_and_saveexec_b64 s[26:27], s[30:31]
	s_cbranch_execz .LBB262_95
.LBB262_108:
	s_and_b64 vcc, exec, s[0:1]
	s_cbranch_vccnz .LBB262_110
; %bb.109:
	v_lshl_add_u64 v[50:51], v[36:37], 1, v[48:49]
	flat_load_ushort v50, v[50:51]
	s_waitcnt vmcnt(0) lgkmcnt(0)
	v_mul_f16_e32 v50, s33, v50
	s_branch .LBB262_111
.LBB262_110:
	v_mov_b32_e32 v50, 0
.LBB262_111:
	v_pk_add_f16 v51, v12, v30
	v_pk_max_f16 v106, v106, v106
	s_nop 0
	v_pk_min_f16 v51, v106, v51
	v_pk_add_f16 v106, v13, v31
	s_nop 0
	v_pk_min_f16 v51, v51, v106
	s_nop 0
	v_lshrrev_b32_e32 v106, 16, v51
	v_min3_f16 v106, v50, v51, v106
	v_lshl_add_u64 v[50:51], v[36:37], 1, v[28:29]
	global_store_short v[50:51], v106, off
	s_or_b64 exec, exec, s[26:27]
	s_and_b64 s[30:31], s[8:9], s[18:19]
	s_and_saveexec_b64 s[26:27], s[30:31]
	s_cbranch_execz .LBB262_96
.LBB262_112:
	s_and_b64 vcc, exec, s[0:1]
	s_cbranch_vccnz .LBB262_114
; %bb.113:
	v_lshl_add_u64 v[50:51], v[38:39], 1, v[48:49]
	flat_load_ushort v50, v[50:51]
	s_waitcnt vmcnt(0) lgkmcnt(0)
	v_mul_f16_e32 v50, s33, v50
	s_branch .LBB262_115
.LBB262_114:
	v_mov_b32_e32 v50, 0
.LBB262_115:
	v_pk_add_f16 v51, v14, v30
	v_pk_max_f16 v105, v105, v105
	s_nop 0
	v_pk_min_f16 v51, v105, v51
	v_pk_add_f16 v105, v15, v31
	s_nop 0
	v_pk_min_f16 v51, v51, v105
	s_nop 0
	v_lshrrev_b32_e32 v105, 16, v51
	v_min3_f16 v105, v50, v51, v105
	v_lshl_add_u64 v[50:51], v[38:39], 1, v[28:29]
	global_store_short v[50:51], v105, off
	s_or_b64 exec, exec, s[26:27]
	s_and_b64 s[30:31], s[10:11], s[18:19]
	s_and_saveexec_b64 s[26:27], s[30:31]
	s_cbranch_execz .LBB262_97
.LBB262_116:
	s_and_b64 vcc, exec, s[0:1]
	s_cbranch_vccnz .LBB262_118
; %bb.117:
	v_lshl_add_u64 v[50:51], v[40:41], 1, v[48:49]
	flat_load_ushort v50, v[50:51]
	s_waitcnt vmcnt(0) lgkmcnt(0)
	v_mul_f16_e32 v50, s33, v50
	s_branch .LBB262_119
.LBB262_118:
	v_mov_b32_e32 v50, 0
.LBB262_119:
	v_pk_add_f16 v51, v8, v30
	v_pk_max_f16 v104, v104, v104
	s_nop 0
	v_pk_min_f16 v51, v104, v51
	v_pk_add_f16 v104, v9, v31
	s_nop 0
	v_pk_min_f16 v51, v51, v104
	s_nop 0
	v_lshrrev_b32_e32 v104, 16, v51
	v_min3_f16 v104, v50, v51, v104
	v_lshl_add_u64 v[50:51], v[40:41], 1, v[28:29]
	global_store_short v[50:51], v104, off
	s_or_b64 exec, exec, s[26:27]
	s_and_b64 s[30:31], s[12:13], s[18:19]
	s_and_saveexec_b64 s[26:27], s[30:31]
	s_cbranch_execz .LBB262_98
.LBB262_120:
	s_and_b64 vcc, exec, s[0:1]
	s_cbranch_vccnz .LBB262_122
; %bb.121:
	v_lshl_add_u64 v[50:51], v[42:43], 1, v[48:49]
	flat_load_ushort v50, v[50:51]
	s_waitcnt vmcnt(0) lgkmcnt(0)
	v_mul_f16_e32 v50, s33, v50
	s_branch .LBB262_123
.LBB262_122:
	v_mov_b32_e32 v50, 0
.LBB262_123:
	v_pk_add_f16 v51, v10, v30
	v_pk_max_f16 v103, v103, v103
	s_nop 0
	v_pk_min_f16 v51, v103, v51
	v_pk_add_f16 v103, v11, v31
	s_nop 0
	v_pk_min_f16 v51, v51, v103
	s_nop 0
	v_lshrrev_b32_e32 v103, 16, v51
	v_min3_f16 v103, v50, v51, v103
	v_lshl_add_u64 v[50:51], v[42:43], 1, v[28:29]
	global_store_short v[50:51], v103, off
	s_or_b64 exec, exec, s[26:27]
	s_and_b64 s[30:31], s[14:15], s[18:19]
	s_and_saveexec_b64 s[26:27], s[30:31]
	s_cbranch_execz .LBB262_99
.LBB262_124:
	s_and_b64 vcc, exec, s[0:1]
	s_cbranch_vccnz .LBB262_126
; %bb.125:
	v_lshl_add_u64 v[50:51], v[44:45], 1, v[48:49]
	flat_load_ushort v50, v[50:51]
	s_waitcnt vmcnt(0) lgkmcnt(0)
	v_mul_f16_e32 v50, s33, v50
	s_branch .LBB262_127
.LBB262_126:
	v_mov_b32_e32 v50, 0
.LBB262_127:
	v_pk_add_f16 v51, v0, v30
	v_pk_max_f16 v102, v102, v102
	s_nop 0
	v_pk_min_f16 v51, v102, v51
	v_pk_add_f16 v102, v1, v31
	s_nop 0
	v_pk_min_f16 v51, v51, v102
	s_nop 0
	v_lshrrev_b32_e32 v102, 16, v51
	v_min3_f16 v102, v50, v51, v102
	v_lshl_add_u64 v[50:51], v[44:45], 1, v[28:29]
	global_store_short v[50:51], v102, off
	s_or_b64 exec, exec, s[26:27]
	s_and_b64 s[26:27], s[16:17], s[18:19]
	s_and_saveexec_b64 s[18:19], s[26:27]
	s_cbranch_execz .LBB262_132
.LBB262_128:
	s_and_b64 vcc, exec, s[0:1]
	s_cbranch_vccnz .LBB262_130
; %bb.129:
	v_lshl_add_u64 v[48:49], v[46:47], 1, v[48:49]
	flat_load_ushort v48, v[48:49]
	s_waitcnt vmcnt(0) lgkmcnt(0)
	v_mul_f16_e32 v48, s33, v48
	s_branch .LBB262_131
.LBB262_130:
	v_mov_b32_e32 v48, 0
.LBB262_131:
	v_pk_add_f16 v30, v2, v30
	v_pk_max_f16 v49, v101, v101
	v_pk_add_f16 v31, v3, v31
	v_pk_min_f16 v30, v49, v30
	v_lshl_add_u64 v[28:29], v[46:47], 1, v[28:29]
	v_pk_min_f16 v30, v30, v31
	s_nop 0
	v_lshrrev_b32_e32 v31, 16, v30
	v_min3_f16 v30, v48, v30, v31
	global_store_short v[28:29], v30, off
.LBB262_132:
	s_or_b64 exec, exec, s[18:19]
	v_add_u32_e32 v48, 16, v98
	v_mad_i64_i32 v[28:29], s[26:27], v48, s29, 0
	v_cmp_gt_i32_e64 s[18:19], s21, v48
	v_lshl_add_u64 v[30:31], v[28:29], 1, s[24:25]
	v_mad_i64_i32 v[28:29], s[26:27], v48, s28, 0
	v_lshl_add_u64 v[28:29], v[28:29], 1, s[22:23]
	s_and_b64 s[30:31], s[2:3], s[18:19]
	s_and_saveexec_b64 s[26:27], s[30:31]
	s_cbranch_execnz .LBB262_140
; %bb.133:
	s_or_b64 exec, exec, s[26:27]
	s_and_b64 s[30:31], s[4:5], s[18:19]
	s_and_saveexec_b64 s[26:27], s[30:31]
	s_cbranch_execnz .LBB262_144
.LBB262_134:
	s_or_b64 exec, exec, s[26:27]
	s_and_b64 s[30:31], s[6:7], s[18:19]
	s_and_saveexec_b64 s[26:27], s[30:31]
	s_cbranch_execnz .LBB262_148
.LBB262_135:
	s_or_b64 exec, exec, s[26:27]
	s_and_b64 s[30:31], s[8:9], s[18:19]
	s_and_saveexec_b64 s[26:27], s[30:31]
	s_cbranch_execnz .LBB262_152
.LBB262_136:
	s_or_b64 exec, exec, s[26:27]
	s_and_b64 s[30:31], s[10:11], s[18:19]
	s_and_saveexec_b64 s[26:27], s[30:31]
	s_cbranch_execnz .LBB262_156
.LBB262_137:
	s_or_b64 exec, exec, s[26:27]
	s_and_b64 s[30:31], s[12:13], s[18:19]
	s_and_saveexec_b64 s[26:27], s[30:31]
	s_cbranch_execnz .LBB262_160
.LBB262_138:
	s_or_b64 exec, exec, s[26:27]
	s_and_b64 s[30:31], s[14:15], s[18:19]
	s_and_saveexec_b64 s[26:27], s[30:31]
	s_cbranch_execnz .LBB262_164
.LBB262_139:
	s_or_b64 exec, exec, s[26:27]
	s_and_b64 s[26:27], s[16:17], s[18:19]
	s_and_saveexec_b64 s[18:19], s[26:27]
	s_cbranch_execnz .LBB262_168
	s_branch .LBB262_172
.LBB262_140:
	s_and_b64 vcc, exec, s[0:1]
	s_cbranch_vccnz .LBB262_142
; %bb.141:
	v_lshl_add_u64 v[48:49], v[32:33], 1, v[30:31]
	flat_load_ushort v48, v[48:49]
	s_waitcnt vmcnt(0) lgkmcnt(0)
	v_mul_f16_e32 v48, s33, v48
	s_branch .LBB262_143
.LBB262_142:
	v_mov_b32_e32 v48, 0
.LBB262_143:
	s_waitcnt lgkmcnt(2)
	v_pk_add_f16 v49, v16, v24
	v_pk_max_f16 v50, v100, v100
	s_nop 0
	v_pk_min_f16 v49, v50, v49
	v_pk_add_f16 v50, v17, v25
	s_nop 0
	v_pk_min_f16 v49, v49, v50
	s_nop 0
	v_lshrrev_b32_e32 v50, 16, v49
	v_min3_f16 v50, v48, v49, v50
	v_lshl_add_u64 v[48:49], v[32:33], 1, v[28:29]
	global_store_short v[48:49], v50, off
	s_or_b64 exec, exec, s[26:27]
	s_and_b64 s[30:31], s[4:5], s[18:19]
	s_and_saveexec_b64 s[26:27], s[30:31]
	s_cbranch_execz .LBB262_134
.LBB262_144:
	s_and_b64 vcc, exec, s[0:1]
	s_cbranch_vccnz .LBB262_146
; %bb.145:
	v_lshl_add_u64 v[48:49], v[34:35], 1, v[30:31]
	flat_load_ushort v48, v[48:49]
	s_waitcnt vmcnt(0) lgkmcnt(0)
	v_mul_f16_e32 v48, s33, v48
	s_branch .LBB262_147
.LBB262_146:
	v_mov_b32_e32 v48, 0
.LBB262_147:
	s_waitcnt lgkmcnt(2)
	v_pk_add_f16 v49, v18, v24
	v_pk_max_f16 v50, v99, v99
	s_nop 0
	v_pk_min_f16 v49, v50, v49
	v_pk_add_f16 v50, v19, v25
	s_nop 0
	v_pk_min_f16 v49, v49, v50
	s_nop 0
	v_lshrrev_b32_e32 v50, 16, v49
	v_min3_f16 v50, v48, v49, v50
	v_lshl_add_u64 v[48:49], v[34:35], 1, v[28:29]
	global_store_short v[48:49], v50, off
	s_or_b64 exec, exec, s[26:27]
	s_and_b64 s[30:31], s[6:7], s[18:19]
	s_and_saveexec_b64 s[26:27], s[30:31]
	s_cbranch_execz .LBB262_135
.LBB262_148:
	s_and_b64 vcc, exec, s[0:1]
	s_cbranch_vccnz .LBB262_150
; %bb.149:
	v_lshl_add_u64 v[48:49], v[36:37], 1, v[30:31]
	flat_load_ushort v48, v[48:49]
	s_waitcnt vmcnt(0) lgkmcnt(0)
	v_mul_f16_e32 v48, s33, v48
	s_branch .LBB262_151
.LBB262_150:
	v_mov_b32_e32 v48, 0
.LBB262_151:
	s_waitcnt lgkmcnt(2)
	v_pk_add_f16 v49, v12, v24
	v_pk_max_f16 v50, v97, v97
	s_nop 0
	v_pk_min_f16 v49, v50, v49
	v_pk_add_f16 v50, v13, v25
	s_nop 0
	v_pk_min_f16 v49, v49, v50
	s_nop 0
	v_lshrrev_b32_e32 v50, 16, v49
	v_min3_f16 v50, v48, v49, v50
	v_lshl_add_u64 v[48:49], v[36:37], 1, v[28:29]
	global_store_short v[48:49], v50, off
	s_or_b64 exec, exec, s[26:27]
	s_and_b64 s[30:31], s[8:9], s[18:19]
	s_and_saveexec_b64 s[26:27], s[30:31]
	s_cbranch_execz .LBB262_136
.LBB262_152:
	s_and_b64 vcc, exec, s[0:1]
	s_cbranch_vccnz .LBB262_154
; %bb.153:
	v_lshl_add_u64 v[48:49], v[38:39], 1, v[30:31]
	flat_load_ushort v48, v[48:49]
	s_waitcnt vmcnt(0) lgkmcnt(0)
	v_mul_f16_e32 v48, s33, v48
	s_branch .LBB262_155
.LBB262_154:
	v_mov_b32_e32 v48, 0
.LBB262_155:
	s_waitcnt lgkmcnt(2)
	v_pk_add_f16 v49, v14, v24
	v_pk_max_f16 v50, v96, v96
	s_nop 0
	v_pk_min_f16 v49, v50, v49
	v_pk_add_f16 v50, v15, v25
	s_nop 0
	v_pk_min_f16 v49, v49, v50
	s_nop 0
	v_lshrrev_b32_e32 v50, 16, v49
	v_min3_f16 v50, v48, v49, v50
	v_lshl_add_u64 v[48:49], v[38:39], 1, v[28:29]
	global_store_short v[48:49], v50, off
	s_or_b64 exec, exec, s[26:27]
	s_and_b64 s[30:31], s[10:11], s[18:19]
	s_and_saveexec_b64 s[26:27], s[30:31]
	s_cbranch_execz .LBB262_137
.LBB262_156:
	s_and_b64 vcc, exec, s[0:1]
	s_cbranch_vccnz .LBB262_158
; %bb.157:
	v_lshl_add_u64 v[48:49], v[40:41], 1, v[30:31]
	flat_load_ushort v48, v[48:49]
	s_waitcnt vmcnt(0) lgkmcnt(0)
	v_mul_f16_e32 v48, s33, v48
	s_branch .LBB262_159
.LBB262_158:
	v_mov_b32_e32 v48, 0
.LBB262_159:
	s_waitcnt lgkmcnt(2)
	v_pk_add_f16 v49, v8, v24
	v_pk_max_f16 v50, v95, v95
	s_nop 0
	v_pk_min_f16 v49, v50, v49
	v_pk_add_f16 v50, v9, v25
	s_nop 0
	v_pk_min_f16 v49, v49, v50
	s_nop 0
	v_lshrrev_b32_e32 v50, 16, v49
	v_min3_f16 v50, v48, v49, v50
	v_lshl_add_u64 v[48:49], v[40:41], 1, v[28:29]
	global_store_short v[48:49], v50, off
	s_or_b64 exec, exec, s[26:27]
	s_and_b64 s[30:31], s[12:13], s[18:19]
	s_and_saveexec_b64 s[26:27], s[30:31]
	s_cbranch_execz .LBB262_138
.LBB262_160:
	s_and_b64 vcc, exec, s[0:1]
	s_cbranch_vccnz .LBB262_162
; %bb.161:
	v_lshl_add_u64 v[48:49], v[42:43], 1, v[30:31]
	flat_load_ushort v48, v[48:49]
	s_waitcnt vmcnt(0) lgkmcnt(0)
	v_mul_f16_e32 v48, s33, v48
	s_branch .LBB262_163
.LBB262_162:
	v_mov_b32_e32 v48, 0
.LBB262_163:
	s_waitcnt lgkmcnt(2)
	v_pk_add_f16 v49, v10, v24
	v_pk_max_f16 v50, v94, v94
	s_nop 0
	v_pk_min_f16 v49, v50, v49
	v_pk_add_f16 v50, v11, v25
	s_nop 0
	v_pk_min_f16 v49, v49, v50
	s_nop 0
	v_lshrrev_b32_e32 v50, 16, v49
	v_min3_f16 v50, v48, v49, v50
	v_lshl_add_u64 v[48:49], v[42:43], 1, v[28:29]
	global_store_short v[48:49], v50, off
	s_or_b64 exec, exec, s[26:27]
	s_and_b64 s[30:31], s[14:15], s[18:19]
	s_and_saveexec_b64 s[26:27], s[30:31]
	s_cbranch_execz .LBB262_139
.LBB262_164:
	s_and_b64 vcc, exec, s[0:1]
	s_cbranch_vccnz .LBB262_166
; %bb.165:
	v_lshl_add_u64 v[48:49], v[44:45], 1, v[30:31]
	flat_load_ushort v48, v[48:49]
	s_waitcnt vmcnt(0) lgkmcnt(0)
	v_mul_f16_e32 v48, s33, v48
	s_branch .LBB262_167
.LBB262_166:
	v_mov_b32_e32 v48, 0
.LBB262_167:
	s_waitcnt lgkmcnt(2)
	v_pk_add_f16 v49, v0, v24
	v_pk_max_f16 v50, v93, v93
	s_nop 0
	v_pk_min_f16 v49, v50, v49
	v_pk_add_f16 v50, v1, v25
	s_nop 0
	v_pk_min_f16 v49, v49, v50
	s_nop 0
	v_lshrrev_b32_e32 v50, 16, v49
	v_min3_f16 v50, v48, v49, v50
	v_lshl_add_u64 v[48:49], v[44:45], 1, v[28:29]
	global_store_short v[48:49], v50, off
	s_or_b64 exec, exec, s[26:27]
	s_and_b64 s[26:27], s[16:17], s[18:19]
	s_and_saveexec_b64 s[18:19], s[26:27]
	s_cbranch_execz .LBB262_172
.LBB262_168:
	s_and_b64 vcc, exec, s[0:1]
	s_cbranch_vccnz .LBB262_170
; %bb.169:
	v_lshl_add_u64 v[30:31], v[46:47], 1, v[30:31]
	flat_load_ushort v30, v[30:31]
	s_waitcnt vmcnt(0) lgkmcnt(0)
	v_mul_f16_e32 v30, s33, v30
	s_branch .LBB262_171
.LBB262_170:
	v_mov_b32_e32 v30, 0
.LBB262_171:
	s_waitcnt lgkmcnt(2)
	v_pk_add_f16 v24, v2, v24
	v_pk_max_f16 v31, v92, v92
	v_pk_add_f16 v25, v3, v25
	v_pk_min_f16 v24, v31, v24
	s_nop 0
	v_pk_min_f16 v24, v24, v25
	s_nop 0
	v_lshrrev_b32_e32 v25, 16, v24
	v_min3_f16 v30, v30, v24, v25
	v_lshl_add_u64 v[24:25], v[46:47], 1, v[28:29]
	global_store_short v[24:25], v30, off
.LBB262_172:
	s_or_b64 exec, exec, s[18:19]
	v_add_u32_e32 v30, 24, v98
	s_waitcnt lgkmcnt(2)
	v_mad_i64_i32 v[24:25], s[26:27], v30, s29, 0
	v_cmp_gt_i32_e64 s[18:19], s21, v30
	v_lshl_add_u64 v[28:29], v[24:25], 1, s[24:25]
	v_mad_i64_i32 v[24:25], s[26:27], v30, s28, 0
	v_lshl_add_u64 v[24:25], v[24:25], 1, s[22:23]
	s_and_b64 s[30:31], s[2:3], s[18:19]
	s_and_saveexec_b64 s[26:27], s[30:31]
	s_cbranch_execnz .LBB262_180
; %bb.173:
	s_or_b64 exec, exec, s[26:27]
	s_and_b64 s[30:31], s[4:5], s[18:19]
	s_and_saveexec_b64 s[26:27], s[30:31]
	s_cbranch_execnz .LBB262_184
.LBB262_174:
	s_or_b64 exec, exec, s[26:27]
	s_and_b64 s[30:31], s[6:7], s[18:19]
	s_and_saveexec_b64 s[26:27], s[30:31]
	s_cbranch_execnz .LBB262_188
.LBB262_175:
	s_or_b64 exec, exec, s[26:27]
	s_and_b64 s[30:31], s[8:9], s[18:19]
	s_and_saveexec_b64 s[26:27], s[30:31]
	s_cbranch_execnz .LBB262_192
.LBB262_176:
	s_or_b64 exec, exec, s[26:27]
	s_and_b64 s[30:31], s[10:11], s[18:19]
	s_and_saveexec_b64 s[26:27], s[30:31]
	s_cbranch_execnz .LBB262_196
.LBB262_177:
	s_or_b64 exec, exec, s[26:27]
	s_and_b64 s[30:31], s[12:13], s[18:19]
	s_and_saveexec_b64 s[26:27], s[30:31]
	s_cbranch_execnz .LBB262_200
.LBB262_178:
	s_or_b64 exec, exec, s[26:27]
	s_and_b64 s[30:31], s[14:15], s[18:19]
	s_and_saveexec_b64 s[26:27], s[30:31]
	s_cbranch_execnz .LBB262_204
.LBB262_179:
	s_or_b64 exec, exec, s[26:27]
	s_and_b64 s[26:27], s[16:17], s[18:19]
	s_and_saveexec_b64 s[18:19], s[26:27]
	s_cbranch_execnz .LBB262_208
	s_branch .LBB262_212
.LBB262_180:
	s_and_b64 vcc, exec, s[0:1]
	s_cbranch_vccnz .LBB262_182
; %bb.181:
	v_lshl_add_u64 v[30:31], v[32:33], 1, v[28:29]
	flat_load_ushort v30, v[30:31]
	s_waitcnt vmcnt(0) lgkmcnt(0)
	v_mul_f16_e32 v30, s33, v30
	s_branch .LBB262_183
.LBB262_182:
	v_mov_b32_e32 v30, 0
.LBB262_183:
	v_pk_add_f16 v31, v16, v26
	v_pk_max_f16 v48, v91, v91
	s_nop 0
	v_pk_min_f16 v31, v48, v31
	v_pk_add_f16 v48, v17, v27
	s_nop 0
	v_pk_min_f16 v31, v31, v48
	s_nop 0
	v_lshrrev_b32_e32 v48, 16, v31
	v_min3_f16 v48, v30, v31, v48
	v_lshl_add_u64 v[30:31], v[32:33], 1, v[24:25]
	global_store_short v[30:31], v48, off
	s_or_b64 exec, exec, s[26:27]
	s_and_b64 s[30:31], s[4:5], s[18:19]
	s_and_saveexec_b64 s[26:27], s[30:31]
	s_cbranch_execz .LBB262_174
.LBB262_184:
	s_and_b64 vcc, exec, s[0:1]
	s_cbranch_vccnz .LBB262_186
; %bb.185:
	v_lshl_add_u64 v[30:31], v[34:35], 1, v[28:29]
	flat_load_ushort v30, v[30:31]
	s_waitcnt vmcnt(0) lgkmcnt(0)
	v_mul_f16_e32 v30, s33, v30
	s_branch .LBB262_187
.LBB262_186:
	v_mov_b32_e32 v30, 0
.LBB262_187:
	v_pk_add_f16 v31, v18, v26
	v_pk_max_f16 v48, v90, v90
	s_nop 0
	v_pk_min_f16 v31, v48, v31
	v_pk_add_f16 v48, v19, v27
	s_nop 0
	v_pk_min_f16 v31, v31, v48
	s_nop 0
	v_lshrrev_b32_e32 v48, 16, v31
	v_min3_f16 v48, v30, v31, v48
	v_lshl_add_u64 v[30:31], v[34:35], 1, v[24:25]
	global_store_short v[30:31], v48, off
	s_or_b64 exec, exec, s[26:27]
	s_and_b64 s[30:31], s[6:7], s[18:19]
	s_and_saveexec_b64 s[26:27], s[30:31]
	s_cbranch_execz .LBB262_175
.LBB262_188:
	s_and_b64 vcc, exec, s[0:1]
	s_cbranch_vccnz .LBB262_190
; %bb.189:
	v_lshl_add_u64 v[30:31], v[36:37], 1, v[28:29]
	flat_load_ushort v30, v[30:31]
	s_waitcnt vmcnt(0) lgkmcnt(0)
	v_mul_f16_e32 v30, s33, v30
	s_branch .LBB262_191
.LBB262_190:
	v_mov_b32_e32 v30, 0
.LBB262_191:
	v_pk_add_f16 v31, v12, v26
	v_pk_max_f16 v48, v89, v89
	s_nop 0
	v_pk_min_f16 v31, v48, v31
	v_pk_add_f16 v48, v13, v27
	s_nop 0
	v_pk_min_f16 v31, v31, v48
	s_nop 0
	v_lshrrev_b32_e32 v48, 16, v31
	v_min3_f16 v48, v30, v31, v48
	v_lshl_add_u64 v[30:31], v[36:37], 1, v[24:25]
	global_store_short v[30:31], v48, off
	s_or_b64 exec, exec, s[26:27]
	s_and_b64 s[30:31], s[8:9], s[18:19]
	s_and_saveexec_b64 s[26:27], s[30:31]
	s_cbranch_execz .LBB262_176
.LBB262_192:
	s_and_b64 vcc, exec, s[0:1]
	s_cbranch_vccnz .LBB262_194
; %bb.193:
	v_lshl_add_u64 v[30:31], v[38:39], 1, v[28:29]
	flat_load_ushort v30, v[30:31]
	s_waitcnt vmcnt(0) lgkmcnt(0)
	v_mul_f16_e32 v30, s33, v30
	s_branch .LBB262_195
.LBB262_194:
	v_mov_b32_e32 v30, 0
.LBB262_195:
	v_pk_add_f16 v31, v14, v26
	v_pk_max_f16 v48, v88, v88
	s_nop 0
	v_pk_min_f16 v31, v48, v31
	v_pk_add_f16 v48, v15, v27
	s_nop 0
	v_pk_min_f16 v31, v31, v48
	s_nop 0
	v_lshrrev_b32_e32 v48, 16, v31
	v_min3_f16 v48, v30, v31, v48
	v_lshl_add_u64 v[30:31], v[38:39], 1, v[24:25]
	global_store_short v[30:31], v48, off
	s_or_b64 exec, exec, s[26:27]
	s_and_b64 s[30:31], s[10:11], s[18:19]
	s_and_saveexec_b64 s[26:27], s[30:31]
	s_cbranch_execz .LBB262_177
.LBB262_196:
	s_and_b64 vcc, exec, s[0:1]
	s_cbranch_vccnz .LBB262_198
; %bb.197:
	v_lshl_add_u64 v[30:31], v[40:41], 1, v[28:29]
	flat_load_ushort v30, v[30:31]
	s_waitcnt vmcnt(0) lgkmcnt(0)
	v_mul_f16_e32 v30, s33, v30
	s_branch .LBB262_199
.LBB262_198:
	v_mov_b32_e32 v30, 0
.LBB262_199:
	v_pk_add_f16 v31, v8, v26
	v_pk_max_f16 v48, v87, v87
	s_nop 0
	v_pk_min_f16 v31, v48, v31
	v_pk_add_f16 v48, v9, v27
	s_nop 0
	v_pk_min_f16 v31, v31, v48
	s_nop 0
	v_lshrrev_b32_e32 v48, 16, v31
	v_min3_f16 v48, v30, v31, v48
	v_lshl_add_u64 v[30:31], v[40:41], 1, v[24:25]
	global_store_short v[30:31], v48, off
	s_or_b64 exec, exec, s[26:27]
	s_and_b64 s[30:31], s[12:13], s[18:19]
	s_and_saveexec_b64 s[26:27], s[30:31]
	s_cbranch_execz .LBB262_178
.LBB262_200:
	s_and_b64 vcc, exec, s[0:1]
	s_cbranch_vccnz .LBB262_202
; %bb.201:
	v_lshl_add_u64 v[30:31], v[42:43], 1, v[28:29]
	flat_load_ushort v30, v[30:31]
	s_waitcnt vmcnt(0) lgkmcnt(0)
	v_mul_f16_e32 v30, s33, v30
	s_branch .LBB262_203
.LBB262_202:
	v_mov_b32_e32 v30, 0
.LBB262_203:
	v_pk_add_f16 v31, v10, v26
	v_pk_max_f16 v48, v86, v86
	s_nop 0
	v_pk_min_f16 v31, v48, v31
	v_pk_add_f16 v48, v11, v27
	s_nop 0
	v_pk_min_f16 v31, v31, v48
	s_nop 0
	v_lshrrev_b32_e32 v48, 16, v31
	v_min3_f16 v48, v30, v31, v48
	v_lshl_add_u64 v[30:31], v[42:43], 1, v[24:25]
	global_store_short v[30:31], v48, off
	s_or_b64 exec, exec, s[26:27]
	s_and_b64 s[30:31], s[14:15], s[18:19]
	s_and_saveexec_b64 s[26:27], s[30:31]
	s_cbranch_execz .LBB262_179
.LBB262_204:
	s_and_b64 vcc, exec, s[0:1]
	s_cbranch_vccnz .LBB262_206
; %bb.205:
	v_lshl_add_u64 v[30:31], v[44:45], 1, v[28:29]
	flat_load_ushort v30, v[30:31]
	s_waitcnt vmcnt(0) lgkmcnt(0)
	v_mul_f16_e32 v30, s33, v30
	s_branch .LBB262_207
.LBB262_206:
	v_mov_b32_e32 v30, 0
.LBB262_207:
	v_pk_add_f16 v31, v0, v26
	v_pk_max_f16 v48, v85, v85
	s_nop 0
	v_pk_min_f16 v31, v48, v31
	v_pk_add_f16 v48, v1, v27
	s_nop 0
	v_pk_min_f16 v31, v31, v48
	s_nop 0
	v_lshrrev_b32_e32 v48, 16, v31
	v_min3_f16 v48, v30, v31, v48
	v_lshl_add_u64 v[30:31], v[44:45], 1, v[24:25]
	global_store_short v[30:31], v48, off
	s_or_b64 exec, exec, s[26:27]
	s_and_b64 s[26:27], s[16:17], s[18:19]
	s_and_saveexec_b64 s[18:19], s[26:27]
	s_cbranch_execz .LBB262_212
.LBB262_208:
	s_and_b64 vcc, exec, s[0:1]
	s_cbranch_vccnz .LBB262_210
; %bb.209:
	v_lshl_add_u64 v[28:29], v[46:47], 1, v[28:29]
	flat_load_ushort v28, v[28:29]
	s_waitcnt vmcnt(0) lgkmcnt(0)
	v_mul_f16_e32 v28, s33, v28
	s_branch .LBB262_211
.LBB262_210:
	v_mov_b32_e32 v28, 0
.LBB262_211:
	v_pk_add_f16 v26, v2, v26
	v_pk_max_f16 v29, v84, v84
	v_pk_add_f16 v27, v3, v27
	v_pk_min_f16 v26, v29, v26
	v_lshl_add_u64 v[24:25], v[46:47], 1, v[24:25]
	v_pk_min_f16 v26, v26, v27
	s_nop 0
	v_lshrrev_b32_e32 v27, 16, v26
	v_min3_f16 v26, v28, v26, v27
	global_store_short v[24:25], v26, off
.LBB262_212:
	s_or_b64 exec, exec, s[18:19]
	v_add_u32_e32 v28, 32, v98
	v_mad_i64_i32 v[24:25], s[26:27], v28, s29, 0
	v_cmp_gt_i32_e64 s[18:19], s21, v28
	v_lshl_add_u64 v[26:27], v[24:25], 1, s[24:25]
	v_mad_i64_i32 v[24:25], s[26:27], v28, s28, 0
	v_lshl_add_u64 v[24:25], v[24:25], 1, s[22:23]
	s_and_b64 s[30:31], s[2:3], s[18:19]
	s_and_saveexec_b64 s[26:27], s[30:31]
	s_cbranch_execnz .LBB262_220
; %bb.213:
	s_or_b64 exec, exec, s[26:27]
	s_and_b64 s[30:31], s[4:5], s[18:19]
	s_and_saveexec_b64 s[26:27], s[30:31]
	s_cbranch_execnz .LBB262_224
.LBB262_214:
	s_or_b64 exec, exec, s[26:27]
	s_and_b64 s[30:31], s[6:7], s[18:19]
	s_and_saveexec_b64 s[26:27], s[30:31]
	s_cbranch_execnz .LBB262_228
.LBB262_215:
	s_or_b64 exec, exec, s[26:27]
	s_and_b64 s[30:31], s[8:9], s[18:19]
	s_and_saveexec_b64 s[26:27], s[30:31]
	s_cbranch_execnz .LBB262_232
.LBB262_216:
	s_or_b64 exec, exec, s[26:27]
	s_and_b64 s[30:31], s[10:11], s[18:19]
	s_and_saveexec_b64 s[26:27], s[30:31]
	s_cbranch_execnz .LBB262_236
.LBB262_217:
	s_or_b64 exec, exec, s[26:27]
	s_and_b64 s[30:31], s[12:13], s[18:19]
	s_and_saveexec_b64 s[26:27], s[30:31]
	s_cbranch_execnz .LBB262_240
.LBB262_218:
	s_or_b64 exec, exec, s[26:27]
	s_and_b64 s[30:31], s[14:15], s[18:19]
	s_and_saveexec_b64 s[26:27], s[30:31]
	s_cbranch_execnz .LBB262_244
.LBB262_219:
	s_or_b64 exec, exec, s[26:27]
	s_and_b64 s[26:27], s[16:17], s[18:19]
	s_and_saveexec_b64 s[18:19], s[26:27]
	s_cbranch_execnz .LBB262_248
	s_branch .LBB262_252
.LBB262_220:
	s_and_b64 vcc, exec, s[0:1]
	s_cbranch_vccnz .LBB262_222
; %bb.221:
	v_lshl_add_u64 v[28:29], v[32:33], 1, v[26:27]
	flat_load_ushort v28, v[28:29]
	s_waitcnt vmcnt(0) lgkmcnt(0)
	v_mul_f16_e32 v28, s33, v28
	s_branch .LBB262_223
.LBB262_222:
	v_mov_b32_e32 v28, 0
.LBB262_223:
	s_waitcnt lgkmcnt(1)
	v_pk_add_f16 v29, v16, v20
	v_pk_max_f16 v30, v83, v83
	s_nop 0
	v_pk_min_f16 v29, v30, v29
	v_pk_add_f16 v30, v17, v21
	s_nop 0
	v_pk_min_f16 v29, v29, v30
	s_nop 0
	v_lshrrev_b32_e32 v30, 16, v29
	v_min3_f16 v30, v28, v29, v30
	v_lshl_add_u64 v[28:29], v[32:33], 1, v[24:25]
	global_store_short v[28:29], v30, off
	s_or_b64 exec, exec, s[26:27]
	s_and_b64 s[30:31], s[4:5], s[18:19]
	s_and_saveexec_b64 s[26:27], s[30:31]
	s_cbranch_execz .LBB262_214
.LBB262_224:
	s_and_b64 vcc, exec, s[0:1]
	s_cbranch_vccnz .LBB262_226
; %bb.225:
	v_lshl_add_u64 v[28:29], v[34:35], 1, v[26:27]
	flat_load_ushort v28, v[28:29]
	s_waitcnt vmcnt(0) lgkmcnt(0)
	v_mul_f16_e32 v28, s33, v28
	s_branch .LBB262_227
.LBB262_226:
	v_mov_b32_e32 v28, 0
.LBB262_227:
	s_waitcnt lgkmcnt(1)
	v_pk_add_f16 v29, v18, v20
	v_pk_max_f16 v30, v82, v82
	s_nop 0
	v_pk_min_f16 v29, v30, v29
	v_pk_add_f16 v30, v19, v21
	s_nop 0
	v_pk_min_f16 v29, v29, v30
	s_nop 0
	v_lshrrev_b32_e32 v30, 16, v29
	v_min3_f16 v30, v28, v29, v30
	v_lshl_add_u64 v[28:29], v[34:35], 1, v[24:25]
	global_store_short v[28:29], v30, off
	s_or_b64 exec, exec, s[26:27]
	s_and_b64 s[30:31], s[6:7], s[18:19]
	s_and_saveexec_b64 s[26:27], s[30:31]
	s_cbranch_execz .LBB262_215
.LBB262_228:
	s_and_b64 vcc, exec, s[0:1]
	s_cbranch_vccnz .LBB262_230
; %bb.229:
	v_lshl_add_u64 v[28:29], v[36:37], 1, v[26:27]
	flat_load_ushort v28, v[28:29]
	s_waitcnt vmcnt(0) lgkmcnt(0)
	v_mul_f16_e32 v28, s33, v28
	s_branch .LBB262_231
.LBB262_230:
	v_mov_b32_e32 v28, 0
.LBB262_231:
	s_waitcnt lgkmcnt(1)
	v_pk_add_f16 v29, v12, v20
	v_pk_max_f16 v30, v81, v81
	s_nop 0
	v_pk_min_f16 v29, v30, v29
	v_pk_add_f16 v30, v13, v21
	s_nop 0
	v_pk_min_f16 v29, v29, v30
	s_nop 0
	v_lshrrev_b32_e32 v30, 16, v29
	v_min3_f16 v30, v28, v29, v30
	v_lshl_add_u64 v[28:29], v[36:37], 1, v[24:25]
	global_store_short v[28:29], v30, off
	s_or_b64 exec, exec, s[26:27]
	s_and_b64 s[30:31], s[8:9], s[18:19]
	s_and_saveexec_b64 s[26:27], s[30:31]
	s_cbranch_execz .LBB262_216
.LBB262_232:
	s_and_b64 vcc, exec, s[0:1]
	s_cbranch_vccnz .LBB262_234
; %bb.233:
	v_lshl_add_u64 v[28:29], v[38:39], 1, v[26:27]
	flat_load_ushort v28, v[28:29]
	s_waitcnt vmcnt(0) lgkmcnt(0)
	v_mul_f16_e32 v28, s33, v28
	s_branch .LBB262_235
.LBB262_234:
	v_mov_b32_e32 v28, 0
.LBB262_235:
	s_waitcnt lgkmcnt(1)
	v_pk_add_f16 v29, v14, v20
	v_pk_max_f16 v30, v80, v80
	s_nop 0
	v_pk_min_f16 v29, v30, v29
	v_pk_add_f16 v30, v15, v21
	s_nop 0
	v_pk_min_f16 v29, v29, v30
	s_nop 0
	v_lshrrev_b32_e32 v30, 16, v29
	v_min3_f16 v30, v28, v29, v30
	v_lshl_add_u64 v[28:29], v[38:39], 1, v[24:25]
	global_store_short v[28:29], v30, off
	s_or_b64 exec, exec, s[26:27]
	s_and_b64 s[30:31], s[10:11], s[18:19]
	s_and_saveexec_b64 s[26:27], s[30:31]
	s_cbranch_execz .LBB262_217
.LBB262_236:
	s_and_b64 vcc, exec, s[0:1]
	s_cbranch_vccnz .LBB262_238
; %bb.237:
	v_lshl_add_u64 v[28:29], v[40:41], 1, v[26:27]
	flat_load_ushort v28, v[28:29]
	s_waitcnt vmcnt(0) lgkmcnt(0)
	v_mul_f16_e32 v28, s33, v28
	s_branch .LBB262_239
.LBB262_238:
	v_mov_b32_e32 v28, 0
.LBB262_239:
	s_waitcnt lgkmcnt(1)
	v_pk_add_f16 v29, v8, v20
	v_pk_max_f16 v30, v79, v79
	s_nop 0
	v_pk_min_f16 v29, v30, v29
	v_pk_add_f16 v30, v9, v21
	s_nop 0
	v_pk_min_f16 v29, v29, v30
	s_nop 0
	v_lshrrev_b32_e32 v30, 16, v29
	v_min3_f16 v30, v28, v29, v30
	v_lshl_add_u64 v[28:29], v[40:41], 1, v[24:25]
	global_store_short v[28:29], v30, off
	s_or_b64 exec, exec, s[26:27]
	s_and_b64 s[30:31], s[12:13], s[18:19]
	s_and_saveexec_b64 s[26:27], s[30:31]
	s_cbranch_execz .LBB262_218
.LBB262_240:
	s_and_b64 vcc, exec, s[0:1]
	s_cbranch_vccnz .LBB262_242
; %bb.241:
	v_lshl_add_u64 v[28:29], v[42:43], 1, v[26:27]
	flat_load_ushort v28, v[28:29]
	s_waitcnt vmcnt(0) lgkmcnt(0)
	v_mul_f16_e32 v28, s33, v28
	s_branch .LBB262_243
.LBB262_242:
	v_mov_b32_e32 v28, 0
.LBB262_243:
	s_waitcnt lgkmcnt(1)
	v_pk_add_f16 v29, v10, v20
	v_pk_max_f16 v30, v78, v78
	s_nop 0
	v_pk_min_f16 v29, v30, v29
	v_pk_add_f16 v30, v11, v21
	s_nop 0
	v_pk_min_f16 v29, v29, v30
	s_nop 0
	v_lshrrev_b32_e32 v30, 16, v29
	v_min3_f16 v30, v28, v29, v30
	v_lshl_add_u64 v[28:29], v[42:43], 1, v[24:25]
	global_store_short v[28:29], v30, off
	s_or_b64 exec, exec, s[26:27]
	s_and_b64 s[30:31], s[14:15], s[18:19]
	s_and_saveexec_b64 s[26:27], s[30:31]
	s_cbranch_execz .LBB262_219
.LBB262_244:
	s_and_b64 vcc, exec, s[0:1]
	s_cbranch_vccnz .LBB262_246
; %bb.245:
	v_lshl_add_u64 v[28:29], v[44:45], 1, v[26:27]
	flat_load_ushort v28, v[28:29]
	s_waitcnt vmcnt(0) lgkmcnt(0)
	v_mul_f16_e32 v28, s33, v28
	s_branch .LBB262_247
.LBB262_246:
	v_mov_b32_e32 v28, 0
.LBB262_247:
	s_waitcnt lgkmcnt(1)
	v_pk_add_f16 v29, v0, v20
	v_pk_max_f16 v30, v77, v77
	s_nop 0
	v_pk_min_f16 v29, v30, v29
	v_pk_add_f16 v30, v1, v21
	s_nop 0
	v_pk_min_f16 v29, v29, v30
	s_nop 0
	v_lshrrev_b32_e32 v30, 16, v29
	v_min3_f16 v30, v28, v29, v30
	v_lshl_add_u64 v[28:29], v[44:45], 1, v[24:25]
	global_store_short v[28:29], v30, off
	s_or_b64 exec, exec, s[26:27]
	s_and_b64 s[26:27], s[16:17], s[18:19]
	s_and_saveexec_b64 s[18:19], s[26:27]
	s_cbranch_execz .LBB262_252
.LBB262_248:
	s_and_b64 vcc, exec, s[0:1]
	s_cbranch_vccnz .LBB262_250
; %bb.249:
	v_lshl_add_u64 v[26:27], v[46:47], 1, v[26:27]
	flat_load_ushort v26, v[26:27]
	s_waitcnt vmcnt(0) lgkmcnt(0)
	v_mul_f16_e32 v26, s33, v26
	s_branch .LBB262_251
.LBB262_250:
	v_mov_b32_e32 v26, 0
.LBB262_251:
	s_waitcnt lgkmcnt(1)
	v_pk_add_f16 v20, v2, v20
	v_pk_max_f16 v27, v76, v76
	v_pk_add_f16 v21, v3, v21
	v_pk_min_f16 v20, v27, v20
	s_nop 0
	v_pk_min_f16 v20, v20, v21
	s_nop 0
	v_lshrrev_b32_e32 v21, 16, v20
	v_min3_f16 v26, v26, v20, v21
	v_lshl_add_u64 v[20:21], v[46:47], 1, v[24:25]
	global_store_short v[20:21], v26, off
.LBB262_252:
	s_or_b64 exec, exec, s[18:19]
	v_add_u32_e32 v26, 40, v98
	s_waitcnt lgkmcnt(1)
	v_mad_i64_i32 v[20:21], s[26:27], v26, s29, 0
	v_cmp_gt_i32_e64 s[18:19], s21, v26
	v_lshl_add_u64 v[24:25], v[20:21], 1, s[24:25]
	v_mad_i64_i32 v[20:21], s[26:27], v26, s28, 0
	v_lshl_add_u64 v[20:21], v[20:21], 1, s[22:23]
	s_and_b64 s[30:31], s[2:3], s[18:19]
	s_and_saveexec_b64 s[26:27], s[30:31]
	s_cbranch_execnz .LBB262_260
; %bb.253:
	s_or_b64 exec, exec, s[26:27]
	s_and_b64 s[30:31], s[4:5], s[18:19]
	s_and_saveexec_b64 s[26:27], s[30:31]
	s_cbranch_execnz .LBB262_264
.LBB262_254:
	s_or_b64 exec, exec, s[26:27]
	s_and_b64 s[30:31], s[6:7], s[18:19]
	s_and_saveexec_b64 s[26:27], s[30:31]
	s_cbranch_execnz .LBB262_268
.LBB262_255:
	s_or_b64 exec, exec, s[26:27]
	s_and_b64 s[30:31], s[8:9], s[18:19]
	s_and_saveexec_b64 s[26:27], s[30:31]
	s_cbranch_execnz .LBB262_272
.LBB262_256:
	s_or_b64 exec, exec, s[26:27]
	s_and_b64 s[30:31], s[10:11], s[18:19]
	s_and_saveexec_b64 s[26:27], s[30:31]
	s_cbranch_execnz .LBB262_276
.LBB262_257:
	s_or_b64 exec, exec, s[26:27]
	s_and_b64 s[30:31], s[12:13], s[18:19]
	s_and_saveexec_b64 s[26:27], s[30:31]
	s_cbranch_execnz .LBB262_280
.LBB262_258:
	s_or_b64 exec, exec, s[26:27]
	s_and_b64 s[30:31], s[14:15], s[18:19]
	s_and_saveexec_b64 s[26:27], s[30:31]
	s_cbranch_execnz .LBB262_284
.LBB262_259:
	s_or_b64 exec, exec, s[26:27]
	s_and_b64 s[26:27], s[16:17], s[18:19]
	s_and_saveexec_b64 s[18:19], s[26:27]
	s_cbranch_execnz .LBB262_288
	s_branch .LBB262_292
.LBB262_260:
	s_and_b64 vcc, exec, s[0:1]
	s_cbranch_vccnz .LBB262_262
; %bb.261:
	v_lshl_add_u64 v[26:27], v[32:33], 1, v[24:25]
	flat_load_ushort v26, v[26:27]
	s_waitcnt vmcnt(0) lgkmcnt(0)
	v_mul_f16_e32 v26, s33, v26
	s_branch .LBB262_263
.LBB262_262:
	v_mov_b32_e32 v26, 0
.LBB262_263:
	v_pk_add_f16 v27, v16, v22
	v_pk_max_f16 v28, v75, v75
	s_nop 0
	v_pk_min_f16 v27, v28, v27
	v_pk_add_f16 v28, v17, v23
	s_nop 0
	v_pk_min_f16 v27, v27, v28
	s_nop 0
	v_lshrrev_b32_e32 v28, 16, v27
	v_min3_f16 v28, v26, v27, v28
	v_lshl_add_u64 v[26:27], v[32:33], 1, v[20:21]
	global_store_short v[26:27], v28, off
	s_or_b64 exec, exec, s[26:27]
	s_and_b64 s[30:31], s[4:5], s[18:19]
	s_and_saveexec_b64 s[26:27], s[30:31]
	s_cbranch_execz .LBB262_254
.LBB262_264:
	s_and_b64 vcc, exec, s[0:1]
	s_cbranch_vccnz .LBB262_266
; %bb.265:
	v_lshl_add_u64 v[26:27], v[34:35], 1, v[24:25]
	flat_load_ushort v26, v[26:27]
	s_waitcnt vmcnt(0) lgkmcnt(0)
	v_mul_f16_e32 v26, s33, v26
	s_branch .LBB262_267
.LBB262_266:
	v_mov_b32_e32 v26, 0
.LBB262_267:
	v_pk_add_f16 v27, v18, v22
	v_pk_max_f16 v28, v74, v74
	s_nop 0
	v_pk_min_f16 v27, v28, v27
	v_pk_add_f16 v28, v19, v23
	s_nop 0
	v_pk_min_f16 v27, v27, v28
	s_nop 0
	v_lshrrev_b32_e32 v28, 16, v27
	v_min3_f16 v28, v26, v27, v28
	v_lshl_add_u64 v[26:27], v[34:35], 1, v[20:21]
	global_store_short v[26:27], v28, off
	s_or_b64 exec, exec, s[26:27]
	s_and_b64 s[30:31], s[6:7], s[18:19]
	s_and_saveexec_b64 s[26:27], s[30:31]
	s_cbranch_execz .LBB262_255
.LBB262_268:
	s_and_b64 vcc, exec, s[0:1]
	s_cbranch_vccnz .LBB262_270
; %bb.269:
	v_lshl_add_u64 v[26:27], v[36:37], 1, v[24:25]
	flat_load_ushort v26, v[26:27]
	s_waitcnt vmcnt(0) lgkmcnt(0)
	v_mul_f16_e32 v26, s33, v26
	s_branch .LBB262_271
.LBB262_270:
	v_mov_b32_e32 v26, 0
.LBB262_271:
	v_pk_add_f16 v27, v12, v22
	v_pk_max_f16 v28, v73, v73
	s_nop 0
	v_pk_min_f16 v27, v28, v27
	v_pk_add_f16 v28, v13, v23
	s_nop 0
	v_pk_min_f16 v27, v27, v28
	s_nop 0
	v_lshrrev_b32_e32 v28, 16, v27
	v_min3_f16 v28, v26, v27, v28
	v_lshl_add_u64 v[26:27], v[36:37], 1, v[20:21]
	global_store_short v[26:27], v28, off
	s_or_b64 exec, exec, s[26:27]
	s_and_b64 s[30:31], s[8:9], s[18:19]
	s_and_saveexec_b64 s[26:27], s[30:31]
	s_cbranch_execz .LBB262_256
.LBB262_272:
	s_and_b64 vcc, exec, s[0:1]
	s_cbranch_vccnz .LBB262_274
; %bb.273:
	v_lshl_add_u64 v[26:27], v[38:39], 1, v[24:25]
	flat_load_ushort v26, v[26:27]
	s_waitcnt vmcnt(0) lgkmcnt(0)
	v_mul_f16_e32 v26, s33, v26
	s_branch .LBB262_275
.LBB262_274:
	v_mov_b32_e32 v26, 0
.LBB262_275:
	v_pk_add_f16 v27, v14, v22
	v_pk_max_f16 v28, v72, v72
	s_nop 0
	v_pk_min_f16 v27, v28, v27
	v_pk_add_f16 v28, v15, v23
	s_nop 0
	v_pk_min_f16 v27, v27, v28
	s_nop 0
	v_lshrrev_b32_e32 v28, 16, v27
	v_min3_f16 v28, v26, v27, v28
	v_lshl_add_u64 v[26:27], v[38:39], 1, v[20:21]
	global_store_short v[26:27], v28, off
	s_or_b64 exec, exec, s[26:27]
	s_and_b64 s[30:31], s[10:11], s[18:19]
	s_and_saveexec_b64 s[26:27], s[30:31]
	s_cbranch_execz .LBB262_257
.LBB262_276:
	s_and_b64 vcc, exec, s[0:1]
	s_cbranch_vccnz .LBB262_278
; %bb.277:
	v_lshl_add_u64 v[26:27], v[40:41], 1, v[24:25]
	flat_load_ushort v26, v[26:27]
	s_waitcnt vmcnt(0) lgkmcnt(0)
	v_mul_f16_e32 v26, s33, v26
	s_branch .LBB262_279
.LBB262_278:
	v_mov_b32_e32 v26, 0
.LBB262_279:
	v_pk_add_f16 v27, v8, v22
	v_pk_max_f16 v28, v71, v71
	s_nop 0
	v_pk_min_f16 v27, v28, v27
	v_pk_add_f16 v28, v9, v23
	s_nop 0
	v_pk_min_f16 v27, v27, v28
	s_nop 0
	v_lshrrev_b32_e32 v28, 16, v27
	v_min3_f16 v28, v26, v27, v28
	v_lshl_add_u64 v[26:27], v[40:41], 1, v[20:21]
	global_store_short v[26:27], v28, off
	s_or_b64 exec, exec, s[26:27]
	s_and_b64 s[30:31], s[12:13], s[18:19]
	s_and_saveexec_b64 s[26:27], s[30:31]
	s_cbranch_execz .LBB262_258
.LBB262_280:
	s_and_b64 vcc, exec, s[0:1]
	s_cbranch_vccnz .LBB262_282
; %bb.281:
	v_lshl_add_u64 v[26:27], v[42:43], 1, v[24:25]
	flat_load_ushort v26, v[26:27]
	s_waitcnt vmcnt(0) lgkmcnt(0)
	v_mul_f16_e32 v26, s33, v26
	s_branch .LBB262_283
.LBB262_282:
	v_mov_b32_e32 v26, 0
.LBB262_283:
	v_pk_add_f16 v27, v10, v22
	v_pk_max_f16 v28, v70, v70
	s_nop 0
	v_pk_min_f16 v27, v28, v27
	v_pk_add_f16 v28, v11, v23
	s_nop 0
	v_pk_min_f16 v27, v27, v28
	s_nop 0
	v_lshrrev_b32_e32 v28, 16, v27
	v_min3_f16 v28, v26, v27, v28
	v_lshl_add_u64 v[26:27], v[42:43], 1, v[20:21]
	global_store_short v[26:27], v28, off
	s_or_b64 exec, exec, s[26:27]
	s_and_b64 s[30:31], s[14:15], s[18:19]
	s_and_saveexec_b64 s[26:27], s[30:31]
	s_cbranch_execz .LBB262_259
.LBB262_284:
	s_and_b64 vcc, exec, s[0:1]
	s_cbranch_vccnz .LBB262_286
; %bb.285:
	v_lshl_add_u64 v[26:27], v[44:45], 1, v[24:25]
	flat_load_ushort v26, v[26:27]
	s_waitcnt vmcnt(0) lgkmcnt(0)
	v_mul_f16_e32 v26, s33, v26
	s_branch .LBB262_287
.LBB262_286:
	v_mov_b32_e32 v26, 0
.LBB262_287:
	v_pk_add_f16 v27, v0, v22
	v_pk_max_f16 v28, v69, v69
	s_nop 0
	v_pk_min_f16 v27, v28, v27
	v_pk_add_f16 v28, v1, v23
	s_nop 0
	v_pk_min_f16 v27, v27, v28
	s_nop 0
	v_lshrrev_b32_e32 v28, 16, v27
	v_min3_f16 v28, v26, v27, v28
	v_lshl_add_u64 v[26:27], v[44:45], 1, v[20:21]
	global_store_short v[26:27], v28, off
	s_or_b64 exec, exec, s[26:27]
	s_and_b64 s[26:27], s[16:17], s[18:19]
	s_and_saveexec_b64 s[18:19], s[26:27]
	s_cbranch_execz .LBB262_292
.LBB262_288:
	s_and_b64 vcc, exec, s[0:1]
	s_cbranch_vccnz .LBB262_290
; %bb.289:
	v_lshl_add_u64 v[24:25], v[46:47], 1, v[24:25]
	flat_load_ushort v24, v[24:25]
	s_waitcnt vmcnt(0) lgkmcnt(0)
	v_mul_f16_e32 v24, s33, v24
	s_branch .LBB262_291
.LBB262_290:
	v_mov_b32_e32 v24, 0
.LBB262_291:
	v_pk_add_f16 v22, v2, v22
	v_pk_max_f16 v25, v68, v68
	v_pk_add_f16 v23, v3, v23
	v_pk_min_f16 v22, v25, v22
	v_lshl_add_u64 v[20:21], v[46:47], 1, v[20:21]
	v_pk_min_f16 v22, v22, v23
	s_nop 0
	v_lshrrev_b32_e32 v23, 16, v22
	v_min3_f16 v22, v24, v22, v23
	global_store_short v[20:21], v22, off
.LBB262_292:
	s_or_b64 exec, exec, s[18:19]
	v_add_u32_e32 v24, 48, v98
	v_mad_i64_i32 v[20:21], s[26:27], v24, s29, 0
	v_cmp_gt_i32_e64 s[18:19], s21, v24
	v_lshl_add_u64 v[22:23], v[20:21], 1, s[24:25]
	v_mad_i64_i32 v[20:21], s[26:27], v24, s28, 0
	v_lshl_add_u64 v[20:21], v[20:21], 1, s[22:23]
	s_and_b64 s[30:31], s[2:3], s[18:19]
	s_and_saveexec_b64 s[26:27], s[30:31]
	s_cbranch_execnz .LBB262_300
; %bb.293:
	s_or_b64 exec, exec, s[26:27]
	s_and_b64 s[30:31], s[4:5], s[18:19]
	s_and_saveexec_b64 s[26:27], s[30:31]
	s_cbranch_execnz .LBB262_304
.LBB262_294:
	s_or_b64 exec, exec, s[26:27]
	s_and_b64 s[30:31], s[6:7], s[18:19]
	s_and_saveexec_b64 s[26:27], s[30:31]
	s_cbranch_execnz .LBB262_308
.LBB262_295:
	s_or_b64 exec, exec, s[26:27]
	s_and_b64 s[30:31], s[8:9], s[18:19]
	s_and_saveexec_b64 s[26:27], s[30:31]
	s_cbranch_execnz .LBB262_312
.LBB262_296:
	s_or_b64 exec, exec, s[26:27]
	s_and_b64 s[30:31], s[10:11], s[18:19]
	s_and_saveexec_b64 s[26:27], s[30:31]
	s_cbranch_execnz .LBB262_316
.LBB262_297:
	s_or_b64 exec, exec, s[26:27]
	s_and_b64 s[30:31], s[12:13], s[18:19]
	s_and_saveexec_b64 s[26:27], s[30:31]
	s_cbranch_execnz .LBB262_320
.LBB262_298:
	s_or_b64 exec, exec, s[26:27]
	s_and_b64 s[30:31], s[14:15], s[18:19]
	s_and_saveexec_b64 s[26:27], s[30:31]
	s_cbranch_execnz .LBB262_324
.LBB262_299:
	s_or_b64 exec, exec, s[26:27]
	s_and_b64 s[26:27], s[16:17], s[18:19]
	s_and_saveexec_b64 s[18:19], s[26:27]
	s_cbranch_execnz .LBB262_328
	s_branch .LBB262_332
.LBB262_300:
	s_and_b64 vcc, exec, s[0:1]
	s_cbranch_vccnz .LBB262_302
; %bb.301:
	v_lshl_add_u64 v[24:25], v[32:33], 1, v[22:23]
	flat_load_ushort v24, v[24:25]
	s_waitcnt vmcnt(0) lgkmcnt(0)
	v_mul_f16_e32 v24, s33, v24
	s_branch .LBB262_303
.LBB262_302:
	v_mov_b32_e32 v24, 0
.LBB262_303:
	s_waitcnt lgkmcnt(0)
	v_pk_add_f16 v25, v16, v4
	v_pk_max_f16 v26, v67, v67
	s_nop 0
	v_pk_min_f16 v25, v26, v25
	v_pk_add_f16 v26, v17, v5
	s_nop 0
	v_pk_min_f16 v25, v25, v26
	s_nop 0
	v_lshrrev_b32_e32 v26, 16, v25
	v_min3_f16 v26, v24, v25, v26
	v_lshl_add_u64 v[24:25], v[32:33], 1, v[20:21]
	global_store_short v[24:25], v26, off
	s_or_b64 exec, exec, s[26:27]
	s_and_b64 s[30:31], s[4:5], s[18:19]
	s_and_saveexec_b64 s[26:27], s[30:31]
	s_cbranch_execz .LBB262_294
.LBB262_304:
	s_and_b64 vcc, exec, s[0:1]
	s_cbranch_vccnz .LBB262_306
; %bb.305:
	v_lshl_add_u64 v[24:25], v[34:35], 1, v[22:23]
	flat_load_ushort v24, v[24:25]
	s_waitcnt vmcnt(0) lgkmcnt(0)
	v_mul_f16_e32 v24, s33, v24
	s_branch .LBB262_307
.LBB262_306:
	v_mov_b32_e32 v24, 0
.LBB262_307:
	s_waitcnt lgkmcnt(0)
	v_pk_add_f16 v25, v18, v4
	v_pk_max_f16 v26, v66, v66
	s_nop 0
	v_pk_min_f16 v25, v26, v25
	v_pk_add_f16 v26, v19, v5
	s_nop 0
	v_pk_min_f16 v25, v25, v26
	s_nop 0
	v_lshrrev_b32_e32 v26, 16, v25
	v_min3_f16 v26, v24, v25, v26
	v_lshl_add_u64 v[24:25], v[34:35], 1, v[20:21]
	global_store_short v[24:25], v26, off
	s_or_b64 exec, exec, s[26:27]
	s_and_b64 s[30:31], s[6:7], s[18:19]
	s_and_saveexec_b64 s[26:27], s[30:31]
	s_cbranch_execz .LBB262_295
.LBB262_308:
	s_and_b64 vcc, exec, s[0:1]
	s_cbranch_vccnz .LBB262_310
; %bb.309:
	v_lshl_add_u64 v[24:25], v[36:37], 1, v[22:23]
	flat_load_ushort v24, v[24:25]
	s_waitcnt vmcnt(0) lgkmcnt(0)
	v_mul_f16_e32 v24, s33, v24
	s_branch .LBB262_311
.LBB262_310:
	v_mov_b32_e32 v24, 0
.LBB262_311:
	s_waitcnt lgkmcnt(0)
	v_pk_add_f16 v25, v12, v4
	v_pk_max_f16 v26, v65, v65
	s_nop 0
	v_pk_min_f16 v25, v26, v25
	v_pk_add_f16 v26, v13, v5
	s_nop 0
	v_pk_min_f16 v25, v25, v26
	s_nop 0
	v_lshrrev_b32_e32 v26, 16, v25
	v_min3_f16 v26, v24, v25, v26
	v_lshl_add_u64 v[24:25], v[36:37], 1, v[20:21]
	global_store_short v[24:25], v26, off
	s_or_b64 exec, exec, s[26:27]
	s_and_b64 s[30:31], s[8:9], s[18:19]
	s_and_saveexec_b64 s[26:27], s[30:31]
	s_cbranch_execz .LBB262_296
.LBB262_312:
	s_and_b64 vcc, exec, s[0:1]
	s_cbranch_vccnz .LBB262_314
; %bb.313:
	v_lshl_add_u64 v[24:25], v[38:39], 1, v[22:23]
	flat_load_ushort v24, v[24:25]
	s_waitcnt vmcnt(0) lgkmcnt(0)
	v_mul_f16_e32 v24, s33, v24
	s_branch .LBB262_315
.LBB262_314:
	v_mov_b32_e32 v24, 0
.LBB262_315:
	s_waitcnt lgkmcnt(0)
	v_pk_add_f16 v25, v14, v4
	v_pk_max_f16 v26, v64, v64
	s_nop 0
	v_pk_min_f16 v25, v26, v25
	v_pk_add_f16 v26, v15, v5
	s_nop 0
	v_pk_min_f16 v25, v25, v26
	s_nop 0
	v_lshrrev_b32_e32 v26, 16, v25
	v_min3_f16 v26, v24, v25, v26
	v_lshl_add_u64 v[24:25], v[38:39], 1, v[20:21]
	global_store_short v[24:25], v26, off
	s_or_b64 exec, exec, s[26:27]
	s_and_b64 s[30:31], s[10:11], s[18:19]
	s_and_saveexec_b64 s[26:27], s[30:31]
	s_cbranch_execz .LBB262_297
.LBB262_316:
	s_and_b64 vcc, exec, s[0:1]
	s_cbranch_vccnz .LBB262_318
; %bb.317:
	v_lshl_add_u64 v[24:25], v[40:41], 1, v[22:23]
	flat_load_ushort v24, v[24:25]
	s_waitcnt vmcnt(0) lgkmcnt(0)
	v_mul_f16_e32 v24, s33, v24
	s_branch .LBB262_319
.LBB262_318:
	v_mov_b32_e32 v24, 0
.LBB262_319:
	s_waitcnt lgkmcnt(0)
	v_pk_add_f16 v25, v8, v4
	v_pk_max_f16 v26, v63, v63
	s_nop 0
	v_pk_min_f16 v25, v26, v25
	v_pk_add_f16 v26, v9, v5
	s_nop 0
	v_pk_min_f16 v25, v25, v26
	s_nop 0
	v_lshrrev_b32_e32 v26, 16, v25
	v_min3_f16 v26, v24, v25, v26
	v_lshl_add_u64 v[24:25], v[40:41], 1, v[20:21]
	global_store_short v[24:25], v26, off
	s_or_b64 exec, exec, s[26:27]
	s_and_b64 s[30:31], s[12:13], s[18:19]
	s_and_saveexec_b64 s[26:27], s[30:31]
	s_cbranch_execz .LBB262_298
.LBB262_320:
	s_and_b64 vcc, exec, s[0:1]
	s_cbranch_vccnz .LBB262_322
; %bb.321:
	v_lshl_add_u64 v[24:25], v[42:43], 1, v[22:23]
	flat_load_ushort v24, v[24:25]
	s_waitcnt vmcnt(0) lgkmcnt(0)
	v_mul_f16_e32 v24, s33, v24
	s_branch .LBB262_323
.LBB262_322:
	v_mov_b32_e32 v24, 0
.LBB262_323:
	s_waitcnt lgkmcnt(0)
	v_pk_add_f16 v25, v10, v4
	v_pk_max_f16 v26, v62, v62
	s_nop 0
	v_pk_min_f16 v25, v26, v25
	v_pk_add_f16 v26, v11, v5
	s_nop 0
	v_pk_min_f16 v25, v25, v26
	s_nop 0
	v_lshrrev_b32_e32 v26, 16, v25
	v_min3_f16 v26, v24, v25, v26
	v_lshl_add_u64 v[24:25], v[42:43], 1, v[20:21]
	global_store_short v[24:25], v26, off
	s_or_b64 exec, exec, s[26:27]
	s_and_b64 s[30:31], s[14:15], s[18:19]
	s_and_saveexec_b64 s[26:27], s[30:31]
	s_cbranch_execz .LBB262_299
.LBB262_324:
	s_and_b64 vcc, exec, s[0:1]
	s_cbranch_vccnz .LBB262_326
; %bb.325:
	v_lshl_add_u64 v[24:25], v[44:45], 1, v[22:23]
	flat_load_ushort v24, v[24:25]
	s_waitcnt vmcnt(0) lgkmcnt(0)
	v_mul_f16_e32 v24, s33, v24
	s_branch .LBB262_327
.LBB262_326:
	v_mov_b32_e32 v24, 0
.LBB262_327:
	s_waitcnt lgkmcnt(0)
	v_pk_add_f16 v25, v0, v4
	v_pk_max_f16 v26, v60, v60
	s_nop 0
	v_pk_min_f16 v25, v26, v25
	v_pk_add_f16 v26, v1, v5
	s_nop 0
	v_pk_min_f16 v25, v25, v26
	s_nop 0
	v_lshrrev_b32_e32 v26, 16, v25
	v_min3_f16 v26, v24, v25, v26
	v_lshl_add_u64 v[24:25], v[44:45], 1, v[20:21]
	global_store_short v[24:25], v26, off
	s_or_b64 exec, exec, s[26:27]
	s_and_b64 s[26:27], s[16:17], s[18:19]
	s_and_saveexec_b64 s[18:19], s[26:27]
	s_cbranch_execz .LBB262_332
.LBB262_328:
	s_and_b64 vcc, exec, s[0:1]
	s_cbranch_vccnz .LBB262_330
; %bb.329:
	v_lshl_add_u64 v[22:23], v[46:47], 1, v[22:23]
	flat_load_ushort v22, v[22:23]
	s_waitcnt vmcnt(0) lgkmcnt(0)
	v_mul_f16_e32 v22, s33, v22
	s_branch .LBB262_331
.LBB262_330:
	v_mov_b32_e32 v22, 0
.LBB262_331:
	s_waitcnt lgkmcnt(0)
	v_pk_add_f16 v4, v2, v4
	v_pk_max_f16 v23, v59, v59
	v_pk_add_f16 v5, v3, v5
	v_pk_min_f16 v4, v23, v4
	s_nop 0
	v_pk_min_f16 v4, v4, v5
	s_nop 0
	v_lshrrev_b32_e32 v5, 16, v4
	v_min3_f16 v22, v22, v4, v5
	v_lshl_add_u64 v[4:5], v[46:47], 1, v[20:21]
	global_store_short v[4:5], v22, off
.LBB262_332:
	s_or_b64 exec, exec, s[18:19]
	v_add_u32_e32 v22, 56, v98
	v_cmp_gt_i32_e64 s[18:19], s21, v22
	s_waitcnt lgkmcnt(0)
	v_mad_i64_i32 v[4:5], s[20:21], v22, s29, 0
	v_lshl_add_u64 v[20:21], v[4:5], 1, s[24:25]
	v_mad_i64_i32 v[4:5], s[20:21], v22, s28, 0
	v_lshl_add_u64 v[4:5], v[4:5], 1, s[22:23]
	s_and_b64 s[20:21], s[2:3], s[18:19]
	s_and_saveexec_b64 s[2:3], s[20:21]
	s_cbranch_execnz .LBB262_341
; %bb.333:
	s_or_b64 exec, exec, s[2:3]
	s_and_b64 s[4:5], s[4:5], s[18:19]
	s_and_saveexec_b64 s[2:3], s[4:5]
	s_cbranch_execnz .LBB262_345
.LBB262_334:
	s_or_b64 exec, exec, s[2:3]
	s_and_b64 s[4:5], s[6:7], s[18:19]
	s_and_saveexec_b64 s[2:3], s[4:5]
	s_cbranch_execnz .LBB262_349
.LBB262_335:
	s_or_b64 exec, exec, s[2:3]
	s_and_b64 s[4:5], s[8:9], s[18:19]
	s_and_saveexec_b64 s[2:3], s[4:5]
	s_cbranch_execnz .LBB262_353
.LBB262_336:
	s_or_b64 exec, exec, s[2:3]
	s_and_b64 s[4:5], s[10:11], s[18:19]
	s_and_saveexec_b64 s[2:3], s[4:5]
	s_cbranch_execnz .LBB262_357
.LBB262_337:
	s_or_b64 exec, exec, s[2:3]
	s_and_b64 s[4:5], s[12:13], s[18:19]
	s_and_saveexec_b64 s[2:3], s[4:5]
	s_cbranch_execnz .LBB262_361
.LBB262_338:
	s_or_b64 exec, exec, s[2:3]
	s_and_b64 s[4:5], s[14:15], s[18:19]
	s_and_saveexec_b64 s[2:3], s[4:5]
	s_cbranch_execnz .LBB262_365
.LBB262_339:
	s_or_b64 exec, exec, s[2:3]
	s_and_b64 s[2:3], s[16:17], s[18:19]
	s_and_saveexec_b64 s[4:5], s[2:3]
	s_cbranch_execnz .LBB262_369
.LBB262_340:
	s_endpgm
.LBB262_341:
	s_and_b64 vcc, exec, s[0:1]
	s_cbranch_vccnz .LBB262_343
; %bb.342:
	v_lshl_add_u64 v[22:23], v[32:33], 1, v[20:21]
	flat_load_ushort v22, v[22:23]
	s_waitcnt vmcnt(0) lgkmcnt(0)
	v_mul_f16_e32 v22, s33, v22
	s_branch .LBB262_344
.LBB262_343:
	v_mov_b32_e32 v22, 0
.LBB262_344:
	v_pk_add_f16 v16, v16, v6
	v_pk_max_f16 v23, v58, v58
	v_pk_add_f16 v17, v17, v7
	v_pk_min_f16 v16, v23, v16
	s_nop 0
	v_pk_min_f16 v16, v16, v17
	s_nop 0
	v_lshrrev_b32_e32 v17, 16, v16
	v_min3_f16 v22, v22, v16, v17
	v_lshl_add_u64 v[16:17], v[32:33], 1, v[4:5]
	global_store_short v[16:17], v22, off
	s_or_b64 exec, exec, s[2:3]
	s_and_b64 s[4:5], s[4:5], s[18:19]
	s_and_saveexec_b64 s[2:3], s[4:5]
	s_cbranch_execz .LBB262_334
.LBB262_345:
	s_and_b64 vcc, exec, s[0:1]
	s_cbranch_vccnz .LBB262_347
; %bb.346:
	v_lshl_add_u64 v[16:17], v[34:35], 1, v[20:21]
	flat_load_ushort v16, v[16:17]
	s_waitcnt vmcnt(0) lgkmcnt(0)
	v_mul_f16_e32 v16, s33, v16
	s_branch .LBB262_348
.LBB262_347:
	v_mov_b32_e32 v16, 0
.LBB262_348:
	v_pk_add_f16 v17, v18, v6
	v_pk_max_f16 v18, v57, v57
	s_nop 0
	v_pk_min_f16 v17, v18, v17
	v_pk_add_f16 v18, v19, v7
	s_nop 0
	v_pk_min_f16 v17, v17, v18
	s_nop 0
	v_lshrrev_b32_e32 v18, 16, v17
	v_min3_f16 v18, v16, v17, v18
	v_lshl_add_u64 v[16:17], v[34:35], 1, v[4:5]
	global_store_short v[16:17], v18, off
	s_or_b64 exec, exec, s[2:3]
	s_and_b64 s[4:5], s[6:7], s[18:19]
	s_and_saveexec_b64 s[2:3], s[4:5]
	s_cbranch_execz .LBB262_335
.LBB262_349:
	s_and_b64 vcc, exec, s[0:1]
	s_cbranch_vccnz .LBB262_351
; %bb.350:
	v_lshl_add_u64 v[16:17], v[36:37], 1, v[20:21]
	flat_load_ushort v16, v[16:17]
	s_waitcnt vmcnt(0) lgkmcnt(0)
	v_mul_f16_e32 v16, s33, v16
	s_branch .LBB262_352
.LBB262_351:
	v_mov_b32_e32 v16, 0
.LBB262_352:
	v_pk_add_f16 v12, v12, v6
	v_pk_max_f16 v17, v56, v56
	v_pk_add_f16 v13, v13, v7
	v_pk_min_f16 v12, v17, v12
	s_nop 0
	v_pk_min_f16 v12, v12, v13
	s_nop 0
	v_lshrrev_b32_e32 v13, 16, v12
	v_min3_f16 v16, v16, v12, v13
	v_lshl_add_u64 v[12:13], v[36:37], 1, v[4:5]
	global_store_short v[12:13], v16, off
	s_or_b64 exec, exec, s[2:3]
	s_and_b64 s[4:5], s[8:9], s[18:19]
	s_and_saveexec_b64 s[2:3], s[4:5]
	s_cbranch_execz .LBB262_336
.LBB262_353:
	s_and_b64 vcc, exec, s[0:1]
	s_cbranch_vccnz .LBB262_355
; %bb.354:
	v_lshl_add_u64 v[12:13], v[38:39], 1, v[20:21]
	flat_load_ushort v12, v[12:13]
	s_waitcnt vmcnt(0) lgkmcnt(0)
	v_mul_f16_e32 v12, s33, v12
	s_branch .LBB262_356
.LBB262_355:
	v_mov_b32_e32 v12, 0
.LBB262_356:
	v_pk_add_f16 v13, v14, v6
	v_pk_max_f16 v14, v55, v55
	s_nop 0
	v_pk_min_f16 v13, v14, v13
	v_pk_add_f16 v14, v15, v7
	s_nop 0
	v_pk_min_f16 v13, v13, v14
	s_nop 0
	v_lshrrev_b32_e32 v14, 16, v13
	v_min3_f16 v14, v12, v13, v14
	v_lshl_add_u64 v[12:13], v[38:39], 1, v[4:5]
	global_store_short v[12:13], v14, off
	s_or_b64 exec, exec, s[2:3]
	s_and_b64 s[4:5], s[10:11], s[18:19]
	s_and_saveexec_b64 s[2:3], s[4:5]
	s_cbranch_execz .LBB262_337
.LBB262_357:
	s_and_b64 vcc, exec, s[0:1]
	s_cbranch_vccnz .LBB262_359
; %bb.358:
	v_lshl_add_u64 v[12:13], v[40:41], 1, v[20:21]
	flat_load_ushort v12, v[12:13]
	s_waitcnt vmcnt(0) lgkmcnt(0)
	v_mul_f16_e32 v12, s33, v12
	s_branch .LBB262_360
.LBB262_359:
	v_mov_b32_e32 v12, 0
.LBB262_360:
	v_pk_add_f16 v8, v8, v6
	v_pk_max_f16 v13, v54, v54
	v_pk_add_f16 v9, v9, v7
	v_pk_min_f16 v8, v13, v8
	s_nop 0
	v_pk_min_f16 v8, v8, v9
	s_nop 0
	v_lshrrev_b32_e32 v9, 16, v8
	v_min3_f16 v12, v12, v8, v9
	v_lshl_add_u64 v[8:9], v[40:41], 1, v[4:5]
	global_store_short v[8:9], v12, off
	s_or_b64 exec, exec, s[2:3]
	s_and_b64 s[4:5], s[12:13], s[18:19]
	s_and_saveexec_b64 s[2:3], s[4:5]
	s_cbranch_execz .LBB262_338
.LBB262_361:
	s_and_b64 vcc, exec, s[0:1]
	s_cbranch_vccnz .LBB262_363
; %bb.362:
	v_lshl_add_u64 v[8:9], v[42:43], 1, v[20:21]
	flat_load_ushort v8, v[8:9]
	s_waitcnt vmcnt(0) lgkmcnt(0)
	v_mul_f16_e32 v8, s33, v8
	s_branch .LBB262_364
.LBB262_363:
	v_mov_b32_e32 v8, 0
.LBB262_364:
	v_pk_add_f16 v9, v10, v6
	v_pk_max_f16 v10, v53, v53
	s_nop 0
	v_pk_min_f16 v9, v10, v9
	v_pk_add_f16 v10, v11, v7
	s_nop 0
	v_pk_min_f16 v9, v9, v10
	s_nop 0
	v_lshrrev_b32_e32 v10, 16, v9
	v_min3_f16 v10, v8, v9, v10
	v_lshl_add_u64 v[8:9], v[42:43], 1, v[4:5]
	global_store_short v[8:9], v10, off
	s_or_b64 exec, exec, s[2:3]
	s_and_b64 s[4:5], s[14:15], s[18:19]
	s_and_saveexec_b64 s[2:3], s[4:5]
	s_cbranch_execz .LBB262_339
.LBB262_365:
	s_and_b64 vcc, exec, s[0:1]
	s_cbranch_vccnz .LBB262_367
; %bb.366:
	v_lshl_add_u64 v[8:9], v[44:45], 1, v[20:21]
	flat_load_ushort v8, v[8:9]
	s_waitcnt vmcnt(0) lgkmcnt(0)
	v_mul_f16_e32 v8, s33, v8
	s_branch .LBB262_368
.LBB262_367:
	v_mov_b32_e32 v8, 0
.LBB262_368:
	v_pk_add_f16 v0, v0, v6
	v_pk_max_f16 v9, v52, v52
	v_pk_add_f16 v1, v1, v7
	v_pk_min_f16 v0, v9, v0
	s_nop 0
	v_pk_min_f16 v0, v0, v1
	s_nop 0
	v_lshrrev_b32_e32 v1, 16, v0
	v_min3_f16 v8, v8, v0, v1
	v_lshl_add_u64 v[0:1], v[44:45], 1, v[4:5]
	global_store_short v[0:1], v8, off
	s_or_b64 exec, exec, s[2:3]
	s_and_b64 s[2:3], s[16:17], s[18:19]
	s_and_saveexec_b64 s[4:5], s[2:3]
	s_cbranch_execz .LBB262_340
.LBB262_369:
	s_and_b64 vcc, exec, s[0:1]
	s_cbranch_vccnz .LBB262_371
; %bb.370:
	v_lshl_add_u64 v[0:1], v[46:47], 1, v[20:21]
	flat_load_ushort v0, v[0:1]
	s_waitcnt vmcnt(0) lgkmcnt(0)
	v_mul_f16_e32 v0, s33, v0
	s_branch .LBB262_372
.LBB262_371:
	v_mov_b32_e32 v0, 0
.LBB262_372:
	v_pk_add_f16 v1, v2, v6
	v_pk_max_f16 v2, v61, v61
	s_nop 0
	v_pk_min_f16 v1, v2, v1
	v_pk_add_f16 v2, v3, v7
	s_nop 0
	v_pk_min_f16 v1, v1, v2
	s_nop 0
	v_lshrrev_b32_e32 v2, 16, v1
	v_min3_f16 v2, v0, v1, v2
	v_lshl_add_u64 v[0:1], v[46:47], 1, v[4:5]
	global_store_short v[0:1], v2, off
	s_endpgm
	.section	.rodata,"a",@progbits
	.p2align	6, 0x0
	.amdhsa_kernel _ZN12_GLOBAL__N_120geam_min_plus_kernelIDF16_Dv2_DF16_S1_Li32ELi8ELi256ELi64ELi4ELi64ELi4ELi4ELi64ELc78ELc78ELb1ELb1ELb1EDF16_KDF16_DF16_EEviiiT16_PT17_ilS5_ilS3_S5_ilPT18_ili26rocblas_geam_ex_operation_
		.amdhsa_group_segment_fixed_size 5120
		.amdhsa_private_segment_fixed_size 0
		.amdhsa_kernarg_size 128
		.amdhsa_user_sgpr_count 2
		.amdhsa_user_sgpr_dispatch_ptr 0
		.amdhsa_user_sgpr_queue_ptr 0
		.amdhsa_user_sgpr_kernarg_segment_ptr 1
		.amdhsa_user_sgpr_dispatch_id 0
		.amdhsa_user_sgpr_kernarg_preload_length 0
		.amdhsa_user_sgpr_kernarg_preload_offset 0
		.amdhsa_user_sgpr_private_segment_size 0
		.amdhsa_uses_dynamic_stack 0
		.amdhsa_enable_private_segment 0
		.amdhsa_system_sgpr_workgroup_id_x 1
		.amdhsa_system_sgpr_workgroup_id_y 0
		.amdhsa_system_sgpr_workgroup_id_z 1
		.amdhsa_system_sgpr_workgroup_info 0
		.amdhsa_system_vgpr_workitem_id 1
		.amdhsa_next_free_vgpr 166
		.amdhsa_next_free_sgpr 38
		.amdhsa_accum_offset 168
		.amdhsa_reserve_vcc 1
		.amdhsa_float_round_mode_32 0
		.amdhsa_float_round_mode_16_64 0
		.amdhsa_float_denorm_mode_32 3
		.amdhsa_float_denorm_mode_16_64 3
		.amdhsa_dx10_clamp 1
		.amdhsa_ieee_mode 1
		.amdhsa_fp16_overflow 0
		.amdhsa_tg_split 0
		.amdhsa_exception_fp_ieee_invalid_op 0
		.amdhsa_exception_fp_denorm_src 0
		.amdhsa_exception_fp_ieee_div_zero 0
		.amdhsa_exception_fp_ieee_overflow 0
		.amdhsa_exception_fp_ieee_underflow 0
		.amdhsa_exception_fp_ieee_inexact 0
		.amdhsa_exception_int_div_zero 0
	.end_amdhsa_kernel
	.section	.text._ZN12_GLOBAL__N_120geam_min_plus_kernelIDF16_Dv2_DF16_S1_Li32ELi8ELi256ELi64ELi4ELi64ELi4ELi4ELi64ELc78ELc78ELb1ELb1ELb1EDF16_KDF16_DF16_EEviiiT16_PT17_ilS5_ilS3_S5_ilPT18_ili26rocblas_geam_ex_operation_,"axG",@progbits,_ZN12_GLOBAL__N_120geam_min_plus_kernelIDF16_Dv2_DF16_S1_Li32ELi8ELi256ELi64ELi4ELi64ELi4ELi4ELi64ELc78ELc78ELb1ELb1ELb1EDF16_KDF16_DF16_EEviiiT16_PT17_ilS5_ilS3_S5_ilPT18_ili26rocblas_geam_ex_operation_,comdat
.Lfunc_end262:
	.size	_ZN12_GLOBAL__N_120geam_min_plus_kernelIDF16_Dv2_DF16_S1_Li32ELi8ELi256ELi64ELi4ELi64ELi4ELi4ELi64ELc78ELc78ELb1ELb1ELb1EDF16_KDF16_DF16_EEviiiT16_PT17_ilS5_ilS3_S5_ilPT18_ili26rocblas_geam_ex_operation_, .Lfunc_end262-_ZN12_GLOBAL__N_120geam_min_plus_kernelIDF16_Dv2_DF16_S1_Li32ELi8ELi256ELi64ELi4ELi64ELi4ELi4ELi64ELc78ELc78ELb1ELb1ELb1EDF16_KDF16_DF16_EEviiiT16_PT17_ilS5_ilS3_S5_ilPT18_ili26rocblas_geam_ex_operation_
                                        ; -- End function
	.section	.AMDGPU.csdata,"",@progbits
; Kernel info:
; codeLenInByte = 19784
; NumSgprs: 44
; NumVgprs: 166
; NumAgprs: 0
; TotalNumVgprs: 166
; ScratchSize: 0
; MemoryBound: 0
; FloatMode: 240
; IeeeMode: 1
; LDSByteSize: 5120 bytes/workgroup (compile time only)
; SGPRBlocks: 5
; VGPRBlocks: 20
; NumSGPRsForWavesPerEU: 44
; NumVGPRsForWavesPerEU: 166
; AccumOffset: 168
; Occupancy: 3
; WaveLimiterHint : 0
; COMPUTE_PGM_RSRC2:SCRATCH_EN: 0
; COMPUTE_PGM_RSRC2:USER_SGPR: 2
; COMPUTE_PGM_RSRC2:TRAP_HANDLER: 0
; COMPUTE_PGM_RSRC2:TGID_X_EN: 1
; COMPUTE_PGM_RSRC2:TGID_Y_EN: 0
; COMPUTE_PGM_RSRC2:TGID_Z_EN: 1
; COMPUTE_PGM_RSRC2:TIDIG_COMP_CNT: 1
; COMPUTE_PGM_RSRC3_GFX90A:ACCUM_OFFSET: 41
; COMPUTE_PGM_RSRC3_GFX90A:TG_SPLIT: 0
	.section	.text._ZN12_GLOBAL__N_120geam_min_plus_kernelIDF16_Dv2_DF16_S1_Li32ELi8ELi256ELi64ELi4ELi64ELi4ELi4ELi64ELc78ELc78ELb0ELb1ELb1EDF16_KDF16_DF16_EEviiiT16_PT17_ilS5_ilS3_S5_ilPT18_ili26rocblas_geam_ex_operation_,"axG",@progbits,_ZN12_GLOBAL__N_120geam_min_plus_kernelIDF16_Dv2_DF16_S1_Li32ELi8ELi256ELi64ELi4ELi64ELi4ELi4ELi64ELc78ELc78ELb0ELb1ELb1EDF16_KDF16_DF16_EEviiiT16_PT17_ilS5_ilS3_S5_ilPT18_ili26rocblas_geam_ex_operation_,comdat
	.globl	_ZN12_GLOBAL__N_120geam_min_plus_kernelIDF16_Dv2_DF16_S1_Li32ELi8ELi256ELi64ELi4ELi64ELi4ELi4ELi64ELc78ELc78ELb0ELb1ELb1EDF16_KDF16_DF16_EEviiiT16_PT17_ilS5_ilS3_S5_ilPT18_ili26rocblas_geam_ex_operation_ ; -- Begin function _ZN12_GLOBAL__N_120geam_min_plus_kernelIDF16_Dv2_DF16_S1_Li32ELi8ELi256ELi64ELi4ELi64ELi4ELi4ELi64ELc78ELc78ELb0ELb1ELb1EDF16_KDF16_DF16_EEviiiT16_PT17_ilS5_ilS3_S5_ilPT18_ili26rocblas_geam_ex_operation_
	.p2align	8
	.type	_ZN12_GLOBAL__N_120geam_min_plus_kernelIDF16_Dv2_DF16_S1_Li32ELi8ELi256ELi64ELi4ELi64ELi4ELi4ELi64ELc78ELc78ELb0ELb1ELb1EDF16_KDF16_DF16_EEviiiT16_PT17_ilS5_ilS3_S5_ilPT18_ili26rocblas_geam_ex_operation_,@function
_ZN12_GLOBAL__N_120geam_min_plus_kernelIDF16_Dv2_DF16_S1_Li32ELi8ELi256ELi64ELi4ELi64ELi4ELi4ELi64ELc78ELc78ELb0ELb1ELb1EDF16_KDF16_DF16_EEviiiT16_PT17_ilS5_ilS3_S5_ilPT18_ili26rocblas_geam_ex_operation_: ; @_ZN12_GLOBAL__N_120geam_min_plus_kernelIDF16_Dv2_DF16_S1_Li32ELi8ELi256ELi64ELi4ELi64ELi4ELi4ELi64ELc78ELc78ELb0ELb1ELb1EDF16_KDF16_DF16_EEviiiT16_PT17_ilS5_ilS3_S5_ilPT18_ili26rocblas_geam_ex_operation_
; %bb.0:
	s_load_dwordx4 s[20:23], s[0:1], 0x0
	s_load_dwordx4 s[4:7], s[0:1], 0x20
	s_waitcnt lgkmcnt(0)
	v_cmp_eq_f16_e64 s[8:9], s23, 0
	s_and_b64 vcc, exec, s[8:9]
	s_cbranch_vccnz .LBB263_3
; %bb.1:
	s_load_dwordx2 s[10:11], s[0:1], 0x10
	s_mul_i32 s5, s3, s5
	s_mul_hi_u32 s12, s3, s4
	s_add_i32 s5, s12, s5
	s_mul_i32 s4, s3, s4
	s_lshl_b64 s[4:5], s[4:5], 1
	s_waitcnt lgkmcnt(0)
	s_add_u32 s30, s10, s4
	s_addc_u32 s31, s11, s5
	s_andn2_b64 vcc, exec, s[8:9]
	s_cbranch_vccnz .LBB263_4
.LBB263_2:
	s_mov_b32 s29, 0
	s_mov_b64 s[34:35], 0
	s_cbranch_execz .LBB263_5
	s_branch .LBB263_6
.LBB263_3:
	s_mov_b64 s[30:31], 0
	s_andn2_b64 vcc, exec, s[8:9]
	s_cbranch_vccz .LBB263_2
.LBB263_4:
                                        ; implicit-def: $sgpr34_sgpr35
                                        ; implicit-def: $sgpr28_sgpr29
.LBB263_5:
	s_load_dwordx2 s[4:5], s[0:1], 0x38
	s_mov_b32 s29, 0
	s_waitcnt lgkmcnt(0)
	s_mul_i32 s5, s3, s5
	s_mul_hi_u32 s8, s3, s4
	s_add_i32 s5, s8, s5
	s_mul_i32 s4, s3, s4
	s_lshl_b64 s[4:5], s[4:5], 1
	s_add_u32 s34, s6, s4
	s_addc_u32 s35, s7, s5
.LBB263_6:
	s_load_dword s28, s[0:1], 0x40
	s_load_dwordx4 s[16:19], s[0:1], 0x58
	s_waitcnt lgkmcnt(0)
	v_cmp_eq_f16_e64 s[4:5], s28, 0
	v_cmp_neq_f16_e64 s[26:27], s28, 0
	s_and_b64 vcc, exec, s[4:5]
	s_cbranch_vccnz .LBB263_8
; %bb.7:
	s_load_dwordx2 s[4:5], s[0:1], 0x48
	s_mul_i32 s6, s3, s17
	s_mul_hi_u32 s7, s3, s16
	s_add_i32 s6, s7, s6
	s_mul_i32 s7, s29, s16
	s_add_i32 s7, s6, s7
	s_mul_i32 s6, s3, s16
	s_lshl_b64 s[6:7], s[6:7], 1
	s_waitcnt lgkmcnt(0)
	s_add_u32 s24, s4, s6
	s_addc_u32 s25, s5, s7
	s_branch .LBB263_9
.LBB263_8:
	s_mov_b64 s[24:25], 0
.LBB263_9:
	s_add_i32 s10, s20, -1
	s_ashr_i32 s4, s10, 31
	s_lshr_b32 s4, s4, 24
	s_add_i32 s4, s10, s4
	s_ashr_i32 s4, s4, 8
	s_add_i32 s5, s4, 1
	v_cvt_f32_u32_e32 v1, s5
	v_and_b32_e32 v44, 0x3ff, v0
	v_bfe_u32 v45, v0, 10, 10
	s_not_b32 s4, s4
	v_rcp_iflag_f32_e32 v1, v1
	s_load_dword s36, s[0:1], 0x18
	v_lshl_add_u32 v7, v45, 5, v44
	v_and_b32_e32 v2, 63, v7
	v_mul_f32_e32 v0, 0x4f7ffffe, v1
	v_cvt_u32_f32_e32 v0, v0
	v_lshrrev_b32_e32 v46, 6, v7
	v_cmp_eq_f16_e64 s[16:17], s23, 0
	v_mov_b32_e32 v4, 0x7c00
	v_readfirstlane_b32 s6, v0
	s_mul_i32 s4, s4, s6
	s_mul_hi_u32 s4, s6, s4
	s_add_i32 s6, s6, s4
	s_mul_hi_u32 s4, s2, s6
	s_mul_i32 s6, s4, s5
	s_sub_i32 s6, s2, s6
	s_add_i32 s7, s4, 1
	s_sub_i32 s8, s6, s5
	s_cmp_ge_u32 s6, s5
	s_cselect_b32 s4, s7, s4
	s_cselect_b32 s6, s8, s6
	s_add_i32 s7, s4, 1
	s_cmp_ge_u32 s6, s5
	s_cselect_b32 s11, s7, s4
	s_mul_i32 s4, s11, s5
	s_sub_i32 s2, s2, s4
	s_lshl_b32 s2, s2, 8
	s_add_i32 s37, s22, -1
	v_or_b32_e32 v32, s2, v2
	v_min_i32_e32 v0, s37, v46
	v_cmp_le_i32_e64 s[8:9], s22, v46
	s_waitcnt lgkmcnt(0)
	v_mad_i64_i32 v[0:1], s[4:5], s36, v0, 0
	v_cmp_le_i32_e32 vcc, s20, v32
	s_or_b64 s[4:5], vcc, s[8:9]
	v_cndmask_b32_e64 v3, 0, v4, s[4:5]
	s_or_b64 s[4:5], s[16:17], s[4:5]
	v_lshl_add_u64 v[0:1], v[0:1], 1, s[30:31]
	s_xor_b64 s[6:7], s[4:5], -1
	v_ashrrev_i32_e32 v33, 31, v32
	s_and_saveexec_b64 s[4:5], s[6:7]
	s_cbranch_execz .LBB263_11
; %bb.10:
	v_lshl_add_u64 v[8:9], v[32:33], 1, v[0:1]
	flat_load_ushort v3, v[8:9]
	s_waitcnt vmcnt(0) lgkmcnt(0)
	v_mul_f16_e32 v3, s23, v3
.LBB263_11:
	s_or_b64 exec, exec, s[4:5]
	v_or_b32_e32 v5, 64, v32
	v_cmp_le_i32_e64 s[12:13], s20, v5
	s_or_b64 s[4:5], s[12:13], s[8:9]
	v_min_i32_e32 v34, s10, v5
	v_cndmask_b32_e64 v4, 0, v4, s[4:5]
	s_or_b64 s[4:5], s[16:17], s[4:5]
	s_xor_b64 s[6:7], s[4:5], -1
	v_ashrrev_i32_e32 v35, 31, v34
	s_and_saveexec_b64 s[4:5], s[6:7]
	s_cbranch_execz .LBB263_13
; %bb.12:
	v_lshl_add_u64 v[4:5], v[34:35], 1, v[0:1]
	flat_load_ushort v4, v[4:5]
	s_waitcnt vmcnt(0) lgkmcnt(0)
	v_mul_f16_e32 v4, s23, v4
.LBB263_13:
	s_or_b64 exec, exec, s[4:5]
	v_or_b32_e32 v5, 0x80, v32
	v_cmp_le_i32_e64 s[4:5], s20, v5
	v_mov_b32_e32 v6, 0x7c00
	s_or_b64 s[6:7], s[4:5], s[8:9]
	v_min_i32_e32 v36, s10, v5
	v_cndmask_b32_e64 v5, 0, v6, s[6:7]
	s_or_b64 s[6:7], s[16:17], s[6:7]
	s_xor_b64 s[14:15], s[6:7], -1
	v_ashrrev_i32_e32 v37, 31, v36
	s_and_saveexec_b64 s[6:7], s[14:15]
	s_cbranch_execz .LBB263_15
; %bb.14:
	v_lshl_add_u64 v[8:9], v[36:37], 1, v[0:1]
	flat_load_ushort v5, v[8:9]
	s_waitcnt vmcnt(0) lgkmcnt(0)
	v_mul_f16_e32 v5, s23, v5
.LBB263_15:
	s_or_b64 exec, exec, s[6:7]
	v_or_b32_e32 v8, 0xc0, v32
	v_cmp_le_i32_e64 s[6:7], s20, v8
	s_or_b64 s[8:9], s[6:7], s[8:9]
	v_min_i32_e32 v38, s10, v8
	v_cndmask_b32_e64 v6, 0, v6, s[8:9]
	s_or_b64 s[8:9], s[16:17], s[8:9]
	s_xor_b64 s[14:15], s[8:9], -1
	v_ashrrev_i32_e32 v39, 31, v38
	s_and_saveexec_b64 s[8:9], s[14:15]
	s_cbranch_execz .LBB263_17
; %bb.16:
	v_lshl_add_u64 v[0:1], v[38:39], 1, v[0:1]
	flat_load_ushort v0, v[0:1]
	s_waitcnt vmcnt(0) lgkmcnt(0)
	v_mul_f16_e32 v6, s23, v0
.LBB263_17:
	s_or_b64 exec, exec, s[8:9]
	v_lshrrev_b32_e32 v7, 2, v7
	s_lshl_b32 s33, s11, 6
	s_load_dword s38, s[0:1], 0x30
	v_and_b32_e32 v49, 3, v44
	v_add_u32_e32 v41, s33, v7
	v_cmp_le_i32_e64 s[10:11], s22, v49
	v_cmp_le_i32_e64 s[8:9], s21, v41
	v_mov_b32_e32 v9, 0x7c00
	s_or_b64 s[10:11], s[10:11], s[8:9]
	v_cndmask_b32_e64 v8, 0, v9, s[10:11]
	s_or_b64 s[10:11], s[16:17], s[10:11]
	s_xor_b64 s[14:15], s[10:11], -1
	s_and_saveexec_b64 s[10:11], s[14:15]
	s_cbranch_execz .LBB263_19
; %bb.18:
	v_min_u32_e32 v8, s37, v49
	s_waitcnt lgkmcnt(0)
	v_mad_i64_i32 v[0:1], s[14:15], v41, s38, 0
	v_lshl_add_u64 v[0:1], v[0:1], 1, s[34:35]
	v_lshlrev_b32_e32 v10, 1, v8
	v_mov_b32_e32 v11, 0
	v_lshl_add_u64 v[0:1], v[0:1], 0, v[10:11]
	flat_load_ushort v0, v[0:1]
	s_waitcnt vmcnt(0) lgkmcnt(0)
	v_mul_f16_e32 v8, s23, v0
.LBB263_19:
	s_or_b64 exec, exec, s[10:11]
	v_add_u32_e32 v0, 4, v46
	v_cmp_le_i32_e64 s[10:11], s22, v0
	v_min_i32_e32 v0, s37, v0
	v_mad_i64_i32 v[0:1], s[14:15], s36, v0, 0
	s_or_b64 s[14:15], vcc, s[10:11]
	s_nop 0
	v_cndmask_b32_e64 v42, 0, v9, s[14:15]
	s_or_b64 s[14:15], s[16:17], s[14:15]
	v_lshl_add_u64 v[0:1], v[0:1], 1, s[30:31]
	s_xor_b64 s[40:41], s[14:15], -1
	s_and_saveexec_b64 s[14:15], s[40:41]
	s_cbranch_execz .LBB263_21
; %bb.20:
	v_lshl_add_u64 v[10:11], v[32:33], 1, v[0:1]
	flat_load_ushort v9, v[10:11]
	s_waitcnt vmcnt(0) lgkmcnt(0)
	v_mul_f16_e32 v42, s23, v9
.LBB263_21:
	s_or_b64 exec, exec, s[14:15]
	v_mov_b32_e32 v9, 0x7c00
	s_or_b64 s[14:15], s[12:13], s[10:11]
	v_cndmask_b32_e64 v43, 0, v9, s[14:15]
	s_or_b64 s[14:15], s[16:17], s[14:15]
	s_xor_b64 s[40:41], s[14:15], -1
	s_and_saveexec_b64 s[14:15], s[40:41]
	s_cbranch_execz .LBB263_23
; %bb.22:
	v_lshl_add_u64 v[10:11], v[34:35], 1, v[0:1]
	flat_load_ushort v10, v[10:11]
	s_waitcnt vmcnt(0) lgkmcnt(0)
	v_mul_f16_e32 v43, s23, v10
.LBB263_23:
	s_or_b64 exec, exec, s[14:15]
	s_or_b64 s[14:15], s[4:5], s[10:11]
	v_cndmask_b32_e64 v100, 0, v9, s[14:15]
	s_or_b64 s[14:15], s[16:17], s[14:15]
	s_xor_b64 s[40:41], s[14:15], -1
	s_and_saveexec_b64 s[14:15], s[40:41]
	s_cbranch_execz .LBB263_25
; %bb.24:
	v_lshl_add_u64 v[10:11], v[36:37], 1, v[0:1]
	flat_load_ushort v9, v[10:11]
	s_waitcnt vmcnt(0) lgkmcnt(0)
	v_mul_f16_e32 v100, s23, v9
.LBB263_25:
	s_or_b64 exec, exec, s[14:15]
	v_mov_b32_e32 v9, 0x7c00
	s_or_b64 s[10:11], s[6:7], s[10:11]
	v_cndmask_b32_e64 v117, 0, v9, s[10:11]
	s_or_b64 s[10:11], s[16:17], s[10:11]
	s_xor_b64 s[14:15], s[10:11], -1
	s_and_saveexec_b64 s[10:11], s[14:15]
	s_cbranch_execz .LBB263_27
; %bb.26:
	v_lshl_add_u64 v[0:1], v[38:39], 1, v[0:1]
	flat_load_ushort v0, v[0:1]
	s_waitcnt vmcnt(0) lgkmcnt(0)
	v_mul_f16_e32 v117, s23, v0
.LBB263_27:
	s_or_b64 exec, exec, s[10:11]
	v_or_b32_e32 v0, 4, v49
	v_cmp_le_i32_e64 s[10:11], s22, v0
	s_or_b64 s[10:11], s[10:11], s[8:9]
	s_movk_i32 s14, 0x7c00
	v_cndmask_b32_e64 v118, 0, v9, s[10:11]
	s_or_b64 s[10:11], s[16:17], s[10:11]
	s_xor_b64 s[40:41], s[10:11], -1
	s_and_saveexec_b64 s[10:11], s[40:41]
	s_cbranch_execz .LBB263_29
; %bb.28:
	v_min_u32_e32 v9, s37, v0
	s_waitcnt lgkmcnt(0)
	v_mad_i64_i32 v[0:1], s[40:41], v41, s38, 0
	v_lshl_add_u64 v[0:1], v[0:1], 1, s[34:35]
	v_lshlrev_b32_e32 v10, 1, v9
	v_mov_b32_e32 v11, 0
	v_lshl_add_u64 v[0:1], v[0:1], 0, v[10:11]
	flat_load_ushort v0, v[0:1]
	s_waitcnt vmcnt(0) lgkmcnt(0)
	v_mul_f16_e32 v118, s23, v0
.LBB263_29:
	s_or_b64 exec, exec, s[10:11]
	v_lshlrev_b32_e32 v0, 1, v46
	v_lshlrev_b32_e32 v40, 1, v49
	;; [unrolled: 1-line block ×3, first 2 shown]
	v_lshl_add_u32 v50, v2, 3, v0
	v_lshl_or_b32 v119, v7, 3, v40
	v_lshlrev_b32_e32 v47, 3, v44
	v_add_u32_e32 v51, 0x1000, v48
	ds_write_b16 v50, v3
	ds_write_b16 v50, v4 offset:512
	ds_write_b16 v50, v5 offset:1024
	;; [unrolled: 1-line block ×4, first 2 shown]
	s_waitcnt lgkmcnt(0)
	s_barrier
	ds_read2_b64 v[16:19], v47 offset1:32
	ds_read2_b64 v[12:15], v47 offset0:64 offset1:96
	ds_read2_b64 v[4:7], v47 offset0:128 offset1:160
	ds_read2_b64 v[28:31], v51 offset1:8
	ds_read2_b64 v[0:3], v47 offset0:192 offset1:224
	ds_read2_b64 v[24:27], v51 offset0:16 offset1:24
	;; [unrolled: 1-line block ×4, first 2 shown]
	s_cmp_lt_i32 s22, 9
	s_waitcnt lgkmcnt(4)
	v_pk_add_f16 v52, v16, v28
	v_pk_add_f16 v59, v16, v30
	s_waitcnt lgkmcnt(1)
	v_pk_add_f16 v82, v12, v20
	v_pk_add_f16 v66, v16, v24
	v_pk_min_f16 v120, v82, s14 op_sel_hi:[1,0]
	v_pk_add_f16 v82, v14, v20
	v_pk_add_f16 v73, v16, v26
	v_pk_min_f16 v121, v82, s14 op_sel_hi:[1,0]
	;; [unrolled: 3-line block ×12, first 2 shown]
	s_waitcnt lgkmcnt(0)
	v_pk_add_f16 v82, v16, v8
	v_pk_add_f16 v68, v12, v24
	v_pk_min_f16 v132, v82, s14 op_sel_hi:[1,0]
	v_pk_add_f16 v82, v18, v8
	v_pk_add_f16 v70, v4, v24
	v_pk_min_f16 v133, v82, s14 op_sel_hi:[1,0]
	;; [unrolled: 3-line block ×6, first 2 shown]
	v_pk_add_f16 v82, v0, v8
	v_pk_add_f16 v8, v2, v8
	v_pk_add_f16 v58, v0, v28
	v_pk_min_f16 v139, v8, s14 op_sel_hi:[1,0]
	v_pk_add_f16 v8, v16, v10
	v_pk_add_f16 v62, v14, v30
	v_pk_min_f16 v16, v8, s14 op_sel_hi:[1,0]
	v_pk_add_f16 v8, v18, v10
	v_pk_add_f16 v65, v0, v30
	;; [unrolled: 3-line block ×4, first 2 shown]
	v_pk_add_f16 v76, v14, v26
	v_pk_add_f16 v79, v0, v26
	v_pk_min_f16 v14, v8, s14 op_sel_hi:[1,0]
	v_pk_min_f16 v8, v4, s14 op_sel_hi:[1,0]
	v_pk_add_f16 v4, v6, v10
	v_pk_add_f16 v0, v0, v10
	v_pk_min_f16 v52, v52, s14 op_sel_hi:[1,0]
	v_pk_add_f16 v57, v6, v28
	v_pk_add_f16 v28, v2, v28
	;; [unrolled: 1-line block ×10, first 2 shown]
	v_pk_min_f16 v6, v4, s14 op_sel_hi:[1,0]
	v_pk_min_f16 v4, v0, s14 op_sel_hi:[1,0]
	v_pk_add_f16 v0, v2, v10
	v_pk_add_f16 v2, v17, v29
	v_pk_min_f16 v53, v53, s14 op_sel_hi:[1,0]
	v_pk_min_f16 v116, v52, v2
	v_pk_add_f16 v2, v19, v29
	v_pk_min_f16 v54, v54, s14 op_sel_hi:[1,0]
	v_pk_min_f16 v115, v53, v2
	;; [unrolled: 3-line block ×37, first 2 shown]
	v_pk_add_f16 v2, v7, v21
	ds_write_b16 v50, v42 offset:2048
	ds_write_b16 v50, v43 offset:2560
	;; [unrolled: 1-line block ×5, first 2 shown]
	v_pk_min_f16 v78, v123, v2
	v_pk_add_f16 v2, v1, v21
	s_waitcnt lgkmcnt(0)
	v_pk_min_f16 v77, v124, v2
	v_pk_add_f16 v2, v3, v21
	s_barrier
	v_pk_min_f16 v76, v20, v2
	v_pk_add_f16 v2, v17, v23
	s_nop 0
	v_pk_min_f16 v75, v125, v2
	v_pk_add_f16 v2, v19, v23
	s_nop 0
	;; [unrolled: 3-line block ×14, first 2 shown]
	v_pk_min_f16 v62, v137, v2
	v_pk_add_f16 v2, v1, v9
	v_pk_add_f16 v1, v1, v11
	v_pk_min_f16 v60, v138, v2
	v_pk_add_f16 v2, v3, v9
	v_pk_min_f16 v52, v4, v1
	v_pk_min_f16 v59, v139, v2
	v_pk_add_f16 v2, v17, v11
	v_pk_add_f16 v1, v3, v11
	v_pk_min_f16 v58, v16, v2
	v_pk_add_f16 v2, v19, v11
	v_pk_min_f16 v61, v0, v1
	v_pk_min_f16 v57, v18, v2
	v_pk_add_f16 v2, v13, v11
	s_nop 0
	v_pk_min_f16 v56, v12, v2
	v_pk_add_f16 v2, v15, v11
	s_nop 0
	;; [unrolled: 3-line block ×4, first 2 shown]
	v_pk_min_f16 v53, v6, v2
	s_cbranch_scc1 .LBB263_52
; %bb.30:
	v_mov_b32_e32 v0, 0x800
	v_add_u32_e32 v100, 0x1000, v119
	v_add_u32_e32 v118, 0x1200, v119
	v_lshl_add_u32 v119, v44, 3, v0
	v_mov_b32_e32 v0, 0x1200
	v_lshl_add_u32 v120, v45, 3, v0
	v_mad_i64_i32 v[0:1], s[10:11], s38, v41, 0
	v_mov_b32_e32 v41, 0
	v_lshl_add_u64 v[0:1], v[0:1], 1, v[40:41]
	v_lshl_add_u64 v[0:1], v[0:1], 0, s[34:35]
	v_add_u32_e32 v117, 0x800, v50
	s_add_i32 s39, s22, -8
	v_lshl_add_u64 v[40:41], v[0:1], 0, 24
	s_mov_b32 s34, 0
	v_mov_b32_e32 v121, 0x7c00
	s_branch .LBB263_32
.LBB263_31:                             ;   in Loop: Header=BB263_32 Depth=1
	s_or_b64 exec, exec, s[10:11]
	ds_read2_b64 v[8:11], v47 offset1:32
	ds_read2_b64 v[4:7], v47 offset0:64 offset1:96
	ds_read2_b64 v[0:3], v47 offset0:128 offset1:160
	ds_read2_b64 v[126:129], v51 offset1:8
	ds_read2_b64 v[12:15], v47 offset0:192 offset1:224
	ds_read2_b64 v[24:27], v51 offset0:16 offset1:24
	;; [unrolled: 1-line block ×4, first 2 shown]
	s_waitcnt lgkmcnt(4)
	v_pk_add_f16 v112, v8, v126
	v_pk_max_f16 v111, v111, v111
	v_pk_max_f16 v110, v110, v110
	v_pk_min_f16 v111, v111, v112
	v_pk_add_f16 v112, v10, v126
	v_pk_max_f16 v109, v109, v109
	v_pk_min_f16 v110, v110, v112
	v_pk_add_f16 v112, v4, v126
	;; [unrolled: 3-line block ×5, first 2 shown]
	v_pk_max_f16 v105, v105, v105
	v_pk_min_f16 v106, v106, v112
	s_waitcnt lgkmcnt(3)
	v_pk_add_f16 v112, v12, v126
	v_pk_max_f16 v104, v104, v104
	v_pk_min_f16 v105, v105, v112
	v_pk_add_f16 v112, v14, v126
	v_pk_max_f16 v103, v103, v103
	v_pk_min_f16 v104, v104, v112
	;; [unrolled: 3-line block ×10, first 2 shown]
	s_waitcnt lgkmcnt(2)
	v_pk_add_f16 v112, v8, v24
	v_pk_max_f16 v93, v93, v93
	v_pk_min_f16 v94, v94, v112
	v_pk_add_f16 v112, v10, v24
	v_pk_max_f16 v92, v92, v92
	v_pk_min_f16 v93, v93, v112
	;; [unrolled: 3-line block ×6, first 2 shown]
	v_pk_add_f16 v112, v12, v24
	v_pk_add_f16 v24, v14, v24
	v_pk_max_f16 v86, v86, v86
	v_pk_min_f16 v24, v87, v24
	v_pk_add_f16 v87, v8, v26
	v_pk_max_f16 v85, v85, v85
	v_pk_min_f16 v86, v86, v87
	;; [unrolled: 3-line block ×7, first 2 shown]
	v_pk_add_f16 v87, v12, v26
	v_pk_add_f16 v26, v14, v26
	v_pk_max_f16 v78, v78, v78
	v_pk_min_f16 v26, v79, v26
	s_waitcnt lgkmcnt(1)
	v_pk_add_f16 v79, v8, v20
	v_pk_max_f16 v77, v77, v77
	v_pk_min_f16 v78, v78, v79
	v_pk_add_f16 v79, v10, v20
	v_pk_max_f16 v76, v76, v76
	v_pk_min_f16 v77, v77, v79
	;; [unrolled: 3-line block ×6, first 2 shown]
	v_pk_add_f16 v79, v12, v20
	v_pk_add_f16 v20, v14, v20
	v_pk_max_f16 v70, v70, v70
	v_pk_min_f16 v20, v71, v20
	v_pk_add_f16 v71, v8, v22
	v_pk_max_f16 v69, v69, v69
	v_pk_min_f16 v70, v70, v71
	;; [unrolled: 3-line block ×7, first 2 shown]
	v_pk_add_f16 v71, v12, v22
	v_pk_add_f16 v22, v14, v22
	v_pk_max_f16 v62, v62, v62
	v_pk_min_f16 v22, v63, v22
	s_waitcnt lgkmcnt(0)
	v_pk_add_f16 v63, v8, v16
	v_pk_max_f16 v61, v61, v61
	v_pk_min_f16 v62, v62, v63
	v_pk_add_f16 v63, v10, v16
	v_pk_max_f16 v60, v60, v60
	v_pk_min_f16 v61, v61, v63
	;; [unrolled: 3-line block ×5, first 2 shown]
	v_pk_add_f16 v63, v2, v16
	v_pk_add_f16 v8, v8, v18
	v_pk_min_f16 v57, v57, v63
	v_pk_add_f16 v63, v12, v16
	v_pk_add_f16 v16, v14, v16
	v_pk_add_f16 v10, v10, v18
	v_pk_add_f16 v4, v4, v18
	v_pk_add_f16 v6, v6, v18
	v_pk_add_f16 v0, v0, v18
	v_pk_add_f16 v2, v2, v18
	v_pk_add_f16 v12, v12, v18
	v_pk_add_f16 v14, v14, v18
	v_pk_max_f16 v18, v29, v29
	v_pk_max_f16 v88, v88, v88
	v_pk_min_f16 v14, v18, v14
	v_pk_add_f16 v18, v9, v127
	v_pk_min_f16 v88, v88, v112
	v_pk_min_f16 v116, v111, v18
	v_pk_add_f16 v18, v11, v127
	v_pk_max_f16 v80, v80, v80
	v_pk_min_f16 v115, v110, v18
	v_pk_add_f16 v18, v5, v127
	v_pk_min_f16 v80, v80, v87
	v_pk_min_f16 v114, v109, v18
	v_pk_add_f16 v18, v7, v127
	;; [unrolled: 6-line block ×4, first 2 shown]
	v_pk_max_f16 v42, v42, v42
	v_pk_min_f16 v109, v104, v18
	v_pk_add_f16 v18, v9, v129
	v_pk_max_f16 v56, v56, v56
	v_pk_min_f16 v108, v103, v18
	v_pk_add_f16 v18, v11, v129
	;; [unrolled: 3-line block ×3, first 2 shown]
	v_pk_min_f16 v0, v42, v0
	v_pk_min_f16 v106, v101, v18
	v_pk_add_f16 v18, v7, v129
	v_pk_max_f16 v31, v31, v31
	v_pk_min_f16 v105, v99, v18
	v_pk_add_f16 v18, v1, v129
	v_pk_min_f16 v56, v56, v63
	v_pk_min_f16 v104, v98, v18
	v_pk_add_f16 v18, v3, v129
	v_pk_min_f16 v8, v54, v8
	v_pk_min_f16 v103, v97, v18
	v_pk_add_f16 v18, v13, v129
	v_pk_max_f16 v53, v53, v53
	v_pk_min_f16 v102, v96, v18
	v_pk_add_f16 v18, v15, v129
	v_pk_max_f16 v52, v52, v52
	v_pk_min_f16 v101, v95, v18
	v_pk_add_f16 v18, v9, v25
	v_pk_min_f16 v2, v31, v2
	v_pk_min_f16 v99, v94, v18
	v_pk_add_f16 v18, v11, v25
	v_pk_max_f16 v30, v30, v30
	v_pk_min_f16 v98, v93, v18
	v_pk_add_f16 v18, v5, v25
	v_pk_max_f16 v55, v55, v55
	v_pk_min_f16 v97, v92, v18
	v_pk_add_f16 v18, v7, v25
	v_pk_min_f16 v10, v53, v10
	v_pk_min_f16 v96, v91, v18
	v_pk_add_f16 v18, v1, v25
	v_pk_min_f16 v4, v52, v4
	v_pk_min_f16 v95, v90, v18
	v_pk_add_f16 v18, v3, v25
	v_pk_max_f16 v43, v43, v43
	v_pk_min_f16 v94, v89, v18
	v_pk_add_f16 v18, v13, v25
	v_pk_min_f16 v12, v30, v12
	v_pk_min_f16 v93, v88, v18
	v_pk_add_f16 v18, v15, v25
	v_pk_min_f16 v16, v55, v16
	v_pk_min_f16 v92, v24, v18
	v_pk_add_f16 v18, v9, v27
	v_pk_min_f16 v6, v43, v6
	v_pk_min_f16 v91, v86, v18
	v_pk_add_f16 v18, v11, v27
	s_add_i32 s34, s34, 8
	v_pk_min_f16 v90, v85, v18
	v_pk_add_f16 v18, v5, v27
	s_cmp_ge_i32 s34, s39
	v_pk_min_f16 v89, v84, v18
	v_pk_add_f16 v18, v7, v27
	v_lshl_add_u64 v[40:41], v[40:41], 0, 16
	v_pk_min_f16 v88, v83, v18
	v_pk_add_f16 v18, v1, v27
	ds_write_b16 v117, v122
	ds_write_b16 v117, v123 offset:512
	ds_write_b16 v117, v124 offset:1024
	;; [unrolled: 1-line block ×3, first 2 shown]
	ds_write_b16 v118, v28
	v_pk_min_f16 v87, v82, v18
	v_pk_add_f16 v18, v3, v27
	s_waitcnt lgkmcnt(0)
	v_pk_min_f16 v86, v81, v18
	v_pk_add_f16 v18, v13, v27
	s_barrier
	v_pk_min_f16 v85, v80, v18
	v_pk_add_f16 v18, v15, v27
	s_nop 0
	v_pk_min_f16 v84, v26, v18
	v_pk_add_f16 v18, v9, v21
	s_nop 0
	;; [unrolled: 3-line block ×17, first 2 shown]
	v_pk_min_f16 v68, v22, v18
	v_pk_add_f16 v18, v9, v17
	v_pk_add_f16 v9, v9, v19
	v_pk_min_f16 v67, v62, v18
	v_pk_add_f16 v18, v11, v17
	s_nop 0
	v_pk_min_f16 v66, v61, v18
	v_pk_add_f16 v18, v5, v17
	v_pk_add_f16 v5, v5, v19
	v_pk_min_f16 v65, v60, v18
	v_pk_add_f16 v18, v7, v17
	s_nop 0
	v_pk_min_f16 v64, v59, v18
	v_pk_add_f16 v18, v1, v17
	v_pk_add_f16 v1, v1, v19
	v_pk_min_f16 v63, v58, v18
	v_pk_add_f16 v18, v3, v17
	v_pk_min_f16 v54, v0, v1
	;; [unrolled: 2-line block ×9, first 2 shown]
	v_pk_min_f16 v57, v10, v8
	v_pk_min_f16 v55, v6, v4
	;; [unrolled: 1-line block ×3, first 2 shown]
	s_cbranch_scc1 .LBB263_52
.LBB263_32:                             ; =>This Inner Loop Header: Depth=1
	v_add_u32_e32 v42, s34, v46
	v_add_u32_e32 v0, 8, v42
	v_cmp_le_i32_e64 s[10:11], s22, v0
	v_min_i32_e32 v0, s37, v0
	v_mad_i64_i32 v[0:1], s[14:15], v0, s36, 0
	s_or_b64 s[14:15], vcc, s[10:11]
	s_nop 0
	v_cndmask_b32_e64 v43, 0, v121, s[14:15]
	s_or_b64 s[14:15], s[16:17], s[14:15]
	v_lshl_add_u64 v[0:1], v[0:1], 1, s[30:31]
	s_xor_b64 s[40:41], s[14:15], -1
	s_and_saveexec_b64 s[14:15], s[40:41]
	s_cbranch_execz .LBB263_34
; %bb.33:                               ;   in Loop: Header=BB263_32 Depth=1
	v_lshl_add_u64 v[2:3], v[32:33], 1, v[0:1]
	flat_load_ushort v2, v[2:3]
	s_waitcnt vmcnt(0) lgkmcnt(0)
	v_mul_f16_e32 v43, s23, v2
.LBB263_34:                             ;   in Loop: Header=BB263_32 Depth=1
	s_or_b64 exec, exec, s[14:15]
	s_or_b64 s[14:15], s[12:13], s[10:11]
	v_cndmask_b32_e64 v122, 0, v121, s[14:15]
	s_or_b64 s[14:15], s[16:17], s[14:15]
	s_xor_b64 s[40:41], s[14:15], -1
	s_and_saveexec_b64 s[14:15], s[40:41]
	s_cbranch_execz .LBB263_36
; %bb.35:                               ;   in Loop: Header=BB263_32 Depth=1
	v_lshl_add_u64 v[2:3], v[34:35], 1, v[0:1]
	flat_load_ushort v2, v[2:3]
	s_waitcnt vmcnt(0) lgkmcnt(0)
	v_mul_f16_e32 v122, s23, v2
.LBB263_36:                             ;   in Loop: Header=BB263_32 Depth=1
	s_or_b64 exec, exec, s[14:15]
	s_or_b64 s[14:15], s[4:5], s[10:11]
	v_cndmask_b32_e64 v123, 0, v121, s[14:15]
	s_or_b64 s[14:15], s[16:17], s[14:15]
	;; [unrolled: 13-line block ×3, first 2 shown]
	s_xor_b64 s[14:15], s[10:11], -1
	s_and_saveexec_b64 s[10:11], s[14:15]
	s_cbranch_execz .LBB263_40
; %bb.39:                               ;   in Loop: Header=BB263_32 Depth=1
	v_lshl_add_u64 v[0:1], v[38:39], 1, v[0:1]
	flat_load_ushort v0, v[0:1]
	s_waitcnt vmcnt(0) lgkmcnt(0)
	v_mul_f16_e32 v124, s23, v0
.LBB263_40:                             ;   in Loop: Header=BB263_32 Depth=1
	s_or_b64 exec, exec, s[10:11]
	v_add_u32_e32 v126, s34, v49
	v_add_u32_e32 v0, 8, v126
	v_cmp_le_i32_e64 s[10:11], s22, v0
	s_or_b64 s[10:11], s[10:11], s[8:9]
	s_nop 0
	v_cndmask_b32_e64 v125, 0, v121, s[10:11]
	s_or_b64 s[10:11], s[16:17], s[10:11]
	s_xor_b64 s[10:11], s[10:11], -1
	s_and_saveexec_b64 s[14:15], s[10:11]
	s_cbranch_execz .LBB263_42
; %bb.41:                               ;   in Loop: Header=BB263_32 Depth=1
	v_add_co_u32_e64 v0, s[10:11], -8, v40
	s_nop 1
	v_addc_co_u32_e64 v1, s[10:11], -1, v41, s[10:11]
	flat_load_ushort v0, v[0:1]
	s_waitcnt vmcnt(0) lgkmcnt(0)
	v_mul_f16_e32 v125, s23, v0
.LBB263_42:                             ;   in Loop: Header=BB263_32 Depth=1
	s_or_b64 exec, exec, s[14:15]
	ds_read2_b64 v[12:15], v119 offset1:32
	ds_read2_b64 v[8:11], v119 offset0:64 offset1:96
	ds_read2_b64 v[4:7], v119 offset0:128 offset1:160
	;; [unrolled: 1-line block ×3, first 2 shown]
	ds_read2_b64 v[28:31], v120 offset1:8
	ds_read2_b64 v[24:27], v120 offset0:16 offset1:24
	ds_read2_b64 v[20:23], v120 offset0:32 offset1:40
	;; [unrolled: 1-line block ×3, first 2 shown]
	v_add_u32_e32 v42, 12, v42
	v_cmp_le_i32_e64 s[10:11], s22, v42
	v_min_i32_e32 v42, s37, v42
	ds_write_b16 v50, v43
	ds_write_b16 v50, v122 offset:512
	ds_write_b16 v50, v123 offset:1024
	;; [unrolled: 1-line block ×3, first 2 shown]
	ds_write_b16 v100, v125
	v_mad_i64_i32 v[42:43], s[14:15], v42, s36, 0
	s_or_b64 s[14:15], vcc, s[10:11]
	s_nop 0
	v_cndmask_b32_e64 v122, 0, v121, s[14:15]
	s_or_b64 s[14:15], s[16:17], s[14:15]
	v_lshl_add_u64 v[42:43], v[42:43], 1, s[30:31]
	s_xor_b64 s[14:15], s[14:15], -1
	s_waitcnt lgkmcnt(0)
	s_barrier
	s_and_saveexec_b64 s[40:41], s[14:15]
	s_xor_b64 s[14:15], exec, s[40:41]
	s_cbranch_execz .LBB263_44
; %bb.43:                               ;   in Loop: Header=BB263_32 Depth=1
	v_lshl_add_u64 v[122:123], v[32:33], 1, v[42:43]
	flat_load_ushort v122, v[122:123]
	s_waitcnt vmcnt(0) lgkmcnt(0)
	v_mul_f16_e32 v122, s23, v122
.LBB263_44:                             ;   in Loop: Header=BB263_32 Depth=1
	s_or_b64 exec, exec, s[14:15]
	s_or_b64 s[14:15], s[12:13], s[10:11]
	v_cndmask_b32_e64 v123, 0, v121, s[14:15]
	s_or_b64 s[14:15], s[16:17], s[14:15]
	s_xor_b64 s[40:41], s[14:15], -1
	s_and_saveexec_b64 s[14:15], s[40:41]
	s_cbranch_execz .LBB263_46
; %bb.45:                               ;   in Loop: Header=BB263_32 Depth=1
	v_lshl_add_u64 v[124:125], v[34:35], 1, v[42:43]
	flat_load_ushort v123, v[124:125]
	s_waitcnt vmcnt(0) lgkmcnt(0)
	v_mul_f16_e32 v123, s23, v123
.LBB263_46:                             ;   in Loop: Header=BB263_32 Depth=1
	s_or_b64 exec, exec, s[14:15]
	s_or_b64 s[14:15], s[4:5], s[10:11]
	v_cndmask_b32_e64 v124, 0, v121, s[14:15]
	s_or_b64 s[14:15], s[16:17], s[14:15]
	s_xor_b64 s[40:41], s[14:15], -1
	s_and_saveexec_b64 s[14:15], s[40:41]
	;; [unrolled: 13-line block ×3, first 2 shown]
	s_cbranch_execz .LBB263_50
; %bb.49:                               ;   in Loop: Header=BB263_32 Depth=1
	v_lshl_add_u64 v[42:43], v[38:39], 1, v[42:43]
	flat_load_ushort v42, v[42:43]
	s_waitcnt vmcnt(0) lgkmcnt(0)
	v_mul_f16_e32 v125, s23, v42
.LBB263_50:                             ;   in Loop: Header=BB263_32 Depth=1
	s_or_b64 exec, exec, s[10:11]
	v_pk_add_f16 v42, v12, v28
	v_pk_max_f16 v43, v116, v116
	v_pk_max_f16 v115, v115, v115
	v_pk_min_f16 v42, v43, v42
	v_pk_add_f16 v43, v14, v28
	v_pk_max_f16 v114, v114, v114
	v_pk_min_f16 v43, v115, v43
	v_pk_add_f16 v115, v8, v28
	v_pk_max_f16 v113, v113, v113
	v_pk_min_f16 v114, v114, v115
	v_pk_add_f16 v115, v10, v28
	v_pk_max_f16 v112, v112, v112
	v_pk_min_f16 v113, v113, v115
	v_pk_add_f16 v115, v4, v28
	v_pk_max_f16 v111, v111, v111
	v_pk_min_f16 v112, v112, v115
	v_pk_add_f16 v115, v6, v28
	v_pk_max_f16 v109, v109, v109
	v_pk_min_f16 v115, v111, v115
	v_pk_add_f16 v111, v0, v28
	v_pk_add_f16 v28, v2, v28
	v_pk_max_f16 v108, v108, v108
	v_pk_min_f16 v28, v109, v28
	v_pk_add_f16 v109, v12, v30
	v_pk_max_f16 v107, v107, v107
	v_pk_min_f16 v127, v108, v109
	v_pk_add_f16 v108, v14, v30
	v_pk_max_f16 v106, v106, v106
	v_pk_min_f16 v128, v107, v108
	v_pk_add_f16 v107, v8, v30
	v_pk_max_f16 v105, v105, v105
	v_pk_min_f16 v129, v106, v107
	v_pk_add_f16 v106, v10, v30
	v_pk_max_f16 v104, v104, v104
	v_pk_min_f16 v130, v105, v106
	v_pk_add_f16 v105, v4, v30
	v_pk_max_f16 v103, v103, v103
	v_pk_min_f16 v131, v104, v105
	v_pk_add_f16 v104, v6, v30
	v_pk_max_f16 v101, v101, v101
	v_pk_min_f16 v132, v103, v104
	v_pk_add_f16 v103, v0, v30
	v_pk_add_f16 v30, v2, v30
	v_pk_max_f16 v99, v99, v99
	v_pk_min_f16 v30, v101, v30
	v_pk_add_f16 v101, v12, v24
	;; [unrolled: 22-line block ×6, first 2 shown]
	v_pk_max_f16 v66, v66, v66
	v_pk_min_f16 v162, v67, v68
	v_pk_add_f16 v67, v14, v16
	v_pk_max_f16 v65, v65, v65
	v_pk_min_f16 v163, v66, v67
	v_pk_add_f16 v66, v8, v16
	;; [unrolled: 3-line block ×5, first 2 shown]
	v_pk_add_f16 v12, v12, v18
	v_pk_min_f16 v167, v62, v63
	v_pk_add_f16 v62, v0, v16
	v_pk_add_f16 v16, v2, v16
	;; [unrolled: 1-line block ×9, first 2 shown]
	v_pk_max_f16 v18, v61, v61
	v_pk_max_f16 v110, v110, v110
	v_pk_min_f16 v2, v18, v2
	v_pk_add_f16 v18, v13, v29
	v_pk_min_f16 v116, v110, v111
	v_pk_min_f16 v111, v42, v18
	v_pk_add_f16 v18, v15, v29
	v_pk_max_f16 v102, v102, v102
	v_pk_min_f16 v110, v43, v18
	v_pk_add_f16 v18, v9, v29
	v_pk_min_f16 v133, v102, v103
	v_pk_min_f16 v109, v114, v18
	v_pk_add_f16 v18, v11, v29
	;; [unrolled: 6-line block ×9, first 2 shown]
	v_pk_max_f16 v57, v57, v57
	v_pk_min_f16 v93, v135, v18
	v_pk_add_f16 v18, v9, v25
	v_pk_max_f16 v52, v52, v52
	v_pk_min_f16 v92, v136, v18
	v_pk_add_f16 v18, v11, v25
	v_pk_min_f16 v14, v57, v14
	v_pk_min_f16 v91, v137, v18
	v_pk_add_f16 v18, v5, v25
	v_pk_min_f16 v0, v52, v0
	v_pk_min_f16 v90, v138, v18
	v_pk_add_f16 v18, v7, v25
	v_pk_max_f16 v56, v56, v56
	v_pk_min_f16 v89, v139, v18
	v_pk_add_f16 v18, v1, v25
	v_pk_max_f16 v54, v54, v54
	v_pk_min_f16 v88, v140, v18
	v_pk_add_f16 v18, v3, v25
	v_pk_min_f16 v8, v56, v8
	v_pk_min_f16 v87, v24, v18
	v_pk_add_f16 v18, v13, v27
	v_pk_max_f16 v55, v55, v55
	v_pk_min_f16 v86, v141, v18
	v_pk_add_f16 v18, v15, v27
	v_pk_min_f16 v4, v54, v4
	;; [unrolled: 6-line block ×3, first 2 shown]
	v_pk_min_f16 v83, v144, v18
	v_pk_add_f16 v18, v5, v27
	v_pk_min_f16 v6, v53, v6
	v_pk_min_f16 v82, v145, v18
	v_pk_add_f16 v18, v7, v27
	s_nop 0
	v_pk_min_f16 v81, v146, v18
	v_pk_add_f16 v18, v1, v27
	s_nop 0
	;; [unrolled: 3-line block ×19, first 2 shown]
	v_pk_min_f16 v63, v22, v18
	v_pk_add_f16 v18, v13, v17
	v_pk_add_f16 v13, v13, v19
	v_pk_min_f16 v62, v162, v18
	v_pk_add_f16 v18, v15, v17
	v_pk_min_f16 v54, v12, v13
	v_pk_min_f16 v61, v163, v18
	v_pk_add_f16 v18, v9, v17
	v_pk_add_f16 v9, v9, v19
	v_pk_min_f16 v60, v164, v18
	v_pk_add_f16 v18, v11, v17
	v_pk_add_f16 v12, v15, v19
	;; [unrolled: 3-line block ×3, first 2 shown]
	v_pk_min_f16 v58, v166, v18
	v_pk_add_f16 v18, v7, v17
	v_pk_min_f16 v52, v8, v9
	v_pk_min_f16 v57, v167, v18
	v_pk_add_f16 v18, v1, v17
	v_pk_add_f16 v1, v1, v19
	;; [unrolled: 1-line block ×3, first 2 shown]
	v_pk_min_f16 v30, v0, v1
	v_pk_add_f16 v0, v3, v19
	v_pk_add_f16 v8, v11, v19
	v_pk_min_f16 v29, v2, v0
	v_add_u32_e32 v0, 12, v126
	v_cmp_le_i32_e64 s[10:11], s22, v0
	s_or_b64 s[10:11], s[10:11], s[8:9]
	v_pk_min_f16 v42, v4, v5
	v_pk_add_f16 v4, v7, v19
	v_cndmask_b32_e64 v28, 0, v121, s[10:11]
	s_or_b64 s[10:11], s[16:17], s[10:11]
	v_pk_min_f16 v56, v168, v18
	v_pk_min_f16 v55, v16, v17
	;; [unrolled: 1-line block ×5, first 2 shown]
	s_xor_b64 s[14:15], s[10:11], -1
	s_and_saveexec_b64 s[10:11], s[14:15]
	s_cbranch_execz .LBB263_31
; %bb.51:                               ;   in Loop: Header=BB263_32 Depth=1
	flat_load_ushort v0, v[40:41]
	s_waitcnt vmcnt(0) lgkmcnt(0)
	v_mul_f16_e32 v28, s23, v0
	s_branch .LBB263_31
.LBB263_52:
	s_load_dwordx2 s[4:5], s[0:1], 0x70
	s_load_dword s31, s[0:1], 0x50
	s_load_dword s30, s[0:1], 0x68
	v_add_u32_e32 v0, 0x800, v47
	v_add_u32_e32 v4, 0x1000, v48
	s_waitcnt lgkmcnt(0)
	s_mul_i32 s0, s3, s5
	s_mul_hi_u32 s1, s3, s4
	s_mul_i32 s5, s29, s4
	s_add_i32 s0, s1, s0
	s_add_i32 s1, s0, s5
	s_mul_i32 s0, s3, s4
	ds_read2_b64 v[16:19], v0 offset1:32
	ds_read2_b64 v[12:15], v0 offset0:64 offset1:96
	ds_read2_b64 v[8:11], v0 offset0:128 offset1:160
	;; [unrolled: 1-line block ×7, first 2 shown]
	s_lshl_b64 s[0:1], s[0:1], 1
	s_add_u32 s22, s18, s0
	v_add_u32_e32 v100, s33, v45
	s_addc_u32 s23, s19, s1
	v_mad_i64_i32 v[34:35], s[0:1], v100, s31, 0
	v_add_u32_e32 v32, s2, v44
	v_lshl_add_u64 v[50:51], v[34:35], 1, s[24:25]
	v_mad_i64_i32 v[34:35], s[0:1], v100, s30, 0
	v_cmp_gt_i32_e64 s[2:3], s20, v32
	v_cmp_gt_i32_e64 s[18:19], s21, v100
	v_lshl_add_u64 v[48:49], v[34:35], 1, s[22:23]
	v_cndmask_b32_e64 v34, 0, 1, s[26:27]
	v_ashrrev_i32_e32 v33, 31, v32
	s_and_b64 s[4:5], s[2:3], s[18:19]
	v_cmp_ne_u32_e64 s[0:1], 1, v34
	s_and_saveexec_b64 s[6:7], s[4:5]
	s_xor_b64 s[4:5], exec, s[6:7]
	s_cbranch_execz .LBB263_57
; %bb.53:
	s_and_b64 vcc, exec, s[0:1]
	s_cbranch_vccnz .LBB263_55
; %bb.54:
	v_lshl_add_u64 v[34:35], v[32:33], 1, v[50:51]
	flat_load_ushort v34, v[34:35]
	s_waitcnt vmcnt(0) lgkmcnt(0)
	v_mul_f16_e32 v34, s28, v34
	s_branch .LBB263_56
.LBB263_55:
	v_mov_b32_e32 v34, 0
.LBB263_56:
	s_waitcnt lgkmcnt(3)
	v_pk_add_f16 v35, v16, v28
	v_pk_max_f16 v36, v116, v116
	s_nop 0
	v_pk_min_f16 v35, v36, v35
	v_pk_add_f16 v36, v17, v29
	s_nop 0
	v_pk_min_f16 v35, v35, v36
	s_nop 0
	v_lshrrev_b32_e32 v36, 16, v35
	v_min3_f16 v36, v34, v35, v36
	v_lshl_add_u64 v[34:35], v[32:33], 1, v[48:49]
	global_store_short v[34:35], v36, off
.LBB263_57:
	s_or_b64 exec, exec, s[4:5]
	v_add_u32_e32 v34, 32, v32
	v_cmp_gt_i32_e64 s[4:5], s20, v34
	v_ashrrev_i32_e32 v35, 31, v34
	s_and_b64 s[8:9], s[4:5], s[18:19]
	s_and_saveexec_b64 s[6:7], s[8:9]
	s_cbranch_execz .LBB263_62
; %bb.58:
	s_and_b64 vcc, exec, s[0:1]
	s_cbranch_vccnz .LBB263_60
; %bb.59:
	v_lshl_add_u64 v[36:37], v[34:35], 1, v[50:51]
	flat_load_ushort v36, v[36:37]
	s_waitcnt vmcnt(0) lgkmcnt(0)
	v_mul_f16_e32 v36, s28, v36
	s_branch .LBB263_61
.LBB263_60:
	v_mov_b32_e32 v36, 0
.LBB263_61:
	s_waitcnt lgkmcnt(3)
	v_pk_add_f16 v37, v18, v28
	v_pk_max_f16 v38, v115, v115
	s_nop 0
	v_pk_min_f16 v37, v38, v37
	v_pk_add_f16 v38, v19, v29
	s_nop 0
	v_pk_min_f16 v37, v37, v38
	s_nop 0
	v_lshrrev_b32_e32 v38, 16, v37
	v_min3_f16 v38, v36, v37, v38
	v_lshl_add_u64 v[36:37], v[34:35], 1, v[48:49]
	global_store_short v[36:37], v38, off
.LBB263_62:
	s_or_b64 exec, exec, s[6:7]
	v_add_u32_e32 v36, 64, v32
	v_cmp_gt_i32_e64 s[6:7], s20, v36
	v_ashrrev_i32_e32 v37, 31, v36
	s_and_b64 s[10:11], s[6:7], s[18:19]
	s_and_saveexec_b64 s[8:9], s[10:11]
	s_cbranch_execz .LBB263_67
; %bb.63:
	s_and_b64 vcc, exec, s[0:1]
	s_cbranch_vccnz .LBB263_65
; %bb.64:
	v_lshl_add_u64 v[38:39], v[36:37], 1, v[50:51]
	flat_load_ushort v38, v[38:39]
	s_waitcnt vmcnt(0) lgkmcnt(0)
	v_mul_f16_e32 v38, s28, v38
	s_branch .LBB263_66
.LBB263_65:
	v_mov_b32_e32 v38, 0
.LBB263_66:
	s_waitcnt lgkmcnt(3)
	v_pk_add_f16 v39, v12, v28
	v_pk_max_f16 v40, v114, v114
	s_nop 0
	v_pk_min_f16 v39, v40, v39
	v_pk_add_f16 v40, v13, v29
	s_nop 0
	v_pk_min_f16 v39, v39, v40
	s_nop 0
	v_lshrrev_b32_e32 v40, 16, v39
	v_min3_f16 v40, v38, v39, v40
	v_lshl_add_u64 v[38:39], v[36:37], 1, v[48:49]
	global_store_short v[38:39], v40, off
.LBB263_67:
	s_or_b64 exec, exec, s[8:9]
	v_add_u32_e32 v38, 0x60, v32
	v_cmp_gt_i32_e64 s[8:9], s20, v38
	v_ashrrev_i32_e32 v39, 31, v38
	s_and_b64 s[12:13], s[8:9], s[18:19]
	s_and_saveexec_b64 s[10:11], s[12:13]
	s_cbranch_execz .LBB263_72
; %bb.68:
	s_and_b64 vcc, exec, s[0:1]
	s_cbranch_vccnz .LBB263_70
; %bb.69:
	v_lshl_add_u64 v[40:41], v[38:39], 1, v[50:51]
	flat_load_ushort v40, v[40:41]
	s_waitcnt vmcnt(0) lgkmcnt(0)
	v_mul_f16_e32 v40, s28, v40
	s_branch .LBB263_71
.LBB263_70:
	v_mov_b32_e32 v40, 0
.LBB263_71:
	s_waitcnt lgkmcnt(3)
	v_pk_add_f16 v41, v14, v28
	v_pk_max_f16 v42, v113, v113
	s_nop 0
	v_pk_min_f16 v41, v42, v41
	v_pk_add_f16 v42, v15, v29
	s_nop 0
	v_pk_min_f16 v41, v41, v42
	s_nop 0
	v_lshrrev_b32_e32 v42, 16, v41
	v_min3_f16 v42, v40, v41, v42
	v_lshl_add_u64 v[40:41], v[38:39], 1, v[48:49]
	global_store_short v[40:41], v42, off
.LBB263_72:
	s_or_b64 exec, exec, s[10:11]
	v_add_u32_e32 v40, 0x80, v32
	v_cmp_gt_i32_e64 s[10:11], s20, v40
	v_ashrrev_i32_e32 v41, 31, v40
	s_and_b64 s[14:15], s[10:11], s[18:19]
	s_and_saveexec_b64 s[12:13], s[14:15]
	s_cbranch_execz .LBB263_77
; %bb.73:
	s_and_b64 vcc, exec, s[0:1]
	s_cbranch_vccnz .LBB263_75
; %bb.74:
	v_lshl_add_u64 v[42:43], v[40:41], 1, v[50:51]
	flat_load_ushort v42, v[42:43]
	s_waitcnt vmcnt(0) lgkmcnt(0)
	v_mul_f16_e32 v42, s28, v42
	s_branch .LBB263_76
.LBB263_75:
	v_mov_b32_e32 v42, 0
.LBB263_76:
	s_waitcnt lgkmcnt(3)
	v_pk_add_f16 v43, v8, v28
	v_pk_max_f16 v44, v112, v112
	s_nop 0
	v_pk_min_f16 v43, v44, v43
	v_pk_add_f16 v44, v9, v29
	s_nop 0
	v_pk_min_f16 v43, v43, v44
	s_nop 0
	v_lshrrev_b32_e32 v44, 16, v43
	v_min3_f16 v44, v42, v43, v44
	v_lshl_add_u64 v[42:43], v[40:41], 1, v[48:49]
	global_store_short v[42:43], v44, off
.LBB263_77:
	s_or_b64 exec, exec, s[12:13]
	v_add_u32_e32 v42, 0xa0, v32
	v_cmp_gt_i32_e64 s[12:13], s20, v42
	v_ashrrev_i32_e32 v43, 31, v42
	s_and_b64 s[16:17], s[12:13], s[18:19]
	s_and_saveexec_b64 s[14:15], s[16:17]
	s_cbranch_execz .LBB263_82
; %bb.78:
	s_and_b64 vcc, exec, s[0:1]
	s_cbranch_vccnz .LBB263_80
; %bb.79:
	v_lshl_add_u64 v[44:45], v[42:43], 1, v[50:51]
	flat_load_ushort v44, v[44:45]
	s_waitcnt vmcnt(0) lgkmcnt(0)
	v_mul_f16_e32 v44, s28, v44
	s_branch .LBB263_81
.LBB263_80:
	v_mov_b32_e32 v44, 0
.LBB263_81:
	s_waitcnt lgkmcnt(3)
	v_pk_add_f16 v45, v10, v28
	v_pk_max_f16 v46, v111, v111
	s_nop 0
	v_pk_min_f16 v45, v46, v45
	v_pk_add_f16 v46, v11, v29
	s_nop 0
	v_pk_min_f16 v45, v45, v46
	s_nop 0
	v_lshrrev_b32_e32 v46, 16, v45
	v_min3_f16 v46, v44, v45, v46
	v_lshl_add_u64 v[44:45], v[42:43], 1, v[48:49]
	global_store_short v[44:45], v46, off
.LBB263_82:
	s_or_b64 exec, exec, s[14:15]
	v_add_u32_e32 v44, 0xc0, v32
	v_cmp_gt_i32_e64 s[14:15], s20, v44
	v_ashrrev_i32_e32 v45, 31, v44
	s_and_b64 s[26:27], s[14:15], s[18:19]
	s_and_saveexec_b64 s[16:17], s[26:27]
	s_cbranch_execz .LBB263_87
; %bb.83:
	s_and_b64 vcc, exec, s[0:1]
	s_cbranch_vccnz .LBB263_85
; %bb.84:
	v_lshl_add_u64 v[46:47], v[44:45], 1, v[50:51]
	flat_load_ushort v46, v[46:47]
	s_waitcnt vmcnt(0) lgkmcnt(0)
	v_mul_f16_e32 v46, s28, v46
	s_branch .LBB263_86
.LBB263_85:
	v_mov_b32_e32 v46, 0
.LBB263_86:
	s_waitcnt lgkmcnt(3)
	v_pk_add_f16 v47, v0, v28
	v_pk_max_f16 v110, v110, v110
	s_nop 0
	v_pk_min_f16 v47, v110, v47
	v_pk_add_f16 v110, v1, v29
	s_nop 0
	v_pk_min_f16 v47, v47, v110
	s_nop 0
	v_lshrrev_b32_e32 v110, 16, v47
	v_min3_f16 v110, v46, v47, v110
	v_lshl_add_u64 v[46:47], v[44:45], 1, v[48:49]
	global_store_short v[46:47], v110, off
.LBB263_87:
	s_or_b64 exec, exec, s[16:17]
	v_add_u32_e32 v46, 0xe0, v32
	v_cmp_gt_i32_e64 s[16:17], s20, v46
	v_ashrrev_i32_e32 v47, 31, v46
	s_and_b64 s[26:27], s[16:17], s[18:19]
	s_and_saveexec_b64 s[18:19], s[26:27]
	s_cbranch_execz .LBB263_92
; %bb.88:
	s_and_b64 vcc, exec, s[0:1]
	s_cbranch_vccnz .LBB263_90
; %bb.89:
	v_lshl_add_u64 v[50:51], v[46:47], 1, v[50:51]
	flat_load_ushort v50, v[50:51]
	s_waitcnt vmcnt(0) lgkmcnt(0)
	v_mul_f16_e32 v50, s28, v50
	s_branch .LBB263_91
.LBB263_90:
	v_mov_b32_e32 v50, 0
.LBB263_91:
	s_waitcnt lgkmcnt(3)
	v_pk_add_f16 v28, v2, v28
	v_pk_max_f16 v51, v109, v109
	v_pk_add_f16 v29, v3, v29
	v_pk_min_f16 v28, v51, v28
	s_nop 0
	v_pk_min_f16 v28, v28, v29
	s_nop 0
	v_lshrrev_b32_e32 v29, 16, v28
	v_min3_f16 v50, v50, v28, v29
	v_lshl_add_u64 v[28:29], v[46:47], 1, v[48:49]
	global_store_short v[28:29], v50, off
.LBB263_92:
	s_or_b64 exec, exec, s[18:19]
	v_add_u32_e32 v50, 8, v100
	s_waitcnt lgkmcnt(3)
	v_mad_i64_i32 v[28:29], s[26:27], v50, s31, 0
	v_cmp_gt_i32_e64 s[18:19], s21, v50
	v_lshl_add_u64 v[48:49], v[28:29], 1, s[24:25]
	v_mad_i64_i32 v[28:29], s[26:27], v50, s30, 0
	v_lshl_add_u64 v[28:29], v[28:29], 1, s[22:23]
	s_and_b64 s[34:35], s[2:3], s[18:19]
	s_and_saveexec_b64 s[26:27], s[34:35]
	s_cbranch_execnz .LBB263_100
; %bb.93:
	s_or_b64 exec, exec, s[26:27]
	s_and_b64 s[34:35], s[4:5], s[18:19]
	s_and_saveexec_b64 s[26:27], s[34:35]
	s_cbranch_execnz .LBB263_104
.LBB263_94:
	s_or_b64 exec, exec, s[26:27]
	s_and_b64 s[34:35], s[6:7], s[18:19]
	s_and_saveexec_b64 s[26:27], s[34:35]
	s_cbranch_execnz .LBB263_108
.LBB263_95:
	s_or_b64 exec, exec, s[26:27]
	s_and_b64 s[34:35], s[8:9], s[18:19]
	s_and_saveexec_b64 s[26:27], s[34:35]
	s_cbranch_execnz .LBB263_112
.LBB263_96:
	s_or_b64 exec, exec, s[26:27]
	s_and_b64 s[34:35], s[10:11], s[18:19]
	s_and_saveexec_b64 s[26:27], s[34:35]
	s_cbranch_execnz .LBB263_116
.LBB263_97:
	s_or_b64 exec, exec, s[26:27]
	s_and_b64 s[34:35], s[12:13], s[18:19]
	s_and_saveexec_b64 s[26:27], s[34:35]
	s_cbranch_execnz .LBB263_120
.LBB263_98:
	s_or_b64 exec, exec, s[26:27]
	s_and_b64 s[34:35], s[14:15], s[18:19]
	s_and_saveexec_b64 s[26:27], s[34:35]
	s_cbranch_execnz .LBB263_124
.LBB263_99:
	s_or_b64 exec, exec, s[26:27]
	s_and_b64 s[26:27], s[16:17], s[18:19]
	s_and_saveexec_b64 s[18:19], s[26:27]
	s_cbranch_execnz .LBB263_128
	s_branch .LBB263_132
.LBB263_100:
	s_and_b64 vcc, exec, s[0:1]
	s_cbranch_vccnz .LBB263_102
; %bb.101:
	v_lshl_add_u64 v[50:51], v[32:33], 1, v[48:49]
	flat_load_ushort v50, v[50:51]
	s_waitcnt vmcnt(0) lgkmcnt(0)
	v_mul_f16_e32 v50, s28, v50
	s_branch .LBB263_103
.LBB263_102:
	v_mov_b32_e32 v50, 0
.LBB263_103:
	v_pk_add_f16 v51, v16, v30
	v_pk_max_f16 v108, v108, v108
	s_nop 0
	v_pk_min_f16 v51, v108, v51
	v_pk_add_f16 v108, v17, v31
	s_nop 0
	v_pk_min_f16 v51, v51, v108
	s_nop 0
	v_lshrrev_b32_e32 v108, 16, v51
	v_min3_f16 v108, v50, v51, v108
	v_lshl_add_u64 v[50:51], v[32:33], 1, v[28:29]
	global_store_short v[50:51], v108, off
	s_or_b64 exec, exec, s[26:27]
	s_and_b64 s[34:35], s[4:5], s[18:19]
	s_and_saveexec_b64 s[26:27], s[34:35]
	s_cbranch_execz .LBB263_94
.LBB263_104:
	s_and_b64 vcc, exec, s[0:1]
	s_cbranch_vccnz .LBB263_106
; %bb.105:
	v_lshl_add_u64 v[50:51], v[34:35], 1, v[48:49]
	flat_load_ushort v50, v[50:51]
	s_waitcnt vmcnt(0) lgkmcnt(0)
	v_mul_f16_e32 v50, s28, v50
	s_branch .LBB263_107
.LBB263_106:
	v_mov_b32_e32 v50, 0
.LBB263_107:
	v_pk_add_f16 v51, v18, v30
	v_pk_max_f16 v107, v107, v107
	s_nop 0
	v_pk_min_f16 v51, v107, v51
	v_pk_add_f16 v107, v19, v31
	s_nop 0
	v_pk_min_f16 v51, v51, v107
	s_nop 0
	v_lshrrev_b32_e32 v107, 16, v51
	v_min3_f16 v107, v50, v51, v107
	v_lshl_add_u64 v[50:51], v[34:35], 1, v[28:29]
	global_store_short v[50:51], v107, off
	s_or_b64 exec, exec, s[26:27]
	s_and_b64 s[34:35], s[6:7], s[18:19]
	s_and_saveexec_b64 s[26:27], s[34:35]
	s_cbranch_execz .LBB263_95
.LBB263_108:
	s_and_b64 vcc, exec, s[0:1]
	s_cbranch_vccnz .LBB263_110
; %bb.109:
	v_lshl_add_u64 v[50:51], v[36:37], 1, v[48:49]
	flat_load_ushort v50, v[50:51]
	s_waitcnt vmcnt(0) lgkmcnt(0)
	v_mul_f16_e32 v50, s28, v50
	s_branch .LBB263_111
.LBB263_110:
	v_mov_b32_e32 v50, 0
.LBB263_111:
	v_pk_add_f16 v51, v12, v30
	v_pk_max_f16 v106, v106, v106
	s_nop 0
	v_pk_min_f16 v51, v106, v51
	v_pk_add_f16 v106, v13, v31
	s_nop 0
	v_pk_min_f16 v51, v51, v106
	s_nop 0
	v_lshrrev_b32_e32 v106, 16, v51
	v_min3_f16 v106, v50, v51, v106
	v_lshl_add_u64 v[50:51], v[36:37], 1, v[28:29]
	global_store_short v[50:51], v106, off
	s_or_b64 exec, exec, s[26:27]
	s_and_b64 s[34:35], s[8:9], s[18:19]
	s_and_saveexec_b64 s[26:27], s[34:35]
	s_cbranch_execz .LBB263_96
.LBB263_112:
	s_and_b64 vcc, exec, s[0:1]
	s_cbranch_vccnz .LBB263_114
; %bb.113:
	v_lshl_add_u64 v[50:51], v[38:39], 1, v[48:49]
	flat_load_ushort v50, v[50:51]
	s_waitcnt vmcnt(0) lgkmcnt(0)
	v_mul_f16_e32 v50, s28, v50
	s_branch .LBB263_115
.LBB263_114:
	v_mov_b32_e32 v50, 0
.LBB263_115:
	v_pk_add_f16 v51, v14, v30
	v_pk_max_f16 v105, v105, v105
	s_nop 0
	v_pk_min_f16 v51, v105, v51
	v_pk_add_f16 v105, v15, v31
	s_nop 0
	v_pk_min_f16 v51, v51, v105
	s_nop 0
	v_lshrrev_b32_e32 v105, 16, v51
	v_min3_f16 v105, v50, v51, v105
	v_lshl_add_u64 v[50:51], v[38:39], 1, v[28:29]
	global_store_short v[50:51], v105, off
	s_or_b64 exec, exec, s[26:27]
	s_and_b64 s[34:35], s[10:11], s[18:19]
	s_and_saveexec_b64 s[26:27], s[34:35]
	s_cbranch_execz .LBB263_97
.LBB263_116:
	s_and_b64 vcc, exec, s[0:1]
	s_cbranch_vccnz .LBB263_118
; %bb.117:
	v_lshl_add_u64 v[50:51], v[40:41], 1, v[48:49]
	flat_load_ushort v50, v[50:51]
	s_waitcnt vmcnt(0) lgkmcnt(0)
	v_mul_f16_e32 v50, s28, v50
	s_branch .LBB263_119
.LBB263_118:
	v_mov_b32_e32 v50, 0
.LBB263_119:
	v_pk_add_f16 v51, v8, v30
	v_pk_max_f16 v104, v104, v104
	s_nop 0
	v_pk_min_f16 v51, v104, v51
	v_pk_add_f16 v104, v9, v31
	s_nop 0
	v_pk_min_f16 v51, v51, v104
	s_nop 0
	v_lshrrev_b32_e32 v104, 16, v51
	v_min3_f16 v104, v50, v51, v104
	v_lshl_add_u64 v[50:51], v[40:41], 1, v[28:29]
	global_store_short v[50:51], v104, off
	s_or_b64 exec, exec, s[26:27]
	s_and_b64 s[34:35], s[12:13], s[18:19]
	s_and_saveexec_b64 s[26:27], s[34:35]
	s_cbranch_execz .LBB263_98
.LBB263_120:
	s_and_b64 vcc, exec, s[0:1]
	s_cbranch_vccnz .LBB263_122
; %bb.121:
	v_lshl_add_u64 v[50:51], v[42:43], 1, v[48:49]
	flat_load_ushort v50, v[50:51]
	s_waitcnt vmcnt(0) lgkmcnt(0)
	v_mul_f16_e32 v50, s28, v50
	s_branch .LBB263_123
.LBB263_122:
	v_mov_b32_e32 v50, 0
.LBB263_123:
	v_pk_add_f16 v51, v10, v30
	v_pk_max_f16 v103, v103, v103
	s_nop 0
	v_pk_min_f16 v51, v103, v51
	v_pk_add_f16 v103, v11, v31
	s_nop 0
	v_pk_min_f16 v51, v51, v103
	s_nop 0
	v_lshrrev_b32_e32 v103, 16, v51
	v_min3_f16 v103, v50, v51, v103
	v_lshl_add_u64 v[50:51], v[42:43], 1, v[28:29]
	global_store_short v[50:51], v103, off
	s_or_b64 exec, exec, s[26:27]
	s_and_b64 s[34:35], s[14:15], s[18:19]
	s_and_saveexec_b64 s[26:27], s[34:35]
	s_cbranch_execz .LBB263_99
.LBB263_124:
	s_and_b64 vcc, exec, s[0:1]
	s_cbranch_vccnz .LBB263_126
; %bb.125:
	v_lshl_add_u64 v[50:51], v[44:45], 1, v[48:49]
	flat_load_ushort v50, v[50:51]
	s_waitcnt vmcnt(0) lgkmcnt(0)
	v_mul_f16_e32 v50, s28, v50
	s_branch .LBB263_127
.LBB263_126:
	v_mov_b32_e32 v50, 0
.LBB263_127:
	v_pk_add_f16 v51, v0, v30
	v_pk_max_f16 v102, v102, v102
	s_nop 0
	v_pk_min_f16 v51, v102, v51
	v_pk_add_f16 v102, v1, v31
	s_nop 0
	v_pk_min_f16 v51, v51, v102
	s_nop 0
	v_lshrrev_b32_e32 v102, 16, v51
	v_min3_f16 v102, v50, v51, v102
	v_lshl_add_u64 v[50:51], v[44:45], 1, v[28:29]
	global_store_short v[50:51], v102, off
	s_or_b64 exec, exec, s[26:27]
	s_and_b64 s[26:27], s[16:17], s[18:19]
	s_and_saveexec_b64 s[18:19], s[26:27]
	s_cbranch_execz .LBB263_132
.LBB263_128:
	s_and_b64 vcc, exec, s[0:1]
	s_cbranch_vccnz .LBB263_130
; %bb.129:
	v_lshl_add_u64 v[48:49], v[46:47], 1, v[48:49]
	flat_load_ushort v48, v[48:49]
	s_waitcnt vmcnt(0) lgkmcnt(0)
	v_mul_f16_e32 v48, s28, v48
	s_branch .LBB263_131
.LBB263_130:
	v_mov_b32_e32 v48, 0
.LBB263_131:
	v_pk_add_f16 v30, v2, v30
	v_pk_max_f16 v49, v101, v101
	v_pk_add_f16 v31, v3, v31
	v_pk_min_f16 v30, v49, v30
	v_lshl_add_u64 v[28:29], v[46:47], 1, v[28:29]
	v_pk_min_f16 v30, v30, v31
	s_nop 0
	v_lshrrev_b32_e32 v31, 16, v30
	v_min3_f16 v30, v48, v30, v31
	global_store_short v[28:29], v30, off
.LBB263_132:
	s_or_b64 exec, exec, s[18:19]
	v_add_u32_e32 v48, 16, v100
	v_mad_i64_i32 v[28:29], s[26:27], v48, s31, 0
	v_cmp_gt_i32_e64 s[18:19], s21, v48
	v_lshl_add_u64 v[30:31], v[28:29], 1, s[24:25]
	v_mad_i64_i32 v[28:29], s[26:27], v48, s30, 0
	v_lshl_add_u64 v[28:29], v[28:29], 1, s[22:23]
	s_and_b64 s[34:35], s[2:3], s[18:19]
	s_and_saveexec_b64 s[26:27], s[34:35]
	s_cbranch_execnz .LBB263_140
; %bb.133:
	s_or_b64 exec, exec, s[26:27]
	s_and_b64 s[34:35], s[4:5], s[18:19]
	s_and_saveexec_b64 s[26:27], s[34:35]
	s_cbranch_execnz .LBB263_144
.LBB263_134:
	s_or_b64 exec, exec, s[26:27]
	s_and_b64 s[34:35], s[6:7], s[18:19]
	s_and_saveexec_b64 s[26:27], s[34:35]
	s_cbranch_execnz .LBB263_148
.LBB263_135:
	s_or_b64 exec, exec, s[26:27]
	s_and_b64 s[34:35], s[8:9], s[18:19]
	s_and_saveexec_b64 s[26:27], s[34:35]
	s_cbranch_execnz .LBB263_152
.LBB263_136:
	s_or_b64 exec, exec, s[26:27]
	s_and_b64 s[34:35], s[10:11], s[18:19]
	s_and_saveexec_b64 s[26:27], s[34:35]
	s_cbranch_execnz .LBB263_156
.LBB263_137:
	s_or_b64 exec, exec, s[26:27]
	s_and_b64 s[34:35], s[12:13], s[18:19]
	s_and_saveexec_b64 s[26:27], s[34:35]
	s_cbranch_execnz .LBB263_160
.LBB263_138:
	s_or_b64 exec, exec, s[26:27]
	s_and_b64 s[34:35], s[14:15], s[18:19]
	s_and_saveexec_b64 s[26:27], s[34:35]
	s_cbranch_execnz .LBB263_164
.LBB263_139:
	s_or_b64 exec, exec, s[26:27]
	s_and_b64 s[26:27], s[16:17], s[18:19]
	s_and_saveexec_b64 s[18:19], s[26:27]
	s_cbranch_execnz .LBB263_168
	s_branch .LBB263_172
.LBB263_140:
	s_and_b64 vcc, exec, s[0:1]
	s_cbranch_vccnz .LBB263_142
; %bb.141:
	v_lshl_add_u64 v[48:49], v[32:33], 1, v[30:31]
	flat_load_ushort v48, v[48:49]
	s_waitcnt vmcnt(0) lgkmcnt(0)
	v_mul_f16_e32 v48, s28, v48
	s_branch .LBB263_143
.LBB263_142:
	v_mov_b32_e32 v48, 0
.LBB263_143:
	s_waitcnt lgkmcnt(2)
	v_pk_add_f16 v49, v16, v24
	v_pk_max_f16 v50, v99, v99
	s_nop 0
	v_pk_min_f16 v49, v50, v49
	v_pk_add_f16 v50, v17, v25
	s_nop 0
	v_pk_min_f16 v49, v49, v50
	s_nop 0
	v_lshrrev_b32_e32 v50, 16, v49
	v_min3_f16 v50, v48, v49, v50
	v_lshl_add_u64 v[48:49], v[32:33], 1, v[28:29]
	global_store_short v[48:49], v50, off
	s_or_b64 exec, exec, s[26:27]
	s_and_b64 s[34:35], s[4:5], s[18:19]
	s_and_saveexec_b64 s[26:27], s[34:35]
	s_cbranch_execz .LBB263_134
.LBB263_144:
	s_and_b64 vcc, exec, s[0:1]
	s_cbranch_vccnz .LBB263_146
; %bb.145:
	v_lshl_add_u64 v[48:49], v[34:35], 1, v[30:31]
	flat_load_ushort v48, v[48:49]
	s_waitcnt vmcnt(0) lgkmcnt(0)
	v_mul_f16_e32 v48, s28, v48
	s_branch .LBB263_147
.LBB263_146:
	v_mov_b32_e32 v48, 0
.LBB263_147:
	s_waitcnt lgkmcnt(2)
	v_pk_add_f16 v49, v18, v24
	v_pk_max_f16 v50, v98, v98
	s_nop 0
	v_pk_min_f16 v49, v50, v49
	v_pk_add_f16 v50, v19, v25
	s_nop 0
	v_pk_min_f16 v49, v49, v50
	s_nop 0
	v_lshrrev_b32_e32 v50, 16, v49
	v_min3_f16 v50, v48, v49, v50
	v_lshl_add_u64 v[48:49], v[34:35], 1, v[28:29]
	global_store_short v[48:49], v50, off
	s_or_b64 exec, exec, s[26:27]
	s_and_b64 s[34:35], s[6:7], s[18:19]
	s_and_saveexec_b64 s[26:27], s[34:35]
	s_cbranch_execz .LBB263_135
.LBB263_148:
	s_and_b64 vcc, exec, s[0:1]
	s_cbranch_vccnz .LBB263_150
; %bb.149:
	v_lshl_add_u64 v[48:49], v[36:37], 1, v[30:31]
	flat_load_ushort v48, v[48:49]
	s_waitcnt vmcnt(0) lgkmcnt(0)
	v_mul_f16_e32 v48, s28, v48
	s_branch .LBB263_151
.LBB263_150:
	v_mov_b32_e32 v48, 0
.LBB263_151:
	s_waitcnt lgkmcnt(2)
	v_pk_add_f16 v49, v12, v24
	v_pk_max_f16 v50, v97, v97
	s_nop 0
	v_pk_min_f16 v49, v50, v49
	v_pk_add_f16 v50, v13, v25
	s_nop 0
	v_pk_min_f16 v49, v49, v50
	s_nop 0
	v_lshrrev_b32_e32 v50, 16, v49
	v_min3_f16 v50, v48, v49, v50
	v_lshl_add_u64 v[48:49], v[36:37], 1, v[28:29]
	global_store_short v[48:49], v50, off
	s_or_b64 exec, exec, s[26:27]
	s_and_b64 s[34:35], s[8:9], s[18:19]
	s_and_saveexec_b64 s[26:27], s[34:35]
	s_cbranch_execz .LBB263_136
.LBB263_152:
	s_and_b64 vcc, exec, s[0:1]
	s_cbranch_vccnz .LBB263_154
; %bb.153:
	v_lshl_add_u64 v[48:49], v[38:39], 1, v[30:31]
	flat_load_ushort v48, v[48:49]
	s_waitcnt vmcnt(0) lgkmcnt(0)
	v_mul_f16_e32 v48, s28, v48
	s_branch .LBB263_155
.LBB263_154:
	v_mov_b32_e32 v48, 0
.LBB263_155:
	s_waitcnt lgkmcnt(2)
	v_pk_add_f16 v49, v14, v24
	v_pk_max_f16 v50, v96, v96
	s_nop 0
	v_pk_min_f16 v49, v50, v49
	v_pk_add_f16 v50, v15, v25
	s_nop 0
	v_pk_min_f16 v49, v49, v50
	s_nop 0
	v_lshrrev_b32_e32 v50, 16, v49
	v_min3_f16 v50, v48, v49, v50
	v_lshl_add_u64 v[48:49], v[38:39], 1, v[28:29]
	global_store_short v[48:49], v50, off
	s_or_b64 exec, exec, s[26:27]
	s_and_b64 s[34:35], s[10:11], s[18:19]
	s_and_saveexec_b64 s[26:27], s[34:35]
	s_cbranch_execz .LBB263_137
.LBB263_156:
	s_and_b64 vcc, exec, s[0:1]
	s_cbranch_vccnz .LBB263_158
; %bb.157:
	v_lshl_add_u64 v[48:49], v[40:41], 1, v[30:31]
	flat_load_ushort v48, v[48:49]
	s_waitcnt vmcnt(0) lgkmcnt(0)
	v_mul_f16_e32 v48, s28, v48
	s_branch .LBB263_159
.LBB263_158:
	v_mov_b32_e32 v48, 0
.LBB263_159:
	s_waitcnt lgkmcnt(2)
	v_pk_add_f16 v49, v8, v24
	v_pk_max_f16 v50, v95, v95
	s_nop 0
	v_pk_min_f16 v49, v50, v49
	v_pk_add_f16 v50, v9, v25
	s_nop 0
	v_pk_min_f16 v49, v49, v50
	s_nop 0
	v_lshrrev_b32_e32 v50, 16, v49
	v_min3_f16 v50, v48, v49, v50
	v_lshl_add_u64 v[48:49], v[40:41], 1, v[28:29]
	global_store_short v[48:49], v50, off
	s_or_b64 exec, exec, s[26:27]
	s_and_b64 s[34:35], s[12:13], s[18:19]
	s_and_saveexec_b64 s[26:27], s[34:35]
	s_cbranch_execz .LBB263_138
.LBB263_160:
	s_and_b64 vcc, exec, s[0:1]
	s_cbranch_vccnz .LBB263_162
; %bb.161:
	v_lshl_add_u64 v[48:49], v[42:43], 1, v[30:31]
	flat_load_ushort v48, v[48:49]
	s_waitcnt vmcnt(0) lgkmcnt(0)
	v_mul_f16_e32 v48, s28, v48
	s_branch .LBB263_163
.LBB263_162:
	v_mov_b32_e32 v48, 0
.LBB263_163:
	s_waitcnt lgkmcnt(2)
	v_pk_add_f16 v49, v10, v24
	v_pk_max_f16 v50, v94, v94
	s_nop 0
	v_pk_min_f16 v49, v50, v49
	v_pk_add_f16 v50, v11, v25
	s_nop 0
	v_pk_min_f16 v49, v49, v50
	s_nop 0
	v_lshrrev_b32_e32 v50, 16, v49
	v_min3_f16 v50, v48, v49, v50
	v_lshl_add_u64 v[48:49], v[42:43], 1, v[28:29]
	global_store_short v[48:49], v50, off
	s_or_b64 exec, exec, s[26:27]
	s_and_b64 s[34:35], s[14:15], s[18:19]
	s_and_saveexec_b64 s[26:27], s[34:35]
	s_cbranch_execz .LBB263_139
.LBB263_164:
	s_and_b64 vcc, exec, s[0:1]
	s_cbranch_vccnz .LBB263_166
; %bb.165:
	v_lshl_add_u64 v[48:49], v[44:45], 1, v[30:31]
	flat_load_ushort v48, v[48:49]
	s_waitcnt vmcnt(0) lgkmcnt(0)
	v_mul_f16_e32 v48, s28, v48
	s_branch .LBB263_167
.LBB263_166:
	v_mov_b32_e32 v48, 0
.LBB263_167:
	s_waitcnt lgkmcnt(2)
	v_pk_add_f16 v49, v0, v24
	v_pk_max_f16 v50, v93, v93
	s_nop 0
	v_pk_min_f16 v49, v50, v49
	v_pk_add_f16 v50, v1, v25
	s_nop 0
	v_pk_min_f16 v49, v49, v50
	s_nop 0
	v_lshrrev_b32_e32 v50, 16, v49
	v_min3_f16 v50, v48, v49, v50
	v_lshl_add_u64 v[48:49], v[44:45], 1, v[28:29]
	global_store_short v[48:49], v50, off
	s_or_b64 exec, exec, s[26:27]
	s_and_b64 s[26:27], s[16:17], s[18:19]
	s_and_saveexec_b64 s[18:19], s[26:27]
	s_cbranch_execz .LBB263_172
.LBB263_168:
	s_and_b64 vcc, exec, s[0:1]
	s_cbranch_vccnz .LBB263_170
; %bb.169:
	v_lshl_add_u64 v[30:31], v[46:47], 1, v[30:31]
	flat_load_ushort v30, v[30:31]
	s_waitcnt vmcnt(0) lgkmcnt(0)
	v_mul_f16_e32 v30, s28, v30
	s_branch .LBB263_171
.LBB263_170:
	v_mov_b32_e32 v30, 0
.LBB263_171:
	s_waitcnt lgkmcnt(2)
	v_pk_add_f16 v24, v2, v24
	v_pk_max_f16 v31, v92, v92
	v_pk_add_f16 v25, v3, v25
	v_pk_min_f16 v24, v31, v24
	s_nop 0
	v_pk_min_f16 v24, v24, v25
	s_nop 0
	v_lshrrev_b32_e32 v25, 16, v24
	v_min3_f16 v30, v30, v24, v25
	v_lshl_add_u64 v[24:25], v[46:47], 1, v[28:29]
	global_store_short v[24:25], v30, off
.LBB263_172:
	s_or_b64 exec, exec, s[18:19]
	v_add_u32_e32 v30, 24, v100
	s_waitcnt lgkmcnt(2)
	v_mad_i64_i32 v[24:25], s[26:27], v30, s31, 0
	v_cmp_gt_i32_e64 s[18:19], s21, v30
	v_lshl_add_u64 v[28:29], v[24:25], 1, s[24:25]
	v_mad_i64_i32 v[24:25], s[26:27], v30, s30, 0
	v_lshl_add_u64 v[24:25], v[24:25], 1, s[22:23]
	s_and_b64 s[34:35], s[2:3], s[18:19]
	s_and_saveexec_b64 s[26:27], s[34:35]
	s_cbranch_execnz .LBB263_180
; %bb.173:
	s_or_b64 exec, exec, s[26:27]
	s_and_b64 s[34:35], s[4:5], s[18:19]
	s_and_saveexec_b64 s[26:27], s[34:35]
	s_cbranch_execnz .LBB263_184
.LBB263_174:
	s_or_b64 exec, exec, s[26:27]
	s_and_b64 s[34:35], s[6:7], s[18:19]
	s_and_saveexec_b64 s[26:27], s[34:35]
	s_cbranch_execnz .LBB263_188
.LBB263_175:
	s_or_b64 exec, exec, s[26:27]
	s_and_b64 s[34:35], s[8:9], s[18:19]
	s_and_saveexec_b64 s[26:27], s[34:35]
	s_cbranch_execnz .LBB263_192
.LBB263_176:
	s_or_b64 exec, exec, s[26:27]
	s_and_b64 s[34:35], s[10:11], s[18:19]
	s_and_saveexec_b64 s[26:27], s[34:35]
	s_cbranch_execnz .LBB263_196
.LBB263_177:
	s_or_b64 exec, exec, s[26:27]
	s_and_b64 s[34:35], s[12:13], s[18:19]
	s_and_saveexec_b64 s[26:27], s[34:35]
	s_cbranch_execnz .LBB263_200
.LBB263_178:
	s_or_b64 exec, exec, s[26:27]
	s_and_b64 s[34:35], s[14:15], s[18:19]
	s_and_saveexec_b64 s[26:27], s[34:35]
	s_cbranch_execnz .LBB263_204
.LBB263_179:
	s_or_b64 exec, exec, s[26:27]
	s_and_b64 s[26:27], s[16:17], s[18:19]
	s_and_saveexec_b64 s[18:19], s[26:27]
	s_cbranch_execnz .LBB263_208
	s_branch .LBB263_212
.LBB263_180:
	s_and_b64 vcc, exec, s[0:1]
	s_cbranch_vccnz .LBB263_182
; %bb.181:
	v_lshl_add_u64 v[30:31], v[32:33], 1, v[28:29]
	flat_load_ushort v30, v[30:31]
	s_waitcnt vmcnt(0) lgkmcnt(0)
	v_mul_f16_e32 v30, s28, v30
	s_branch .LBB263_183
.LBB263_182:
	v_mov_b32_e32 v30, 0
.LBB263_183:
	v_pk_add_f16 v31, v16, v26
	v_pk_max_f16 v48, v91, v91
	s_nop 0
	v_pk_min_f16 v31, v48, v31
	v_pk_add_f16 v48, v17, v27
	s_nop 0
	v_pk_min_f16 v31, v31, v48
	s_nop 0
	v_lshrrev_b32_e32 v48, 16, v31
	v_min3_f16 v48, v30, v31, v48
	v_lshl_add_u64 v[30:31], v[32:33], 1, v[24:25]
	global_store_short v[30:31], v48, off
	s_or_b64 exec, exec, s[26:27]
	s_and_b64 s[34:35], s[4:5], s[18:19]
	s_and_saveexec_b64 s[26:27], s[34:35]
	s_cbranch_execz .LBB263_174
.LBB263_184:
	s_and_b64 vcc, exec, s[0:1]
	s_cbranch_vccnz .LBB263_186
; %bb.185:
	v_lshl_add_u64 v[30:31], v[34:35], 1, v[28:29]
	flat_load_ushort v30, v[30:31]
	s_waitcnt vmcnt(0) lgkmcnt(0)
	v_mul_f16_e32 v30, s28, v30
	s_branch .LBB263_187
.LBB263_186:
	v_mov_b32_e32 v30, 0
.LBB263_187:
	v_pk_add_f16 v31, v18, v26
	v_pk_max_f16 v48, v90, v90
	s_nop 0
	v_pk_min_f16 v31, v48, v31
	v_pk_add_f16 v48, v19, v27
	s_nop 0
	v_pk_min_f16 v31, v31, v48
	s_nop 0
	v_lshrrev_b32_e32 v48, 16, v31
	v_min3_f16 v48, v30, v31, v48
	v_lshl_add_u64 v[30:31], v[34:35], 1, v[24:25]
	global_store_short v[30:31], v48, off
	s_or_b64 exec, exec, s[26:27]
	s_and_b64 s[34:35], s[6:7], s[18:19]
	s_and_saveexec_b64 s[26:27], s[34:35]
	s_cbranch_execz .LBB263_175
.LBB263_188:
	s_and_b64 vcc, exec, s[0:1]
	s_cbranch_vccnz .LBB263_190
; %bb.189:
	v_lshl_add_u64 v[30:31], v[36:37], 1, v[28:29]
	flat_load_ushort v30, v[30:31]
	s_waitcnt vmcnt(0) lgkmcnt(0)
	v_mul_f16_e32 v30, s28, v30
	s_branch .LBB263_191
.LBB263_190:
	v_mov_b32_e32 v30, 0
.LBB263_191:
	v_pk_add_f16 v31, v12, v26
	v_pk_max_f16 v48, v89, v89
	s_nop 0
	v_pk_min_f16 v31, v48, v31
	v_pk_add_f16 v48, v13, v27
	s_nop 0
	v_pk_min_f16 v31, v31, v48
	s_nop 0
	v_lshrrev_b32_e32 v48, 16, v31
	v_min3_f16 v48, v30, v31, v48
	v_lshl_add_u64 v[30:31], v[36:37], 1, v[24:25]
	global_store_short v[30:31], v48, off
	s_or_b64 exec, exec, s[26:27]
	s_and_b64 s[34:35], s[8:9], s[18:19]
	s_and_saveexec_b64 s[26:27], s[34:35]
	s_cbranch_execz .LBB263_176
.LBB263_192:
	s_and_b64 vcc, exec, s[0:1]
	s_cbranch_vccnz .LBB263_194
; %bb.193:
	v_lshl_add_u64 v[30:31], v[38:39], 1, v[28:29]
	flat_load_ushort v30, v[30:31]
	s_waitcnt vmcnt(0) lgkmcnt(0)
	v_mul_f16_e32 v30, s28, v30
	s_branch .LBB263_195
.LBB263_194:
	v_mov_b32_e32 v30, 0
.LBB263_195:
	v_pk_add_f16 v31, v14, v26
	v_pk_max_f16 v48, v88, v88
	s_nop 0
	v_pk_min_f16 v31, v48, v31
	v_pk_add_f16 v48, v15, v27
	s_nop 0
	v_pk_min_f16 v31, v31, v48
	s_nop 0
	v_lshrrev_b32_e32 v48, 16, v31
	v_min3_f16 v48, v30, v31, v48
	v_lshl_add_u64 v[30:31], v[38:39], 1, v[24:25]
	global_store_short v[30:31], v48, off
	s_or_b64 exec, exec, s[26:27]
	s_and_b64 s[34:35], s[10:11], s[18:19]
	s_and_saveexec_b64 s[26:27], s[34:35]
	s_cbranch_execz .LBB263_177
.LBB263_196:
	s_and_b64 vcc, exec, s[0:1]
	s_cbranch_vccnz .LBB263_198
; %bb.197:
	v_lshl_add_u64 v[30:31], v[40:41], 1, v[28:29]
	flat_load_ushort v30, v[30:31]
	s_waitcnt vmcnt(0) lgkmcnt(0)
	v_mul_f16_e32 v30, s28, v30
	s_branch .LBB263_199
.LBB263_198:
	v_mov_b32_e32 v30, 0
.LBB263_199:
	v_pk_add_f16 v31, v8, v26
	v_pk_max_f16 v48, v87, v87
	s_nop 0
	v_pk_min_f16 v31, v48, v31
	v_pk_add_f16 v48, v9, v27
	s_nop 0
	v_pk_min_f16 v31, v31, v48
	s_nop 0
	v_lshrrev_b32_e32 v48, 16, v31
	v_min3_f16 v48, v30, v31, v48
	v_lshl_add_u64 v[30:31], v[40:41], 1, v[24:25]
	global_store_short v[30:31], v48, off
	s_or_b64 exec, exec, s[26:27]
	s_and_b64 s[34:35], s[12:13], s[18:19]
	s_and_saveexec_b64 s[26:27], s[34:35]
	s_cbranch_execz .LBB263_178
.LBB263_200:
	s_and_b64 vcc, exec, s[0:1]
	s_cbranch_vccnz .LBB263_202
; %bb.201:
	v_lshl_add_u64 v[30:31], v[42:43], 1, v[28:29]
	flat_load_ushort v30, v[30:31]
	s_waitcnt vmcnt(0) lgkmcnt(0)
	v_mul_f16_e32 v30, s28, v30
	s_branch .LBB263_203
.LBB263_202:
	v_mov_b32_e32 v30, 0
.LBB263_203:
	v_pk_add_f16 v31, v10, v26
	v_pk_max_f16 v48, v86, v86
	s_nop 0
	v_pk_min_f16 v31, v48, v31
	v_pk_add_f16 v48, v11, v27
	s_nop 0
	v_pk_min_f16 v31, v31, v48
	s_nop 0
	v_lshrrev_b32_e32 v48, 16, v31
	v_min3_f16 v48, v30, v31, v48
	v_lshl_add_u64 v[30:31], v[42:43], 1, v[24:25]
	global_store_short v[30:31], v48, off
	s_or_b64 exec, exec, s[26:27]
	s_and_b64 s[34:35], s[14:15], s[18:19]
	s_and_saveexec_b64 s[26:27], s[34:35]
	s_cbranch_execz .LBB263_179
.LBB263_204:
	s_and_b64 vcc, exec, s[0:1]
	s_cbranch_vccnz .LBB263_206
; %bb.205:
	v_lshl_add_u64 v[30:31], v[44:45], 1, v[28:29]
	flat_load_ushort v30, v[30:31]
	s_waitcnt vmcnt(0) lgkmcnt(0)
	v_mul_f16_e32 v30, s28, v30
	s_branch .LBB263_207
.LBB263_206:
	v_mov_b32_e32 v30, 0
.LBB263_207:
	v_pk_add_f16 v31, v0, v26
	v_pk_max_f16 v48, v85, v85
	s_nop 0
	v_pk_min_f16 v31, v48, v31
	v_pk_add_f16 v48, v1, v27
	s_nop 0
	v_pk_min_f16 v31, v31, v48
	s_nop 0
	v_lshrrev_b32_e32 v48, 16, v31
	v_min3_f16 v48, v30, v31, v48
	v_lshl_add_u64 v[30:31], v[44:45], 1, v[24:25]
	global_store_short v[30:31], v48, off
	s_or_b64 exec, exec, s[26:27]
	s_and_b64 s[26:27], s[16:17], s[18:19]
	s_and_saveexec_b64 s[18:19], s[26:27]
	s_cbranch_execz .LBB263_212
.LBB263_208:
	s_and_b64 vcc, exec, s[0:1]
	s_cbranch_vccnz .LBB263_210
; %bb.209:
	v_lshl_add_u64 v[28:29], v[46:47], 1, v[28:29]
	flat_load_ushort v28, v[28:29]
	s_waitcnt vmcnt(0) lgkmcnt(0)
	v_mul_f16_e32 v28, s28, v28
	s_branch .LBB263_211
.LBB263_210:
	v_mov_b32_e32 v28, 0
.LBB263_211:
	v_pk_add_f16 v26, v2, v26
	v_pk_max_f16 v29, v84, v84
	v_pk_add_f16 v27, v3, v27
	v_pk_min_f16 v26, v29, v26
	v_lshl_add_u64 v[24:25], v[46:47], 1, v[24:25]
	v_pk_min_f16 v26, v26, v27
	s_nop 0
	v_lshrrev_b32_e32 v27, 16, v26
	v_min3_f16 v26, v28, v26, v27
	global_store_short v[24:25], v26, off
.LBB263_212:
	s_or_b64 exec, exec, s[18:19]
	v_add_u32_e32 v28, 32, v100
	v_mad_i64_i32 v[24:25], s[26:27], v28, s31, 0
	v_cmp_gt_i32_e64 s[18:19], s21, v28
	v_lshl_add_u64 v[26:27], v[24:25], 1, s[24:25]
	v_mad_i64_i32 v[24:25], s[26:27], v28, s30, 0
	v_lshl_add_u64 v[24:25], v[24:25], 1, s[22:23]
	s_and_b64 s[34:35], s[2:3], s[18:19]
	s_and_saveexec_b64 s[26:27], s[34:35]
	s_cbranch_execnz .LBB263_220
; %bb.213:
	s_or_b64 exec, exec, s[26:27]
	s_and_b64 s[34:35], s[4:5], s[18:19]
	s_and_saveexec_b64 s[26:27], s[34:35]
	s_cbranch_execnz .LBB263_224
.LBB263_214:
	s_or_b64 exec, exec, s[26:27]
	s_and_b64 s[34:35], s[6:7], s[18:19]
	s_and_saveexec_b64 s[26:27], s[34:35]
	s_cbranch_execnz .LBB263_228
.LBB263_215:
	s_or_b64 exec, exec, s[26:27]
	s_and_b64 s[34:35], s[8:9], s[18:19]
	s_and_saveexec_b64 s[26:27], s[34:35]
	s_cbranch_execnz .LBB263_232
.LBB263_216:
	s_or_b64 exec, exec, s[26:27]
	s_and_b64 s[34:35], s[10:11], s[18:19]
	s_and_saveexec_b64 s[26:27], s[34:35]
	s_cbranch_execnz .LBB263_236
.LBB263_217:
	s_or_b64 exec, exec, s[26:27]
	s_and_b64 s[34:35], s[12:13], s[18:19]
	s_and_saveexec_b64 s[26:27], s[34:35]
	s_cbranch_execnz .LBB263_240
.LBB263_218:
	s_or_b64 exec, exec, s[26:27]
	s_and_b64 s[34:35], s[14:15], s[18:19]
	s_and_saveexec_b64 s[26:27], s[34:35]
	s_cbranch_execnz .LBB263_244
.LBB263_219:
	s_or_b64 exec, exec, s[26:27]
	s_and_b64 s[26:27], s[16:17], s[18:19]
	s_and_saveexec_b64 s[18:19], s[26:27]
	s_cbranch_execnz .LBB263_248
	s_branch .LBB263_252
.LBB263_220:
	s_and_b64 vcc, exec, s[0:1]
	s_cbranch_vccnz .LBB263_222
; %bb.221:
	v_lshl_add_u64 v[28:29], v[32:33], 1, v[26:27]
	flat_load_ushort v28, v[28:29]
	s_waitcnt vmcnt(0) lgkmcnt(0)
	v_mul_f16_e32 v28, s28, v28
	s_branch .LBB263_223
.LBB263_222:
	v_mov_b32_e32 v28, 0
.LBB263_223:
	s_waitcnt lgkmcnt(1)
	v_pk_add_f16 v29, v16, v20
	v_pk_max_f16 v30, v83, v83
	s_nop 0
	v_pk_min_f16 v29, v30, v29
	v_pk_add_f16 v30, v17, v21
	s_nop 0
	v_pk_min_f16 v29, v29, v30
	s_nop 0
	v_lshrrev_b32_e32 v30, 16, v29
	v_min3_f16 v30, v28, v29, v30
	v_lshl_add_u64 v[28:29], v[32:33], 1, v[24:25]
	global_store_short v[28:29], v30, off
	s_or_b64 exec, exec, s[26:27]
	s_and_b64 s[34:35], s[4:5], s[18:19]
	s_and_saveexec_b64 s[26:27], s[34:35]
	s_cbranch_execz .LBB263_214
.LBB263_224:
	s_and_b64 vcc, exec, s[0:1]
	s_cbranch_vccnz .LBB263_226
; %bb.225:
	v_lshl_add_u64 v[28:29], v[34:35], 1, v[26:27]
	flat_load_ushort v28, v[28:29]
	s_waitcnt vmcnt(0) lgkmcnt(0)
	v_mul_f16_e32 v28, s28, v28
	s_branch .LBB263_227
.LBB263_226:
	v_mov_b32_e32 v28, 0
.LBB263_227:
	s_waitcnt lgkmcnt(1)
	v_pk_add_f16 v29, v18, v20
	v_pk_max_f16 v30, v82, v82
	s_nop 0
	v_pk_min_f16 v29, v30, v29
	v_pk_add_f16 v30, v19, v21
	s_nop 0
	v_pk_min_f16 v29, v29, v30
	s_nop 0
	v_lshrrev_b32_e32 v30, 16, v29
	v_min3_f16 v30, v28, v29, v30
	v_lshl_add_u64 v[28:29], v[34:35], 1, v[24:25]
	global_store_short v[28:29], v30, off
	s_or_b64 exec, exec, s[26:27]
	s_and_b64 s[34:35], s[6:7], s[18:19]
	s_and_saveexec_b64 s[26:27], s[34:35]
	s_cbranch_execz .LBB263_215
.LBB263_228:
	s_and_b64 vcc, exec, s[0:1]
	s_cbranch_vccnz .LBB263_230
; %bb.229:
	v_lshl_add_u64 v[28:29], v[36:37], 1, v[26:27]
	flat_load_ushort v28, v[28:29]
	s_waitcnt vmcnt(0) lgkmcnt(0)
	v_mul_f16_e32 v28, s28, v28
	s_branch .LBB263_231
.LBB263_230:
	v_mov_b32_e32 v28, 0
.LBB263_231:
	s_waitcnt lgkmcnt(1)
	v_pk_add_f16 v29, v12, v20
	v_pk_max_f16 v30, v81, v81
	s_nop 0
	v_pk_min_f16 v29, v30, v29
	v_pk_add_f16 v30, v13, v21
	s_nop 0
	v_pk_min_f16 v29, v29, v30
	s_nop 0
	v_lshrrev_b32_e32 v30, 16, v29
	v_min3_f16 v30, v28, v29, v30
	v_lshl_add_u64 v[28:29], v[36:37], 1, v[24:25]
	global_store_short v[28:29], v30, off
	s_or_b64 exec, exec, s[26:27]
	s_and_b64 s[34:35], s[8:9], s[18:19]
	s_and_saveexec_b64 s[26:27], s[34:35]
	s_cbranch_execz .LBB263_216
.LBB263_232:
	s_and_b64 vcc, exec, s[0:1]
	s_cbranch_vccnz .LBB263_234
; %bb.233:
	v_lshl_add_u64 v[28:29], v[38:39], 1, v[26:27]
	flat_load_ushort v28, v[28:29]
	s_waitcnt vmcnt(0) lgkmcnt(0)
	v_mul_f16_e32 v28, s28, v28
	s_branch .LBB263_235
.LBB263_234:
	v_mov_b32_e32 v28, 0
.LBB263_235:
	s_waitcnt lgkmcnt(1)
	v_pk_add_f16 v29, v14, v20
	v_pk_max_f16 v30, v80, v80
	s_nop 0
	v_pk_min_f16 v29, v30, v29
	v_pk_add_f16 v30, v15, v21
	s_nop 0
	v_pk_min_f16 v29, v29, v30
	s_nop 0
	v_lshrrev_b32_e32 v30, 16, v29
	v_min3_f16 v30, v28, v29, v30
	v_lshl_add_u64 v[28:29], v[38:39], 1, v[24:25]
	global_store_short v[28:29], v30, off
	s_or_b64 exec, exec, s[26:27]
	s_and_b64 s[34:35], s[10:11], s[18:19]
	s_and_saveexec_b64 s[26:27], s[34:35]
	s_cbranch_execz .LBB263_217
.LBB263_236:
	s_and_b64 vcc, exec, s[0:1]
	s_cbranch_vccnz .LBB263_238
; %bb.237:
	v_lshl_add_u64 v[28:29], v[40:41], 1, v[26:27]
	flat_load_ushort v28, v[28:29]
	s_waitcnt vmcnt(0) lgkmcnt(0)
	v_mul_f16_e32 v28, s28, v28
	s_branch .LBB263_239
.LBB263_238:
	v_mov_b32_e32 v28, 0
.LBB263_239:
	s_waitcnt lgkmcnt(1)
	v_pk_add_f16 v29, v8, v20
	v_pk_max_f16 v30, v79, v79
	s_nop 0
	v_pk_min_f16 v29, v30, v29
	v_pk_add_f16 v30, v9, v21
	s_nop 0
	v_pk_min_f16 v29, v29, v30
	s_nop 0
	v_lshrrev_b32_e32 v30, 16, v29
	v_min3_f16 v30, v28, v29, v30
	v_lshl_add_u64 v[28:29], v[40:41], 1, v[24:25]
	global_store_short v[28:29], v30, off
	s_or_b64 exec, exec, s[26:27]
	s_and_b64 s[34:35], s[12:13], s[18:19]
	s_and_saveexec_b64 s[26:27], s[34:35]
	s_cbranch_execz .LBB263_218
.LBB263_240:
	s_and_b64 vcc, exec, s[0:1]
	s_cbranch_vccnz .LBB263_242
; %bb.241:
	v_lshl_add_u64 v[28:29], v[42:43], 1, v[26:27]
	flat_load_ushort v28, v[28:29]
	s_waitcnt vmcnt(0) lgkmcnt(0)
	v_mul_f16_e32 v28, s28, v28
	s_branch .LBB263_243
.LBB263_242:
	v_mov_b32_e32 v28, 0
.LBB263_243:
	s_waitcnt lgkmcnt(1)
	v_pk_add_f16 v29, v10, v20
	v_pk_max_f16 v30, v78, v78
	s_nop 0
	v_pk_min_f16 v29, v30, v29
	v_pk_add_f16 v30, v11, v21
	s_nop 0
	v_pk_min_f16 v29, v29, v30
	s_nop 0
	v_lshrrev_b32_e32 v30, 16, v29
	v_min3_f16 v30, v28, v29, v30
	v_lshl_add_u64 v[28:29], v[42:43], 1, v[24:25]
	global_store_short v[28:29], v30, off
	s_or_b64 exec, exec, s[26:27]
	s_and_b64 s[34:35], s[14:15], s[18:19]
	s_and_saveexec_b64 s[26:27], s[34:35]
	s_cbranch_execz .LBB263_219
.LBB263_244:
	s_and_b64 vcc, exec, s[0:1]
	s_cbranch_vccnz .LBB263_246
; %bb.245:
	v_lshl_add_u64 v[28:29], v[44:45], 1, v[26:27]
	flat_load_ushort v28, v[28:29]
	s_waitcnt vmcnt(0) lgkmcnt(0)
	v_mul_f16_e32 v28, s28, v28
	s_branch .LBB263_247
.LBB263_246:
	v_mov_b32_e32 v28, 0
.LBB263_247:
	s_waitcnt lgkmcnt(1)
	v_pk_add_f16 v29, v0, v20
	v_pk_max_f16 v30, v77, v77
	s_nop 0
	v_pk_min_f16 v29, v30, v29
	v_pk_add_f16 v30, v1, v21
	s_nop 0
	v_pk_min_f16 v29, v29, v30
	s_nop 0
	v_lshrrev_b32_e32 v30, 16, v29
	v_min3_f16 v30, v28, v29, v30
	v_lshl_add_u64 v[28:29], v[44:45], 1, v[24:25]
	global_store_short v[28:29], v30, off
	s_or_b64 exec, exec, s[26:27]
	s_and_b64 s[26:27], s[16:17], s[18:19]
	s_and_saveexec_b64 s[18:19], s[26:27]
	s_cbranch_execz .LBB263_252
.LBB263_248:
	s_and_b64 vcc, exec, s[0:1]
	s_cbranch_vccnz .LBB263_250
; %bb.249:
	v_lshl_add_u64 v[26:27], v[46:47], 1, v[26:27]
	flat_load_ushort v26, v[26:27]
	s_waitcnt vmcnt(0) lgkmcnt(0)
	v_mul_f16_e32 v26, s28, v26
	s_branch .LBB263_251
.LBB263_250:
	v_mov_b32_e32 v26, 0
.LBB263_251:
	s_waitcnt lgkmcnt(1)
	v_pk_add_f16 v20, v2, v20
	v_pk_max_f16 v27, v76, v76
	v_pk_add_f16 v21, v3, v21
	v_pk_min_f16 v20, v27, v20
	s_nop 0
	v_pk_min_f16 v20, v20, v21
	s_nop 0
	v_lshrrev_b32_e32 v21, 16, v20
	v_min3_f16 v26, v26, v20, v21
	v_lshl_add_u64 v[20:21], v[46:47], 1, v[24:25]
	global_store_short v[20:21], v26, off
.LBB263_252:
	s_or_b64 exec, exec, s[18:19]
	v_add_u32_e32 v26, 40, v100
	s_waitcnt lgkmcnt(1)
	v_mad_i64_i32 v[20:21], s[26:27], v26, s31, 0
	v_cmp_gt_i32_e64 s[18:19], s21, v26
	v_lshl_add_u64 v[24:25], v[20:21], 1, s[24:25]
	v_mad_i64_i32 v[20:21], s[26:27], v26, s30, 0
	v_lshl_add_u64 v[20:21], v[20:21], 1, s[22:23]
	s_and_b64 s[34:35], s[2:3], s[18:19]
	s_and_saveexec_b64 s[26:27], s[34:35]
	s_cbranch_execnz .LBB263_260
; %bb.253:
	s_or_b64 exec, exec, s[26:27]
	s_and_b64 s[34:35], s[4:5], s[18:19]
	s_and_saveexec_b64 s[26:27], s[34:35]
	s_cbranch_execnz .LBB263_264
.LBB263_254:
	s_or_b64 exec, exec, s[26:27]
	s_and_b64 s[34:35], s[6:7], s[18:19]
	s_and_saveexec_b64 s[26:27], s[34:35]
	s_cbranch_execnz .LBB263_268
.LBB263_255:
	s_or_b64 exec, exec, s[26:27]
	s_and_b64 s[34:35], s[8:9], s[18:19]
	s_and_saveexec_b64 s[26:27], s[34:35]
	s_cbranch_execnz .LBB263_272
.LBB263_256:
	s_or_b64 exec, exec, s[26:27]
	s_and_b64 s[34:35], s[10:11], s[18:19]
	s_and_saveexec_b64 s[26:27], s[34:35]
	s_cbranch_execnz .LBB263_276
.LBB263_257:
	s_or_b64 exec, exec, s[26:27]
	s_and_b64 s[34:35], s[12:13], s[18:19]
	s_and_saveexec_b64 s[26:27], s[34:35]
	s_cbranch_execnz .LBB263_280
.LBB263_258:
	s_or_b64 exec, exec, s[26:27]
	s_and_b64 s[34:35], s[14:15], s[18:19]
	s_and_saveexec_b64 s[26:27], s[34:35]
	s_cbranch_execnz .LBB263_284
.LBB263_259:
	s_or_b64 exec, exec, s[26:27]
	s_and_b64 s[26:27], s[16:17], s[18:19]
	s_and_saveexec_b64 s[18:19], s[26:27]
	s_cbranch_execnz .LBB263_288
	s_branch .LBB263_292
.LBB263_260:
	s_and_b64 vcc, exec, s[0:1]
	s_cbranch_vccnz .LBB263_262
; %bb.261:
	v_lshl_add_u64 v[26:27], v[32:33], 1, v[24:25]
	flat_load_ushort v26, v[26:27]
	s_waitcnt vmcnt(0) lgkmcnt(0)
	v_mul_f16_e32 v26, s28, v26
	s_branch .LBB263_263
.LBB263_262:
	v_mov_b32_e32 v26, 0
.LBB263_263:
	v_pk_add_f16 v27, v16, v22
	v_pk_max_f16 v28, v75, v75
	s_nop 0
	v_pk_min_f16 v27, v28, v27
	v_pk_add_f16 v28, v17, v23
	s_nop 0
	v_pk_min_f16 v27, v27, v28
	s_nop 0
	v_lshrrev_b32_e32 v28, 16, v27
	v_min3_f16 v28, v26, v27, v28
	v_lshl_add_u64 v[26:27], v[32:33], 1, v[20:21]
	global_store_short v[26:27], v28, off
	s_or_b64 exec, exec, s[26:27]
	s_and_b64 s[34:35], s[4:5], s[18:19]
	s_and_saveexec_b64 s[26:27], s[34:35]
	s_cbranch_execz .LBB263_254
.LBB263_264:
	s_and_b64 vcc, exec, s[0:1]
	s_cbranch_vccnz .LBB263_266
; %bb.265:
	v_lshl_add_u64 v[26:27], v[34:35], 1, v[24:25]
	flat_load_ushort v26, v[26:27]
	s_waitcnt vmcnt(0) lgkmcnt(0)
	v_mul_f16_e32 v26, s28, v26
	s_branch .LBB263_267
.LBB263_266:
	v_mov_b32_e32 v26, 0
.LBB263_267:
	v_pk_add_f16 v27, v18, v22
	v_pk_max_f16 v28, v74, v74
	s_nop 0
	v_pk_min_f16 v27, v28, v27
	v_pk_add_f16 v28, v19, v23
	s_nop 0
	v_pk_min_f16 v27, v27, v28
	s_nop 0
	v_lshrrev_b32_e32 v28, 16, v27
	v_min3_f16 v28, v26, v27, v28
	v_lshl_add_u64 v[26:27], v[34:35], 1, v[20:21]
	global_store_short v[26:27], v28, off
	s_or_b64 exec, exec, s[26:27]
	s_and_b64 s[34:35], s[6:7], s[18:19]
	s_and_saveexec_b64 s[26:27], s[34:35]
	s_cbranch_execz .LBB263_255
.LBB263_268:
	s_and_b64 vcc, exec, s[0:1]
	s_cbranch_vccnz .LBB263_270
; %bb.269:
	v_lshl_add_u64 v[26:27], v[36:37], 1, v[24:25]
	flat_load_ushort v26, v[26:27]
	s_waitcnt vmcnt(0) lgkmcnt(0)
	v_mul_f16_e32 v26, s28, v26
	s_branch .LBB263_271
.LBB263_270:
	v_mov_b32_e32 v26, 0
.LBB263_271:
	v_pk_add_f16 v27, v12, v22
	v_pk_max_f16 v28, v73, v73
	s_nop 0
	v_pk_min_f16 v27, v28, v27
	v_pk_add_f16 v28, v13, v23
	s_nop 0
	v_pk_min_f16 v27, v27, v28
	s_nop 0
	v_lshrrev_b32_e32 v28, 16, v27
	v_min3_f16 v28, v26, v27, v28
	v_lshl_add_u64 v[26:27], v[36:37], 1, v[20:21]
	global_store_short v[26:27], v28, off
	s_or_b64 exec, exec, s[26:27]
	s_and_b64 s[34:35], s[8:9], s[18:19]
	s_and_saveexec_b64 s[26:27], s[34:35]
	s_cbranch_execz .LBB263_256
.LBB263_272:
	s_and_b64 vcc, exec, s[0:1]
	s_cbranch_vccnz .LBB263_274
; %bb.273:
	v_lshl_add_u64 v[26:27], v[38:39], 1, v[24:25]
	flat_load_ushort v26, v[26:27]
	s_waitcnt vmcnt(0) lgkmcnt(0)
	v_mul_f16_e32 v26, s28, v26
	s_branch .LBB263_275
.LBB263_274:
	v_mov_b32_e32 v26, 0
.LBB263_275:
	v_pk_add_f16 v27, v14, v22
	v_pk_max_f16 v28, v72, v72
	s_nop 0
	v_pk_min_f16 v27, v28, v27
	v_pk_add_f16 v28, v15, v23
	s_nop 0
	v_pk_min_f16 v27, v27, v28
	s_nop 0
	v_lshrrev_b32_e32 v28, 16, v27
	v_min3_f16 v28, v26, v27, v28
	v_lshl_add_u64 v[26:27], v[38:39], 1, v[20:21]
	global_store_short v[26:27], v28, off
	s_or_b64 exec, exec, s[26:27]
	s_and_b64 s[34:35], s[10:11], s[18:19]
	s_and_saveexec_b64 s[26:27], s[34:35]
	s_cbranch_execz .LBB263_257
.LBB263_276:
	s_and_b64 vcc, exec, s[0:1]
	s_cbranch_vccnz .LBB263_278
; %bb.277:
	v_lshl_add_u64 v[26:27], v[40:41], 1, v[24:25]
	flat_load_ushort v26, v[26:27]
	s_waitcnt vmcnt(0) lgkmcnt(0)
	v_mul_f16_e32 v26, s28, v26
	s_branch .LBB263_279
.LBB263_278:
	v_mov_b32_e32 v26, 0
.LBB263_279:
	v_pk_add_f16 v27, v8, v22
	v_pk_max_f16 v28, v71, v71
	s_nop 0
	v_pk_min_f16 v27, v28, v27
	v_pk_add_f16 v28, v9, v23
	s_nop 0
	v_pk_min_f16 v27, v27, v28
	s_nop 0
	v_lshrrev_b32_e32 v28, 16, v27
	v_min3_f16 v28, v26, v27, v28
	v_lshl_add_u64 v[26:27], v[40:41], 1, v[20:21]
	global_store_short v[26:27], v28, off
	s_or_b64 exec, exec, s[26:27]
	s_and_b64 s[34:35], s[12:13], s[18:19]
	s_and_saveexec_b64 s[26:27], s[34:35]
	s_cbranch_execz .LBB263_258
.LBB263_280:
	s_and_b64 vcc, exec, s[0:1]
	s_cbranch_vccnz .LBB263_282
; %bb.281:
	v_lshl_add_u64 v[26:27], v[42:43], 1, v[24:25]
	flat_load_ushort v26, v[26:27]
	s_waitcnt vmcnt(0) lgkmcnt(0)
	v_mul_f16_e32 v26, s28, v26
	s_branch .LBB263_283
.LBB263_282:
	v_mov_b32_e32 v26, 0
.LBB263_283:
	v_pk_add_f16 v27, v10, v22
	v_pk_max_f16 v28, v70, v70
	s_nop 0
	v_pk_min_f16 v27, v28, v27
	v_pk_add_f16 v28, v11, v23
	s_nop 0
	v_pk_min_f16 v27, v27, v28
	s_nop 0
	v_lshrrev_b32_e32 v28, 16, v27
	v_min3_f16 v28, v26, v27, v28
	v_lshl_add_u64 v[26:27], v[42:43], 1, v[20:21]
	global_store_short v[26:27], v28, off
	s_or_b64 exec, exec, s[26:27]
	s_and_b64 s[34:35], s[14:15], s[18:19]
	s_and_saveexec_b64 s[26:27], s[34:35]
	s_cbranch_execz .LBB263_259
.LBB263_284:
	s_and_b64 vcc, exec, s[0:1]
	s_cbranch_vccnz .LBB263_286
; %bb.285:
	v_lshl_add_u64 v[26:27], v[44:45], 1, v[24:25]
	flat_load_ushort v26, v[26:27]
	s_waitcnt vmcnt(0) lgkmcnt(0)
	v_mul_f16_e32 v26, s28, v26
	s_branch .LBB263_287
.LBB263_286:
	v_mov_b32_e32 v26, 0
.LBB263_287:
	v_pk_add_f16 v27, v0, v22
	v_pk_max_f16 v28, v69, v69
	s_nop 0
	v_pk_min_f16 v27, v28, v27
	v_pk_add_f16 v28, v1, v23
	s_nop 0
	v_pk_min_f16 v27, v27, v28
	s_nop 0
	v_lshrrev_b32_e32 v28, 16, v27
	v_min3_f16 v28, v26, v27, v28
	v_lshl_add_u64 v[26:27], v[44:45], 1, v[20:21]
	global_store_short v[26:27], v28, off
	s_or_b64 exec, exec, s[26:27]
	s_and_b64 s[26:27], s[16:17], s[18:19]
	s_and_saveexec_b64 s[18:19], s[26:27]
	s_cbranch_execz .LBB263_292
.LBB263_288:
	s_and_b64 vcc, exec, s[0:1]
	s_cbranch_vccnz .LBB263_290
; %bb.289:
	v_lshl_add_u64 v[24:25], v[46:47], 1, v[24:25]
	flat_load_ushort v24, v[24:25]
	s_waitcnt vmcnt(0) lgkmcnt(0)
	v_mul_f16_e32 v24, s28, v24
	s_branch .LBB263_291
.LBB263_290:
	v_mov_b32_e32 v24, 0
.LBB263_291:
	v_pk_add_f16 v22, v2, v22
	v_pk_max_f16 v25, v68, v68
	v_pk_add_f16 v23, v3, v23
	v_pk_min_f16 v22, v25, v22
	v_lshl_add_u64 v[20:21], v[46:47], 1, v[20:21]
	v_pk_min_f16 v22, v22, v23
	s_nop 0
	v_lshrrev_b32_e32 v23, 16, v22
	v_min3_f16 v22, v24, v22, v23
	global_store_short v[20:21], v22, off
.LBB263_292:
	s_or_b64 exec, exec, s[18:19]
	v_add_u32_e32 v24, 48, v100
	v_mad_i64_i32 v[20:21], s[26:27], v24, s31, 0
	v_cmp_gt_i32_e64 s[18:19], s21, v24
	v_lshl_add_u64 v[22:23], v[20:21], 1, s[24:25]
	v_mad_i64_i32 v[20:21], s[26:27], v24, s30, 0
	v_lshl_add_u64 v[20:21], v[20:21], 1, s[22:23]
	s_and_b64 s[34:35], s[2:3], s[18:19]
	s_and_saveexec_b64 s[26:27], s[34:35]
	s_cbranch_execnz .LBB263_300
; %bb.293:
	s_or_b64 exec, exec, s[26:27]
	s_and_b64 s[34:35], s[4:5], s[18:19]
	s_and_saveexec_b64 s[26:27], s[34:35]
	s_cbranch_execnz .LBB263_304
.LBB263_294:
	s_or_b64 exec, exec, s[26:27]
	s_and_b64 s[34:35], s[6:7], s[18:19]
	s_and_saveexec_b64 s[26:27], s[34:35]
	s_cbranch_execnz .LBB263_308
.LBB263_295:
	s_or_b64 exec, exec, s[26:27]
	s_and_b64 s[34:35], s[8:9], s[18:19]
	s_and_saveexec_b64 s[26:27], s[34:35]
	s_cbranch_execnz .LBB263_312
.LBB263_296:
	s_or_b64 exec, exec, s[26:27]
	s_and_b64 s[34:35], s[10:11], s[18:19]
	s_and_saveexec_b64 s[26:27], s[34:35]
	s_cbranch_execnz .LBB263_316
.LBB263_297:
	s_or_b64 exec, exec, s[26:27]
	s_and_b64 s[34:35], s[12:13], s[18:19]
	s_and_saveexec_b64 s[26:27], s[34:35]
	s_cbranch_execnz .LBB263_320
.LBB263_298:
	s_or_b64 exec, exec, s[26:27]
	s_and_b64 s[34:35], s[14:15], s[18:19]
	s_and_saveexec_b64 s[26:27], s[34:35]
	s_cbranch_execnz .LBB263_324
.LBB263_299:
	s_or_b64 exec, exec, s[26:27]
	s_and_b64 s[26:27], s[16:17], s[18:19]
	s_and_saveexec_b64 s[18:19], s[26:27]
	s_cbranch_execnz .LBB263_328
	s_branch .LBB263_332
.LBB263_300:
	s_and_b64 vcc, exec, s[0:1]
	s_cbranch_vccnz .LBB263_302
; %bb.301:
	v_lshl_add_u64 v[24:25], v[32:33], 1, v[22:23]
	flat_load_ushort v24, v[24:25]
	s_waitcnt vmcnt(0) lgkmcnt(0)
	v_mul_f16_e32 v24, s28, v24
	s_branch .LBB263_303
.LBB263_302:
	v_mov_b32_e32 v24, 0
.LBB263_303:
	s_waitcnt lgkmcnt(0)
	v_pk_add_f16 v25, v16, v4
	v_pk_max_f16 v26, v67, v67
	s_nop 0
	v_pk_min_f16 v25, v26, v25
	v_pk_add_f16 v26, v17, v5
	s_nop 0
	v_pk_min_f16 v25, v25, v26
	s_nop 0
	v_lshrrev_b32_e32 v26, 16, v25
	v_min3_f16 v26, v24, v25, v26
	v_lshl_add_u64 v[24:25], v[32:33], 1, v[20:21]
	global_store_short v[24:25], v26, off
	s_or_b64 exec, exec, s[26:27]
	s_and_b64 s[34:35], s[4:5], s[18:19]
	s_and_saveexec_b64 s[26:27], s[34:35]
	s_cbranch_execz .LBB263_294
.LBB263_304:
	s_and_b64 vcc, exec, s[0:1]
	s_cbranch_vccnz .LBB263_306
; %bb.305:
	v_lshl_add_u64 v[24:25], v[34:35], 1, v[22:23]
	flat_load_ushort v24, v[24:25]
	s_waitcnt vmcnt(0) lgkmcnt(0)
	v_mul_f16_e32 v24, s28, v24
	s_branch .LBB263_307
.LBB263_306:
	v_mov_b32_e32 v24, 0
.LBB263_307:
	s_waitcnt lgkmcnt(0)
	v_pk_add_f16 v25, v18, v4
	v_pk_max_f16 v26, v66, v66
	s_nop 0
	v_pk_min_f16 v25, v26, v25
	v_pk_add_f16 v26, v19, v5
	s_nop 0
	v_pk_min_f16 v25, v25, v26
	s_nop 0
	v_lshrrev_b32_e32 v26, 16, v25
	v_min3_f16 v26, v24, v25, v26
	v_lshl_add_u64 v[24:25], v[34:35], 1, v[20:21]
	global_store_short v[24:25], v26, off
	s_or_b64 exec, exec, s[26:27]
	s_and_b64 s[34:35], s[6:7], s[18:19]
	s_and_saveexec_b64 s[26:27], s[34:35]
	s_cbranch_execz .LBB263_295
.LBB263_308:
	s_and_b64 vcc, exec, s[0:1]
	s_cbranch_vccnz .LBB263_310
; %bb.309:
	v_lshl_add_u64 v[24:25], v[36:37], 1, v[22:23]
	flat_load_ushort v24, v[24:25]
	s_waitcnt vmcnt(0) lgkmcnt(0)
	v_mul_f16_e32 v24, s28, v24
	s_branch .LBB263_311
.LBB263_310:
	v_mov_b32_e32 v24, 0
.LBB263_311:
	s_waitcnt lgkmcnt(0)
	v_pk_add_f16 v25, v12, v4
	v_pk_max_f16 v26, v65, v65
	s_nop 0
	v_pk_min_f16 v25, v26, v25
	v_pk_add_f16 v26, v13, v5
	s_nop 0
	v_pk_min_f16 v25, v25, v26
	s_nop 0
	v_lshrrev_b32_e32 v26, 16, v25
	v_min3_f16 v26, v24, v25, v26
	v_lshl_add_u64 v[24:25], v[36:37], 1, v[20:21]
	global_store_short v[24:25], v26, off
	s_or_b64 exec, exec, s[26:27]
	s_and_b64 s[34:35], s[8:9], s[18:19]
	s_and_saveexec_b64 s[26:27], s[34:35]
	s_cbranch_execz .LBB263_296
.LBB263_312:
	s_and_b64 vcc, exec, s[0:1]
	s_cbranch_vccnz .LBB263_314
; %bb.313:
	v_lshl_add_u64 v[24:25], v[38:39], 1, v[22:23]
	flat_load_ushort v24, v[24:25]
	s_waitcnt vmcnt(0) lgkmcnt(0)
	v_mul_f16_e32 v24, s28, v24
	s_branch .LBB263_315
.LBB263_314:
	v_mov_b32_e32 v24, 0
.LBB263_315:
	s_waitcnt lgkmcnt(0)
	v_pk_add_f16 v25, v14, v4
	v_pk_max_f16 v26, v64, v64
	s_nop 0
	v_pk_min_f16 v25, v26, v25
	v_pk_add_f16 v26, v15, v5
	s_nop 0
	v_pk_min_f16 v25, v25, v26
	s_nop 0
	v_lshrrev_b32_e32 v26, 16, v25
	v_min3_f16 v26, v24, v25, v26
	v_lshl_add_u64 v[24:25], v[38:39], 1, v[20:21]
	global_store_short v[24:25], v26, off
	s_or_b64 exec, exec, s[26:27]
	s_and_b64 s[34:35], s[10:11], s[18:19]
	s_and_saveexec_b64 s[26:27], s[34:35]
	s_cbranch_execz .LBB263_297
.LBB263_316:
	s_and_b64 vcc, exec, s[0:1]
	s_cbranch_vccnz .LBB263_318
; %bb.317:
	v_lshl_add_u64 v[24:25], v[40:41], 1, v[22:23]
	flat_load_ushort v24, v[24:25]
	s_waitcnt vmcnt(0) lgkmcnt(0)
	v_mul_f16_e32 v24, s28, v24
	s_branch .LBB263_319
.LBB263_318:
	v_mov_b32_e32 v24, 0
.LBB263_319:
	s_waitcnt lgkmcnt(0)
	v_pk_add_f16 v25, v8, v4
	v_pk_max_f16 v26, v63, v63
	s_nop 0
	v_pk_min_f16 v25, v26, v25
	v_pk_add_f16 v26, v9, v5
	s_nop 0
	v_pk_min_f16 v25, v25, v26
	s_nop 0
	v_lshrrev_b32_e32 v26, 16, v25
	v_min3_f16 v26, v24, v25, v26
	v_lshl_add_u64 v[24:25], v[40:41], 1, v[20:21]
	global_store_short v[24:25], v26, off
	s_or_b64 exec, exec, s[26:27]
	s_and_b64 s[34:35], s[12:13], s[18:19]
	s_and_saveexec_b64 s[26:27], s[34:35]
	s_cbranch_execz .LBB263_298
.LBB263_320:
	s_and_b64 vcc, exec, s[0:1]
	s_cbranch_vccnz .LBB263_322
; %bb.321:
	v_lshl_add_u64 v[24:25], v[42:43], 1, v[22:23]
	flat_load_ushort v24, v[24:25]
	s_waitcnt vmcnt(0) lgkmcnt(0)
	v_mul_f16_e32 v24, s28, v24
	s_branch .LBB263_323
.LBB263_322:
	v_mov_b32_e32 v24, 0
.LBB263_323:
	s_waitcnt lgkmcnt(0)
	v_pk_add_f16 v25, v10, v4
	v_pk_max_f16 v26, v62, v62
	s_nop 0
	v_pk_min_f16 v25, v26, v25
	v_pk_add_f16 v26, v11, v5
	s_nop 0
	v_pk_min_f16 v25, v25, v26
	s_nop 0
	v_lshrrev_b32_e32 v26, 16, v25
	v_min3_f16 v26, v24, v25, v26
	v_lshl_add_u64 v[24:25], v[42:43], 1, v[20:21]
	global_store_short v[24:25], v26, off
	s_or_b64 exec, exec, s[26:27]
	s_and_b64 s[34:35], s[14:15], s[18:19]
	s_and_saveexec_b64 s[26:27], s[34:35]
	s_cbranch_execz .LBB263_299
.LBB263_324:
	s_and_b64 vcc, exec, s[0:1]
	s_cbranch_vccnz .LBB263_326
; %bb.325:
	v_lshl_add_u64 v[24:25], v[44:45], 1, v[22:23]
	flat_load_ushort v24, v[24:25]
	s_waitcnt vmcnt(0) lgkmcnt(0)
	v_mul_f16_e32 v24, s28, v24
	s_branch .LBB263_327
.LBB263_326:
	v_mov_b32_e32 v24, 0
.LBB263_327:
	s_waitcnt lgkmcnt(0)
	v_pk_add_f16 v25, v0, v4
	v_pk_max_f16 v26, v60, v60
	s_nop 0
	v_pk_min_f16 v25, v26, v25
	v_pk_add_f16 v26, v1, v5
	s_nop 0
	v_pk_min_f16 v25, v25, v26
	s_nop 0
	v_lshrrev_b32_e32 v26, 16, v25
	v_min3_f16 v26, v24, v25, v26
	v_lshl_add_u64 v[24:25], v[44:45], 1, v[20:21]
	global_store_short v[24:25], v26, off
	s_or_b64 exec, exec, s[26:27]
	s_and_b64 s[26:27], s[16:17], s[18:19]
	s_and_saveexec_b64 s[18:19], s[26:27]
	s_cbranch_execz .LBB263_332
.LBB263_328:
	s_and_b64 vcc, exec, s[0:1]
	s_cbranch_vccnz .LBB263_330
; %bb.329:
	v_lshl_add_u64 v[22:23], v[46:47], 1, v[22:23]
	flat_load_ushort v22, v[22:23]
	s_waitcnt vmcnt(0) lgkmcnt(0)
	v_mul_f16_e32 v22, s28, v22
	s_branch .LBB263_331
.LBB263_330:
	v_mov_b32_e32 v22, 0
.LBB263_331:
	s_waitcnt lgkmcnt(0)
	v_pk_add_f16 v4, v2, v4
	v_pk_max_f16 v23, v59, v59
	v_pk_add_f16 v5, v3, v5
	v_pk_min_f16 v4, v23, v4
	s_nop 0
	v_pk_min_f16 v4, v4, v5
	s_nop 0
	v_lshrrev_b32_e32 v5, 16, v4
	v_min3_f16 v22, v22, v4, v5
	v_lshl_add_u64 v[4:5], v[46:47], 1, v[20:21]
	global_store_short v[4:5], v22, off
.LBB263_332:
	s_or_b64 exec, exec, s[18:19]
	v_add_u32_e32 v22, 56, v100
	v_cmp_gt_i32_e64 s[18:19], s21, v22
	s_waitcnt lgkmcnt(0)
	v_mad_i64_i32 v[4:5], s[20:21], v22, s31, 0
	v_lshl_add_u64 v[20:21], v[4:5], 1, s[24:25]
	v_mad_i64_i32 v[4:5], s[20:21], v22, s30, 0
	v_lshl_add_u64 v[4:5], v[4:5], 1, s[22:23]
	s_and_b64 s[20:21], s[2:3], s[18:19]
	s_and_saveexec_b64 s[2:3], s[20:21]
	s_cbranch_execnz .LBB263_341
; %bb.333:
	s_or_b64 exec, exec, s[2:3]
	s_and_b64 s[4:5], s[4:5], s[18:19]
	s_and_saveexec_b64 s[2:3], s[4:5]
	s_cbranch_execnz .LBB263_345
.LBB263_334:
	s_or_b64 exec, exec, s[2:3]
	s_and_b64 s[4:5], s[6:7], s[18:19]
	s_and_saveexec_b64 s[2:3], s[4:5]
	s_cbranch_execnz .LBB263_349
.LBB263_335:
	s_or_b64 exec, exec, s[2:3]
	s_and_b64 s[4:5], s[8:9], s[18:19]
	s_and_saveexec_b64 s[2:3], s[4:5]
	s_cbranch_execnz .LBB263_353
.LBB263_336:
	s_or_b64 exec, exec, s[2:3]
	s_and_b64 s[4:5], s[10:11], s[18:19]
	s_and_saveexec_b64 s[2:3], s[4:5]
	s_cbranch_execnz .LBB263_357
.LBB263_337:
	s_or_b64 exec, exec, s[2:3]
	s_and_b64 s[4:5], s[12:13], s[18:19]
	s_and_saveexec_b64 s[2:3], s[4:5]
	s_cbranch_execnz .LBB263_361
.LBB263_338:
	s_or_b64 exec, exec, s[2:3]
	s_and_b64 s[4:5], s[14:15], s[18:19]
	s_and_saveexec_b64 s[2:3], s[4:5]
	s_cbranch_execnz .LBB263_365
.LBB263_339:
	s_or_b64 exec, exec, s[2:3]
	s_and_b64 s[2:3], s[16:17], s[18:19]
	s_and_saveexec_b64 s[4:5], s[2:3]
	s_cbranch_execnz .LBB263_369
.LBB263_340:
	s_endpgm
.LBB263_341:
	s_and_b64 vcc, exec, s[0:1]
	s_cbranch_vccnz .LBB263_343
; %bb.342:
	v_lshl_add_u64 v[22:23], v[32:33], 1, v[20:21]
	flat_load_ushort v22, v[22:23]
	s_waitcnt vmcnt(0) lgkmcnt(0)
	v_mul_f16_e32 v22, s28, v22
	s_branch .LBB263_344
.LBB263_343:
	v_mov_b32_e32 v22, 0
.LBB263_344:
	v_pk_add_f16 v16, v16, v6
	v_pk_max_f16 v23, v58, v58
	v_pk_add_f16 v17, v17, v7
	v_pk_min_f16 v16, v23, v16
	s_nop 0
	v_pk_min_f16 v16, v16, v17
	s_nop 0
	v_lshrrev_b32_e32 v17, 16, v16
	v_min3_f16 v22, v22, v16, v17
	v_lshl_add_u64 v[16:17], v[32:33], 1, v[4:5]
	global_store_short v[16:17], v22, off
	s_or_b64 exec, exec, s[2:3]
	s_and_b64 s[4:5], s[4:5], s[18:19]
	s_and_saveexec_b64 s[2:3], s[4:5]
	s_cbranch_execz .LBB263_334
.LBB263_345:
	s_and_b64 vcc, exec, s[0:1]
	s_cbranch_vccnz .LBB263_347
; %bb.346:
	v_lshl_add_u64 v[16:17], v[34:35], 1, v[20:21]
	flat_load_ushort v16, v[16:17]
	s_waitcnt vmcnt(0) lgkmcnt(0)
	v_mul_f16_e32 v16, s28, v16
	s_branch .LBB263_348
.LBB263_347:
	v_mov_b32_e32 v16, 0
.LBB263_348:
	v_pk_add_f16 v17, v18, v6
	v_pk_max_f16 v18, v57, v57
	s_nop 0
	v_pk_min_f16 v17, v18, v17
	v_pk_add_f16 v18, v19, v7
	s_nop 0
	v_pk_min_f16 v17, v17, v18
	s_nop 0
	v_lshrrev_b32_e32 v18, 16, v17
	v_min3_f16 v18, v16, v17, v18
	v_lshl_add_u64 v[16:17], v[34:35], 1, v[4:5]
	global_store_short v[16:17], v18, off
	s_or_b64 exec, exec, s[2:3]
	s_and_b64 s[4:5], s[6:7], s[18:19]
	s_and_saveexec_b64 s[2:3], s[4:5]
	s_cbranch_execz .LBB263_335
.LBB263_349:
	s_and_b64 vcc, exec, s[0:1]
	s_cbranch_vccnz .LBB263_351
; %bb.350:
	v_lshl_add_u64 v[16:17], v[36:37], 1, v[20:21]
	flat_load_ushort v16, v[16:17]
	s_waitcnt vmcnt(0) lgkmcnt(0)
	v_mul_f16_e32 v16, s28, v16
	s_branch .LBB263_352
.LBB263_351:
	v_mov_b32_e32 v16, 0
.LBB263_352:
	v_pk_add_f16 v12, v12, v6
	v_pk_max_f16 v17, v56, v56
	v_pk_add_f16 v13, v13, v7
	v_pk_min_f16 v12, v17, v12
	s_nop 0
	v_pk_min_f16 v12, v12, v13
	s_nop 0
	v_lshrrev_b32_e32 v13, 16, v12
	v_min3_f16 v16, v16, v12, v13
	v_lshl_add_u64 v[12:13], v[36:37], 1, v[4:5]
	global_store_short v[12:13], v16, off
	s_or_b64 exec, exec, s[2:3]
	s_and_b64 s[4:5], s[8:9], s[18:19]
	s_and_saveexec_b64 s[2:3], s[4:5]
	s_cbranch_execz .LBB263_336
.LBB263_353:
	s_and_b64 vcc, exec, s[0:1]
	s_cbranch_vccnz .LBB263_355
; %bb.354:
	v_lshl_add_u64 v[12:13], v[38:39], 1, v[20:21]
	flat_load_ushort v12, v[12:13]
	s_waitcnt vmcnt(0) lgkmcnt(0)
	v_mul_f16_e32 v12, s28, v12
	s_branch .LBB263_356
.LBB263_355:
	v_mov_b32_e32 v12, 0
.LBB263_356:
	v_pk_add_f16 v13, v14, v6
	v_pk_max_f16 v14, v55, v55
	s_nop 0
	v_pk_min_f16 v13, v14, v13
	v_pk_add_f16 v14, v15, v7
	s_nop 0
	v_pk_min_f16 v13, v13, v14
	s_nop 0
	v_lshrrev_b32_e32 v14, 16, v13
	v_min3_f16 v14, v12, v13, v14
	v_lshl_add_u64 v[12:13], v[38:39], 1, v[4:5]
	global_store_short v[12:13], v14, off
	s_or_b64 exec, exec, s[2:3]
	s_and_b64 s[4:5], s[10:11], s[18:19]
	s_and_saveexec_b64 s[2:3], s[4:5]
	s_cbranch_execz .LBB263_337
.LBB263_357:
	s_and_b64 vcc, exec, s[0:1]
	s_cbranch_vccnz .LBB263_359
; %bb.358:
	v_lshl_add_u64 v[12:13], v[40:41], 1, v[20:21]
	flat_load_ushort v12, v[12:13]
	s_waitcnt vmcnt(0) lgkmcnt(0)
	v_mul_f16_e32 v12, s28, v12
	s_branch .LBB263_360
.LBB263_359:
	v_mov_b32_e32 v12, 0
.LBB263_360:
	v_pk_add_f16 v8, v8, v6
	v_pk_max_f16 v13, v54, v54
	v_pk_add_f16 v9, v9, v7
	v_pk_min_f16 v8, v13, v8
	s_nop 0
	v_pk_min_f16 v8, v8, v9
	s_nop 0
	v_lshrrev_b32_e32 v9, 16, v8
	v_min3_f16 v12, v12, v8, v9
	v_lshl_add_u64 v[8:9], v[40:41], 1, v[4:5]
	global_store_short v[8:9], v12, off
	s_or_b64 exec, exec, s[2:3]
	s_and_b64 s[4:5], s[12:13], s[18:19]
	s_and_saveexec_b64 s[2:3], s[4:5]
	s_cbranch_execz .LBB263_338
.LBB263_361:
	s_and_b64 vcc, exec, s[0:1]
	s_cbranch_vccnz .LBB263_363
; %bb.362:
	v_lshl_add_u64 v[8:9], v[42:43], 1, v[20:21]
	flat_load_ushort v8, v[8:9]
	s_waitcnt vmcnt(0) lgkmcnt(0)
	v_mul_f16_e32 v8, s28, v8
	s_branch .LBB263_364
.LBB263_363:
	v_mov_b32_e32 v8, 0
.LBB263_364:
	v_pk_add_f16 v9, v10, v6
	v_pk_max_f16 v10, v53, v53
	s_nop 0
	v_pk_min_f16 v9, v10, v9
	v_pk_add_f16 v10, v11, v7
	s_nop 0
	v_pk_min_f16 v9, v9, v10
	s_nop 0
	v_lshrrev_b32_e32 v10, 16, v9
	v_min3_f16 v10, v8, v9, v10
	v_lshl_add_u64 v[8:9], v[42:43], 1, v[4:5]
	global_store_short v[8:9], v10, off
	s_or_b64 exec, exec, s[2:3]
	s_and_b64 s[4:5], s[14:15], s[18:19]
	s_and_saveexec_b64 s[2:3], s[4:5]
	s_cbranch_execz .LBB263_339
.LBB263_365:
	s_and_b64 vcc, exec, s[0:1]
	s_cbranch_vccnz .LBB263_367
; %bb.366:
	v_lshl_add_u64 v[8:9], v[44:45], 1, v[20:21]
	flat_load_ushort v8, v[8:9]
	s_waitcnt vmcnt(0) lgkmcnt(0)
	v_mul_f16_e32 v8, s28, v8
	s_branch .LBB263_368
.LBB263_367:
	v_mov_b32_e32 v8, 0
.LBB263_368:
	v_pk_add_f16 v0, v0, v6
	v_pk_max_f16 v9, v52, v52
	v_pk_add_f16 v1, v1, v7
	v_pk_min_f16 v0, v9, v0
	s_nop 0
	v_pk_min_f16 v0, v0, v1
	s_nop 0
	v_lshrrev_b32_e32 v1, 16, v0
	v_min3_f16 v8, v8, v0, v1
	v_lshl_add_u64 v[0:1], v[44:45], 1, v[4:5]
	global_store_short v[0:1], v8, off
	s_or_b64 exec, exec, s[2:3]
	s_and_b64 s[2:3], s[16:17], s[18:19]
	s_and_saveexec_b64 s[4:5], s[2:3]
	s_cbranch_execz .LBB263_340
.LBB263_369:
	s_and_b64 vcc, exec, s[0:1]
	s_cbranch_vccnz .LBB263_371
; %bb.370:
	v_lshl_add_u64 v[0:1], v[46:47], 1, v[20:21]
	flat_load_ushort v0, v[0:1]
	s_waitcnt vmcnt(0) lgkmcnt(0)
	v_mul_f16_e32 v0, s28, v0
	s_branch .LBB263_372
.LBB263_371:
	v_mov_b32_e32 v0, 0
.LBB263_372:
	v_pk_add_f16 v1, v2, v6
	v_pk_max_f16 v2, v61, v61
	s_nop 0
	v_pk_min_f16 v1, v2, v1
	v_pk_add_f16 v2, v3, v7
	s_nop 0
	v_pk_min_f16 v1, v1, v2
	s_nop 0
	v_lshrrev_b32_e32 v2, 16, v1
	v_min3_f16 v2, v0, v1, v2
	v_lshl_add_u64 v[0:1], v[46:47], 1, v[4:5]
	global_store_short v[0:1], v2, off
	s_endpgm
	.section	.rodata,"a",@progbits
	.p2align	6, 0x0
	.amdhsa_kernel _ZN12_GLOBAL__N_120geam_min_plus_kernelIDF16_Dv2_DF16_S1_Li32ELi8ELi256ELi64ELi4ELi64ELi4ELi4ELi64ELc78ELc78ELb0ELb1ELb1EDF16_KDF16_DF16_EEviiiT16_PT17_ilS5_ilS3_S5_ilPT18_ili26rocblas_geam_ex_operation_
		.amdhsa_group_segment_fixed_size 5120
		.amdhsa_private_segment_fixed_size 0
		.amdhsa_kernarg_size 128
		.amdhsa_user_sgpr_count 2
		.amdhsa_user_sgpr_dispatch_ptr 0
		.amdhsa_user_sgpr_queue_ptr 0
		.amdhsa_user_sgpr_kernarg_segment_ptr 1
		.amdhsa_user_sgpr_dispatch_id 0
		.amdhsa_user_sgpr_kernarg_preload_length 0
		.amdhsa_user_sgpr_kernarg_preload_offset 0
		.amdhsa_user_sgpr_private_segment_size 0
		.amdhsa_uses_dynamic_stack 0
		.amdhsa_enable_private_segment 0
		.amdhsa_system_sgpr_workgroup_id_x 1
		.amdhsa_system_sgpr_workgroup_id_y 0
		.amdhsa_system_sgpr_workgroup_id_z 1
		.amdhsa_system_sgpr_workgroup_info 0
		.amdhsa_system_vgpr_workitem_id 1
		.amdhsa_next_free_vgpr 169
		.amdhsa_next_free_sgpr 42
		.amdhsa_accum_offset 172
		.amdhsa_reserve_vcc 1
		.amdhsa_float_round_mode_32 0
		.amdhsa_float_round_mode_16_64 0
		.amdhsa_float_denorm_mode_32 3
		.amdhsa_float_denorm_mode_16_64 3
		.amdhsa_dx10_clamp 1
		.amdhsa_ieee_mode 1
		.amdhsa_fp16_overflow 0
		.amdhsa_tg_split 0
		.amdhsa_exception_fp_ieee_invalid_op 0
		.amdhsa_exception_fp_denorm_src 0
		.amdhsa_exception_fp_ieee_div_zero 0
		.amdhsa_exception_fp_ieee_overflow 0
		.amdhsa_exception_fp_ieee_underflow 0
		.amdhsa_exception_fp_ieee_inexact 0
		.amdhsa_exception_int_div_zero 0
	.end_amdhsa_kernel
	.section	.text._ZN12_GLOBAL__N_120geam_min_plus_kernelIDF16_Dv2_DF16_S1_Li32ELi8ELi256ELi64ELi4ELi64ELi4ELi4ELi64ELc78ELc78ELb0ELb1ELb1EDF16_KDF16_DF16_EEviiiT16_PT17_ilS5_ilS3_S5_ilPT18_ili26rocblas_geam_ex_operation_,"axG",@progbits,_ZN12_GLOBAL__N_120geam_min_plus_kernelIDF16_Dv2_DF16_S1_Li32ELi8ELi256ELi64ELi4ELi64ELi4ELi4ELi64ELc78ELc78ELb0ELb1ELb1EDF16_KDF16_DF16_EEviiiT16_PT17_ilS5_ilS3_S5_ilPT18_ili26rocblas_geam_ex_operation_,comdat
.Lfunc_end263:
	.size	_ZN12_GLOBAL__N_120geam_min_plus_kernelIDF16_Dv2_DF16_S1_Li32ELi8ELi256ELi64ELi4ELi64ELi4ELi4ELi64ELc78ELc78ELb0ELb1ELb1EDF16_KDF16_DF16_EEviiiT16_PT17_ilS5_ilS3_S5_ilPT18_ili26rocblas_geam_ex_operation_, .Lfunc_end263-_ZN12_GLOBAL__N_120geam_min_plus_kernelIDF16_Dv2_DF16_S1_Li32ELi8ELi256ELi64ELi4ELi64ELi4ELi4ELi64ELc78ELc78ELb0ELb1ELb1EDF16_KDF16_DF16_EEviiiT16_PT17_ilS5_ilS3_S5_ilPT18_ili26rocblas_geam_ex_operation_
                                        ; -- End function
	.section	.AMDGPU.csdata,"",@progbits
; Kernel info:
; codeLenInByte = 20232
; NumSgprs: 48
; NumVgprs: 169
; NumAgprs: 0
; TotalNumVgprs: 169
; ScratchSize: 0
; MemoryBound: 0
; FloatMode: 240
; IeeeMode: 1
; LDSByteSize: 5120 bytes/workgroup (compile time only)
; SGPRBlocks: 5
; VGPRBlocks: 21
; NumSGPRsForWavesPerEU: 48
; NumVGPRsForWavesPerEU: 169
; AccumOffset: 172
; Occupancy: 2
; WaveLimiterHint : 0
; COMPUTE_PGM_RSRC2:SCRATCH_EN: 0
; COMPUTE_PGM_RSRC2:USER_SGPR: 2
; COMPUTE_PGM_RSRC2:TRAP_HANDLER: 0
; COMPUTE_PGM_RSRC2:TGID_X_EN: 1
; COMPUTE_PGM_RSRC2:TGID_Y_EN: 0
; COMPUTE_PGM_RSRC2:TGID_Z_EN: 1
; COMPUTE_PGM_RSRC2:TIDIG_COMP_CNT: 1
; COMPUTE_PGM_RSRC3_GFX90A:ACCUM_OFFSET: 42
; COMPUTE_PGM_RSRC3_GFX90A:TG_SPLIT: 0
	.section	.text._ZN12_GLOBAL__N_120geam_min_plus_kernelIDF16_Dv2_DF16_S1_Li32ELi8ELi128ELi128ELi4ELi4ELi64ELi4ELi64ELc84ELc78ELb0ELb0ELb1EPKDF16_S2_DF16_EEviiiT16_PT17_ilS6_ilS4_S6_ilPT18_ili26rocblas_geam_ex_operation_,"axG",@progbits,_ZN12_GLOBAL__N_120geam_min_plus_kernelIDF16_Dv2_DF16_S1_Li32ELi8ELi128ELi128ELi4ELi4ELi64ELi4ELi64ELc84ELc78ELb0ELb0ELb1EPKDF16_S2_DF16_EEviiiT16_PT17_ilS6_ilS4_S6_ilPT18_ili26rocblas_geam_ex_operation_,comdat
	.globl	_ZN12_GLOBAL__N_120geam_min_plus_kernelIDF16_Dv2_DF16_S1_Li32ELi8ELi128ELi128ELi4ELi4ELi64ELi4ELi64ELc84ELc78ELb0ELb0ELb1EPKDF16_S2_DF16_EEviiiT16_PT17_ilS6_ilS4_S6_ilPT18_ili26rocblas_geam_ex_operation_ ; -- Begin function _ZN12_GLOBAL__N_120geam_min_plus_kernelIDF16_Dv2_DF16_S1_Li32ELi8ELi128ELi128ELi4ELi4ELi64ELi4ELi64ELc84ELc78ELb0ELb0ELb1EPKDF16_S2_DF16_EEviiiT16_PT17_ilS6_ilS4_S6_ilPT18_ili26rocblas_geam_ex_operation_
	.p2align	8
	.type	_ZN12_GLOBAL__N_120geam_min_plus_kernelIDF16_Dv2_DF16_S1_Li32ELi8ELi128ELi128ELi4ELi4ELi64ELi4ELi64ELc84ELc78ELb0ELb0ELb1EPKDF16_S2_DF16_EEviiiT16_PT17_ilS6_ilS4_S6_ilPT18_ili26rocblas_geam_ex_operation_,@function
_ZN12_GLOBAL__N_120geam_min_plus_kernelIDF16_Dv2_DF16_S1_Li32ELi8ELi128ELi128ELi4ELi4ELi64ELi4ELi64ELc84ELc78ELb0ELb0ELb1EPKDF16_S2_DF16_EEviiiT16_PT17_ilS6_ilS4_S6_ilPT18_ili26rocblas_geam_ex_operation_: ; @_ZN12_GLOBAL__N_120geam_min_plus_kernelIDF16_Dv2_DF16_S1_Li32ELi8ELi128ELi128ELi4ELi4ELi64ELi4ELi64ELc84ELc78ELb0ELb0ELb1EPKDF16_S2_DF16_EEviiiT16_PT17_ilS6_ilS4_S6_ilPT18_ili26rocblas_geam_ex_operation_
; %bb.0:
	s_load_dwordx4 s[16:19], s[0:1], 0x10
	s_load_dwordx4 s[8:11], s[0:1], 0x28
	s_mov_b32 s20, s3
	s_mov_b32 s21, 0
	s_lshl_b64 s[4:5], s[20:21], 1
	s_waitcnt lgkmcnt(0)
	s_add_u32 s6, s16, s4
	s_addc_u32 s7, s17, s5
	v_mov_b32_e32 v1, 0
	global_load_ushort v83, v1, s[6:7]
	s_load_dwordx4 s[12:15], s[0:1], 0x40
	s_load_dwordx2 s[24:25], s[0:1], 0x50
	s_mov_b64 s[22:23], 0
	s_mov_b64 s[16:17], 0
	s_waitcnt lgkmcnt(0)
	s_add_u32 s4, s14, s4
	s_addc_u32 s5, s15, s5
	s_waitcnt vmcnt(0)
	v_cmp_eq_f16_e32 vcc, 0, v83
	v_cmp_neq_f16_e64 s[6:7], 0, v83
	s_cbranch_vccnz .LBB264_2
; %bb.1:
	s_mul_i32 s3, s20, s9
	s_mul_hi_u32 s9, s20, s8
	s_add_i32 s9, s9, s3
	s_mul_i32 s8, s20, s8
	s_lshl_b64 s[8:9], s[8:9], 1
	s_add_u32 s16, s18, s8
	s_addc_u32 s17, s19, s9
.LBB264_2:
	global_load_ushort v58, v1, s[4:5]
	v_cndmask_b32_e64 v1, 0, 1, s[6:7]
	v_cmp_ne_u32_e64 s[4:5], 1, v1
	s_andn2_b64 vcc, exec, s[6:7]
	s_cbranch_vccnz .LBB264_4
; %bb.3:
	s_mul_i32 s3, s20, s13
	s_mul_hi_u32 s8, s20, s12
	s_add_i32 s9, s8, s3
	s_mul_i32 s8, s20, s12
	s_lshl_b64 s[8:9], s[8:9], 1
	s_add_u32 s22, s10, s8
	s_addc_u32 s23, s11, s9
.LBB264_4:
	s_load_dwordx4 s[12:15], s[0:1], 0x60
	s_waitcnt vmcnt(0)
	v_cmp_eq_f16_e32 vcc, 0, v58
	s_and_b64 s[8:9], exec, vcc
	s_mov_b64 vcc, s[8:9]
	s_cbranch_vccnz .LBB264_6
; %bb.5:
	s_waitcnt lgkmcnt(0)
	s_mul_i32 s3, s20, s13
	s_mul_hi_u32 s10, s20, s12
	s_add_i32 s11, s10, s3
	s_mul_i32 s10, s20, s12
	s_lshl_b64 s[10:11], s[10:11], 1
	s_add_u32 s10, s24, s10
	s_addc_u32 s11, s25, s11
	s_branch .LBB264_7
.LBB264_6:
	s_mov_b64 s[10:11], 0
.LBB264_7:
	s_load_dword s3, s[0:1], 0x0
	s_waitcnt lgkmcnt(0)
	s_load_dword s13, s[0:1], 0x20
	v_and_b32_e32 v77, 0x3ff, v0
	v_bfe_u32 v78, v0, 10, 10
	v_lshl_add_u32 v0, v78, 5, v77
	s_add_i32 s3, s3, -1
	s_ashr_i32 s12, s3, 31
	s_lshr_b32 s12, s12, 25
	s_add_i32 s3, s3, s12
	s_ashr_i32 s3, s3, 7
	s_add_i32 s12, s3, 1
	v_cvt_f32_u32_e32 v1, s12
	s_not_b32 s3, s3
	v_lshrrev_b32_e32 v0, 2, v0
	v_and_b32_e32 v2, 3, v77
	v_rcp_iflag_f32_e32 v1, v1
	v_lshlrev_b32_e32 v40, 1, v2
	v_mul_f32_e32 v1, 0x4f7ffffe, v1
	v_cvt_u32_f32_e32 v1, v1
	s_nop 0
	v_readfirstlane_b32 s18, v1
	s_mul_i32 s3, s3, s18
	s_mul_hi_u32 s3, s18, s3
	s_add_i32 s18, s18, s3
	s_mul_hi_u32 s3, s2, s18
	s_mul_i32 s18, s3, s12
	s_sub_i32 s18, s2, s18
	s_add_i32 s19, s3, 1
	s_sub_i32 s21, s18, s12
	s_cmp_ge_u32 s18, s12
	s_cselect_b32 s3, s19, s3
	s_cselect_b32 s18, s21, s18
	s_add_i32 s19, s3, 1
	s_cmp_ge_u32 s18, s12
	s_cselect_b32 s3, s19, s3
	s_mul_i32 s12, s3, s12
	s_sub_i32 s2, s2, s12
	s_lshl_b32 s2, s2, 7
	v_add_u32_e32 v48, s2, v0
	s_and_b64 vcc, exec, s[4:5]
	v_add_u32_e32 v46, 64, v48
	s_cbranch_vccnz .LBB264_9
; %bb.8:
	v_mov_b32_e32 v41, 0
	v_lshl_add_u64 v[2:3], s[16:17], 0, v[40:41]
	s_waitcnt lgkmcnt(0)
	v_mad_i64_i32 v[4:5], s[18:19], v48, s13, 0
	v_lshl_add_u64 v[4:5], v[4:5], 1, v[2:3]
	v_mad_i64_i32 v[6:7], s[18:19], v46, s13, 0
	v_lshl_add_u64 v[2:3], v[6:7], 1, v[2:3]
	flat_load_ushort v1, v[4:5]
	flat_load_ushort v6, v[2:3]
	s_waitcnt vmcnt(0) lgkmcnt(0)
	v_mul_f16_e32 v1, v83, v1
	v_mul_f16_e32 v2, v83, v6
	s_branch .LBB264_10
.LBB264_9:
	v_mov_b32_e32 v1, 0
	v_mov_b32_e32 v2, 0
.LBB264_10:
	s_load_dword s18, s[0:1], 0x38
	s_lshl_b32 s3, s3, 7
	v_add_u32_e32 v44, s3, v0
	s_and_b64 vcc, exec, s[4:5]
	v_add_u32_e32 v42, 64, v44
	s_cbranch_vccnz .LBB264_14
; %bb.11:
	v_mov_b32_e32 v41, 0
	v_lshl_add_u64 v[4:5], s[22:23], 0, v[40:41]
	s_waitcnt lgkmcnt(0)
	v_mad_i64_i32 v[6:7], s[24:25], v44, s18, 0
	v_lshl_add_u64 v[6:7], v[6:7], 1, v[4:5]
	v_mad_i64_i32 v[8:9], s[24:25], v42, s18, 0
	v_lshl_add_u64 v[4:5], v[8:9], 1, v[4:5]
	flat_load_ushort v3, v[6:7]
	flat_load_ushort v8, v[4:5]
	s_waitcnt vmcnt(0) lgkmcnt(0)
	v_mul_f16_e32 v3, v83, v3
	v_mul_f16_e32 v4, v83, v8
	s_and_b64 vcc, exec, s[4:5]
	s_cbranch_vccnz .LBB264_15
.LBB264_12:
	v_mov_b32_e32 v41, 0
	v_lshl_add_u64 v[6:7], s[16:17], 0, v[40:41]
	s_waitcnt lgkmcnt(0)
	v_mad_i64_i32 v[8:9], s[24:25], v48, s13, 0
	v_lshl_add_u64 v[8:9], v[8:9], 1, v[6:7]
	v_mad_i64_i32 v[10:11], s[24:25], v46, s13, 0
	v_lshl_add_u64 v[6:7], v[10:11], 1, v[6:7]
	flat_load_ushort v5, v[8:9] offset:8
	flat_load_ushort v10, v[6:7] offset:8
	s_waitcnt vmcnt(0) lgkmcnt(0)
	v_mul_f16_e32 v43, v83, v5
	v_mul_f16_e32 v45, v83, v10
	v_mov_b32_e32 v41, 0
	s_and_b64 vcc, exec, s[4:5]
	s_cbranch_vccnz .LBB264_16
.LBB264_13:
	v_lshl_add_u64 v[6:7], s[22:23], 0, v[40:41]
	s_waitcnt lgkmcnt(0)
	v_mad_i64_i32 v[8:9], s[24:25], v44, s18, 0
	v_lshl_add_u64 v[8:9], v[8:9], 1, v[6:7]
	v_mad_i64_i32 v[10:11], s[24:25], v42, s18, 0
	v_lshl_add_u64 v[6:7], v[10:11], 1, v[6:7]
	flat_load_ushort v5, v[8:9] offset:8
	flat_load_ushort v10, v[6:7] offset:8
	s_waitcnt vmcnt(0) lgkmcnt(0)
	v_mul_f16_e32 v41, v83, v5
	v_mul_f16_e32 v47, v83, v10
	s_branch .LBB264_17
.LBB264_14:
	v_mov_b32_e32 v3, 0
	v_mov_b32_e32 v4, 0
	s_and_b64 vcc, exec, s[4:5]
	s_cbranch_vccz .LBB264_12
.LBB264_15:
	v_mov_b32_e32 v43, 0
	v_mov_b32_e32 v45, 0
	;; [unrolled: 1-line block ×3, first 2 shown]
	s_and_b64 vcc, exec, s[4:5]
	s_cbranch_vccz .LBB264_13
.LBB264_16:
	v_mov_b32_e32 v47, 0
.LBB264_17:
	v_lshl_or_b32 v100, v0, 3, v40
	v_lshlrev_b32_e32 v88, 3, v77
	ds_write_b16 v100, v1
	ds_write_b16 v100, v2 offset:512
	ds_write_b16 v100, v3 offset:2048
	;; [unrolled: 1-line block ×3, first 2 shown]
	s_waitcnt lgkmcnt(0)
	s_barrier
	ds_read2_b64 v[4:7], v88 offset1:32
	ds_read2_b64 v[0:3], v88 offset0:64 offset1:96
	v_lshlrev_b32_e32 v86, 3, v78
	v_add_u32_e32 v102, 0x800, v86
	ds_read2_b64 v[36:39], v102 offset1:8
	ds_read2_b64 v[32:35], v102 offset0:16 offset1:24
	ds_read2_b64 v[28:31], v102 offset0:32 offset1:40
	;; [unrolled: 1-line block ×7, first 2 shown]
	s_movk_i32 s19, 0x7c00
	s_waitcnt lgkmcnt(7)
	v_pk_add_f16 v49, v4, v36
	s_waitcnt lgkmcnt(2)
	v_pk_add_f16 v85, v0, v16
	v_pk_min_f16 v49, v49, s19 op_sel_hi:[1,0]
	v_pk_min_f16 v130, v85, s19 op_sel_hi:[1,0]
	v_pk_add_f16 v85, v4, v18
	v_pk_add_f16 v50, v6, v36
	v_pk_min_f16 v131, v85, s19 op_sel_hi:[1,0]
	v_pk_add_f16 v85, v6, v18
	v_pk_add_f16 v51, v0, v36
	;; [unrolled: 3-line block ×3, first 2 shown]
	v_pk_min_f16 v133, v85, s19 op_sel_hi:[1,0]
	s_waitcnt lgkmcnt(1)
	v_pk_add_f16 v85, v4, v12
	v_pk_add_f16 v52, v4, v38
	v_pk_min_f16 v134, v85, s19 op_sel_hi:[1,0]
	v_pk_add_f16 v85, v6, v12
	v_pk_add_f16 v53, v6, v38
	v_pk_min_f16 v135, v85, s19 op_sel_hi:[1,0]
	;; [unrolled: 3-line block ×6, first 2 shown]
	s_waitcnt lgkmcnt(0)
	v_pk_add_f16 v85, v4, v8
	v_pk_add_f16 v57, v0, v32
	v_pk_min_f16 v140, v85, s19 op_sel_hi:[1,0]
	v_pk_add_f16 v85, v6, v8
	v_pk_add_f16 v32, v2, v32
	;; [unrolled: 1-line block ×36, first 2 shown]
	v_pk_min_f16 v141, v85, s19 op_sel_hi:[1,0]
	v_pk_add_f16 v85, v0, v8
	v_pk_add_f16 v8, v2, v8
	;; [unrolled: 1-line block ×7, first 2 shown]
	v_pk_min_f16 v50, v50, s19 op_sel_hi:[1,0]
	v_pk_min_f16 v129, v49, v10
	v_pk_add_f16 v10, v7, v37
	v_pk_min_f16 v51, v51, s19 op_sel_hi:[1,0]
	v_pk_min_f16 v128, v50, v10
	v_pk_add_f16 v10, v1, v37
	;; [unrolled: 3-line block ×40, first 2 shown]
	v_pk_min_f16 v84, v84, s19 op_sel_hi:[1,0]
	v_pk_min_f16 v142, v85, s19 op_sel_hi:[1,0]
	v_pk_min_f16 v85, v82, v10
	v_pk_add_f16 v10, v7, v17
	v_pk_min_f16 v16, v16, s19 op_sel_hi:[1,0]
	v_pk_min_f16 v84, v84, v10
	v_pk_add_f16 v10, v1, v17
	;; [unrolled: 3-line block ×4, first 2 shown]
	s_load_dword s12, s[0:1], 0x8
	v_pk_min_f16 v80, v131, v10
	v_pk_add_f16 v10, v7, v19
	v_pk_min_f16 v14, v14, s19 op_sel_hi:[1,0]
	v_pk_min_f16 v79, v132, v10
	v_pk_add_f16 v10, v1, v19
	v_pk_min_f16 v4, v4, s19 op_sel_hi:[1,0]
	;; [unrolled: 3-line block ×6, first 2 shown]
	v_pk_min_f16 v72, v136, v10
	v_pk_add_f16 v10, v3, v13
	s_waitcnt lgkmcnt(0)
	s_cmp_lt_i32 s12, 9
	v_pk_min_f16 v71, v12, v10
	v_pk_add_f16 v10, v5, v15
	ds_write_b16 v100, v43 offset:1024
	ds_write_b16 v100, v45 offset:1536
	;; [unrolled: 1-line block ×4, first 2 shown]
	v_pk_min_f16 v70, v137, v10
	v_pk_add_f16 v10, v7, v15
	s_waitcnt lgkmcnt(0)
	v_pk_min_f16 v69, v138, v10
	v_pk_add_f16 v10, v1, v15
	s_barrier
	v_pk_min_f16 v68, v139, v10
	v_pk_add_f16 v10, v3, v15
	s_nop 0
	v_pk_min_f16 v67, v14, v10
	v_pk_add_f16 v10, v5, v9
	v_pk_add_f16 v5, v5, v11
	v_pk_min_f16 v66, v140, v10
	v_pk_add_f16 v10, v7, v9
	v_pk_min_f16 v61, v4, v5
	v_pk_min_f16 v65, v141, v10
	v_pk_add_f16 v10, v1, v9
	v_pk_add_f16 v1, v1, v11
	v_pk_add_f16 v9, v3, v9
	v_pk_add_f16 v4, v7, v11
	v_pk_min_f16 v60, v0, v1
	v_pk_add_f16 v0, v3, v11
	v_pk_min_f16 v63, v142, v10
	v_pk_min_f16 v62, v8, v9
	;; [unrolled: 1-line block ×4, first 2 shown]
	s_cbranch_scc1 .LBB264_31
; %bb.18:
	v_mov_b32_e32 v0, 0x400
	v_lshl_add_u32 v133, v77, 3, v0
	v_mov_b32_e32 v0, 0xc00
	v_lshl_add_u32 v134, v78, 3, v0
	v_mad_i64_i32 v[0:1], s[24:25], s18, v42, 0
	v_lshl_add_u64 v[42:43], v[0:1], 1, s[22:23]
	v_mad_i64_i32 v[0:1], s[18:19], s18, v44, 0
	v_lshl_add_u64 v[44:45], v[0:1], 1, s[22:23]
	;; [unrolled: 2-line block ×3, first 2 shown]
	v_mad_i64_i32 v[0:1], s[18:19], s13, v48, 0
	v_add_u32_e32 v130, 0x800, v100
	v_add_u32_e32 v131, 0x400, v100
	;; [unrolled: 1-line block ×3, first 2 shown]
	s_add_i32 s12, s12, -8
	v_mov_b32_e32 v41, 0
	v_lshl_add_u64 v[48:49], v[0:1], 1, s[16:17]
	s_mov_b32 s13, 0
	s_and_b64 s[6:7], exec, s[6:7]
	s_branch .LBB264_21
.LBB264_19:                             ;   in Loop: Header=BB264_21 Depth=1
	flat_load_ushort v0, v[50:51] offset:24
	flat_load_ushort v1, v[52:53] offset:24
	s_waitcnt vmcnt(0) lgkmcnt(0)
	v_mul_f16_e32 v32, v83, v0
	v_mul_f16_e32 v33, v83, v1
.LBB264_20:                             ;   in Loop: Header=BB264_21 Depth=1
	ds_read2_b64 v[4:7], v88 offset1:32
	ds_read2_b64 v[0:3], v88 offset0:64 offset1:96
	ds_read2_b64 v[50:53], v102 offset1:8
	ds_read2_b64 v[136:139], v102 offset0:16 offset1:24
	ds_read2_b64 v[28:31], v102 offset0:32 offset1:40
	;; [unrolled: 1-line block ×7, first 2 shown]
	s_waitcnt lgkmcnt(7)
	v_pk_add_f16 v122, v4, v50
	v_pk_max_f16 v121, v121, v121
	v_pk_max_f16 v120, v120, v120
	v_pk_min_f16 v121, v121, v122
	v_pk_add_f16 v122, v6, v50
	v_pk_max_f16 v118, v118, v118
	v_pk_min_f16 v120, v120, v122
	v_pk_add_f16 v122, v0, v50
	v_pk_add_f16 v50, v2, v50
	v_pk_max_f16 v117, v117, v117
	v_pk_min_f16 v50, v118, v50
	v_pk_add_f16 v118, v4, v52
	v_pk_max_f16 v116, v116, v116
	v_pk_min_f16 v117, v117, v118
	;; [unrolled: 3-line block ×3, first 2 shown]
	v_pk_add_f16 v118, v0, v52
	v_pk_add_f16 v52, v2, v52
	v_pk_max_f16 v113, v113, v113
	v_pk_min_f16 v52, v114, v52
	s_waitcnt lgkmcnt(6)
	v_pk_add_f16 v114, v4, v136
	v_pk_max_f16 v112, v112, v112
	v_pk_min_f16 v113, v113, v114
	v_pk_add_f16 v114, v6, v136
	v_pk_max_f16 v111, v111, v111
	v_pk_min_f16 v112, v112, v114
	;; [unrolled: 3-line block ×8, first 2 shown]
	s_waitcnt lgkmcnt(5)
	v_pk_add_f16 v114, v4, v28
	v_pk_max_f16 v104, v104, v104
	v_pk_min_f16 v105, v105, v114
	v_pk_add_f16 v114, v6, v28
	v_pk_max_f16 v101, v101, v101
	v_pk_min_f16 v104, v104, v114
	v_pk_add_f16 v114, v0, v28
	v_pk_add_f16 v28, v2, v28
	v_pk_max_f16 v99, v99, v99
	v_pk_min_f16 v28, v101, v28
	v_pk_add_f16 v101, v4, v30
	v_pk_max_f16 v98, v98, v98
	v_pk_min_f16 v99, v99, v101
	v_pk_add_f16 v101, v6, v30
	v_pk_max_f16 v96, v96, v96
	v_pk_min_f16 v98, v98, v101
	v_pk_add_f16 v101, v0, v30
	v_pk_add_f16 v30, v2, v30
	v_pk_max_f16 v95, v95, v95
	v_pk_min_f16 v30, v96, v30
	s_waitcnt lgkmcnt(4)
	v_pk_add_f16 v96, v4, v24
	v_pk_max_f16 v94, v94, v94
	v_pk_min_f16 v95, v95, v96
	v_pk_add_f16 v96, v6, v24
	v_pk_max_f16 v92, v92, v92
	v_pk_min_f16 v94, v94, v96
	v_pk_add_f16 v96, v0, v24
	v_pk_add_f16 v24, v2, v24
	v_pk_max_f16 v91, v91, v91
	v_pk_min_f16 v24, v92, v24
	v_pk_add_f16 v92, v4, v26
	v_pk_max_f16 v90, v90, v90
	v_pk_min_f16 v91, v91, v92
	v_pk_add_f16 v92, v6, v26
	v_pk_max_f16 v87, v87, v87
	v_pk_min_f16 v90, v90, v92
	v_pk_add_f16 v92, v0, v26
	v_pk_add_f16 v26, v2, v26
	v_pk_max_f16 v85, v85, v85
	v_pk_min_f16 v26, v87, v26
	;; [unrolled: 21-line block ×5, first 2 shown]
	s_waitcnt lgkmcnt(0)
	v_pk_add_f16 v59, v4, v8
	v_pk_max_f16 v56, v56, v56
	v_pk_min_f16 v57, v57, v59
	v_pk_add_f16 v59, v6, v8
	v_pk_add_f16 v4, v4, v10
	v_pk_min_f16 v56, v56, v59
	v_pk_add_f16 v59, v0, v8
	v_pk_add_f16 v8, v2, v8
	;; [unrolled: 1-line block ×5, first 2 shown]
	v_pk_max_f16 v10, v36, v36
	v_pk_max_f16 v119, v119, v119
	v_pk_min_f16 v2, v10, v2
	v_pk_add_f16 v10, v5, v51
	v_pk_min_f16 v119, v119, v122
	v_pk_min_f16 v129, v121, v10
	v_pk_add_f16 v10, v7, v51
	v_pk_max_f16 v115, v115, v115
	v_pk_min_f16 v128, v120, v10
	v_pk_add_f16 v10, v1, v51
	v_pk_min_f16 v115, v115, v118
	v_pk_min_f16 v127, v119, v10
	v_pk_add_f16 v10, v3, v51
	v_pk_max_f16 v103, v103, v103
	v_pk_min_f16 v126, v50, v10
	v_pk_add_f16 v10, v5, v53
	v_pk_min_f16 v103, v103, v114
	v_pk_min_f16 v125, v117, v10
	v_pk_add_f16 v10, v7, v53
	v_pk_max_f16 v97, v97, v97
	v_pk_min_f16 v124, v116, v10
	v_pk_add_f16 v10, v1, v53
	v_pk_min_f16 v97, v97, v101
	v_pk_min_f16 v123, v115, v10
	v_pk_add_f16 v10, v3, v53
	v_pk_max_f16 v93, v93, v93
	v_pk_min_f16 v122, v52, v10
	v_pk_add_f16 v10, v5, v137
	v_pk_min_f16 v93, v93, v96
	v_pk_min_f16 v121, v113, v10
	v_pk_add_f16 v10, v7, v137
	v_pk_max_f16 v89, v89, v89
	v_pk_min_f16 v120, v112, v10
	v_pk_add_f16 v10, v1, v137
	v_pk_min_f16 v89, v89, v92
	v_pk_min_f16 v119, v111, v10
	v_pk_add_f16 v10, v3, v137
	v_pk_max_f16 v82, v82, v82
	v_pk_min_f16 v118, v110, v10
	v_pk_add_f16 v10, v5, v139
	v_pk_min_f16 v82, v82, v87
	v_pk_min_f16 v117, v109, v10
	v_pk_add_f16 v10, v7, v139
	v_pk_max_f16 v76, v76, v76
	v_pk_min_f16 v116, v108, v10
	v_pk_add_f16 v10, v1, v139
	v_pk_min_f16 v76, v76, v81
	v_pk_min_f16 v115, v107, v10
	v_pk_add_f16 v10, v3, v139
	v_pk_max_f16 v72, v72, v72
	v_pk_min_f16 v114, v106, v10
	v_pk_add_f16 v10, v5, v29
	v_pk_min_f16 v72, v72, v75
	v_pk_min_f16 v113, v105, v10
	v_pk_add_f16 v10, v7, v29
	v_pk_max_f16 v68, v68, v68
	v_pk_min_f16 v112, v104, v10
	v_pk_add_f16 v10, v1, v29
	v_pk_min_f16 v68, v68, v71
	v_pk_min_f16 v111, v103, v10
	v_pk_add_f16 v10, v3, v29
	v_pk_max_f16 v64, v64, v64
	v_pk_min_f16 v110, v28, v10
	v_pk_add_f16 v10, v5, v31
	v_pk_min_f16 v64, v64, v67
	v_pk_min_f16 v109, v99, v10
	v_pk_add_f16 v10, v7, v31
	v_pk_max_f16 v60, v60, v60
	v_pk_min_f16 v108, v98, v10
	v_pk_add_f16 v10, v1, v31
	v_pk_min_f16 v60, v60, v63
	v_pk_min_f16 v107, v97, v10
	v_pk_add_f16 v10, v3, v31
	v_pk_max_f16 v37, v37, v37
	v_pk_min_f16 v106, v30, v10
	v_pk_add_f16 v10, v5, v25
	v_pk_max_f16 v34, v34, v34
	v_pk_min_f16 v105, v95, v10
	v_pk_add_f16 v10, v7, v25
	;; [unrolled: 3-line block ×4, first 2 shown]
	v_pk_min_f16 v4, v37, v4
	v_pk_min_f16 v101, v24, v10
	v_pk_add_f16 v10, v5, v27
	v_pk_max_f16 v35, v35, v35
	v_pk_min_f16 v99, v91, v10
	v_pk_add_f16 v10, v7, v27
	v_pk_min_f16 v0, v34, v0
	v_pk_min_f16 v98, v90, v10
	v_pk_add_f16 v10, v1, v27
	v_pk_min_f16 v39, v39, v59
	;; [unrolled: 3-line block ×4, first 2 shown]
	v_pk_min_f16 v95, v85, v10
	v_pk_add_f16 v10, v7, v21
	s_add_i32 s13, s13, 8
	v_pk_min_f16 v94, v84, v10
	v_pk_add_f16 v10, v1, v21
	v_lshl_add_u64 v[42:43], v[42:43], 0, 16
	v_pk_min_f16 v93, v82, v10
	v_pk_add_f16 v10, v3, v21
	v_lshl_add_u64 v[44:45], v[44:45], 0, 16
	v_pk_min_f16 v92, v20, v10
	v_pk_add_f16 v10, v5, v23
	v_lshl_add_u64 v[46:47], v[46:47], 0, 16
	v_pk_min_f16 v91, v80, v10
	v_pk_add_f16 v10, v7, v23
	s_cmp_ge_i32 s13, s12
	v_pk_min_f16 v90, v79, v10
	v_pk_add_f16 v10, v1, v23
	v_lshl_add_u64 v[48:49], v[48:49], 0, 16
	v_pk_min_f16 v89, v76, v10
	v_pk_add_f16 v10, v3, v23
	ds_write_b16 v131, v54
	ds_write_b16 v131, v55 offset:512
	ds_write_b16 v132, v32
	ds_write_b16 v132, v33 offset:512
	v_pk_min_f16 v87, v22, v10
	v_pk_add_f16 v10, v5, v17
	s_waitcnt lgkmcnt(0)
	v_pk_min_f16 v85, v74, v10
	v_pk_add_f16 v10, v7, v17
	s_barrier
	v_pk_min_f16 v84, v73, v10
	v_pk_add_f16 v10, v1, v17
	s_nop 0
	v_pk_min_f16 v82, v72, v10
	v_pk_add_f16 v10, v3, v17
	s_nop 0
	;; [unrolled: 3-line block ×14, first 2 shown]
	v_pk_min_f16 v67, v14, v10
	v_pk_add_f16 v10, v5, v9
	v_pk_add_f16 v5, v5, v11
	v_pk_min_f16 v66, v57, v10
	v_pk_add_f16 v10, v7, v9
	v_pk_min_f16 v61, v4, v5
	v_pk_min_f16 v65, v56, v10
	v_pk_add_f16 v10, v1, v9
	v_pk_add_f16 v1, v1, v11
	;; [unrolled: 1-line block ×4, first 2 shown]
	v_pk_min_f16 v60, v0, v1
	v_pk_add_f16 v0, v3, v11
	v_pk_min_f16 v63, v39, v10
	v_pk_min_f16 v62, v8, v9
	;; [unrolled: 1-line block ×4, first 2 shown]
	s_cbranch_scc1 .LBB264_31
.LBB264_21:                             ; =>This Inner Loop Header: Depth=1
	s_and_b64 vcc, exec, s[4:5]
	v_lshl_add_u64 v[56:57], v[48:49], 0, v[40:41]
	v_lshl_add_u64 v[54:55], v[46:47], 0, v[40:41]
	s_cbranch_vccnz .LBB264_24
; %bb.22:                               ;   in Loop: Header=BB264_21 Depth=1
	flat_load_ushort v0, v[56:57] offset:16
	flat_load_ushort v1, v[54:55] offset:16
	s_waitcnt vmcnt(0) lgkmcnt(0)
	v_mul_f16_e32 v135, v83, v0
	v_mul_f16_e32 v136, v83, v1
	s_and_b64 vcc, exec, s[4:5]
	v_lshl_add_u64 v[50:51], v[44:45], 0, v[40:41]
	v_lshl_add_u64 v[52:53], v[42:43], 0, v[40:41]
	s_cbranch_vccnz .LBB264_25
.LBB264_23:                             ;   in Loop: Header=BB264_21 Depth=1
	flat_load_ushort v0, v[50:51] offset:16
	flat_load_ushort v1, v[52:53] offset:16
	s_waitcnt vmcnt(0) lgkmcnt(0)
	v_mul_f16_e32 v137, v83, v0
	v_mul_f16_e32 v138, v83, v1
	s_branch .LBB264_26
.LBB264_24:                             ;   in Loop: Header=BB264_21 Depth=1
	v_mov_b32_e32 v135, 0
	v_mov_b32_e32 v136, 0
	s_and_b64 vcc, exec, s[4:5]
	v_lshl_add_u64 v[50:51], v[44:45], 0, v[40:41]
	v_lshl_add_u64 v[52:53], v[42:43], 0, v[40:41]
	s_cbranch_vccz .LBB264_23
.LBB264_25:                             ;   in Loop: Header=BB264_21 Depth=1
	v_mov_b32_e32 v137, 0
	v_mov_b32_e32 v138, 0
.LBB264_26:                             ;   in Loop: Header=BB264_21 Depth=1
	ds_read2_b64 v[4:7], v133 offset1:32
	ds_read2_b64 v[0:3], v133 offset0:64 offset1:96
	ds_read2_b64 v[36:39], v134 offset1:8
	ds_read2_b64 v[32:35], v134 offset0:16 offset1:24
	ds_read2_b64 v[28:31], v134 offset0:32 offset1:40
	;; [unrolled: 1-line block ×7, first 2 shown]
	s_mov_b64 vcc, s[6:7]
	ds_write_b16 v100, v135
	ds_write_b16 v100, v136 offset:512
	ds_write_b16 v130, v137
	ds_write_b16 v130, v138 offset:512
	s_waitcnt lgkmcnt(0)
	s_barrier
	s_cbranch_vccz .LBB264_28
; %bb.27:                               ;   in Loop: Header=BB264_21 Depth=1
	flat_load_ushort v56, v[56:57] offset:24
	s_nop 0
	flat_load_ushort v55, v[54:55] offset:24
	s_waitcnt vmcnt(0) lgkmcnt(0)
	v_mul_f16_e32 v54, v83, v56
	v_mul_f16_e32 v55, v83, v55
	s_branch .LBB264_29
.LBB264_28:                             ;   in Loop: Header=BB264_21 Depth=1
	v_mov_b32_e32 v54, 0
	v_mov_b32_e32 v55, 0
.LBB264_29:                             ;   in Loop: Header=BB264_21 Depth=1
	v_pk_add_f16 v56, v4, v36
	v_pk_max_f16 v57, v129, v129
	v_pk_max_f16 v128, v128, v128
	v_pk_min_f16 v56, v57, v56
	v_pk_add_f16 v57, v6, v36
	v_pk_max_f16 v126, v126, v126
	v_pk_min_f16 v57, v128, v57
	v_pk_add_f16 v128, v0, v36
	v_pk_add_f16 v36, v2, v36
	v_pk_max_f16 v125, v125, v125
	v_pk_min_f16 v36, v126, v36
	v_pk_add_f16 v126, v4, v38
	v_pk_max_f16 v124, v124, v124
	v_pk_min_f16 v125, v125, v126
	;; [unrolled: 3-line block ×3, first 2 shown]
	v_pk_add_f16 v126, v0, v38
	v_pk_add_f16 v38, v2, v38
	v_pk_max_f16 v121, v121, v121
	v_pk_min_f16 v38, v122, v38
	v_pk_add_f16 v122, v4, v32
	v_pk_max_f16 v123, v123, v123
	v_pk_min_f16 v122, v121, v122
	v_pk_add_f16 v121, v6, v32
	v_pk_max_f16 v120, v120, v120
	v_pk_min_f16 v123, v123, v126
	v_pk_min_f16 v126, v120, v121
	v_pk_add_f16 v120, v0, v32
	v_pk_add_f16 v32, v2, v32
	v_pk_max_f16 v118, v118, v118
	v_pk_max_f16 v117, v117, v117
	v_pk_min_f16 v32, v118, v32
	v_pk_add_f16 v118, v4, v34
	v_pk_max_f16 v116, v116, v116
	v_pk_min_f16 v129, v117, v118
	v_pk_add_f16 v117, v6, v34
	v_pk_max_f16 v114, v114, v114
	v_pk_min_f16 v135, v116, v117
	v_pk_add_f16 v116, v0, v34
	v_pk_add_f16 v34, v2, v34
	v_pk_max_f16 v113, v113, v113
	v_pk_min_f16 v34, v114, v34
	v_pk_add_f16 v114, v4, v28
	v_pk_max_f16 v112, v112, v112
	v_pk_min_f16 v137, v113, v114
	v_pk_add_f16 v113, v6, v28
	v_pk_max_f16 v110, v110, v110
	v_pk_min_f16 v138, v112, v113
	v_pk_add_f16 v112, v0, v28
	v_pk_add_f16 v28, v2, v28
	;; [unrolled: 10-line block ×11, first 2 shown]
	v_pk_max_f16 v66, v66, v66
	v_pk_min_f16 v14, v67, v14
	v_pk_add_f16 v67, v4, v8
	v_pk_max_f16 v65, v65, v65
	v_pk_min_f16 v167, v66, v67
	v_pk_add_f16 v66, v6, v8
	v_pk_add_f16 v4, v4, v10
	v_pk_min_f16 v168, v65, v66
	v_pk_add_f16 v65, v0, v8
	v_pk_add_f16 v8, v2, v8
	;; [unrolled: 1-line block ×5, first 2 shown]
	v_pk_max_f16 v10, v64, v64
	v_pk_max_f16 v127, v127, v127
	v_pk_min_f16 v2, v10, v2
	v_pk_add_f16 v10, v5, v37
	v_pk_max_f16 v119, v119, v119
	v_pk_min_f16 v121, v56, v10
	v_pk_add_f16 v10, v7, v37
	v_pk_min_f16 v127, v127, v128
	v_pk_min_f16 v128, v119, v120
	;; [unrolled: 1-line block ×3, first 2 shown]
	v_pk_add_f16 v10, v1, v37
	v_pk_max_f16 v115, v115, v115
	v_pk_min_f16 v119, v127, v10
	v_pk_add_f16 v10, v3, v37
	v_pk_min_f16 v136, v115, v116
	v_pk_min_f16 v118, v36, v10
	v_pk_add_f16 v10, v5, v39
	v_pk_max_f16 v111, v111, v111
	v_pk_min_f16 v117, v125, v10
	v_pk_add_f16 v10, v7, v39
	v_pk_min_f16 v139, v111, v112
	v_pk_min_f16 v116, v124, v10
	;; [unrolled: 6-line block ×16, first 2 shown]
	v_pk_add_f16 v10, v1, v21
	s_and_b64 vcc, exec, s[4:5]
	v_pk_min_f16 v82, v151, v10
	v_pk_add_f16 v10, v3, v21
	s_nop 0
	v_pk_min_f16 v81, v20, v10
	v_pk_add_f16 v10, v5, v23
	s_nop 0
	;; [unrolled: 3-line block ×21, first 2 shown]
	v_pk_min_f16 v59, v14, v10
	v_pk_add_f16 v10, v5, v9
	v_pk_add_f16 v5, v5, v11
	v_pk_min_f16 v57, v167, v10
	v_pk_add_f16 v10, v7, v9
	v_pk_min_f16 v37, v4, v5
	v_pk_min_f16 v56, v168, v10
	v_pk_add_f16 v10, v1, v9
	v_pk_add_f16 v1, v1, v11
	;; [unrolled: 1-line block ×4, first 2 shown]
	v_pk_min_f16 v34, v0, v1
	v_pk_add_f16 v0, v3, v11
	v_pk_min_f16 v39, v169, v10
	v_pk_min_f16 v38, v8, v9
	;; [unrolled: 1-line block ×4, first 2 shown]
	s_cbranch_vccz .LBB264_19
; %bb.30:                               ;   in Loop: Header=BB264_21 Depth=1
	v_mov_b32_e32 v32, 0
	v_mov_b32_e32 v33, 0
	s_branch .LBB264_20
.LBB264_31:
	s_load_dword s6, s[0:1], 0x58
	ds_read_b64 v[38:39], v88 offset:1024
	ds_read_b64 v[46:47], v86 offset:3072
	v_add_u32_e32 v52, s3, v78
	v_cmp_neq_f16_e64 s[4:5], 0, v58
	v_add_u32_e32 v36, s2, v77
	s_waitcnt lgkmcnt(0)
	v_mad_i64_i32 v[0:1], s[2:3], v52, s6, 0
	v_ashrrev_i32_e32 v37, 31, v36
	v_lshl_add_u64 v[48:49], v[0:1], 1, s[10:11]
	s_and_b64 vcc, exec, s[4:5]
	v_mov_b32_e32 v42, 0
	v_mov_b32_e32 v43, 0
	s_cbranch_vccz .LBB264_33
; %bb.32:
	v_lshl_add_u64 v[0:1], v[36:37], 1, v[48:49]
	flat_load_ushort v0, v[0:1]
	s_waitcnt vmcnt(0) lgkmcnt(0)
	v_mul_f16_e32 v43, v58, v0
.LBB264_33:
	v_add_u32_e32 v4, 0x800, v86
	ds_read2_b64 v[0:3], v88 offset0:160 offset1:192
	ds_read_b64 v[32:33], v88 offset:1792
	ds_read2_b64 v[28:31], v4 offset0:136 offset1:144
	ds_read2_b64 v[24:27], v4 offset0:152 offset1:160
	;; [unrolled: 1-line block ×4, first 2 shown]
	s_load_dword s7, s[0:1], 0x70
	s_load_dwordx2 s[2:3], s[0:1], 0x78
	ds_read2_b64 v[12:15], v4 offset0:200 offset1:208
	ds_read2_b64 v[8:11], v4 offset0:216 offset1:224
	ds_read2_b64 v[4:7], v4 offset0:232 offset1:240
	ds_read_b64 v[34:35], v86 offset:4032
	v_pk_add_f16 v40, v38, v46
	v_pk_max_f16 v41, v129, v129
	s_waitcnt lgkmcnt(0)
	s_mul_i32 s0, s20, s3
	s_mul_hi_u32 s1, s20, s2
	s_add_i32 s1, s1, s0
	s_mul_i32 s0, s20, s2
	s_lshl_b64 s[0:1], s[0:1], 1
	s_add_u32 s2, s14, s0
	v_pk_min_f16 v40, v41, v40
	v_pk_add_f16 v41, v39, v47
	s_addc_u32 s3, s15, s1
	v_pk_min_f16 v53, v40, v41
	v_mad_i64_i32 v[44:45], s[0:1], v52, s7, 0
	v_lshl_add_u64 v[50:51], v[44:45], 1, s[2:3]
	v_lshrrev_b32_e32 v44, 16, v53
	v_add_u32_e32 v40, 32, v36
	v_min3_f16 v43, v43, v53, v44
	v_cndmask_b32_e64 v53, 0, 1, s[4:5]
	v_ashrrev_i32_e32 v41, 31, v40
	v_lshl_add_u64 v[44:45], v[36:37], 1, v[50:51]
	v_cmp_ne_u32_e64 s[0:1], 1, v53
	s_andn2_b64 vcc, exec, s[4:5]
	global_store_short v[44:45], v43, off
	s_cbranch_vccnz .LBB264_35
; %bb.34:
	v_lshl_add_u64 v[42:43], v[40:41], 1, v[48:49]
	flat_load_ushort v42, v[42:43]
	s_waitcnt vmcnt(0) lgkmcnt(0)
	v_mul_f16_e32 v42, v58, v42
.LBB264_35:
	v_pk_add_f16 v43, v0, v46
	v_pk_max_f16 v44, v128, v128
	s_and_b64 vcc, exec, s[0:1]
	v_pk_min_f16 v43, v44, v43
	v_pk_add_f16 v44, v1, v47
	v_mov_b32_e32 v54, 0
	v_pk_min_f16 v43, v43, v44
	v_add_u32_e32 v44, 64, v36
	v_lshrrev_b32_e32 v53, 16, v43
	v_min3_f16 v53, v42, v43, v53
	v_lshl_add_u64 v[42:43], v[40:41], 1, v[50:51]
	v_ashrrev_i32_e32 v45, 31, v44
	global_store_short v[42:43], v53, off
	v_mov_b32_e32 v53, 0
	s_cbranch_vccnz .LBB264_37
; %bb.36:
	v_lshl_add_u64 v[42:43], v[44:45], 1, v[48:49]
	flat_load_ushort v42, v[42:43]
	s_waitcnt vmcnt(0) lgkmcnt(0)
	v_mul_f16_e32 v54, v58, v42
.LBB264_37:
	v_pk_add_f16 v42, v2, v46
	v_pk_max_f16 v43, v127, v127
	s_and_b64 vcc, exec, s[0:1]
	v_pk_min_f16 v42, v43, v42
	v_pk_add_f16 v43, v3, v47
	s_nop 0
	v_pk_min_f16 v55, v42, v43
	v_add_u32_e32 v42, 0x60, v36
	v_lshrrev_b32_e32 v56, 16, v55
	v_ashrrev_i32_e32 v43, 31, v42
	v_min3_f16 v56, v54, v55, v56
	v_lshl_add_u64 v[54:55], v[44:45], 1, v[50:51]
	global_store_short v[54:55], v56, off
	s_cbranch_vccnz .LBB264_39
; %bb.38:
	v_lshl_add_u64 v[48:49], v[42:43], 1, v[48:49]
	flat_load_ushort v48, v[48:49]
	s_waitcnt vmcnt(0) lgkmcnt(0)
	v_mul_f16_e32 v53, v58, v48
.LBB264_39:
	v_pk_add_f16 v46, v32, v46
	v_pk_max_f16 v48, v126, v126
	v_pk_add_f16 v47, v33, v47
	v_pk_min_f16 v46, v48, v46
	s_and_b64 vcc, exec, s[0:1]
	v_pk_min_f16 v46, v46, v47
	s_nop 0
	v_lshrrev_b32_e32 v47, 16, v46
	v_min3_f16 v48, v53, v46, v47
	v_lshl_add_u64 v[46:47], v[42:43], 1, v[50:51]
	global_store_short v[46:47], v48, off
	v_add_u32_e32 v48, 8, v52
	v_mad_i64_i32 v[46:47], s[4:5], v48, s6, 0
	v_lshl_add_u64 v[46:47], v[46:47], 1, s[10:11]
	v_mov_b32_e32 v50, 0
	v_mov_b32_e32 v51, 0
	s_cbranch_vccnz .LBB264_41
; %bb.40:
	v_lshl_add_u64 v[54:55], v[36:37], 1, v[46:47]
	flat_load_ushort v49, v[54:55]
	s_waitcnt vmcnt(0) lgkmcnt(0)
	v_mul_f16_e32 v51, v58, v49
.LBB264_41:
	v_pk_add_f16 v49, v38, v28
	v_pk_max_f16 v53, v125, v125
	s_and_b64 vcc, exec, s[0:1]
	v_pk_min_f16 v49, v53, v49
	v_pk_add_f16 v53, v39, v29
	s_nop 0
	v_pk_min_f16 v53, v49, v53
	v_mad_i64_i32 v[48:49], s[4:5], v48, s7, 0
	v_lshl_add_u64 v[48:49], v[48:49], 1, s[2:3]
	v_lshrrev_b32_e32 v54, 16, v53
	v_min3_f16 v51, v51, v53, v54
	v_lshl_add_u64 v[54:55], v[36:37], 1, v[48:49]
	global_store_short v[54:55], v51, off
	s_cbranch_vccnz .LBB264_43
; %bb.42:
	v_lshl_add_u64 v[50:51], v[40:41], 1, v[46:47]
	flat_load_ushort v50, v[50:51]
	s_waitcnt vmcnt(0) lgkmcnt(0)
	v_mul_f16_e32 v50, v58, v50
.LBB264_43:
	v_pk_add_f16 v51, v0, v28
	v_pk_max_f16 v53, v124, v124
	s_and_b64 vcc, exec, s[0:1]
	v_pk_min_f16 v51, v53, v51
	v_pk_add_f16 v53, v1, v29
	s_nop 0
	v_pk_min_f16 v51, v51, v53
	s_nop 0
	v_lshrrev_b32_e32 v53, 16, v51
	v_min3_f16 v53, v50, v51, v53
	v_lshl_add_u64 v[50:51], v[40:41], 1, v[48:49]
	global_store_short v[50:51], v53, off
	v_mov_b32_e32 v50, 0
	v_mov_b32_e32 v51, 0
	s_cbranch_vccnz .LBB264_45
; %bb.44:
	v_lshl_add_u64 v[54:55], v[44:45], 1, v[46:47]
	flat_load_ushort v51, v[54:55]
	s_waitcnt vmcnt(0) lgkmcnt(0)
	v_mul_f16_e32 v51, v58, v51
.LBB264_45:
	v_pk_add_f16 v53, v2, v28
	v_pk_max_f16 v54, v123, v123
	s_and_b64 vcc, exec, s[0:1]
	v_pk_min_f16 v53, v54, v53
	v_pk_add_f16 v54, v3, v29
	s_nop 0
	v_pk_min_f16 v53, v53, v54
	s_nop 0
	v_lshrrev_b32_e32 v54, 16, v53
	v_min3_f16 v51, v51, v53, v54
	v_lshl_add_u64 v[54:55], v[44:45], 1, v[48:49]
	global_store_short v[54:55], v51, off
	s_cbranch_vccnz .LBB264_47
; %bb.46:
	v_lshl_add_u64 v[46:47], v[42:43], 1, v[46:47]
	flat_load_ushort v46, v[46:47]
	s_waitcnt vmcnt(0) lgkmcnt(0)
	v_mul_f16_e32 v50, v58, v46
.LBB264_47:
	v_pk_add_f16 v28, v32, v28
	v_pk_max_f16 v46, v122, v122
	v_pk_add_f16 v29, v33, v29
	v_pk_min_f16 v28, v46, v28
	s_and_b64 vcc, exec, s[0:1]
	v_pk_min_f16 v28, v28, v29
	s_nop 0
	v_lshrrev_b32_e32 v29, 16, v28
	v_min3_f16 v46, v50, v28, v29
	v_lshl_add_u64 v[28:29], v[42:43], 1, v[48:49]
	global_store_short v[28:29], v46, off
	v_add_u32_e32 v46, 16, v52
	v_mad_i64_i32 v[28:29], s[4:5], v46, s6, 0
	v_lshl_add_u64 v[28:29], v[28:29], 1, s[10:11]
	v_mov_b32_e32 v48, 0
	v_mov_b32_e32 v49, 0
	s_cbranch_vccnz .LBB264_49
; %bb.48:
	v_lshl_add_u64 v[50:51], v[36:37], 1, v[28:29]
	flat_load_ushort v47, v[50:51]
	s_waitcnt vmcnt(0) lgkmcnt(0)
	v_mul_f16_e32 v49, v58, v47
.LBB264_49:
	v_pk_add_f16 v47, v38, v30
	v_pk_max_f16 v50, v121, v121
	s_and_b64 vcc, exec, s[0:1]
	v_pk_min_f16 v47, v50, v47
	v_pk_add_f16 v50, v39, v31
	s_nop 0
	v_pk_min_f16 v50, v47, v50
	v_mad_i64_i32 v[46:47], s[4:5], v46, s7, 0
	v_lshl_add_u64 v[46:47], v[46:47], 1, s[2:3]
	v_lshrrev_b32_e32 v51, 16, v50
	v_min3_f16 v49, v49, v50, v51
	v_lshl_add_u64 v[50:51], v[36:37], 1, v[46:47]
	global_store_short v[50:51], v49, off
	s_cbranch_vccnz .LBB264_51
; %bb.50:
	v_lshl_add_u64 v[48:49], v[40:41], 1, v[28:29]
	flat_load_ushort v48, v[48:49]
	s_waitcnt vmcnt(0) lgkmcnt(0)
	v_mul_f16_e32 v48, v58, v48
.LBB264_51:
	v_pk_add_f16 v49, v0, v30
	v_pk_max_f16 v50, v120, v120
	s_and_b64 vcc, exec, s[0:1]
	v_pk_min_f16 v49, v50, v49
	v_pk_add_f16 v50, v1, v31
	s_nop 0
	v_pk_min_f16 v49, v49, v50
	s_nop 0
	v_lshrrev_b32_e32 v50, 16, v49
	v_min3_f16 v50, v48, v49, v50
	v_lshl_add_u64 v[48:49], v[40:41], 1, v[46:47]
	global_store_short v[48:49], v50, off
	v_mov_b32_e32 v48, 0
	v_mov_b32_e32 v49, 0
	s_cbranch_vccnz .LBB264_53
; %bb.52:
	v_lshl_add_u64 v[50:51], v[44:45], 1, v[28:29]
	flat_load_ushort v49, v[50:51]
	s_waitcnt vmcnt(0) lgkmcnt(0)
	v_mul_f16_e32 v49, v58, v49
.LBB264_53:
	v_pk_add_f16 v50, v2, v30
	v_pk_max_f16 v51, v119, v119
	s_and_b64 vcc, exec, s[0:1]
	v_pk_min_f16 v50, v51, v50
	v_pk_add_f16 v51, v3, v31
	s_nop 0
	v_pk_min_f16 v50, v50, v51
	s_nop 0
	v_lshrrev_b32_e32 v51, 16, v50
	v_min3_f16 v49, v49, v50, v51
	v_lshl_add_u64 v[50:51], v[44:45], 1, v[46:47]
	global_store_short v[50:51], v49, off
	s_cbranch_vccnz .LBB264_55
; %bb.54:
	v_lshl_add_u64 v[28:29], v[42:43], 1, v[28:29]
	flat_load_ushort v28, v[28:29]
	s_waitcnt vmcnt(0) lgkmcnt(0)
	v_mul_f16_e32 v48, v58, v28
.LBB264_55:
	v_pk_add_f16 v28, v32, v30
	v_pk_max_f16 v29, v118, v118
	s_and_b64 vcc, exec, s[0:1]
	v_pk_min_f16 v28, v29, v28
	v_pk_add_f16 v29, v33, v31
	s_nop 0
	v_pk_min_f16 v28, v28, v29
	s_nop 0
	v_lshrrev_b32_e32 v29, 16, v28
	v_min3_f16 v30, v48, v28, v29
	v_lshl_add_u64 v[28:29], v[42:43], 1, v[46:47]
	global_store_short v[28:29], v30, off
	v_add_u32_e32 v30, 24, v52
	v_mad_i64_i32 v[28:29], s[4:5], v30, s6, 0
	v_lshl_add_u64 v[28:29], v[28:29], 1, s[10:11]
	v_mov_b32_e32 v46, 0
	v_mov_b32_e32 v47, 0
	s_cbranch_vccnz .LBB264_57
; %bb.56:
	v_lshl_add_u64 v[48:49], v[36:37], 1, v[28:29]
	flat_load_ushort v31, v[48:49]
	s_waitcnt vmcnt(0) lgkmcnt(0)
	v_mul_f16_e32 v47, v58, v31
.LBB264_57:
	v_pk_add_f16 v31, v38, v24
	v_pk_max_f16 v48, v117, v117
	s_and_b64 vcc, exec, s[0:1]
	v_pk_min_f16 v31, v48, v31
	v_pk_add_f16 v48, v39, v25
	s_nop 0
	v_pk_min_f16 v48, v31, v48
	v_mad_i64_i32 v[30:31], s[4:5], v30, s7, 0
	v_lshl_add_u64 v[30:31], v[30:31], 1, s[2:3]
	v_lshrrev_b32_e32 v49, 16, v48
	v_min3_f16 v47, v47, v48, v49
	v_lshl_add_u64 v[48:49], v[36:37], 1, v[30:31]
	global_store_short v[48:49], v47, off
	s_cbranch_vccnz .LBB264_59
; %bb.58:
	v_lshl_add_u64 v[46:47], v[40:41], 1, v[28:29]
	flat_load_ushort v46, v[46:47]
	s_waitcnt vmcnt(0) lgkmcnt(0)
	v_mul_f16_e32 v46, v58, v46
.LBB264_59:
	v_pk_add_f16 v47, v0, v24
	v_pk_max_f16 v48, v116, v116
	s_and_b64 vcc, exec, s[0:1]
	v_pk_min_f16 v47, v48, v47
	v_pk_add_f16 v48, v1, v25
	s_nop 0
	v_pk_min_f16 v47, v47, v48
	s_nop 0
	v_lshrrev_b32_e32 v48, 16, v47
	v_min3_f16 v48, v46, v47, v48
	v_lshl_add_u64 v[46:47], v[40:41], 1, v[30:31]
	global_store_short v[46:47], v48, off
	v_mov_b32_e32 v46, 0
	v_mov_b32_e32 v47, 0
	s_cbranch_vccnz .LBB264_61
; %bb.60:
	v_lshl_add_u64 v[48:49], v[44:45], 1, v[28:29]
	flat_load_ushort v47, v[48:49]
	s_waitcnt vmcnt(0) lgkmcnt(0)
	v_mul_f16_e32 v47, v58, v47
.LBB264_61:
	v_pk_add_f16 v48, v2, v24
	v_pk_max_f16 v49, v115, v115
	s_and_b64 vcc, exec, s[0:1]
	v_pk_min_f16 v48, v49, v48
	v_pk_add_f16 v49, v3, v25
	s_nop 0
	v_pk_min_f16 v48, v48, v49
	s_nop 0
	v_lshrrev_b32_e32 v49, 16, v48
	v_min3_f16 v47, v47, v48, v49
	v_lshl_add_u64 v[48:49], v[44:45], 1, v[30:31]
	global_store_short v[48:49], v47, off
	s_cbranch_vccnz .LBB264_63
; %bb.62:
	v_lshl_add_u64 v[28:29], v[42:43], 1, v[28:29]
	flat_load_ushort v28, v[28:29]
	s_waitcnt vmcnt(0) lgkmcnt(0)
	v_mul_f16_e32 v46, v58, v28
.LBB264_63:
	v_pk_add_f16 v24, v32, v24
	v_pk_max_f16 v28, v114, v114
	v_pk_add_f16 v25, v33, v25
	v_pk_min_f16 v24, v28, v24
	s_and_b64 vcc, exec, s[0:1]
	v_pk_min_f16 v24, v24, v25
	s_nop 0
	v_lshrrev_b32_e32 v25, 16, v24
	v_min3_f16 v28, v46, v24, v25
	v_lshl_add_u64 v[24:25], v[42:43], 1, v[30:31]
	global_store_short v[24:25], v28, off
	v_add_u32_e32 v28, 32, v52
	v_mad_i64_i32 v[24:25], s[4:5], v28, s6, 0
	v_lshl_add_u64 v[24:25], v[24:25], 1, s[10:11]
	v_mov_b32_e32 v30, 0
	v_mov_b32_e32 v31, 0
	s_cbranch_vccnz .LBB264_65
; %bb.64:
	v_lshl_add_u64 v[46:47], v[36:37], 1, v[24:25]
	flat_load_ushort v29, v[46:47]
	s_waitcnt vmcnt(0) lgkmcnt(0)
	v_mul_f16_e32 v31, v58, v29
.LBB264_65:
	v_pk_add_f16 v29, v38, v26
	v_pk_max_f16 v46, v113, v113
	s_and_b64 vcc, exec, s[0:1]
	v_pk_min_f16 v29, v46, v29
	v_pk_add_f16 v46, v39, v27
	s_nop 0
	v_pk_min_f16 v46, v29, v46
	v_mad_i64_i32 v[28:29], s[4:5], v28, s7, 0
	v_lshl_add_u64 v[28:29], v[28:29], 1, s[2:3]
	v_lshrrev_b32_e32 v47, 16, v46
	v_min3_f16 v31, v31, v46, v47
	v_lshl_add_u64 v[46:47], v[36:37], 1, v[28:29]
	global_store_short v[46:47], v31, off
	s_cbranch_vccnz .LBB264_67
; %bb.66:
	v_lshl_add_u64 v[30:31], v[40:41], 1, v[24:25]
	flat_load_ushort v30, v[30:31]
	s_waitcnt vmcnt(0) lgkmcnt(0)
	v_mul_f16_e32 v30, v58, v30
.LBB264_67:
	v_pk_add_f16 v31, v0, v26
	v_pk_max_f16 v46, v112, v112
	s_and_b64 vcc, exec, s[0:1]
	v_pk_min_f16 v31, v46, v31
	v_pk_add_f16 v46, v1, v27
	s_nop 0
	v_pk_min_f16 v31, v31, v46
	s_nop 0
	v_lshrrev_b32_e32 v46, 16, v31
	v_min3_f16 v46, v30, v31, v46
	v_lshl_add_u64 v[30:31], v[40:41], 1, v[28:29]
	global_store_short v[30:31], v46, off
	v_mov_b32_e32 v30, 0
	v_mov_b32_e32 v31, 0
	s_cbranch_vccnz .LBB264_69
; %bb.68:
	v_lshl_add_u64 v[46:47], v[44:45], 1, v[24:25]
	flat_load_ushort v31, v[46:47]
	s_waitcnt vmcnt(0) lgkmcnt(0)
	v_mul_f16_e32 v31, v58, v31
.LBB264_69:
	v_pk_add_f16 v46, v2, v26
	v_pk_max_f16 v47, v111, v111
	s_and_b64 vcc, exec, s[0:1]
	v_pk_min_f16 v46, v47, v46
	v_pk_add_f16 v47, v3, v27
	s_nop 0
	v_pk_min_f16 v46, v46, v47
	s_nop 0
	v_lshrrev_b32_e32 v47, 16, v46
	v_min3_f16 v31, v31, v46, v47
	v_lshl_add_u64 v[46:47], v[44:45], 1, v[28:29]
	global_store_short v[46:47], v31, off
	s_cbranch_vccnz .LBB264_71
; %bb.70:
	v_lshl_add_u64 v[24:25], v[42:43], 1, v[24:25]
	flat_load_ushort v24, v[24:25]
	s_waitcnt vmcnt(0) lgkmcnt(0)
	v_mul_f16_e32 v30, v58, v24
.LBB264_71:
	v_pk_add_f16 v24, v32, v26
	v_pk_max_f16 v25, v110, v110
	s_and_b64 vcc, exec, s[0:1]
	v_pk_min_f16 v24, v25, v24
	v_pk_add_f16 v25, v33, v27
	s_nop 0
	v_pk_min_f16 v24, v24, v25
	s_nop 0
	v_lshrrev_b32_e32 v25, 16, v24
	v_min3_f16 v26, v30, v24, v25
	v_lshl_add_u64 v[24:25], v[42:43], 1, v[28:29]
	global_store_short v[24:25], v26, off
	v_add_u32_e32 v26, 40, v52
	v_mad_i64_i32 v[24:25], s[4:5], v26, s6, 0
	v_lshl_add_u64 v[24:25], v[24:25], 1, s[10:11]
	v_mov_b32_e32 v28, 0
	v_mov_b32_e32 v29, 0
	s_cbranch_vccnz .LBB264_73
; %bb.72:
	v_lshl_add_u64 v[30:31], v[36:37], 1, v[24:25]
	flat_load_ushort v27, v[30:31]
	s_waitcnt vmcnt(0) lgkmcnt(0)
	v_mul_f16_e32 v29, v58, v27
.LBB264_73:
	v_pk_add_f16 v27, v38, v20
	v_pk_max_f16 v30, v109, v109
	s_and_b64 vcc, exec, s[0:1]
	v_pk_min_f16 v27, v30, v27
	v_pk_add_f16 v30, v39, v21
	s_nop 0
	v_pk_min_f16 v30, v27, v30
	v_mad_i64_i32 v[26:27], s[4:5], v26, s7, 0
	v_lshl_add_u64 v[26:27], v[26:27], 1, s[2:3]
	v_lshrrev_b32_e32 v31, 16, v30
	v_min3_f16 v29, v29, v30, v31
	v_lshl_add_u64 v[30:31], v[36:37], 1, v[26:27]
	global_store_short v[30:31], v29, off
	s_cbranch_vccnz .LBB264_75
; %bb.74:
	v_lshl_add_u64 v[28:29], v[40:41], 1, v[24:25]
	flat_load_ushort v28, v[28:29]
	s_waitcnt vmcnt(0) lgkmcnt(0)
	v_mul_f16_e32 v28, v58, v28
.LBB264_75:
	v_pk_add_f16 v29, v0, v20
	v_pk_max_f16 v30, v108, v108
	s_and_b64 vcc, exec, s[0:1]
	v_pk_min_f16 v29, v30, v29
	v_pk_add_f16 v30, v1, v21
	s_nop 0
	v_pk_min_f16 v29, v29, v30
	s_nop 0
	v_lshrrev_b32_e32 v30, 16, v29
	v_min3_f16 v30, v28, v29, v30
	v_lshl_add_u64 v[28:29], v[40:41], 1, v[26:27]
	global_store_short v[28:29], v30, off
	v_mov_b32_e32 v28, 0
	v_mov_b32_e32 v29, 0
	s_cbranch_vccnz .LBB264_77
; %bb.76:
	v_lshl_add_u64 v[30:31], v[44:45], 1, v[24:25]
	flat_load_ushort v29, v[30:31]
	s_waitcnt vmcnt(0) lgkmcnt(0)
	v_mul_f16_e32 v29, v58, v29
.LBB264_77:
	v_pk_add_f16 v30, v2, v20
	v_pk_max_f16 v31, v107, v107
	s_and_b64 vcc, exec, s[0:1]
	v_pk_min_f16 v30, v31, v30
	v_pk_add_f16 v31, v3, v21
	s_nop 0
	v_pk_min_f16 v30, v30, v31
	s_nop 0
	v_lshrrev_b32_e32 v31, 16, v30
	v_min3_f16 v29, v29, v30, v31
	v_lshl_add_u64 v[30:31], v[44:45], 1, v[26:27]
	global_store_short v[30:31], v29, off
	s_cbranch_vccnz .LBB264_79
; %bb.78:
	v_lshl_add_u64 v[24:25], v[42:43], 1, v[24:25]
	flat_load_ushort v24, v[24:25]
	s_waitcnt vmcnt(0) lgkmcnt(0)
	v_mul_f16_e32 v28, v58, v24
.LBB264_79:
	v_pk_add_f16 v20, v32, v20
	v_pk_max_f16 v24, v106, v106
	v_pk_add_f16 v21, v33, v21
	v_pk_min_f16 v20, v24, v20
	s_and_b64 vcc, exec, s[0:1]
	v_pk_min_f16 v20, v20, v21
	s_nop 0
	v_lshrrev_b32_e32 v21, 16, v20
	v_min3_f16 v24, v28, v20, v21
	v_lshl_add_u64 v[20:21], v[42:43], 1, v[26:27]
	global_store_short v[20:21], v24, off
	v_add_u32_e32 v24, 48, v52
	v_mad_i64_i32 v[20:21], s[4:5], v24, s6, 0
	v_lshl_add_u64 v[20:21], v[20:21], 1, s[10:11]
	v_mov_b32_e32 v26, 0
	v_mov_b32_e32 v27, 0
	s_cbranch_vccnz .LBB264_81
; %bb.80:
	v_lshl_add_u64 v[28:29], v[36:37], 1, v[20:21]
	flat_load_ushort v25, v[28:29]
	s_waitcnt vmcnt(0) lgkmcnt(0)
	v_mul_f16_e32 v27, v58, v25
.LBB264_81:
	v_pk_add_f16 v25, v38, v22
	v_pk_max_f16 v28, v105, v105
	s_and_b64 vcc, exec, s[0:1]
	v_pk_min_f16 v25, v28, v25
	v_pk_add_f16 v28, v39, v23
	s_nop 0
	v_pk_min_f16 v28, v25, v28
	v_mad_i64_i32 v[24:25], s[4:5], v24, s7, 0
	v_lshl_add_u64 v[24:25], v[24:25], 1, s[2:3]
	v_lshrrev_b32_e32 v29, 16, v28
	v_min3_f16 v27, v27, v28, v29
	v_lshl_add_u64 v[28:29], v[36:37], 1, v[24:25]
	global_store_short v[28:29], v27, off
	s_cbranch_vccnz .LBB264_83
; %bb.82:
	v_lshl_add_u64 v[26:27], v[40:41], 1, v[20:21]
	flat_load_ushort v26, v[26:27]
	s_waitcnt vmcnt(0) lgkmcnt(0)
	v_mul_f16_e32 v26, v58, v26
.LBB264_83:
	v_pk_add_f16 v27, v0, v22
	v_pk_max_f16 v28, v104, v104
	s_and_b64 vcc, exec, s[0:1]
	v_pk_min_f16 v27, v28, v27
	v_pk_add_f16 v28, v1, v23
	s_nop 0
	v_pk_min_f16 v27, v27, v28
	s_nop 0
	v_lshrrev_b32_e32 v28, 16, v27
	v_min3_f16 v28, v26, v27, v28
	v_lshl_add_u64 v[26:27], v[40:41], 1, v[24:25]
	global_store_short v[26:27], v28, off
	v_mov_b32_e32 v26, 0
	v_mov_b32_e32 v27, 0
	s_cbranch_vccnz .LBB264_85
; %bb.84:
	v_lshl_add_u64 v[28:29], v[44:45], 1, v[20:21]
	flat_load_ushort v27, v[28:29]
	s_waitcnt vmcnt(0) lgkmcnt(0)
	v_mul_f16_e32 v27, v58, v27
.LBB264_85:
	v_pk_add_f16 v28, v2, v22
	v_pk_max_f16 v29, v103, v103
	s_and_b64 vcc, exec, s[0:1]
	v_pk_min_f16 v28, v29, v28
	v_pk_add_f16 v29, v3, v23
	s_nop 0
	v_pk_min_f16 v28, v28, v29
	s_nop 0
	v_lshrrev_b32_e32 v29, 16, v28
	v_min3_f16 v27, v27, v28, v29
	v_lshl_add_u64 v[28:29], v[44:45], 1, v[24:25]
	global_store_short v[28:29], v27, off
	s_cbranch_vccnz .LBB264_87
; %bb.86:
	v_lshl_add_u64 v[20:21], v[42:43], 1, v[20:21]
	flat_load_ushort v20, v[20:21]
	s_waitcnt vmcnt(0) lgkmcnt(0)
	v_mul_f16_e32 v26, v58, v20
.LBB264_87:
	v_pk_add_f16 v20, v32, v22
	v_pk_max_f16 v21, v101, v101
	s_and_b64 vcc, exec, s[0:1]
	v_pk_min_f16 v20, v21, v20
	v_pk_add_f16 v21, v33, v23
	s_nop 0
	v_pk_min_f16 v20, v20, v21
	s_nop 0
	v_lshrrev_b32_e32 v21, 16, v20
	v_min3_f16 v22, v26, v20, v21
	v_lshl_add_u64 v[20:21], v[42:43], 1, v[24:25]
	global_store_short v[20:21], v22, off
	v_add_u32_e32 v22, 56, v52
	v_mad_i64_i32 v[20:21], s[4:5], v22, s6, 0
	v_lshl_add_u64 v[20:21], v[20:21], 1, s[10:11]
	v_mov_b32_e32 v24, 0
	v_mov_b32_e32 v25, 0
	s_cbranch_vccnz .LBB264_89
; %bb.88:
	v_lshl_add_u64 v[26:27], v[36:37], 1, v[20:21]
	flat_load_ushort v23, v[26:27]
	s_waitcnt vmcnt(0) lgkmcnt(0)
	v_mul_f16_e32 v25, v58, v23
.LBB264_89:
	v_pk_add_f16 v23, v38, v16
	v_pk_max_f16 v26, v99, v99
	s_and_b64 vcc, exec, s[0:1]
	v_pk_min_f16 v23, v26, v23
	v_pk_add_f16 v26, v39, v17
	s_nop 0
	v_pk_min_f16 v26, v23, v26
	v_mad_i64_i32 v[22:23], s[4:5], v22, s7, 0
	v_lshl_add_u64 v[22:23], v[22:23], 1, s[2:3]
	v_lshrrev_b32_e32 v27, 16, v26
	v_min3_f16 v25, v25, v26, v27
	v_lshl_add_u64 v[26:27], v[36:37], 1, v[22:23]
	global_store_short v[26:27], v25, off
	s_cbranch_vccnz .LBB264_91
; %bb.90:
	v_lshl_add_u64 v[24:25], v[40:41], 1, v[20:21]
	flat_load_ushort v24, v[24:25]
	s_waitcnt vmcnt(0) lgkmcnt(0)
	v_mul_f16_e32 v24, v58, v24
.LBB264_91:
	v_pk_add_f16 v25, v0, v16
	v_pk_max_f16 v26, v98, v98
	s_and_b64 vcc, exec, s[0:1]
	v_pk_min_f16 v25, v26, v25
	v_pk_add_f16 v26, v1, v17
	s_nop 0
	v_pk_min_f16 v25, v25, v26
	s_nop 0
	v_lshrrev_b32_e32 v26, 16, v25
	v_min3_f16 v26, v24, v25, v26
	v_lshl_add_u64 v[24:25], v[40:41], 1, v[22:23]
	global_store_short v[24:25], v26, off
	v_mov_b32_e32 v24, 0
	v_mov_b32_e32 v25, 0
	s_cbranch_vccnz .LBB264_93
; %bb.92:
	v_lshl_add_u64 v[26:27], v[44:45], 1, v[20:21]
	flat_load_ushort v25, v[26:27]
	s_waitcnt vmcnt(0) lgkmcnt(0)
	v_mul_f16_e32 v25, v58, v25
.LBB264_93:
	v_pk_add_f16 v26, v2, v16
	v_pk_max_f16 v27, v97, v97
	s_and_b64 vcc, exec, s[0:1]
	v_pk_min_f16 v26, v27, v26
	v_pk_add_f16 v27, v3, v17
	s_nop 0
	v_pk_min_f16 v26, v26, v27
	s_nop 0
	v_lshrrev_b32_e32 v27, 16, v26
	v_min3_f16 v25, v25, v26, v27
	v_lshl_add_u64 v[26:27], v[44:45], 1, v[22:23]
	global_store_short v[26:27], v25, off
	s_cbranch_vccnz .LBB264_95
; %bb.94:
	v_lshl_add_u64 v[20:21], v[42:43], 1, v[20:21]
	flat_load_ushort v20, v[20:21]
	s_waitcnt vmcnt(0) lgkmcnt(0)
	v_mul_f16_e32 v24, v58, v20
.LBB264_95:
	v_pk_add_f16 v16, v32, v16
	v_pk_max_f16 v20, v96, v96
	v_pk_add_f16 v17, v33, v17
	v_pk_min_f16 v16, v20, v16
	s_and_b64 vcc, exec, s[0:1]
	v_pk_min_f16 v16, v16, v17
	s_nop 0
	v_lshrrev_b32_e32 v17, 16, v16
	v_min3_f16 v20, v24, v16, v17
	v_lshl_add_u64 v[16:17], v[42:43], 1, v[22:23]
	global_store_short v[16:17], v20, off
	v_add_u32_e32 v20, 64, v52
	v_mad_i64_i32 v[16:17], s[4:5], v20, s6, 0
	v_lshl_add_u64 v[16:17], v[16:17], 1, s[10:11]
	v_mov_b32_e32 v22, 0
	v_mov_b32_e32 v23, 0
	s_cbranch_vccnz .LBB264_97
; %bb.96:
	v_lshl_add_u64 v[24:25], v[36:37], 1, v[16:17]
	flat_load_ushort v21, v[24:25]
	s_waitcnt vmcnt(0) lgkmcnt(0)
	v_mul_f16_e32 v23, v58, v21
.LBB264_97:
	v_pk_add_f16 v21, v38, v18
	v_pk_max_f16 v24, v95, v95
	s_and_b64 vcc, exec, s[0:1]
	v_pk_min_f16 v21, v24, v21
	v_pk_add_f16 v24, v39, v19
	s_nop 0
	v_pk_min_f16 v24, v21, v24
	v_mad_i64_i32 v[20:21], s[4:5], v20, s7, 0
	v_lshl_add_u64 v[20:21], v[20:21], 1, s[2:3]
	v_lshrrev_b32_e32 v25, 16, v24
	v_min3_f16 v23, v23, v24, v25
	v_lshl_add_u64 v[24:25], v[36:37], 1, v[20:21]
	global_store_short v[24:25], v23, off
	s_cbranch_vccnz .LBB264_99
; %bb.98:
	v_lshl_add_u64 v[22:23], v[40:41], 1, v[16:17]
	flat_load_ushort v22, v[22:23]
	s_waitcnt vmcnt(0) lgkmcnt(0)
	v_mul_f16_e32 v22, v58, v22
.LBB264_99:
	v_pk_add_f16 v23, v0, v18
	v_pk_max_f16 v24, v94, v94
	s_and_b64 vcc, exec, s[0:1]
	v_pk_min_f16 v23, v24, v23
	v_pk_add_f16 v24, v1, v19
	s_nop 0
	v_pk_min_f16 v23, v23, v24
	s_nop 0
	v_lshrrev_b32_e32 v24, 16, v23
	v_min3_f16 v24, v22, v23, v24
	v_lshl_add_u64 v[22:23], v[40:41], 1, v[20:21]
	global_store_short v[22:23], v24, off
	v_mov_b32_e32 v22, 0
	v_mov_b32_e32 v23, 0
	s_cbranch_vccnz .LBB264_101
; %bb.100:
	v_lshl_add_u64 v[24:25], v[44:45], 1, v[16:17]
	flat_load_ushort v23, v[24:25]
	s_waitcnt vmcnt(0) lgkmcnt(0)
	v_mul_f16_e32 v23, v58, v23
.LBB264_101:
	v_pk_add_f16 v24, v2, v18
	v_pk_max_f16 v25, v93, v93
	s_and_b64 vcc, exec, s[0:1]
	v_pk_min_f16 v24, v25, v24
	v_pk_add_f16 v25, v3, v19
	s_nop 0
	v_pk_min_f16 v24, v24, v25
	s_nop 0
	v_lshrrev_b32_e32 v25, 16, v24
	v_min3_f16 v23, v23, v24, v25
	v_lshl_add_u64 v[24:25], v[44:45], 1, v[20:21]
	global_store_short v[24:25], v23, off
	s_cbranch_vccnz .LBB264_103
; %bb.102:
	v_lshl_add_u64 v[16:17], v[42:43], 1, v[16:17]
	flat_load_ushort v16, v[16:17]
	s_waitcnt vmcnt(0) lgkmcnt(0)
	v_mul_f16_e32 v22, v58, v16
.LBB264_103:
	v_pk_add_f16 v16, v32, v18
	v_pk_max_f16 v17, v92, v92
	s_and_b64 vcc, exec, s[0:1]
	v_pk_min_f16 v16, v17, v16
	v_pk_add_f16 v17, v33, v19
	s_nop 0
	v_pk_min_f16 v16, v16, v17
	s_nop 0
	v_lshrrev_b32_e32 v17, 16, v16
	v_min3_f16 v18, v22, v16, v17
	v_lshl_add_u64 v[16:17], v[42:43], 1, v[20:21]
	global_store_short v[16:17], v18, off
	v_add_u32_e32 v18, 0x48, v52
	v_mad_i64_i32 v[16:17], s[4:5], v18, s6, 0
	v_lshl_add_u64 v[16:17], v[16:17], 1, s[10:11]
	v_mov_b32_e32 v20, 0
	v_mov_b32_e32 v21, 0
	s_cbranch_vccnz .LBB264_105
; %bb.104:
	v_lshl_add_u64 v[22:23], v[36:37], 1, v[16:17]
	flat_load_ushort v19, v[22:23]
	s_waitcnt vmcnt(0) lgkmcnt(0)
	v_mul_f16_e32 v21, v58, v19
.LBB264_105:
	v_pk_add_f16 v19, v38, v12
	v_pk_max_f16 v22, v91, v91
	s_and_b64 vcc, exec, s[0:1]
	v_pk_min_f16 v19, v22, v19
	v_pk_add_f16 v22, v39, v13
	s_nop 0
	v_pk_min_f16 v22, v19, v22
	v_mad_i64_i32 v[18:19], s[4:5], v18, s7, 0
	v_lshl_add_u64 v[18:19], v[18:19], 1, s[2:3]
	v_lshrrev_b32_e32 v23, 16, v22
	v_min3_f16 v21, v21, v22, v23
	v_lshl_add_u64 v[22:23], v[36:37], 1, v[18:19]
	global_store_short v[22:23], v21, off
	s_cbranch_vccnz .LBB264_107
; %bb.106:
	v_lshl_add_u64 v[20:21], v[40:41], 1, v[16:17]
	flat_load_ushort v20, v[20:21]
	s_waitcnt vmcnt(0) lgkmcnt(0)
	v_mul_f16_e32 v20, v58, v20
.LBB264_107:
	v_pk_add_f16 v21, v0, v12
	v_pk_max_f16 v22, v90, v90
	s_and_b64 vcc, exec, s[0:1]
	v_pk_min_f16 v21, v22, v21
	v_pk_add_f16 v22, v1, v13
	s_nop 0
	v_pk_min_f16 v21, v21, v22
	s_nop 0
	v_lshrrev_b32_e32 v22, 16, v21
	v_min3_f16 v22, v20, v21, v22
	v_lshl_add_u64 v[20:21], v[40:41], 1, v[18:19]
	global_store_short v[20:21], v22, off
	v_mov_b32_e32 v20, 0
	v_mov_b32_e32 v21, 0
	s_cbranch_vccnz .LBB264_109
; %bb.108:
	v_lshl_add_u64 v[22:23], v[44:45], 1, v[16:17]
	flat_load_ushort v21, v[22:23]
	s_waitcnt vmcnt(0) lgkmcnt(0)
	v_mul_f16_e32 v21, v58, v21
.LBB264_109:
	v_pk_add_f16 v22, v2, v12
	v_pk_max_f16 v23, v89, v89
	s_and_b64 vcc, exec, s[0:1]
	v_pk_min_f16 v22, v23, v22
	v_pk_add_f16 v23, v3, v13
	s_nop 0
	v_pk_min_f16 v22, v22, v23
	s_nop 0
	v_lshrrev_b32_e32 v23, 16, v22
	v_min3_f16 v21, v21, v22, v23
	v_lshl_add_u64 v[22:23], v[44:45], 1, v[18:19]
	global_store_short v[22:23], v21, off
	s_cbranch_vccnz .LBB264_111
; %bb.110:
	v_lshl_add_u64 v[16:17], v[42:43], 1, v[16:17]
	flat_load_ushort v16, v[16:17]
	s_waitcnt vmcnt(0) lgkmcnt(0)
	v_mul_f16_e32 v20, v58, v16
.LBB264_111:
	v_pk_add_f16 v12, v32, v12
	v_pk_max_f16 v16, v87, v87
	v_pk_add_f16 v13, v33, v13
	v_pk_min_f16 v12, v16, v12
	s_and_b64 vcc, exec, s[0:1]
	v_pk_min_f16 v12, v12, v13
	s_nop 0
	v_lshrrev_b32_e32 v13, 16, v12
	v_min3_f16 v16, v20, v12, v13
	v_lshl_add_u64 v[12:13], v[42:43], 1, v[18:19]
	global_store_short v[12:13], v16, off
	v_add_u32_e32 v16, 0x50, v52
	v_mad_i64_i32 v[12:13], s[4:5], v16, s6, 0
	v_lshl_add_u64 v[12:13], v[12:13], 1, s[10:11]
	v_mov_b32_e32 v18, 0
	v_mov_b32_e32 v19, 0
	s_cbranch_vccnz .LBB264_113
; %bb.112:
	v_lshl_add_u64 v[20:21], v[36:37], 1, v[12:13]
	flat_load_ushort v17, v[20:21]
	s_waitcnt vmcnt(0) lgkmcnt(0)
	v_mul_f16_e32 v19, v58, v17
.LBB264_113:
	v_pk_add_f16 v17, v38, v14
	v_pk_max_f16 v20, v85, v85
	s_and_b64 vcc, exec, s[0:1]
	v_pk_min_f16 v17, v20, v17
	v_pk_add_f16 v20, v39, v15
	s_nop 0
	v_pk_min_f16 v20, v17, v20
	v_mad_i64_i32 v[16:17], s[4:5], v16, s7, 0
	v_lshl_add_u64 v[16:17], v[16:17], 1, s[2:3]
	v_lshrrev_b32_e32 v21, 16, v20
	v_min3_f16 v19, v19, v20, v21
	v_lshl_add_u64 v[20:21], v[36:37], 1, v[16:17]
	global_store_short v[20:21], v19, off
	s_cbranch_vccnz .LBB264_115
; %bb.114:
	v_lshl_add_u64 v[18:19], v[40:41], 1, v[12:13]
	flat_load_ushort v18, v[18:19]
	s_waitcnt vmcnt(0) lgkmcnt(0)
	v_mul_f16_e32 v18, v58, v18
.LBB264_115:
	v_pk_add_f16 v19, v0, v14
	v_pk_max_f16 v20, v84, v84
	s_and_b64 vcc, exec, s[0:1]
	v_pk_min_f16 v19, v20, v19
	v_pk_add_f16 v20, v1, v15
	s_nop 0
	v_pk_min_f16 v19, v19, v20
	s_nop 0
	v_lshrrev_b32_e32 v20, 16, v19
	v_min3_f16 v20, v18, v19, v20
	v_lshl_add_u64 v[18:19], v[40:41], 1, v[16:17]
	global_store_short v[18:19], v20, off
	v_mov_b32_e32 v18, 0
	v_mov_b32_e32 v19, 0
	s_cbranch_vccnz .LBB264_117
; %bb.116:
	v_lshl_add_u64 v[20:21], v[44:45], 1, v[12:13]
	flat_load_ushort v19, v[20:21]
	s_waitcnt vmcnt(0) lgkmcnt(0)
	v_mul_f16_e32 v19, v58, v19
.LBB264_117:
	v_pk_add_f16 v20, v2, v14
	v_pk_max_f16 v21, v82, v82
	s_and_b64 vcc, exec, s[0:1]
	v_pk_min_f16 v20, v21, v20
	v_pk_add_f16 v21, v3, v15
	s_nop 0
	v_pk_min_f16 v20, v20, v21
	s_nop 0
	v_lshrrev_b32_e32 v21, 16, v20
	v_min3_f16 v19, v19, v20, v21
	v_lshl_add_u64 v[20:21], v[44:45], 1, v[16:17]
	global_store_short v[20:21], v19, off
	s_cbranch_vccnz .LBB264_119
; %bb.118:
	v_lshl_add_u64 v[12:13], v[42:43], 1, v[12:13]
	flat_load_ushort v12, v[12:13]
	s_waitcnt vmcnt(0) lgkmcnt(0)
	v_mul_f16_e32 v18, v58, v12
.LBB264_119:
	v_pk_add_f16 v12, v32, v14
	v_pk_max_f16 v13, v81, v81
	s_and_b64 vcc, exec, s[0:1]
	v_pk_min_f16 v12, v13, v12
	v_pk_add_f16 v13, v33, v15
	s_nop 0
	v_pk_min_f16 v12, v12, v13
	s_nop 0
	v_lshrrev_b32_e32 v13, 16, v12
	v_min3_f16 v14, v18, v12, v13
	v_lshl_add_u64 v[12:13], v[42:43], 1, v[16:17]
	global_store_short v[12:13], v14, off
	v_add_u32_e32 v14, 0x58, v52
	v_mad_i64_i32 v[12:13], s[4:5], v14, s6, 0
	v_lshl_add_u64 v[12:13], v[12:13], 1, s[10:11]
	v_mov_b32_e32 v16, 0
	v_mov_b32_e32 v17, 0
	s_cbranch_vccnz .LBB264_121
; %bb.120:
	v_lshl_add_u64 v[18:19], v[36:37], 1, v[12:13]
	flat_load_ushort v15, v[18:19]
	s_waitcnt vmcnt(0) lgkmcnt(0)
	v_mul_f16_e32 v17, v58, v15
.LBB264_121:
	v_pk_add_f16 v15, v38, v8
	v_pk_max_f16 v18, v80, v80
	s_and_b64 vcc, exec, s[0:1]
	v_pk_min_f16 v15, v18, v15
	v_pk_add_f16 v18, v39, v9
	s_nop 0
	v_pk_min_f16 v18, v15, v18
	v_mad_i64_i32 v[14:15], s[4:5], v14, s7, 0
	v_lshl_add_u64 v[14:15], v[14:15], 1, s[2:3]
	v_lshrrev_b32_e32 v19, 16, v18
	v_min3_f16 v17, v17, v18, v19
	v_lshl_add_u64 v[18:19], v[36:37], 1, v[14:15]
	global_store_short v[18:19], v17, off
	s_cbranch_vccnz .LBB264_123
; %bb.122:
	v_lshl_add_u64 v[16:17], v[40:41], 1, v[12:13]
	flat_load_ushort v16, v[16:17]
	s_waitcnt vmcnt(0) lgkmcnt(0)
	v_mul_f16_e32 v16, v58, v16
.LBB264_123:
	v_pk_add_f16 v17, v0, v8
	v_pk_max_f16 v18, v79, v79
	s_and_b64 vcc, exec, s[0:1]
	v_pk_min_f16 v17, v18, v17
	v_pk_add_f16 v18, v1, v9
	s_nop 0
	v_pk_min_f16 v17, v17, v18
	s_nop 0
	v_lshrrev_b32_e32 v18, 16, v17
	v_min3_f16 v18, v16, v17, v18
	v_lshl_add_u64 v[16:17], v[40:41], 1, v[14:15]
	global_store_short v[16:17], v18, off
	v_mov_b32_e32 v16, 0
	v_mov_b32_e32 v17, 0
	s_cbranch_vccnz .LBB264_125
; %bb.124:
	v_lshl_add_u64 v[18:19], v[44:45], 1, v[12:13]
	flat_load_ushort v17, v[18:19]
	s_waitcnt vmcnt(0) lgkmcnt(0)
	v_mul_f16_e32 v17, v58, v17
.LBB264_125:
	v_pk_add_f16 v18, v2, v8
	v_pk_max_f16 v19, v76, v76
	s_and_b64 vcc, exec, s[0:1]
	v_pk_min_f16 v18, v19, v18
	v_pk_add_f16 v19, v3, v9
	s_nop 0
	v_pk_min_f16 v18, v18, v19
	s_nop 0
	v_lshrrev_b32_e32 v19, 16, v18
	v_min3_f16 v17, v17, v18, v19
	v_lshl_add_u64 v[18:19], v[44:45], 1, v[14:15]
	global_store_short v[18:19], v17, off
	s_cbranch_vccnz .LBB264_127
; %bb.126:
	v_lshl_add_u64 v[12:13], v[42:43], 1, v[12:13]
	flat_load_ushort v12, v[12:13]
	s_waitcnt vmcnt(0) lgkmcnt(0)
	v_mul_f16_e32 v16, v58, v12
.LBB264_127:
	v_pk_add_f16 v8, v32, v8
	v_pk_max_f16 v12, v75, v75
	v_pk_add_f16 v9, v33, v9
	v_pk_min_f16 v8, v12, v8
	s_and_b64 vcc, exec, s[0:1]
	v_pk_min_f16 v8, v8, v9
	s_nop 0
	v_lshrrev_b32_e32 v9, 16, v8
	v_min3_f16 v12, v16, v8, v9
	v_lshl_add_u64 v[8:9], v[42:43], 1, v[14:15]
	global_store_short v[8:9], v12, off
	v_add_u32_e32 v12, 0x60, v52
	v_mad_i64_i32 v[8:9], s[4:5], v12, s6, 0
	v_lshl_add_u64 v[8:9], v[8:9], 1, s[10:11]
	v_mov_b32_e32 v14, 0
	v_mov_b32_e32 v15, 0
	s_cbranch_vccnz .LBB264_129
; %bb.128:
	v_lshl_add_u64 v[16:17], v[36:37], 1, v[8:9]
	flat_load_ushort v13, v[16:17]
	s_waitcnt vmcnt(0) lgkmcnt(0)
	v_mul_f16_e32 v15, v58, v13
.LBB264_129:
	v_pk_add_f16 v13, v38, v10
	v_pk_max_f16 v16, v74, v74
	s_and_b64 vcc, exec, s[0:1]
	v_pk_min_f16 v13, v16, v13
	v_pk_add_f16 v16, v39, v11
	s_nop 0
	v_pk_min_f16 v16, v13, v16
	v_mad_i64_i32 v[12:13], s[4:5], v12, s7, 0
	v_lshl_add_u64 v[12:13], v[12:13], 1, s[2:3]
	v_lshrrev_b32_e32 v17, 16, v16
	v_min3_f16 v15, v15, v16, v17
	v_lshl_add_u64 v[16:17], v[36:37], 1, v[12:13]
	global_store_short v[16:17], v15, off
	s_cbranch_vccnz .LBB264_131
; %bb.130:
	v_lshl_add_u64 v[14:15], v[40:41], 1, v[8:9]
	flat_load_ushort v14, v[14:15]
	s_waitcnt vmcnt(0) lgkmcnt(0)
	v_mul_f16_e32 v14, v58, v14
.LBB264_131:
	v_pk_add_f16 v15, v0, v10
	v_pk_max_f16 v16, v73, v73
	s_and_b64 vcc, exec, s[0:1]
	v_pk_min_f16 v15, v16, v15
	v_pk_add_f16 v16, v1, v11
	s_nop 0
	v_pk_min_f16 v15, v15, v16
	s_nop 0
	v_lshrrev_b32_e32 v16, 16, v15
	v_min3_f16 v16, v14, v15, v16
	v_lshl_add_u64 v[14:15], v[40:41], 1, v[12:13]
	global_store_short v[14:15], v16, off
	v_mov_b32_e32 v14, 0
	v_mov_b32_e32 v15, 0
	s_cbranch_vccnz .LBB264_133
; %bb.132:
	v_lshl_add_u64 v[16:17], v[44:45], 1, v[8:9]
	flat_load_ushort v15, v[16:17]
	s_waitcnt vmcnt(0) lgkmcnt(0)
	v_mul_f16_e32 v15, v58, v15
.LBB264_133:
	v_pk_add_f16 v16, v2, v10
	v_pk_max_f16 v17, v72, v72
	s_and_b64 vcc, exec, s[0:1]
	v_pk_min_f16 v16, v17, v16
	v_pk_add_f16 v17, v3, v11
	s_nop 0
	v_pk_min_f16 v16, v16, v17
	s_nop 0
	v_lshrrev_b32_e32 v17, 16, v16
	v_min3_f16 v15, v15, v16, v17
	v_lshl_add_u64 v[16:17], v[44:45], 1, v[12:13]
	global_store_short v[16:17], v15, off
	s_cbranch_vccnz .LBB264_135
; %bb.134:
	v_lshl_add_u64 v[8:9], v[42:43], 1, v[8:9]
	flat_load_ushort v8, v[8:9]
	s_waitcnt vmcnt(0) lgkmcnt(0)
	v_mul_f16_e32 v14, v58, v8
.LBB264_135:
	v_pk_add_f16 v8, v32, v10
	v_pk_max_f16 v9, v71, v71
	s_and_b64 vcc, exec, s[0:1]
	v_pk_min_f16 v8, v9, v8
	v_pk_add_f16 v9, v33, v11
	s_nop 0
	v_pk_min_f16 v8, v8, v9
	s_nop 0
	v_lshrrev_b32_e32 v9, 16, v8
	v_min3_f16 v10, v14, v8, v9
	v_lshl_add_u64 v[8:9], v[42:43], 1, v[12:13]
	global_store_short v[8:9], v10, off
	v_add_u32_e32 v10, 0x68, v52
	v_mad_i64_i32 v[8:9], s[4:5], v10, s6, 0
	v_lshl_add_u64 v[8:9], v[8:9], 1, s[10:11]
	v_mov_b32_e32 v12, 0
	v_mov_b32_e32 v13, 0
	s_cbranch_vccnz .LBB264_137
; %bb.136:
	v_lshl_add_u64 v[14:15], v[36:37], 1, v[8:9]
	flat_load_ushort v11, v[14:15]
	s_waitcnt vmcnt(0) lgkmcnt(0)
	v_mul_f16_e32 v13, v58, v11
.LBB264_137:
	v_pk_add_f16 v11, v38, v4
	v_pk_max_f16 v14, v70, v70
	s_and_b64 vcc, exec, s[0:1]
	v_pk_min_f16 v11, v14, v11
	v_pk_add_f16 v14, v39, v5
	s_nop 0
	v_pk_min_f16 v14, v11, v14
	v_mad_i64_i32 v[10:11], s[4:5], v10, s7, 0
	v_lshl_add_u64 v[10:11], v[10:11], 1, s[2:3]
	v_lshrrev_b32_e32 v15, 16, v14
	v_min3_f16 v13, v13, v14, v15
	v_lshl_add_u64 v[14:15], v[36:37], 1, v[10:11]
	global_store_short v[14:15], v13, off
	s_cbranch_vccnz .LBB264_139
; %bb.138:
	v_lshl_add_u64 v[12:13], v[40:41], 1, v[8:9]
	flat_load_ushort v12, v[12:13]
	s_waitcnt vmcnt(0) lgkmcnt(0)
	v_mul_f16_e32 v12, v58, v12
.LBB264_139:
	v_pk_add_f16 v13, v0, v4
	v_pk_max_f16 v14, v69, v69
	s_and_b64 vcc, exec, s[0:1]
	v_pk_min_f16 v13, v14, v13
	v_pk_add_f16 v14, v1, v5
	s_nop 0
	v_pk_min_f16 v13, v13, v14
	s_nop 0
	v_lshrrev_b32_e32 v14, 16, v13
	v_min3_f16 v14, v12, v13, v14
	v_lshl_add_u64 v[12:13], v[40:41], 1, v[10:11]
	global_store_short v[12:13], v14, off
	v_mov_b32_e32 v12, 0
	v_mov_b32_e32 v13, 0
	s_cbranch_vccnz .LBB264_141
; %bb.140:
	v_lshl_add_u64 v[14:15], v[44:45], 1, v[8:9]
	flat_load_ushort v13, v[14:15]
	s_waitcnt vmcnt(0) lgkmcnt(0)
	v_mul_f16_e32 v13, v58, v13
.LBB264_141:
	v_pk_add_f16 v14, v2, v4
	v_pk_max_f16 v15, v68, v68
	s_and_b64 vcc, exec, s[0:1]
	v_pk_min_f16 v14, v15, v14
	v_pk_add_f16 v15, v3, v5
	s_nop 0
	v_pk_min_f16 v14, v14, v15
	s_nop 0
	v_lshrrev_b32_e32 v15, 16, v14
	v_min3_f16 v13, v13, v14, v15
	v_lshl_add_u64 v[14:15], v[44:45], 1, v[10:11]
	global_store_short v[14:15], v13, off
	s_cbranch_vccnz .LBB264_143
; %bb.142:
	v_lshl_add_u64 v[8:9], v[42:43], 1, v[8:9]
	flat_load_ushort v8, v[8:9]
	s_waitcnt vmcnt(0) lgkmcnt(0)
	v_mul_f16_e32 v12, v58, v8
.LBB264_143:
	v_pk_add_f16 v4, v32, v4
	v_pk_max_f16 v8, v67, v67
	v_pk_add_f16 v5, v33, v5
	v_pk_min_f16 v4, v8, v4
	s_and_b64 vcc, exec, s[0:1]
	v_pk_min_f16 v4, v4, v5
	s_nop 0
	v_lshrrev_b32_e32 v5, 16, v4
	v_min3_f16 v8, v12, v4, v5
	v_lshl_add_u64 v[4:5], v[42:43], 1, v[10:11]
	global_store_short v[4:5], v8, off
	v_add_u32_e32 v8, 0x70, v52
	v_mad_i64_i32 v[4:5], s[4:5], v8, s6, 0
	v_lshl_add_u64 v[4:5], v[4:5], 1, s[10:11]
	v_mov_b32_e32 v10, 0
	v_mov_b32_e32 v11, 0
	s_cbranch_vccnz .LBB264_145
; %bb.144:
	v_lshl_add_u64 v[12:13], v[36:37], 1, v[4:5]
	flat_load_ushort v9, v[12:13]
	s_waitcnt vmcnt(0) lgkmcnt(0)
	v_mul_f16_e32 v11, v58, v9
.LBB264_145:
	v_pk_add_f16 v9, v38, v6
	v_pk_max_f16 v12, v66, v66
	s_and_b64 vcc, exec, s[0:1]
	v_pk_min_f16 v9, v12, v9
	v_pk_add_f16 v12, v39, v7
	s_nop 0
	v_pk_min_f16 v12, v9, v12
	v_mad_i64_i32 v[8:9], s[4:5], v8, s7, 0
	v_lshl_add_u64 v[8:9], v[8:9], 1, s[2:3]
	v_lshrrev_b32_e32 v13, 16, v12
	v_min3_f16 v11, v11, v12, v13
	v_lshl_add_u64 v[12:13], v[36:37], 1, v[8:9]
	global_store_short v[12:13], v11, off
	s_cbranch_vccnz .LBB264_147
; %bb.146:
	v_lshl_add_u64 v[10:11], v[40:41], 1, v[4:5]
	flat_load_ushort v10, v[10:11]
	s_waitcnt vmcnt(0) lgkmcnt(0)
	v_mul_f16_e32 v10, v58, v10
.LBB264_147:
	v_pk_add_f16 v11, v0, v6
	v_pk_max_f16 v12, v65, v65
	s_and_b64 vcc, exec, s[0:1]
	v_pk_min_f16 v11, v12, v11
	v_pk_add_f16 v12, v1, v7
	s_nop 0
	v_pk_min_f16 v11, v11, v12
	s_nop 0
	v_lshrrev_b32_e32 v12, 16, v11
	v_min3_f16 v12, v10, v11, v12
	v_lshl_add_u64 v[10:11], v[40:41], 1, v[8:9]
	global_store_short v[10:11], v12, off
	v_mov_b32_e32 v10, 0
	v_mov_b32_e32 v11, 0
	s_cbranch_vccnz .LBB264_149
; %bb.148:
	v_lshl_add_u64 v[12:13], v[44:45], 1, v[4:5]
	flat_load_ushort v11, v[12:13]
	s_waitcnt vmcnt(0) lgkmcnt(0)
	v_mul_f16_e32 v11, v58, v11
.LBB264_149:
	v_pk_add_f16 v12, v2, v6
	v_pk_max_f16 v13, v63, v63
	s_and_b64 vcc, exec, s[0:1]
	v_pk_min_f16 v12, v13, v12
	v_pk_add_f16 v13, v3, v7
	s_nop 0
	v_pk_min_f16 v12, v12, v13
	s_nop 0
	v_lshrrev_b32_e32 v13, 16, v12
	v_min3_f16 v11, v11, v12, v13
	v_lshl_add_u64 v[12:13], v[44:45], 1, v[8:9]
	global_store_short v[12:13], v11, off
	s_cbranch_vccnz .LBB264_151
; %bb.150:
	v_lshl_add_u64 v[4:5], v[42:43], 1, v[4:5]
	flat_load_ushort v4, v[4:5]
	s_waitcnt vmcnt(0) lgkmcnt(0)
	v_mul_f16_e32 v10, v58, v4
.LBB264_151:
	v_pk_add_f16 v4, v32, v6
	v_pk_max_f16 v5, v62, v62
	s_and_b64 vcc, exec, s[0:1]
	v_pk_min_f16 v4, v5, v4
	v_pk_add_f16 v5, v33, v7
	s_nop 0
	v_pk_min_f16 v4, v4, v5
	s_nop 0
	v_lshrrev_b32_e32 v5, 16, v4
	v_min3_f16 v6, v10, v4, v5
	v_lshl_add_u64 v[4:5], v[42:43], 1, v[8:9]
	global_store_short v[4:5], v6, off
	v_add_u32_e32 v6, 0x78, v52
	v_mad_i64_i32 v[4:5], s[4:5], v6, s6, 0
	v_lshl_add_u64 v[4:5], v[4:5], 1, s[10:11]
	v_mov_b32_e32 v8, 0
	v_mov_b32_e32 v9, 0
	s_cbranch_vccnz .LBB264_153
; %bb.152:
	v_lshl_add_u64 v[10:11], v[36:37], 1, v[4:5]
	flat_load_ushort v7, v[10:11]
	s_waitcnt vmcnt(0) lgkmcnt(0)
	v_mul_f16_e32 v9, v58, v7
.LBB264_153:
	v_pk_add_f16 v7, v38, v34
	v_pk_max_f16 v10, v61, v61
	s_and_b64 vcc, exec, s[0:1]
	v_pk_min_f16 v7, v10, v7
	v_pk_add_f16 v10, v39, v35
	s_nop 0
	v_pk_min_f16 v10, v7, v10
	v_mad_i64_i32 v[6:7], s[4:5], v6, s7, 0
	v_lshl_add_u64 v[6:7], v[6:7], 1, s[2:3]
	v_lshrrev_b32_e32 v11, 16, v10
	v_min3_f16 v9, v9, v10, v11
	v_lshl_add_u64 v[10:11], v[36:37], 1, v[6:7]
	global_store_short v[10:11], v9, off
	s_cbranch_vccnz .LBB264_155
; %bb.154:
	v_lshl_add_u64 v[8:9], v[40:41], 1, v[4:5]
	flat_load_ushort v8, v[8:9]
	s_waitcnt vmcnt(0) lgkmcnt(0)
	v_mul_f16_e32 v8, v58, v8
.LBB264_155:
	v_pk_add_f16 v0, v0, v34
	v_pk_max_f16 v9, v59, v59
	v_pk_add_f16 v2, v2, v34
	v_pk_min_f16 v0, v9, v0
	v_pk_max_f16 v9, v60, v60
	v_pk_add_f16 v1, v1, v35
	v_pk_min_f16 v2, v9, v2
	v_pk_min_f16 v0, v0, v1
	v_pk_add_f16 v1, v3, v35
	s_mov_b64 vcc, s[8:9]
	v_pk_min_f16 v2, v2, v1
	v_lshrrev_b32_e32 v1, 16, v0
	v_min3_f16 v3, v8, v0, v1
	v_lshl_add_u64 v[0:1], v[40:41], 1, v[6:7]
	global_store_short v[0:1], v3, off
	v_min_f16_sdwa v0, v2, v2 dst_sel:DWORD dst_unused:UNUSED_PAD src0_sel:DWORD src1_sel:WORD_1
	v_max_f16_e32 v0, v0, v0
	s_cbranch_vccz .LBB264_158
; %bb.156:
	v_min_f16_e32 v1, 0, v0
	v_lshl_add_u64 v[2:3], v[44:45], 1, v[6:7]
	s_mov_b32 s2, 0
	global_store_short v[2:3], v1, off
	s_cbranch_execz .LBB264_159
; %bb.157:
	v_mov_b32_e32 v0, s2
	s_branch .LBB264_160
.LBB264_158:
                                        ; implicit-def: $sgpr2
.LBB264_159:
	v_lshlrev_b64 v[2:3], 1, v[44:45]
	v_lshl_add_u64 v[8:9], v[4:5], 0, v[2:3]
	flat_load_ushort v1, v[8:9]
	v_lshl_add_u64 v[2:3], v[6:7], 0, v[2:3]
	s_waitcnt vmcnt(0) lgkmcnt(0)
	v_mul_f16_e32 v1, v58, v1
	v_min_f16_e32 v0, v1, v0
	global_store_short v[2:3], v0, off
	v_lshl_add_u64 v[0:1], v[42:43], 1, v[4:5]
	flat_load_ushort v0, v[0:1]
	s_waitcnt vmcnt(0) lgkmcnt(0)
	v_mul_f16_e32 v0, v58, v0
.LBB264_160:
	v_pk_add_f16 v1, v32, v34
	v_pk_max_f16 v2, v64, v64
	s_nop 0
	v_pk_min_f16 v1, v2, v1
	v_pk_add_f16 v2, v33, v35
	s_nop 0
	v_pk_min_f16 v1, v1, v2
	s_nop 0
	v_lshrrev_b32_e32 v2, 16, v1
	v_min3_f16 v2, v0, v1, v2
	v_lshl_add_u64 v[0:1], v[42:43], 1, v[6:7]
	global_store_short v[0:1], v2, off
	s_endpgm
	.section	.rodata,"a",@progbits
	.p2align	6, 0x0
	.amdhsa_kernel _ZN12_GLOBAL__N_120geam_min_plus_kernelIDF16_Dv2_DF16_S1_Li32ELi8ELi128ELi128ELi4ELi4ELi64ELi4ELi64ELc84ELc78ELb0ELb0ELb1EPKDF16_S2_DF16_EEviiiT16_PT17_ilS6_ilS4_S6_ilPT18_ili26rocblas_geam_ex_operation_
		.amdhsa_group_segment_fixed_size 4096
		.amdhsa_private_segment_fixed_size 0
		.amdhsa_kernarg_size 136
		.amdhsa_user_sgpr_count 2
		.amdhsa_user_sgpr_dispatch_ptr 0
		.amdhsa_user_sgpr_queue_ptr 0
		.amdhsa_user_sgpr_kernarg_segment_ptr 1
		.amdhsa_user_sgpr_dispatch_id 0
		.amdhsa_user_sgpr_kernarg_preload_length 0
		.amdhsa_user_sgpr_kernarg_preload_offset 0
		.amdhsa_user_sgpr_private_segment_size 0
		.amdhsa_uses_dynamic_stack 0
		.amdhsa_enable_private_segment 0
		.amdhsa_system_sgpr_workgroup_id_x 1
		.amdhsa_system_sgpr_workgroup_id_y 0
		.amdhsa_system_sgpr_workgroup_id_z 1
		.amdhsa_system_sgpr_workgroup_info 0
		.amdhsa_system_vgpr_workitem_id 1
		.amdhsa_next_free_vgpr 170
		.amdhsa_next_free_sgpr 26
		.amdhsa_accum_offset 172
		.amdhsa_reserve_vcc 1
		.amdhsa_float_round_mode_32 0
		.amdhsa_float_round_mode_16_64 0
		.amdhsa_float_denorm_mode_32 3
		.amdhsa_float_denorm_mode_16_64 3
		.amdhsa_dx10_clamp 1
		.amdhsa_ieee_mode 1
		.amdhsa_fp16_overflow 0
		.amdhsa_tg_split 0
		.amdhsa_exception_fp_ieee_invalid_op 0
		.amdhsa_exception_fp_denorm_src 0
		.amdhsa_exception_fp_ieee_div_zero 0
		.amdhsa_exception_fp_ieee_overflow 0
		.amdhsa_exception_fp_ieee_underflow 0
		.amdhsa_exception_fp_ieee_inexact 0
		.amdhsa_exception_int_div_zero 0
	.end_amdhsa_kernel
	.section	.text._ZN12_GLOBAL__N_120geam_min_plus_kernelIDF16_Dv2_DF16_S1_Li32ELi8ELi128ELi128ELi4ELi4ELi64ELi4ELi64ELc84ELc78ELb0ELb0ELb1EPKDF16_S2_DF16_EEviiiT16_PT17_ilS6_ilS4_S6_ilPT18_ili26rocblas_geam_ex_operation_,"axG",@progbits,_ZN12_GLOBAL__N_120geam_min_plus_kernelIDF16_Dv2_DF16_S1_Li32ELi8ELi128ELi128ELi4ELi4ELi64ELi4ELi64ELc84ELc78ELb0ELb0ELb1EPKDF16_S2_DF16_EEviiiT16_PT17_ilS6_ilS4_S6_ilPT18_ili26rocblas_geam_ex_operation_,comdat
.Lfunc_end264:
	.size	_ZN12_GLOBAL__N_120geam_min_plus_kernelIDF16_Dv2_DF16_S1_Li32ELi8ELi128ELi128ELi4ELi4ELi64ELi4ELi64ELc84ELc78ELb0ELb0ELb1EPKDF16_S2_DF16_EEviiiT16_PT17_ilS6_ilS4_S6_ilPT18_ili26rocblas_geam_ex_operation_, .Lfunc_end264-_ZN12_GLOBAL__N_120geam_min_plus_kernelIDF16_Dv2_DF16_S1_Li32ELi8ELi128ELi128ELi4ELi4ELi64ELi4ELi64ELc84ELc78ELb0ELb0ELb1EPKDF16_S2_DF16_EEviiiT16_PT17_ilS6_ilS4_S6_ilPT18_ili26rocblas_geam_ex_operation_
                                        ; -- End function
	.section	.AMDGPU.csdata,"",@progbits
; Kernel info:
; codeLenInByte = 17012
; NumSgprs: 32
; NumVgprs: 170
; NumAgprs: 0
; TotalNumVgprs: 170
; ScratchSize: 0
; MemoryBound: 0
; FloatMode: 240
; IeeeMode: 1
; LDSByteSize: 4096 bytes/workgroup (compile time only)
; SGPRBlocks: 3
; VGPRBlocks: 21
; NumSGPRsForWavesPerEU: 32
; NumVGPRsForWavesPerEU: 170
; AccumOffset: 172
; Occupancy: 2
; WaveLimiterHint : 0
; COMPUTE_PGM_RSRC2:SCRATCH_EN: 0
; COMPUTE_PGM_RSRC2:USER_SGPR: 2
; COMPUTE_PGM_RSRC2:TRAP_HANDLER: 0
; COMPUTE_PGM_RSRC2:TGID_X_EN: 1
; COMPUTE_PGM_RSRC2:TGID_Y_EN: 0
; COMPUTE_PGM_RSRC2:TGID_Z_EN: 1
; COMPUTE_PGM_RSRC2:TIDIG_COMP_CNT: 1
; COMPUTE_PGM_RSRC3_GFX90A:ACCUM_OFFSET: 42
; COMPUTE_PGM_RSRC3_GFX90A:TG_SPLIT: 0
	.section	.text._ZN12_GLOBAL__N_120geam_min_plus_kernelIDF16_Dv2_DF16_S1_Li32ELi8ELi128ELi128ELi4ELi4ELi64ELi4ELi64ELc84ELc78ELb1ELb0ELb1EDF16_KDF16_DF16_EEviiiT16_PT17_ilS5_ilS3_S5_ilPT18_ili26rocblas_geam_ex_operation_,"axG",@progbits,_ZN12_GLOBAL__N_120geam_min_plus_kernelIDF16_Dv2_DF16_S1_Li32ELi8ELi128ELi128ELi4ELi4ELi64ELi4ELi64ELc84ELc78ELb1ELb0ELb1EDF16_KDF16_DF16_EEviiiT16_PT17_ilS5_ilS3_S5_ilPT18_ili26rocblas_geam_ex_operation_,comdat
	.globl	_ZN12_GLOBAL__N_120geam_min_plus_kernelIDF16_Dv2_DF16_S1_Li32ELi8ELi128ELi128ELi4ELi4ELi64ELi4ELi64ELc84ELc78ELb1ELb0ELb1EDF16_KDF16_DF16_EEviiiT16_PT17_ilS5_ilS3_S5_ilPT18_ili26rocblas_geam_ex_operation_ ; -- Begin function _ZN12_GLOBAL__N_120geam_min_plus_kernelIDF16_Dv2_DF16_S1_Li32ELi8ELi128ELi128ELi4ELi4ELi64ELi4ELi64ELc84ELc78ELb1ELb0ELb1EDF16_KDF16_DF16_EEviiiT16_PT17_ilS5_ilS3_S5_ilPT18_ili26rocblas_geam_ex_operation_
	.p2align	8
	.type	_ZN12_GLOBAL__N_120geam_min_plus_kernelIDF16_Dv2_DF16_S1_Li32ELi8ELi128ELi128ELi4ELi4ELi64ELi4ELi64ELc84ELc78ELb1ELb0ELb1EDF16_KDF16_DF16_EEviiiT16_PT17_ilS5_ilS3_S5_ilPT18_ili26rocblas_geam_ex_operation_,@function
_ZN12_GLOBAL__N_120geam_min_plus_kernelIDF16_Dv2_DF16_S1_Li32ELi8ELi128ELi128ELi4ELi4ELi64ELi4ELi64ELc84ELc78ELb1ELb0ELb1EDF16_KDF16_DF16_EEviiiT16_PT17_ilS5_ilS3_S5_ilPT18_ili26rocblas_geam_ex_operation_: ; @_ZN12_GLOBAL__N_120geam_min_plus_kernelIDF16_Dv2_DF16_S1_Li32ELi8ELi128ELi128ELi4ELi4ELi64ELi4ELi64ELc84ELc78ELb1ELb0ELb1EDF16_KDF16_DF16_EEviiiT16_PT17_ilS5_ilS3_S5_ilPT18_ili26rocblas_geam_ex_operation_
; %bb.0:
	s_load_dwordx2 s[14:15], s[0:1], 0x8
	s_load_dwordx4 s[4:7], s[0:1], 0x20
	s_waitcnt lgkmcnt(0)
	v_cmp_eq_f16_e64 s[8:9], s15, 0
	s_and_b64 vcc, exec, s[8:9]
	s_cbranch_vccnz .LBB265_3
; %bb.1:
	s_load_dwordx2 s[10:11], s[0:1], 0x10
	s_mul_i32 s5, s3, s5
	s_mul_hi_u32 s12, s3, s4
	s_add_i32 s5, s12, s5
	s_mul_i32 s4, s3, s4
	s_lshl_b64 s[4:5], s[4:5], 1
	s_waitcnt lgkmcnt(0)
	s_add_u32 s16, s10, s4
	s_addc_u32 s17, s11, s5
	s_andn2_b64 vcc, exec, s[8:9]
	s_cbranch_vccnz .LBB265_4
.LBB265_2:
	s_mov_b32 s13, 0
	s_mov_b64 s[18:19], 0
	s_cbranch_execz .LBB265_5
	s_branch .LBB265_6
.LBB265_3:
	s_mov_b64 s[16:17], 0
	s_andn2_b64 vcc, exec, s[8:9]
	s_cbranch_vccz .LBB265_2
.LBB265_4:
                                        ; implicit-def: $sgpr18_sgpr19
                                        ; implicit-def: $sgpr12_sgpr13
.LBB265_5:
	s_load_dwordx2 s[4:5], s[0:1], 0x38
	s_mov_b32 s13, 0
	s_waitcnt lgkmcnt(0)
	s_mul_i32 s5, s3, s5
	s_mul_hi_u32 s8, s3, s4
	s_add_i32 s5, s8, s5
	s_mul_i32 s4, s3, s4
	s_lshl_b64 s[4:5], s[4:5], 1
	s_add_u32 s18, s6, s4
	s_addc_u32 s19, s7, s5
.LBB265_6:
	s_load_dword s12, s[0:1], 0x40
	s_load_dwordx4 s[8:11], s[0:1], 0x58
	s_waitcnt lgkmcnt(0)
	v_cmp_eq_f16_e64 s[4:5], s12, 0
	s_and_b64 s[4:5], exec, s[4:5]
	s_mov_b64 vcc, s[4:5]
	s_cbranch_vccnz .LBB265_8
; %bb.7:
	s_load_dwordx2 s[6:7], s[0:1], 0x48
	s_mul_i32 s9, s3, s9
	s_mul_hi_u32 s15, s3, s8
	s_add_i32 s9, s15, s9
	s_mul_i32 s15, s13, s8
	s_add_i32 s9, s9, s15
	s_mul_i32 s8, s3, s8
	s_lshl_b64 s[8:9], s[8:9], 1
	s_waitcnt lgkmcnt(0)
	s_add_u32 s6, s6, s8
	s_addc_u32 s7, s7, s9
	s_branch .LBB265_9
.LBB265_8:
	s_mov_b64 s[6:7], 0
.LBB265_9:
	s_load_dword s8, s[0:1], 0x0
	s_load_dword s20, s[0:1], 0x18
	;; [unrolled: 1-line block ×3, first 2 shown]
	v_and_b32_e32 v50, 0x3ff, v0
	v_bfe_u32 v51, v0, 10, 10
	s_waitcnt lgkmcnt(0)
	s_add_i32 s8, s8, -1
	s_ashr_i32 s9, s8, 31
	s_lshr_b32 s9, s9, 25
	s_add_i32 s8, s8, s9
	s_ashr_i32 s8, s8, 7
	s_add_i32 s9, s8, 1
	v_cvt_f32_u32_e32 v1, s9
	s_not_b32 s8, s8
	v_and_b32_e32 v2, 3, v50
	v_mov_b32_e32 v41, 0
	v_rcp_iflag_f32_e32 v0, v1
	v_lshl_add_u32 v1, v51, 5, v50
	v_lshrrev_b32_e32 v8, 2, v1
	v_lshlrev_b32_e32 v40, 1, v2
	v_mul_f32_e32 v0, 0x4f7ffffe, v0
	v_cvt_u32_f32_e32 v0, v0
	v_lshlrev_b32_e32 v53, 3, v50
	v_lshlrev_b32_e32 v52, 3, v51
	v_lshl_or_b32 v55, v8, 3, v40
	v_readfirstlane_b32 s15, v0
	s_mul_i32 s8, s8, s15
	s_mul_hi_u32 s8, s15, s8
	s_add_i32 s15, s15, s8
	s_mul_hi_u32 s8, s2, s15
	s_mul_i32 s15, s8, s9
	s_sub_i32 s15, s2, s15
	s_add_i32 s22, s8, 1
	s_sub_i32 s23, s15, s9
	s_cmp_ge_u32 s15, s9
	s_cselect_b32 s8, s22, s8
	s_cselect_b32 s15, s23, s15
	s_add_i32 s22, s8, 1
	s_cmp_ge_u32 s15, s9
	s_cselect_b32 s8, s22, s8
	s_mul_i32 s9, s8, s9
	s_sub_i32 s2, s2, s9
	s_lshl_b32 s2, s2, 7
	s_lshl_b32 s15, s8, 7
	v_add_u32_e32 v4, s2, v8
	v_mad_i64_i32 v[48:49], s[8:9], v4, s20, 0
	v_add_u32_e32 v4, 64, v4
	v_add_u32_e32 v10, s15, v8
	v_mad_i64_i32 v[46:47], s[8:9], v4, s20, 0
	v_lshl_add_u64 v[4:5], s[18:19], 0, v[40:41]
	v_mad_i64_i32 v[44:45], s[8:9], v10, s21, 0
	v_add_u32_e32 v10, 64, v10
	v_lshl_add_u64 v[6:7], v[44:45], 1, v[4:5]
	v_mad_i64_i32 v[42:43], s[8:9], v10, s21, 0
	v_lshl_add_u64 v[0:1], s[16:17], 0, v[40:41]
	flat_load_ushort v11, v[6:7]
	v_lshl_add_u64 v[4:5], v[42:43], 1, v[4:5]
	flat_load_ushort v10, v[4:5]
	v_lshl_add_u64 v[2:3], v[48:49], 1, v[0:1]
	flat_load_ushort v9, v[2:3]
	v_lshl_add_u64 v[0:1], v[46:47], 1, v[0:1]
	flat_load_ushort v12, v[0:1]
	s_movk_i32 s8, 0x7c00
	v_add_u32_e32 v54, 0x800, v52
	flat_load_ushort v80, v[4:5] offset:8
	flat_load_ushort v81, v[6:7] offset:8
	;; [unrolled: 1-line block ×4, first 2 shown]
	s_cmp_lt_i32 s14, 9
	s_waitcnt vmcnt(0) lgkmcnt(0)
	ds_write_b16 v55, v11 offset:2048
	ds_write_b16 v55, v10 offset:2560
	ds_write_b16 v55, v9
	ds_write_b16 v55, v12 offset:512
	s_waitcnt lgkmcnt(0)
	s_barrier
	ds_read2_b64 v[8:11], v53 offset1:32
	ds_read2_b64 v[0:3], v53 offset0:64 offset1:96
	ds_read2_b64 v[36:39], v54 offset1:8
	ds_read2_b64 v[32:35], v54 offset0:16 offset1:24
	ds_read2_b64 v[28:31], v54 offset0:32 offset1:40
	;; [unrolled: 1-line block ×7, first 2 shown]
	s_waitcnt lgkmcnt(7)
	v_pk_add_f16 v59, v8, v38
	v_pk_add_f16 v56, v8, v36
	v_pk_min_f16 v73, v59, s8 op_sel_hi:[1,0]
	s_waitcnt lgkmcnt(5)
	v_pk_add_f16 v59, v0, v30
	v_pk_add_f16 v57, v10, v36
	v_pk_min_f16 v86, v59, s8 op_sel_hi:[1,0]
	;; [unrolled: 4-line block ×3, first 2 shown]
	v_pk_add_f16 v59, v10, v24
	v_pk_add_f16 v36, v2, v36
	v_pk_min_f16 v88, v59, s8 op_sel_hi:[1,0]
	v_pk_add_f16 v59, v0, v24
	v_pk_add_f16 v60, v10, v38
	v_pk_min_f16 v90, v59, s8 op_sel_hi:[1,0]
	v_pk_add_f16 v59, v8, v26
	v_pk_add_f16 v61, v0, v38
	v_pk_min_f16 v93, v59, s8 op_sel_hi:[1,0]
	v_pk_add_f16 v59, v10, v26
	v_pk_add_f16 v38, v2, v38
	v_pk_min_f16 v94, v59, s8 op_sel_hi:[1,0]
	v_pk_add_f16 v59, v0, v26
	v_pk_add_f16 v62, v8, v32
	v_pk_min_f16 v95, v59, s8 op_sel_hi:[1,0]
	s_waitcnt lgkmcnt(3)
	v_pk_add_f16 v59, v8, v20
	v_pk_add_f16 v63, v10, v32
	v_pk_min_f16 v96, v59, s8 op_sel_hi:[1,0]
	v_pk_add_f16 v59, v10, v20
	v_pk_add_f16 v64, v0, v32
	v_pk_min_f16 v97, v59, s8 op_sel_hi:[1,0]
	v_pk_add_f16 v59, v0, v20
	v_pk_add_f16 v32, v2, v32
	v_pk_min_f16 v98, v59, s8 op_sel_hi:[1,0]
	v_pk_add_f16 v59, v8, v22
	v_pk_add_f16 v65, v8, v34
	v_pk_min_f16 v101, v59, s8 op_sel_hi:[1,0]
	v_pk_add_f16 v59, v10, v22
	v_pk_add_f16 v66, v10, v34
	v_pk_min_f16 v102, v59, s8 op_sel_hi:[1,0]
	v_pk_add_f16 v59, v0, v22
	v_pk_add_f16 v67, v0, v34
	v_pk_min_f16 v103, v59, s8 op_sel_hi:[1,0]
	s_waitcnt lgkmcnt(2)
	v_pk_add_f16 v59, v8, v16
	v_pk_add_f16 v34, v2, v34
	v_pk_min_f16 v104, v59, s8 op_sel_hi:[1,0]
	;; [unrolled: 19-line block ×3, first 2 shown]
	v_pk_add_f16 v59, v10, v12
	v_pk_min_f16 v56, v56, s8 op_sel_hi:[1,0]
	v_pk_min_f16 v113, v59, s8 op_sel_hi:[1,0]
	v_pk_add_f16 v59, v0, v12
	v_pk_add_f16 v30, v2, v30
	v_pk_min_f16 v114, v59, s8 op_sel_hi:[1,0]
	v_pk_add_f16 v59, v8, v14
	v_pk_add_f16 v24, v2, v24
	;; [unrolled: 3-line block ×4, first 2 shown]
	v_pk_min_f16 v119, v59, s8 op_sel_hi:[1,0]
	s_waitcnt lgkmcnt(0)
	v_pk_add_f16 v59, v8, v4
	v_pk_add_f16 v22, v2, v22
	v_pk_min_f16 v120, v59, s8 op_sel_hi:[1,0]
	v_pk_add_f16 v59, v10, v4
	v_pk_add_f16 v16, v2, v16
	;; [unrolled: 1-line block ×5, first 2 shown]
	v_pk_min_f16 v121, v59, s8 op_sel_hi:[1,0]
	v_pk_add_f16 v59, v0, v4
	v_pk_add_f16 v4, v2, v4
	;; [unrolled: 1-line block ×7, first 2 shown]
	v_pk_min_f16 v57, v57, s8 op_sel_hi:[1,0]
	v_pk_min_f16 v122, v59, s8 op_sel_hi:[1,0]
	v_pk_min_f16 v59, v56, v6
	v_pk_add_f16 v6, v11, v37
	v_pk_min_f16 v58, v58, s8 op_sel_hi:[1,0]
	v_pk_min_f16 v56, v57, v6
	v_pk_add_f16 v6, v1, v37
	;; [unrolled: 3-line block ×5, first 2 shown]
	v_pk_min_f16 v61, v61, s8 op_sel_hi:[1,0]
	v_pk_min_f16 v74, v62, s8 op_sel_hi:[1,0]
	v_pk_min_f16 v62, v60, v6
	v_pk_add_f16 v6, v1, v39
	v_pk_min_f16 v38, v38, s8 op_sel_hi:[1,0]
	v_pk_min_f16 v60, v61, v6
	v_pk_add_f16 v6, v3, v39
	;; [unrolled: 3-line block ×5, first 2 shown]
	v_pk_min_f16 v32, v32, s8 op_sel_hi:[1,0]
	v_pk_min_f16 v78, v69, s8 op_sel_hi:[1,0]
	v_pk_min_f16 v69, v64, v6
	v_pk_add_f16 v6, v3, v33
	v_pk_min_f16 v65, v65, s8 op_sel_hi:[1,0]
	v_pk_min_f16 v84, v70, s8 op_sel_hi:[1,0]
	v_pk_min_f16 v70, v32, v6
	v_pk_add_f16 v6, v9, v35
	;; [unrolled: 4-line block ×3, first 2 shown]
	v_pk_min_f16 v34, v34, s8 op_sel_hi:[1,0]
	v_pk_min_f16 v64, v66, v6
	v_pk_add_f16 v6, v1, v35
	v_pk_min_f16 v28, v28, s8 op_sel_hi:[1,0]
	v_pk_min_f16 v65, v76, v6
	v_pk_add_f16 v6, v3, v35
	;; [unrolled: 3-line block ×17, first 2 shown]
	ds_write_b16 v55, v83 offset:1024
	ds_write_b16 v55, v82 offset:1536
	;; [unrolled: 1-line block ×4, first 2 shown]
	v_pk_min_f16 v86, v95, v6
	v_pk_add_f16 v6, v3, v27
	s_waitcnt lgkmcnt(0)
	v_pk_min_f16 v87, v26, v6
	v_pk_add_f16 v6, v9, v21
	s_barrier
	v_pk_min_f16 v100, v96, v6
	v_pk_add_f16 v6, v11, v21
	s_nop 0
	v_pk_min_f16 v97, v97, v6
	v_pk_add_f16 v6, v1, v21
	s_nop 0
	;; [unrolled: 3-line block ×25, first 2 shown]
	v_pk_min_f16 v119, v121, v6
	v_pk_add_f16 v6, v1, v5
	v_pk_add_f16 v5, v3, v5
	;; [unrolled: 1-line block ×3, first 2 shown]
	v_pk_min_f16 v117, v4, v5
	v_pk_add_f16 v4, v9, v7
	v_pk_min_f16 v118, v122, v6
	v_pk_min_f16 v122, v8, v4
	v_pk_add_f16 v4, v11, v7
	v_pk_min_f16 v123, v0, v1
	v_pk_add_f16 v0, v3, v7
	v_pk_min_f16 v121, v10, v4
	v_pk_min_f16 v124, v2, v0
	s_cbranch_scc1 .LBB265_12
; %bb.10:
	v_mov_b32_e32 v0, 0x400
	v_lshl_add_u32 v83, v50, 3, v0
	v_mov_b32_e32 v0, 0xc00
	v_add_u32_e32 v80, 0x800, v55
	v_add_u32_e32 v81, 0x400, v55
	;; [unrolled: 1-line block ×3, first 2 shown]
	s_add_i32 s8, s14, -8
	v_lshl_add_u32 v84, v51, 3, v0
	v_lshl_add_u64 v[42:43], v[42:43], 1, s[18:19]
	v_lshl_add_u64 v[44:45], v[44:45], 1, s[18:19]
	;; [unrolled: 1-line block ×4, first 2 shown]
	s_mov_b32 s9, 0
.LBB265_11:                             ; =>This Inner Loop Header: Depth=1
	v_lshl_add_u64 v[132:133], v[48:49], 0, v[40:41]
	v_lshl_add_u64 v[130:131], v[46:47], 0, v[40:41]
	flat_load_ushort v136, v[132:133] offset:16
	v_lshl_add_u64 v[128:129], v[44:45], 0, v[40:41]
	flat_load_ushort v135, v[130:131] offset:16
	;; [unrolled: 2-line block ×3, first 2 shown]
	flat_load_ushort v125, v[126:127] offset:16
	ds_read2_b64 v[0:3], v83 offset1:32
	ds_read2_b64 v[8:11], v83 offset0:64 offset1:96
	ds_read2_b64 v[4:7], v84 offset1:8
	ds_read2_b64 v[12:15], v84 offset0:16 offset1:24
	ds_read2_b64 v[16:19], v84 offset0:32 offset1:40
	;; [unrolled: 1-line block ×7, first 2 shown]
	v_pk_max_f16 v124, v124, v124
	v_pk_max_f16 v123, v123, v123
	;; [unrolled: 1-line block ×4, first 2 shown]
	s_add_i32 s9, s9, 8
	v_lshl_add_u64 v[42:43], v[42:43], 0, 16
	v_lshl_add_u64 v[44:45], v[44:45], 0, 16
	;; [unrolled: 1-line block ×4, first 2 shown]
	s_cmp_ge_i32 s9, s8
	s_waitcnt vmcnt(0) lgkmcnt(0)
	ds_write_b16 v55, v136
	ds_write_b16 v55, v135 offset:512
	ds_write_b16 v80, v134
	ds_write_b16 v80, v125 offset:512
	s_waitcnt lgkmcnt(0)
	s_barrier
	flat_load_ushort v125, v[126:127] offset:24
	s_nop 0
	flat_load_ushort v126, v[128:129] offset:24
	flat_load_ushort v127, v[130:131] offset:24
	s_nop 0
	flat_load_ushort v128, v[132:133] offset:24
	v_pk_add_f16 v129, v10, v38
	s_nop 0
	v_pk_min_f16 v124, v124, v129
	v_pk_add_f16 v129, v11, v39
	s_nop 0
	v_pk_min_f16 v124, v124, v129
	;; [unrolled: 3-line block ×4, first 2 shown]
	v_pk_add_f16 v129, v2, v38
	v_pk_add_f16 v38, v0, v38
	v_pk_min_f16 v121, v121, v129
	v_pk_add_f16 v129, v3, v39
	v_pk_min_f16 v38, v122, v38
	;; [unrolled: 2-line block ×3, first 2 shown]
	v_pk_min_f16 v122, v38, v39
	v_pk_add_f16 v38, v10, v36
	v_pk_max_f16 v39, v117, v117
	s_nop 0
	v_pk_min_f16 v38, v39, v38
	v_pk_add_f16 v39, v11, v37
	s_nop 0
	v_pk_min_f16 v117, v38, v39
	v_pk_add_f16 v38, v8, v36
	v_pk_max_f16 v39, v118, v118
	s_nop 0
	v_pk_min_f16 v38, v39, v38
	v_pk_add_f16 v39, v9, v37
	s_nop 0
	v_pk_min_f16 v118, v38, v39
	v_pk_add_f16 v38, v2, v36
	v_pk_max_f16 v39, v119, v119
	v_pk_add_f16 v36, v0, v36
	v_pk_min_f16 v38, v39, v38
	v_pk_add_f16 v39, v3, v37
	v_pk_add_f16 v37, v1, v37
	v_pk_min_f16 v119, v38, v39
	v_pk_max_f16 v38, v120, v120
	s_nop 0
	v_pk_min_f16 v36, v38, v36
	s_nop 0
	v_pk_min_f16 v120, v36, v37
	v_pk_add_f16 v36, v10, v34
	v_pk_max_f16 v37, v111, v111
	s_nop 0
	v_pk_min_f16 v36, v37, v36
	v_pk_add_f16 v37, v11, v35
	s_nop 0
	v_pk_min_f16 v111, v36, v37
	v_pk_add_f16 v36, v8, v34
	v_pk_max_f16 v37, v110, v110
	s_nop 0
	v_pk_min_f16 v36, v37, v36
	v_pk_add_f16 v37, v9, v35
	s_nop 0
	v_pk_min_f16 v110, v36, v37
	v_pk_add_f16 v36, v2, v34
	v_pk_max_f16 v37, v109, v109
	v_pk_add_f16 v34, v0, v34
	v_pk_min_f16 v36, v37, v36
	v_pk_add_f16 v37, v3, v35
	v_pk_add_f16 v35, v1, v35
	v_pk_min_f16 v109, v36, v37
	v_pk_max_f16 v36, v112, v112
	s_nop 0
	v_pk_min_f16 v34, v36, v34
	s_nop 0
	;; [unrolled: 26-line block ×13, first 2 shown]
	v_pk_min_f16 v71, v12, v13
	v_pk_add_f16 v12, v10, v6
	v_pk_max_f16 v13, v61, v61
	s_nop 0
	v_pk_min_f16 v12, v13, v12
	v_pk_add_f16 v13, v11, v7
	s_nop 0
	v_pk_min_f16 v61, v12, v13
	v_pk_add_f16 v12, v8, v6
	v_pk_max_f16 v13, v60, v60
	s_nop 0
	v_pk_min_f16 v12, v13, v12
	v_pk_add_f16 v13, v9, v7
	s_nop 0
	v_pk_min_f16 v60, v12, v13
	v_pk_add_f16 v12, v2, v6
	v_pk_max_f16 v13, v62, v62
	v_pk_add_f16 v6, v0, v6
	v_pk_min_f16 v12, v13, v12
	v_pk_add_f16 v13, v3, v7
	v_pk_add_f16 v7, v1, v7
	v_pk_min_f16 v62, v12, v13
	v_pk_max_f16 v12, v63, v63
	v_pk_add_f16 v2, v2, v4
	v_pk_min_f16 v6, v12, v6
	v_pk_add_f16 v3, v3, v5
	v_pk_min_f16 v63, v6, v7
	v_pk_add_f16 v6, v10, v4
	v_pk_max_f16 v7, v57, v57
	v_pk_add_f16 v0, v0, v4
	v_pk_min_f16 v6, v7, v6
	v_pk_add_f16 v7, v11, v5
	v_pk_add_f16 v1, v1, v5
	v_pk_min_f16 v57, v6, v7
	v_pk_add_f16 v6, v8, v4
	v_pk_max_f16 v7, v58, v58
	s_nop 0
	v_pk_min_f16 v6, v7, v6
	v_pk_add_f16 v7, v9, v5
	s_nop 0
	v_pk_min_f16 v58, v6, v7
	v_pk_max_f16 v6, v56, v56
	s_nop 0
	v_pk_min_f16 v2, v6, v2
	s_nop 0
	v_pk_min_f16 v56, v2, v3
	v_pk_max_f16 v2, v59, v59
	s_nop 0
	v_pk_min_f16 v0, v2, v0
	s_nop 0
	v_pk_min_f16 v59, v0, v1
	ds_read2_b64 v[8:11], v53 offset1:32
	ds_read2_b64 v[0:3], v53 offset0:64 offset1:96
	ds_read2_b64 v[36:39], v54 offset1:8
	ds_read2_b64 v[32:35], v54 offset0:16 offset1:24
	ds_read2_b64 v[28:31], v54 offset0:32 offset1:40
	;; [unrolled: 1-line block ×7, first 2 shown]
	s_waitcnt lgkmcnt(0)
	v_pk_add_f16 v129, v8, v36
	s_waitcnt vmcnt(0)
	ds_write_b16 v81, v128
	ds_write_b16 v81, v127 offset:512
	ds_write_b16 v82, v126
	ds_write_b16 v82, v125 offset:512
	v_pk_min_f16 v59, v59, v129
	v_pk_add_f16 v129, v10, v36
	s_waitcnt lgkmcnt(0)
	v_pk_min_f16 v56, v56, v129
	v_pk_add_f16 v129, v0, v36
	v_pk_add_f16 v36, v2, v36
	v_pk_min_f16 v58, v58, v129
	v_pk_min_f16 v57, v57, v36
	v_pk_add_f16 v36, v8, v38
	s_barrier
	v_pk_min_f16 v63, v63, v36
	v_pk_add_f16 v36, v10, v38
	s_nop 0
	v_pk_min_f16 v62, v62, v36
	v_pk_add_f16 v36, v0, v38
	s_nop 0
	v_pk_min_f16 v60, v60, v36
	v_pk_add_f16 v36, v2, v38
	s_nop 0
	v_pk_min_f16 v61, v61, v36
	v_pk_add_f16 v36, v8, v32
	s_nop 0
	v_pk_min_f16 v71, v71, v36
	v_pk_add_f16 v36, v10, v32
	s_nop 0
	v_pk_min_f16 v68, v68, v36
	v_pk_add_f16 v36, v0, v32
	v_pk_add_f16 v32, v2, v32
	v_pk_min_f16 v69, v69, v36
	v_pk_min_f16 v70, v70, v32
	v_pk_add_f16 v32, v8, v34
	s_nop 0
	v_pk_min_f16 v67, v67, v32
	v_pk_add_f16 v32, v10, v34
	s_nop 0
	v_pk_min_f16 v64, v64, v32
	v_pk_add_f16 v32, v0, v34
	s_nop 0
	v_pk_min_f16 v65, v65, v32
	v_pk_add_f16 v32, v2, v34
	s_nop 0
	v_pk_min_f16 v66, v66, v32
	v_pk_add_f16 v32, v8, v28
	s_nop 0
	v_pk_min_f16 v79, v79, v32
	v_pk_add_f16 v32, v10, v28
	s_nop 0
	v_pk_min_f16 v76, v76, v32
	v_pk_add_f16 v32, v0, v28
	v_pk_add_f16 v28, v2, v28
	v_pk_min_f16 v77, v77, v32
	v_pk_min_f16 v78, v78, v28
	v_pk_add_f16 v28, v8, v30
	s_nop 0
	;; [unrolled: 22-line block ×6, first 2 shown]
	v_pk_min_f16 v28, v112, v12
	v_pk_add_f16 v12, v10, v14
	s_nop 0
	v_pk_min_f16 v26, v109, v12
	v_pk_add_f16 v12, v0, v14
	s_nop 0
	;; [unrolled: 3-line block ×5, first 2 shown]
	v_pk_min_f16 v14, v119, v12
	v_pk_add_f16 v12, v0, v4
	v_pk_add_f16 v4, v2, v4
	v_pk_min_f16 v16, v118, v12
	v_pk_min_f16 v18, v117, v4
	v_pk_add_f16 v4, v8, v6
	v_pk_add_f16 v0, v0, v6
	v_pk_min_f16 v12, v122, v4
	v_pk_add_f16 v4, v10, v6
	s_nop 0
	v_pk_min_f16 v8, v121, v4
	v_pk_min_f16 v4, v123, v0
	v_pk_add_f16 v0, v2, v6
	v_pk_add_f16 v2, v9, v37
	v_pk_min_f16 v0, v124, v0
	v_pk_min_f16 v59, v59, v2
	v_pk_add_f16 v2, v11, v37
	s_nop 0
	v_pk_min_f16 v56, v56, v2
	v_pk_add_f16 v2, v1, v37
	s_nop 0
	;; [unrolled: 3-line block ×57, first 2 shown]
	v_pk_min_f16 v119, v14, v2
	v_pk_add_f16 v2, v1, v5
	v_pk_add_f16 v1, v1, v7
	v_pk_min_f16 v118, v16, v2
	v_pk_add_f16 v2, v3, v5
	v_pk_min_f16 v123, v4, v1
	v_pk_min_f16 v117, v18, v2
	v_pk_add_f16 v2, v9, v7
	v_pk_add_f16 v1, v3, v7
	v_pk_min_f16 v122, v12, v2
	v_pk_add_f16 v2, v11, v7
	v_pk_min_f16 v124, v0, v1
	v_pk_min_f16 v121, v8, v2
	s_cbranch_scc0 .LBB265_11
.LBB265_12:
	s_load_dword s14, s[0:1], 0x50
	ds_read_b64 v[38:39], v53 offset:1024
	ds_read_b64 v[46:47], v52 offset:3072
	v_add_u32_e32 v54, s15, v51
	v_cmp_neq_f16_e64 s[8:9], s12, 0
	v_add_u32_e32 v36, s2, v50
	s_waitcnt lgkmcnt(0)
	v_mad_i64_i32 v[0:1], s[16:17], v54, s14, 0
	v_ashrrev_i32_e32 v37, 31, v36
	v_lshl_add_u64 v[48:49], v[0:1], 1, s[6:7]
	s_and_b64 vcc, exec, s[8:9]
	v_mov_b32_e32 v42, 0
	v_mov_b32_e32 v43, 0
	s_cbranch_vccz .LBB265_14
; %bb.13:
	v_lshl_add_u64 v[0:1], v[36:37], 1, v[48:49]
	flat_load_ushort v0, v[0:1]
	s_waitcnt vmcnt(0) lgkmcnt(0)
	v_mul_f16_e32 v43, s12, v0
.LBB265_14:
	v_add_u32_e32 v4, 0x800, v52
	ds_read2_b64 v[0:3], v53 offset0:160 offset1:192
	ds_read_b64 v[32:33], v53 offset:1792
	ds_read2_b64 v[28:31], v4 offset0:136 offset1:144
	ds_read2_b64 v[24:27], v4 offset0:152 offset1:160
	;; [unrolled: 1-line block ×4, first 2 shown]
	s_load_dword s15, s[0:1], 0x68
	s_load_dwordx2 s[16:17], s[0:1], 0x70
	ds_read2_b64 v[12:15], v4 offset0:200 offset1:208
	ds_read2_b64 v[8:11], v4 offset0:216 offset1:224
	;; [unrolled: 1-line block ×3, first 2 shown]
	ds_read_b64 v[34:35], v52 offset:4032
	v_pk_add_f16 v40, v38, v46
	v_pk_max_f16 v41, v59, v59
	s_waitcnt lgkmcnt(0)
	s_mul_i32 s0, s3, s17
	s_mul_hi_u32 s1, s3, s16
	s_add_i32 s0, s1, s0
	s_mul_i32 s1, s13, s16
	s_add_i32 s1, s0, s1
	s_mul_i32 s0, s3, s16
	s_lshl_b64 s[0:1], s[0:1], 1
	s_add_u32 s2, s10, s0
	v_pk_min_f16 v40, v41, v40
	v_pk_add_f16 v41, v39, v47
	s_addc_u32 s3, s11, s1
	v_pk_min_f16 v52, v40, v41
	v_mad_i64_i32 v[44:45], s[0:1], v54, s15, 0
	v_lshl_add_u64 v[50:51], v[44:45], 1, s[2:3]
	v_lshrrev_b32_e32 v44, 16, v52
	v_add_u32_e32 v40, 32, v36
	v_min3_f16 v43, v43, v52, v44
	v_cndmask_b32_e64 v52, 0, 1, s[8:9]
	v_ashrrev_i32_e32 v41, 31, v40
	v_lshl_add_u64 v[44:45], v[36:37], 1, v[50:51]
	v_cmp_ne_u32_e64 s[0:1], 1, v52
	s_andn2_b64 vcc, exec, s[8:9]
	global_store_short v[44:45], v43, off
	s_cbranch_vccnz .LBB265_16
; %bb.15:
	v_lshl_add_u64 v[42:43], v[40:41], 1, v[48:49]
	flat_load_ushort v42, v[42:43]
	s_waitcnt vmcnt(0) lgkmcnt(0)
	v_mul_f16_e32 v42, s12, v42
.LBB265_16:
	v_pk_add_f16 v43, v0, v46
	v_pk_max_f16 v44, v56, v56
	s_and_b64 vcc, exec, s[0:1]
	v_pk_min_f16 v43, v44, v43
	v_pk_add_f16 v44, v1, v47
	v_mov_b32_e32 v53, 0
	v_pk_min_f16 v43, v43, v44
	v_add_u32_e32 v44, 64, v36
	v_lshrrev_b32_e32 v52, 16, v43
	v_min3_f16 v52, v42, v43, v52
	v_lshl_add_u64 v[42:43], v[40:41], 1, v[50:51]
	v_ashrrev_i32_e32 v45, 31, v44
	global_store_short v[42:43], v52, off
	v_mov_b32_e32 v52, 0
	s_cbranch_vccnz .LBB265_18
; %bb.17:
	v_lshl_add_u64 v[42:43], v[44:45], 1, v[48:49]
	flat_load_ushort v42, v[42:43]
	s_waitcnt vmcnt(0) lgkmcnt(0)
	v_mul_f16_e32 v53, s12, v42
.LBB265_18:
	v_pk_add_f16 v42, v2, v46
	v_pk_max_f16 v43, v58, v58
	v_lshl_add_u64 v[58:59], v[44:45], 1, v[50:51]
	v_pk_min_f16 v42, v43, v42
	v_pk_add_f16 v43, v3, v47
	s_and_b64 vcc, exec, s[0:1]
	v_pk_min_f16 v55, v42, v43
	v_add_u32_e32 v42, 0x60, v36
	v_lshrrev_b32_e32 v56, 16, v55
	v_ashrrev_i32_e32 v43, 31, v42
	v_min3_f16 v53, v53, v55, v56
	global_store_short v[58:59], v53, off
	s_cbranch_vccnz .LBB265_20
; %bb.19:
	v_lshl_add_u64 v[48:49], v[42:43], 1, v[48:49]
	flat_load_ushort v48, v[48:49]
	s_waitcnt vmcnt(0) lgkmcnt(0)
	v_mul_f16_e32 v52, s12, v48
.LBB265_20:
	v_pk_add_f16 v46, v32, v46
	v_pk_max_f16 v48, v57, v57
	v_pk_add_f16 v47, v33, v47
	v_pk_min_f16 v46, v48, v46
	s_and_b64 vcc, exec, s[0:1]
	v_pk_min_f16 v46, v46, v47
	s_nop 0
	v_lshrrev_b32_e32 v47, 16, v46
	v_min3_f16 v48, v52, v46, v47
	v_lshl_add_u64 v[46:47], v[42:43], 1, v[50:51]
	global_store_short v[46:47], v48, off
	v_add_u32_e32 v48, 8, v54
	v_mad_i64_i32 v[46:47], s[8:9], v48, s14, 0
	v_lshl_add_u64 v[46:47], v[46:47], 1, s[6:7]
	v_mov_b32_e32 v50, 0
	v_mov_b32_e32 v51, 0
	s_cbranch_vccnz .LBB265_22
; %bb.21:
	v_lshl_add_u64 v[52:53], v[36:37], 1, v[46:47]
	flat_load_ushort v49, v[52:53]
	s_waitcnt vmcnt(0) lgkmcnt(0)
	v_mul_f16_e32 v51, s12, v49
.LBB265_22:
	v_pk_add_f16 v49, v38, v28
	v_pk_max_f16 v52, v63, v63
	s_and_b64 vcc, exec, s[0:1]
	v_pk_min_f16 v49, v52, v49
	v_pk_add_f16 v52, v39, v29
	s_nop 0
	v_pk_min_f16 v52, v49, v52
	v_mad_i64_i32 v[48:49], s[8:9], v48, s15, 0
	v_lshl_add_u64 v[48:49], v[48:49], 1, s[2:3]
	v_lshrrev_b32_e32 v53, 16, v52
	v_min3_f16 v51, v51, v52, v53
	v_lshl_add_u64 v[52:53], v[36:37], 1, v[48:49]
	global_store_short v[52:53], v51, off
	s_cbranch_vccnz .LBB265_24
; %bb.23:
	v_lshl_add_u64 v[50:51], v[40:41], 1, v[46:47]
	flat_load_ushort v50, v[50:51]
	s_waitcnt vmcnt(0) lgkmcnt(0)
	v_mul_f16_e32 v50, s12, v50
.LBB265_24:
	v_pk_add_f16 v51, v0, v28
	v_pk_max_f16 v52, v62, v62
	s_and_b64 vcc, exec, s[0:1]
	v_pk_min_f16 v51, v52, v51
	v_pk_add_f16 v52, v1, v29
	s_nop 0
	v_pk_min_f16 v51, v51, v52
	s_nop 0
	v_lshrrev_b32_e32 v52, 16, v51
	v_min3_f16 v52, v50, v51, v52
	v_lshl_add_u64 v[50:51], v[40:41], 1, v[48:49]
	global_store_short v[50:51], v52, off
	v_mov_b32_e32 v50, 0
	v_mov_b32_e32 v51, 0
	s_cbranch_vccnz .LBB265_26
; %bb.25:
	v_lshl_add_u64 v[52:53], v[44:45], 1, v[46:47]
	flat_load_ushort v51, v[52:53]
	s_waitcnt vmcnt(0) lgkmcnt(0)
	v_mul_f16_e32 v51, s12, v51
.LBB265_26:
	v_pk_add_f16 v52, v2, v28
	v_pk_max_f16 v53, v60, v60
	s_and_b64 vcc, exec, s[0:1]
	v_pk_min_f16 v52, v53, v52
	v_pk_add_f16 v53, v3, v29
	s_nop 0
	v_pk_min_f16 v52, v52, v53
	s_nop 0
	v_lshrrev_b32_e32 v53, 16, v52
	v_min3_f16 v51, v51, v52, v53
	v_lshl_add_u64 v[52:53], v[44:45], 1, v[48:49]
	global_store_short v[52:53], v51, off
	s_cbranch_vccnz .LBB265_28
; %bb.27:
	v_lshl_add_u64 v[46:47], v[42:43], 1, v[46:47]
	flat_load_ushort v46, v[46:47]
	s_waitcnt vmcnt(0) lgkmcnt(0)
	v_mul_f16_e32 v50, s12, v46
.LBB265_28:
	v_pk_add_f16 v28, v32, v28
	v_pk_max_f16 v46, v61, v61
	v_pk_add_f16 v29, v33, v29
	v_pk_min_f16 v28, v46, v28
	s_and_b64 vcc, exec, s[0:1]
	v_pk_min_f16 v28, v28, v29
	s_nop 0
	v_lshrrev_b32_e32 v29, 16, v28
	v_min3_f16 v46, v50, v28, v29
	v_lshl_add_u64 v[28:29], v[42:43], 1, v[48:49]
	global_store_short v[28:29], v46, off
	v_add_u32_e32 v46, 16, v54
	v_mad_i64_i32 v[28:29], s[8:9], v46, s14, 0
	v_lshl_add_u64 v[28:29], v[28:29], 1, s[6:7]
	v_mov_b32_e32 v48, 0
	v_mov_b32_e32 v49, 0
	s_cbranch_vccnz .LBB265_30
; %bb.29:
	v_lshl_add_u64 v[50:51], v[36:37], 1, v[28:29]
	flat_load_ushort v47, v[50:51]
	s_waitcnt vmcnt(0) lgkmcnt(0)
	v_mul_f16_e32 v49, s12, v47
.LBB265_30:
	v_pk_add_f16 v47, v38, v30
	v_pk_max_f16 v50, v71, v71
	s_and_b64 vcc, exec, s[0:1]
	v_pk_min_f16 v47, v50, v47
	v_pk_add_f16 v50, v39, v31
	s_nop 0
	v_pk_min_f16 v50, v47, v50
	v_mad_i64_i32 v[46:47], s[8:9], v46, s15, 0
	v_lshl_add_u64 v[46:47], v[46:47], 1, s[2:3]
	v_lshrrev_b32_e32 v51, 16, v50
	v_min3_f16 v49, v49, v50, v51
	v_lshl_add_u64 v[50:51], v[36:37], 1, v[46:47]
	global_store_short v[50:51], v49, off
	s_cbranch_vccnz .LBB265_32
; %bb.31:
	v_lshl_add_u64 v[48:49], v[40:41], 1, v[28:29]
	flat_load_ushort v48, v[48:49]
	s_waitcnt vmcnt(0) lgkmcnt(0)
	v_mul_f16_e32 v48, s12, v48
.LBB265_32:
	v_pk_add_f16 v49, v0, v30
	v_pk_max_f16 v50, v68, v68
	s_and_b64 vcc, exec, s[0:1]
	v_pk_min_f16 v49, v50, v49
	v_pk_add_f16 v50, v1, v31
	s_nop 0
	v_pk_min_f16 v49, v49, v50
	s_nop 0
	v_lshrrev_b32_e32 v50, 16, v49
	v_min3_f16 v50, v48, v49, v50
	v_lshl_add_u64 v[48:49], v[40:41], 1, v[46:47]
	global_store_short v[48:49], v50, off
	v_mov_b32_e32 v48, 0
	v_mov_b32_e32 v49, 0
	s_cbranch_vccnz .LBB265_34
; %bb.33:
	v_lshl_add_u64 v[50:51], v[44:45], 1, v[28:29]
	flat_load_ushort v49, v[50:51]
	s_waitcnt vmcnt(0) lgkmcnt(0)
	v_mul_f16_e32 v49, s12, v49
.LBB265_34:
	v_pk_add_f16 v50, v2, v30
	v_pk_max_f16 v51, v69, v69
	s_and_b64 vcc, exec, s[0:1]
	v_pk_min_f16 v50, v51, v50
	v_pk_add_f16 v51, v3, v31
	s_nop 0
	v_pk_min_f16 v50, v50, v51
	s_nop 0
	v_lshrrev_b32_e32 v51, 16, v50
	v_min3_f16 v49, v49, v50, v51
	v_lshl_add_u64 v[50:51], v[44:45], 1, v[46:47]
	global_store_short v[50:51], v49, off
	s_cbranch_vccnz .LBB265_36
; %bb.35:
	v_lshl_add_u64 v[28:29], v[42:43], 1, v[28:29]
	flat_load_ushort v28, v[28:29]
	s_waitcnt vmcnt(0) lgkmcnt(0)
	v_mul_f16_e32 v48, s12, v28
.LBB265_36:
	v_pk_add_f16 v28, v32, v30
	v_pk_max_f16 v29, v70, v70
	s_and_b64 vcc, exec, s[0:1]
	v_pk_min_f16 v28, v29, v28
	v_pk_add_f16 v29, v33, v31
	s_nop 0
	v_pk_min_f16 v28, v28, v29
	s_nop 0
	v_lshrrev_b32_e32 v29, 16, v28
	v_min3_f16 v30, v48, v28, v29
	v_lshl_add_u64 v[28:29], v[42:43], 1, v[46:47]
	global_store_short v[28:29], v30, off
	v_add_u32_e32 v30, 24, v54
	v_mad_i64_i32 v[28:29], s[8:9], v30, s14, 0
	v_lshl_add_u64 v[28:29], v[28:29], 1, s[6:7]
	v_mov_b32_e32 v46, 0
	v_mov_b32_e32 v47, 0
	s_cbranch_vccnz .LBB265_38
; %bb.37:
	v_lshl_add_u64 v[48:49], v[36:37], 1, v[28:29]
	flat_load_ushort v31, v[48:49]
	s_waitcnt vmcnt(0) lgkmcnt(0)
	v_mul_f16_e32 v47, s12, v31
.LBB265_38:
	v_pk_add_f16 v31, v38, v24
	v_pk_max_f16 v48, v67, v67
	s_and_b64 vcc, exec, s[0:1]
	v_pk_min_f16 v31, v48, v31
	v_pk_add_f16 v48, v39, v25
	s_nop 0
	v_pk_min_f16 v48, v31, v48
	v_mad_i64_i32 v[30:31], s[8:9], v30, s15, 0
	v_lshl_add_u64 v[30:31], v[30:31], 1, s[2:3]
	v_lshrrev_b32_e32 v49, 16, v48
	v_min3_f16 v47, v47, v48, v49
	v_lshl_add_u64 v[48:49], v[36:37], 1, v[30:31]
	global_store_short v[48:49], v47, off
	s_cbranch_vccnz .LBB265_40
; %bb.39:
	v_lshl_add_u64 v[46:47], v[40:41], 1, v[28:29]
	flat_load_ushort v46, v[46:47]
	s_waitcnt vmcnt(0) lgkmcnt(0)
	v_mul_f16_e32 v46, s12, v46
.LBB265_40:
	v_pk_add_f16 v47, v0, v24
	v_pk_max_f16 v48, v64, v64
	s_and_b64 vcc, exec, s[0:1]
	v_pk_min_f16 v47, v48, v47
	v_pk_add_f16 v48, v1, v25
	s_nop 0
	v_pk_min_f16 v47, v47, v48
	s_nop 0
	v_lshrrev_b32_e32 v48, 16, v47
	v_min3_f16 v48, v46, v47, v48
	v_lshl_add_u64 v[46:47], v[40:41], 1, v[30:31]
	global_store_short v[46:47], v48, off
	v_mov_b32_e32 v46, 0
	v_mov_b32_e32 v47, 0
	s_cbranch_vccnz .LBB265_42
; %bb.41:
	v_lshl_add_u64 v[48:49], v[44:45], 1, v[28:29]
	flat_load_ushort v47, v[48:49]
	s_waitcnt vmcnt(0) lgkmcnt(0)
	v_mul_f16_e32 v47, s12, v47
.LBB265_42:
	v_pk_add_f16 v48, v2, v24
	v_pk_max_f16 v49, v65, v65
	s_and_b64 vcc, exec, s[0:1]
	v_pk_min_f16 v48, v49, v48
	v_pk_add_f16 v49, v3, v25
	s_nop 0
	v_pk_min_f16 v48, v48, v49
	s_nop 0
	v_lshrrev_b32_e32 v49, 16, v48
	v_min3_f16 v47, v47, v48, v49
	v_lshl_add_u64 v[48:49], v[44:45], 1, v[30:31]
	global_store_short v[48:49], v47, off
	s_cbranch_vccnz .LBB265_44
; %bb.43:
	v_lshl_add_u64 v[28:29], v[42:43], 1, v[28:29]
	flat_load_ushort v28, v[28:29]
	s_waitcnt vmcnt(0) lgkmcnt(0)
	v_mul_f16_e32 v46, s12, v28
.LBB265_44:
	v_pk_add_f16 v24, v32, v24
	v_pk_max_f16 v28, v66, v66
	v_pk_add_f16 v25, v33, v25
	v_pk_min_f16 v24, v28, v24
	s_and_b64 vcc, exec, s[0:1]
	v_pk_min_f16 v24, v24, v25
	s_nop 0
	v_lshrrev_b32_e32 v25, 16, v24
	v_min3_f16 v28, v46, v24, v25
	v_lshl_add_u64 v[24:25], v[42:43], 1, v[30:31]
	global_store_short v[24:25], v28, off
	v_add_u32_e32 v28, 32, v54
	v_mad_i64_i32 v[24:25], s[8:9], v28, s14, 0
	v_lshl_add_u64 v[24:25], v[24:25], 1, s[6:7]
	v_mov_b32_e32 v30, 0
	v_mov_b32_e32 v31, 0
	s_cbranch_vccnz .LBB265_46
; %bb.45:
	v_lshl_add_u64 v[46:47], v[36:37], 1, v[24:25]
	flat_load_ushort v29, v[46:47]
	s_waitcnt vmcnt(0) lgkmcnt(0)
	v_mul_f16_e32 v31, s12, v29
.LBB265_46:
	v_pk_add_f16 v29, v38, v26
	v_pk_max_f16 v46, v79, v79
	s_and_b64 vcc, exec, s[0:1]
	v_pk_min_f16 v29, v46, v29
	v_pk_add_f16 v46, v39, v27
	s_nop 0
	v_pk_min_f16 v46, v29, v46
	v_mad_i64_i32 v[28:29], s[8:9], v28, s15, 0
	v_lshl_add_u64 v[28:29], v[28:29], 1, s[2:3]
	v_lshrrev_b32_e32 v47, 16, v46
	v_min3_f16 v31, v31, v46, v47
	v_lshl_add_u64 v[46:47], v[36:37], 1, v[28:29]
	global_store_short v[46:47], v31, off
	s_cbranch_vccnz .LBB265_48
; %bb.47:
	v_lshl_add_u64 v[30:31], v[40:41], 1, v[24:25]
	flat_load_ushort v30, v[30:31]
	s_waitcnt vmcnt(0) lgkmcnt(0)
	v_mul_f16_e32 v30, s12, v30
.LBB265_48:
	v_pk_add_f16 v31, v0, v26
	v_pk_max_f16 v46, v76, v76
	s_and_b64 vcc, exec, s[0:1]
	v_pk_min_f16 v31, v46, v31
	v_pk_add_f16 v46, v1, v27
	s_nop 0
	v_pk_min_f16 v31, v31, v46
	s_nop 0
	v_lshrrev_b32_e32 v46, 16, v31
	v_min3_f16 v46, v30, v31, v46
	v_lshl_add_u64 v[30:31], v[40:41], 1, v[28:29]
	global_store_short v[30:31], v46, off
	v_mov_b32_e32 v30, 0
	v_mov_b32_e32 v31, 0
	s_cbranch_vccnz .LBB265_50
; %bb.49:
	v_lshl_add_u64 v[46:47], v[44:45], 1, v[24:25]
	flat_load_ushort v31, v[46:47]
	s_waitcnt vmcnt(0) lgkmcnt(0)
	v_mul_f16_e32 v31, s12, v31
.LBB265_50:
	v_pk_add_f16 v46, v2, v26
	v_pk_max_f16 v47, v77, v77
	s_and_b64 vcc, exec, s[0:1]
	v_pk_min_f16 v46, v47, v46
	v_pk_add_f16 v47, v3, v27
	s_nop 0
	v_pk_min_f16 v46, v46, v47
	s_nop 0
	v_lshrrev_b32_e32 v47, 16, v46
	v_min3_f16 v31, v31, v46, v47
	v_lshl_add_u64 v[46:47], v[44:45], 1, v[28:29]
	global_store_short v[46:47], v31, off
	s_cbranch_vccnz .LBB265_52
; %bb.51:
	v_lshl_add_u64 v[24:25], v[42:43], 1, v[24:25]
	flat_load_ushort v24, v[24:25]
	s_waitcnt vmcnt(0) lgkmcnt(0)
	v_mul_f16_e32 v30, s12, v24
.LBB265_52:
	v_pk_add_f16 v24, v32, v26
	v_pk_max_f16 v25, v78, v78
	s_and_b64 vcc, exec, s[0:1]
	v_pk_min_f16 v24, v25, v24
	v_pk_add_f16 v25, v33, v27
	s_nop 0
	v_pk_min_f16 v24, v24, v25
	s_nop 0
	v_lshrrev_b32_e32 v25, 16, v24
	v_min3_f16 v26, v30, v24, v25
	v_lshl_add_u64 v[24:25], v[42:43], 1, v[28:29]
	global_store_short v[24:25], v26, off
	v_add_u32_e32 v26, 40, v54
	v_mad_i64_i32 v[24:25], s[8:9], v26, s14, 0
	v_lshl_add_u64 v[24:25], v[24:25], 1, s[6:7]
	v_mov_b32_e32 v28, 0
	v_mov_b32_e32 v29, 0
	s_cbranch_vccnz .LBB265_54
; %bb.53:
	v_lshl_add_u64 v[30:31], v[36:37], 1, v[24:25]
	flat_load_ushort v27, v[30:31]
	s_waitcnt vmcnt(0) lgkmcnt(0)
	v_mul_f16_e32 v29, s12, v27
.LBB265_54:
	v_pk_add_f16 v27, v38, v20
	v_pk_max_f16 v30, v75, v75
	s_and_b64 vcc, exec, s[0:1]
	v_pk_min_f16 v27, v30, v27
	v_pk_add_f16 v30, v39, v21
	s_nop 0
	v_pk_min_f16 v30, v27, v30
	v_mad_i64_i32 v[26:27], s[8:9], v26, s15, 0
	v_lshl_add_u64 v[26:27], v[26:27], 1, s[2:3]
	v_lshrrev_b32_e32 v31, 16, v30
	v_min3_f16 v29, v29, v30, v31
	v_lshl_add_u64 v[30:31], v[36:37], 1, v[26:27]
	global_store_short v[30:31], v29, off
	s_cbranch_vccnz .LBB265_56
; %bb.55:
	v_lshl_add_u64 v[28:29], v[40:41], 1, v[24:25]
	flat_load_ushort v28, v[28:29]
	s_waitcnt vmcnt(0) lgkmcnt(0)
	v_mul_f16_e32 v28, s12, v28
.LBB265_56:
	v_pk_add_f16 v29, v0, v20
	v_pk_max_f16 v30, v72, v72
	s_and_b64 vcc, exec, s[0:1]
	v_pk_min_f16 v29, v30, v29
	v_pk_add_f16 v30, v1, v21
	s_nop 0
	v_pk_min_f16 v29, v29, v30
	s_nop 0
	v_lshrrev_b32_e32 v30, 16, v29
	v_min3_f16 v30, v28, v29, v30
	v_lshl_add_u64 v[28:29], v[40:41], 1, v[26:27]
	global_store_short v[28:29], v30, off
	v_mov_b32_e32 v28, 0
	v_mov_b32_e32 v29, 0
	s_cbranch_vccnz .LBB265_58
; %bb.57:
	v_lshl_add_u64 v[30:31], v[44:45], 1, v[24:25]
	flat_load_ushort v29, v[30:31]
	s_waitcnt vmcnt(0) lgkmcnt(0)
	v_mul_f16_e32 v29, s12, v29
.LBB265_58:
	v_pk_add_f16 v30, v2, v20
	v_pk_max_f16 v31, v73, v73
	s_and_b64 vcc, exec, s[0:1]
	v_pk_min_f16 v30, v31, v30
	v_pk_add_f16 v31, v3, v21
	s_nop 0
	v_pk_min_f16 v30, v30, v31
	s_nop 0
	v_lshrrev_b32_e32 v31, 16, v30
	v_min3_f16 v29, v29, v30, v31
	v_lshl_add_u64 v[30:31], v[44:45], 1, v[26:27]
	global_store_short v[30:31], v29, off
	s_cbranch_vccnz .LBB265_60
; %bb.59:
	v_lshl_add_u64 v[24:25], v[42:43], 1, v[24:25]
	flat_load_ushort v24, v[24:25]
	s_waitcnt vmcnt(0) lgkmcnt(0)
	v_mul_f16_e32 v28, s12, v24
.LBB265_60:
	v_pk_add_f16 v20, v32, v20
	v_pk_max_f16 v24, v74, v74
	v_pk_add_f16 v21, v33, v21
	v_pk_min_f16 v20, v24, v20
	s_and_b64 vcc, exec, s[0:1]
	v_pk_min_f16 v20, v20, v21
	s_nop 0
	v_lshrrev_b32_e32 v21, 16, v20
	v_min3_f16 v24, v28, v20, v21
	v_lshl_add_u64 v[20:21], v[42:43], 1, v[26:27]
	global_store_short v[20:21], v24, off
	v_add_u32_e32 v24, 48, v54
	v_mad_i64_i32 v[20:21], s[8:9], v24, s14, 0
	v_lshl_add_u64 v[20:21], v[20:21], 1, s[6:7]
	v_mov_b32_e32 v26, 0
	v_mov_b32_e32 v27, 0
	s_cbranch_vccnz .LBB265_62
; %bb.61:
	v_lshl_add_u64 v[28:29], v[36:37], 1, v[20:21]
	flat_load_ushort v25, v[28:29]
	s_waitcnt vmcnt(0) lgkmcnt(0)
	v_mul_f16_e32 v27, s12, v25
.LBB265_62:
	v_pk_add_f16 v25, v38, v22
	v_pk_max_f16 v28, v92, v92
	s_and_b64 vcc, exec, s[0:1]
	v_pk_min_f16 v25, v28, v25
	v_pk_add_f16 v28, v39, v23
	s_nop 0
	v_pk_min_f16 v28, v25, v28
	v_mad_i64_i32 v[24:25], s[8:9], v24, s15, 0
	v_lshl_add_u64 v[24:25], v[24:25], 1, s[2:3]
	v_lshrrev_b32_e32 v29, 16, v28
	v_min3_f16 v27, v27, v28, v29
	v_lshl_add_u64 v[28:29], v[36:37], 1, v[24:25]
	global_store_short v[28:29], v27, off
	s_cbranch_vccnz .LBB265_64
; %bb.63:
	v_lshl_add_u64 v[26:27], v[40:41], 1, v[20:21]
	flat_load_ushort v26, v[26:27]
	s_waitcnt vmcnt(0) lgkmcnt(0)
	v_mul_f16_e32 v26, s12, v26
.LBB265_64:
	v_pk_add_f16 v27, v0, v22
	v_pk_max_f16 v28, v89, v89
	s_and_b64 vcc, exec, s[0:1]
	v_pk_min_f16 v27, v28, v27
	v_pk_add_f16 v28, v1, v23
	s_nop 0
	v_pk_min_f16 v27, v27, v28
	s_nop 0
	v_lshrrev_b32_e32 v28, 16, v27
	v_min3_f16 v28, v26, v27, v28
	v_lshl_add_u64 v[26:27], v[40:41], 1, v[24:25]
	global_store_short v[26:27], v28, off
	v_mov_b32_e32 v26, 0
	v_mov_b32_e32 v27, 0
	s_cbranch_vccnz .LBB265_66
; %bb.65:
	v_lshl_add_u64 v[28:29], v[44:45], 1, v[20:21]
	flat_load_ushort v27, v[28:29]
	s_waitcnt vmcnt(0) lgkmcnt(0)
	v_mul_f16_e32 v27, s12, v27
.LBB265_66:
	v_pk_add_f16 v28, v2, v22
	v_pk_max_f16 v29, v90, v90
	s_and_b64 vcc, exec, s[0:1]
	v_pk_min_f16 v28, v29, v28
	v_pk_add_f16 v29, v3, v23
	s_nop 0
	v_pk_min_f16 v28, v28, v29
	s_nop 0
	v_lshrrev_b32_e32 v29, 16, v28
	v_min3_f16 v27, v27, v28, v29
	v_lshl_add_u64 v[28:29], v[44:45], 1, v[24:25]
	global_store_short v[28:29], v27, off
	s_cbranch_vccnz .LBB265_68
; %bb.67:
	v_lshl_add_u64 v[20:21], v[42:43], 1, v[20:21]
	flat_load_ushort v20, v[20:21]
	s_waitcnt vmcnt(0) lgkmcnt(0)
	v_mul_f16_e32 v26, s12, v20
.LBB265_68:
	v_pk_add_f16 v20, v32, v22
	v_pk_max_f16 v21, v91, v91
	s_and_b64 vcc, exec, s[0:1]
	v_pk_min_f16 v20, v21, v20
	v_pk_add_f16 v21, v33, v23
	s_nop 0
	v_pk_min_f16 v20, v20, v21
	s_nop 0
	v_lshrrev_b32_e32 v21, 16, v20
	v_min3_f16 v22, v26, v20, v21
	v_lshl_add_u64 v[20:21], v[42:43], 1, v[24:25]
	global_store_short v[20:21], v22, off
	v_add_u32_e32 v22, 56, v54
	v_mad_i64_i32 v[20:21], s[8:9], v22, s14, 0
	v_lshl_add_u64 v[20:21], v[20:21], 1, s[6:7]
	v_mov_b32_e32 v24, 0
	v_mov_b32_e32 v25, 0
	s_cbranch_vccnz .LBB265_70
; %bb.69:
	v_lshl_add_u64 v[26:27], v[36:37], 1, v[20:21]
	flat_load_ushort v23, v[26:27]
	s_waitcnt vmcnt(0) lgkmcnt(0)
	v_mul_f16_e32 v25, s12, v23
.LBB265_70:
	v_pk_add_f16 v23, v38, v16
	v_pk_max_f16 v26, v88, v88
	s_and_b64 vcc, exec, s[0:1]
	v_pk_min_f16 v23, v26, v23
	v_pk_add_f16 v26, v39, v17
	s_nop 0
	v_pk_min_f16 v26, v23, v26
	v_mad_i64_i32 v[22:23], s[8:9], v22, s15, 0
	v_lshl_add_u64 v[22:23], v[22:23], 1, s[2:3]
	v_lshrrev_b32_e32 v27, 16, v26
	v_min3_f16 v25, v25, v26, v27
	v_lshl_add_u64 v[26:27], v[36:37], 1, v[22:23]
	global_store_short v[26:27], v25, off
	s_cbranch_vccnz .LBB265_72
; %bb.71:
	v_lshl_add_u64 v[24:25], v[40:41], 1, v[20:21]
	flat_load_ushort v24, v[24:25]
	s_waitcnt vmcnt(0) lgkmcnt(0)
	v_mul_f16_e32 v24, s12, v24
.LBB265_72:
	v_pk_add_f16 v25, v0, v16
	v_pk_max_f16 v26, v85, v85
	s_and_b64 vcc, exec, s[0:1]
	v_pk_min_f16 v25, v26, v25
	v_pk_add_f16 v26, v1, v17
	s_nop 0
	v_pk_min_f16 v25, v25, v26
	s_nop 0
	v_lshrrev_b32_e32 v26, 16, v25
	v_min3_f16 v26, v24, v25, v26
	v_lshl_add_u64 v[24:25], v[40:41], 1, v[22:23]
	global_store_short v[24:25], v26, off
	v_mov_b32_e32 v24, 0
	v_mov_b32_e32 v25, 0
	s_cbranch_vccnz .LBB265_74
; %bb.73:
	v_lshl_add_u64 v[26:27], v[44:45], 1, v[20:21]
	flat_load_ushort v25, v[26:27]
	s_waitcnt vmcnt(0) lgkmcnt(0)
	v_mul_f16_e32 v25, s12, v25
.LBB265_74:
	v_pk_add_f16 v26, v2, v16
	v_pk_max_f16 v27, v86, v86
	s_and_b64 vcc, exec, s[0:1]
	v_pk_min_f16 v26, v27, v26
	v_pk_add_f16 v27, v3, v17
	s_nop 0
	v_pk_min_f16 v26, v26, v27
	s_nop 0
	v_lshrrev_b32_e32 v27, 16, v26
	v_min3_f16 v25, v25, v26, v27
	v_lshl_add_u64 v[26:27], v[44:45], 1, v[22:23]
	global_store_short v[26:27], v25, off
	s_cbranch_vccnz .LBB265_76
; %bb.75:
	v_lshl_add_u64 v[20:21], v[42:43], 1, v[20:21]
	flat_load_ushort v20, v[20:21]
	s_waitcnt vmcnt(0) lgkmcnt(0)
	v_mul_f16_e32 v24, s12, v20
.LBB265_76:
	v_pk_add_f16 v16, v32, v16
	v_pk_max_f16 v20, v87, v87
	v_pk_add_f16 v17, v33, v17
	v_pk_min_f16 v16, v20, v16
	s_and_b64 vcc, exec, s[0:1]
	v_pk_min_f16 v16, v16, v17
	s_nop 0
	v_lshrrev_b32_e32 v17, 16, v16
	v_min3_f16 v20, v24, v16, v17
	v_lshl_add_u64 v[16:17], v[42:43], 1, v[22:23]
	global_store_short v[16:17], v20, off
	v_add_u32_e32 v20, 64, v54
	v_mad_i64_i32 v[16:17], s[8:9], v20, s14, 0
	v_lshl_add_u64 v[16:17], v[16:17], 1, s[6:7]
	v_mov_b32_e32 v22, 0
	v_mov_b32_e32 v23, 0
	s_cbranch_vccnz .LBB265_78
; %bb.77:
	v_lshl_add_u64 v[24:25], v[36:37], 1, v[16:17]
	flat_load_ushort v21, v[24:25]
	s_waitcnt vmcnt(0) lgkmcnt(0)
	v_mul_f16_e32 v23, s12, v21
.LBB265_78:
	v_pk_add_f16 v21, v38, v18
	v_pk_max_f16 v24, v100, v100
	s_and_b64 vcc, exec, s[0:1]
	v_pk_min_f16 v21, v24, v21
	v_pk_add_f16 v24, v39, v19
	s_nop 0
	v_pk_min_f16 v24, v21, v24
	v_mad_i64_i32 v[20:21], s[8:9], v20, s15, 0
	v_lshl_add_u64 v[20:21], v[20:21], 1, s[2:3]
	v_lshrrev_b32_e32 v25, 16, v24
	v_min3_f16 v23, v23, v24, v25
	v_lshl_add_u64 v[24:25], v[36:37], 1, v[20:21]
	global_store_short v[24:25], v23, off
	s_cbranch_vccnz .LBB265_80
; %bb.79:
	v_lshl_add_u64 v[22:23], v[40:41], 1, v[16:17]
	flat_load_ushort v22, v[22:23]
	s_waitcnt vmcnt(0) lgkmcnt(0)
	v_mul_f16_e32 v22, s12, v22
.LBB265_80:
	v_pk_add_f16 v23, v0, v18
	v_pk_max_f16 v24, v97, v97
	s_and_b64 vcc, exec, s[0:1]
	v_pk_min_f16 v23, v24, v23
	v_pk_add_f16 v24, v1, v19
	s_nop 0
	v_pk_min_f16 v23, v23, v24
	s_nop 0
	v_lshrrev_b32_e32 v24, 16, v23
	v_min3_f16 v24, v22, v23, v24
	v_lshl_add_u64 v[22:23], v[40:41], 1, v[20:21]
	global_store_short v[22:23], v24, off
	v_mov_b32_e32 v22, 0
	v_mov_b32_e32 v23, 0
	s_cbranch_vccnz .LBB265_82
; %bb.81:
	v_lshl_add_u64 v[24:25], v[44:45], 1, v[16:17]
	flat_load_ushort v23, v[24:25]
	s_waitcnt vmcnt(0) lgkmcnt(0)
	v_mul_f16_e32 v23, s12, v23
.LBB265_82:
	v_pk_add_f16 v24, v2, v18
	v_pk_max_f16 v25, v98, v98
	s_and_b64 vcc, exec, s[0:1]
	v_pk_min_f16 v24, v25, v24
	v_pk_add_f16 v25, v3, v19
	s_nop 0
	v_pk_min_f16 v24, v24, v25
	s_nop 0
	v_lshrrev_b32_e32 v25, 16, v24
	v_min3_f16 v23, v23, v24, v25
	v_lshl_add_u64 v[24:25], v[44:45], 1, v[20:21]
	global_store_short v[24:25], v23, off
	s_cbranch_vccnz .LBB265_84
; %bb.83:
	v_lshl_add_u64 v[16:17], v[42:43], 1, v[16:17]
	flat_load_ushort v16, v[16:17]
	s_waitcnt vmcnt(0) lgkmcnt(0)
	v_mul_f16_e32 v22, s12, v16
.LBB265_84:
	v_pk_add_f16 v16, v32, v18
	v_pk_max_f16 v17, v99, v99
	s_and_b64 vcc, exec, s[0:1]
	v_pk_min_f16 v16, v17, v16
	v_pk_add_f16 v17, v33, v19
	s_nop 0
	v_pk_min_f16 v16, v16, v17
	s_nop 0
	v_lshrrev_b32_e32 v17, 16, v16
	v_min3_f16 v18, v22, v16, v17
	v_lshl_add_u64 v[16:17], v[42:43], 1, v[20:21]
	global_store_short v[16:17], v18, off
	v_add_u32_e32 v18, 0x48, v54
	v_mad_i64_i32 v[16:17], s[8:9], v18, s14, 0
	v_lshl_add_u64 v[16:17], v[16:17], 1, s[6:7]
	v_mov_b32_e32 v20, 0
	v_mov_b32_e32 v21, 0
	s_cbranch_vccnz .LBB265_86
; %bb.85:
	v_lshl_add_u64 v[22:23], v[36:37], 1, v[16:17]
	flat_load_ushort v19, v[22:23]
	s_waitcnt vmcnt(0) lgkmcnt(0)
	v_mul_f16_e32 v21, s12, v19
.LBB265_86:
	v_pk_add_f16 v19, v38, v12
	v_pk_max_f16 v22, v96, v96
	s_and_b64 vcc, exec, s[0:1]
	v_pk_min_f16 v19, v22, v19
	v_pk_add_f16 v22, v39, v13
	s_nop 0
	v_pk_min_f16 v22, v19, v22
	v_mad_i64_i32 v[18:19], s[8:9], v18, s15, 0
	v_lshl_add_u64 v[18:19], v[18:19], 1, s[2:3]
	v_lshrrev_b32_e32 v23, 16, v22
	v_min3_f16 v21, v21, v22, v23
	v_lshl_add_u64 v[22:23], v[36:37], 1, v[18:19]
	global_store_short v[22:23], v21, off
	s_cbranch_vccnz .LBB265_88
; %bb.87:
	v_lshl_add_u64 v[20:21], v[40:41], 1, v[16:17]
	flat_load_ushort v20, v[20:21]
	s_waitcnt vmcnt(0) lgkmcnt(0)
	v_mul_f16_e32 v20, s12, v20
.LBB265_88:
	v_pk_add_f16 v21, v0, v12
	v_pk_max_f16 v22, v93, v93
	s_and_b64 vcc, exec, s[0:1]
	v_pk_min_f16 v21, v22, v21
	v_pk_add_f16 v22, v1, v13
	s_nop 0
	v_pk_min_f16 v21, v21, v22
	s_nop 0
	v_lshrrev_b32_e32 v22, 16, v21
	v_min3_f16 v22, v20, v21, v22
	v_lshl_add_u64 v[20:21], v[40:41], 1, v[18:19]
	global_store_short v[20:21], v22, off
	v_mov_b32_e32 v20, 0
	v_mov_b32_e32 v21, 0
	s_cbranch_vccnz .LBB265_90
; %bb.89:
	v_lshl_add_u64 v[22:23], v[44:45], 1, v[16:17]
	flat_load_ushort v21, v[22:23]
	s_waitcnt vmcnt(0) lgkmcnt(0)
	v_mul_f16_e32 v21, s12, v21
.LBB265_90:
	v_pk_add_f16 v22, v2, v12
	v_pk_max_f16 v23, v94, v94
	s_and_b64 vcc, exec, s[0:1]
	v_pk_min_f16 v22, v23, v22
	v_pk_add_f16 v23, v3, v13
	s_nop 0
	v_pk_min_f16 v22, v22, v23
	s_nop 0
	v_lshrrev_b32_e32 v23, 16, v22
	v_min3_f16 v21, v21, v22, v23
	v_lshl_add_u64 v[22:23], v[44:45], 1, v[18:19]
	global_store_short v[22:23], v21, off
	s_cbranch_vccnz .LBB265_92
; %bb.91:
	v_lshl_add_u64 v[16:17], v[42:43], 1, v[16:17]
	flat_load_ushort v16, v[16:17]
	s_waitcnt vmcnt(0) lgkmcnt(0)
	v_mul_f16_e32 v20, s12, v16
.LBB265_92:
	v_pk_add_f16 v12, v32, v12
	v_pk_max_f16 v16, v95, v95
	v_pk_add_f16 v13, v33, v13
	v_pk_min_f16 v12, v16, v12
	s_and_b64 vcc, exec, s[0:1]
	v_pk_min_f16 v12, v12, v13
	s_nop 0
	v_lshrrev_b32_e32 v13, 16, v12
	v_min3_f16 v16, v20, v12, v13
	v_lshl_add_u64 v[12:13], v[42:43], 1, v[18:19]
	global_store_short v[12:13], v16, off
	v_add_u32_e32 v16, 0x50, v54
	v_mad_i64_i32 v[12:13], s[8:9], v16, s14, 0
	v_lshl_add_u64 v[12:13], v[12:13], 1, s[6:7]
	v_mov_b32_e32 v18, 0
	v_mov_b32_e32 v19, 0
	s_cbranch_vccnz .LBB265_94
; %bb.93:
	v_lshl_add_u64 v[20:21], v[36:37], 1, v[12:13]
	flat_load_ushort v17, v[20:21]
	s_waitcnt vmcnt(0) lgkmcnt(0)
	v_mul_f16_e32 v19, s12, v17
.LBB265_94:
	v_pk_add_f16 v17, v38, v14
	v_pk_max_f16 v20, v108, v108
	s_and_b64 vcc, exec, s[0:1]
	v_pk_min_f16 v17, v20, v17
	v_pk_add_f16 v20, v39, v15
	s_nop 0
	v_pk_min_f16 v20, v17, v20
	v_mad_i64_i32 v[16:17], s[8:9], v16, s15, 0
	v_lshl_add_u64 v[16:17], v[16:17], 1, s[2:3]
	v_lshrrev_b32_e32 v21, 16, v20
	v_min3_f16 v19, v19, v20, v21
	v_lshl_add_u64 v[20:21], v[36:37], 1, v[16:17]
	global_store_short v[20:21], v19, off
	s_cbranch_vccnz .LBB265_96
; %bb.95:
	v_lshl_add_u64 v[18:19], v[40:41], 1, v[12:13]
	flat_load_ushort v18, v[18:19]
	s_waitcnt vmcnt(0) lgkmcnt(0)
	v_mul_f16_e32 v18, s12, v18
.LBB265_96:
	v_pk_add_f16 v19, v0, v14
	v_pk_max_f16 v20, v105, v105
	s_and_b64 vcc, exec, s[0:1]
	v_pk_min_f16 v19, v20, v19
	v_pk_add_f16 v20, v1, v15
	s_nop 0
	v_pk_min_f16 v19, v19, v20
	s_nop 0
	v_lshrrev_b32_e32 v20, 16, v19
	v_min3_f16 v20, v18, v19, v20
	v_lshl_add_u64 v[18:19], v[40:41], 1, v[16:17]
	global_store_short v[18:19], v20, off
	v_mov_b32_e32 v18, 0
	v_mov_b32_e32 v19, 0
	s_cbranch_vccnz .LBB265_98
; %bb.97:
	v_lshl_add_u64 v[20:21], v[44:45], 1, v[12:13]
	flat_load_ushort v19, v[20:21]
	s_waitcnt vmcnt(0) lgkmcnt(0)
	v_mul_f16_e32 v19, s12, v19
.LBB265_98:
	v_pk_add_f16 v20, v2, v14
	v_pk_max_f16 v21, v106, v106
	s_and_b64 vcc, exec, s[0:1]
	v_pk_min_f16 v20, v21, v20
	v_pk_add_f16 v21, v3, v15
	s_nop 0
	v_pk_min_f16 v20, v20, v21
	s_nop 0
	v_lshrrev_b32_e32 v21, 16, v20
	v_min3_f16 v19, v19, v20, v21
	v_lshl_add_u64 v[20:21], v[44:45], 1, v[16:17]
	global_store_short v[20:21], v19, off
	s_cbranch_vccnz .LBB265_100
; %bb.99:
	v_lshl_add_u64 v[12:13], v[42:43], 1, v[12:13]
	flat_load_ushort v12, v[12:13]
	s_waitcnt vmcnt(0) lgkmcnt(0)
	v_mul_f16_e32 v18, s12, v12
.LBB265_100:
	v_pk_add_f16 v12, v32, v14
	v_pk_max_f16 v13, v107, v107
	s_and_b64 vcc, exec, s[0:1]
	v_pk_min_f16 v12, v13, v12
	v_pk_add_f16 v13, v33, v15
	s_nop 0
	v_pk_min_f16 v12, v12, v13
	s_nop 0
	v_lshrrev_b32_e32 v13, 16, v12
	v_min3_f16 v14, v18, v12, v13
	v_lshl_add_u64 v[12:13], v[42:43], 1, v[16:17]
	global_store_short v[12:13], v14, off
	v_add_u32_e32 v14, 0x58, v54
	v_mad_i64_i32 v[12:13], s[8:9], v14, s14, 0
	v_lshl_add_u64 v[12:13], v[12:13], 1, s[6:7]
	v_mov_b32_e32 v16, 0
	v_mov_b32_e32 v17, 0
	s_cbranch_vccnz .LBB265_102
; %bb.101:
	v_lshl_add_u64 v[18:19], v[36:37], 1, v[12:13]
	flat_load_ushort v15, v[18:19]
	s_waitcnt vmcnt(0) lgkmcnt(0)
	v_mul_f16_e32 v17, s12, v15
.LBB265_102:
	v_pk_add_f16 v15, v38, v8
	v_pk_max_f16 v18, v104, v104
	s_and_b64 vcc, exec, s[0:1]
	v_pk_min_f16 v15, v18, v15
	v_pk_add_f16 v18, v39, v9
	s_nop 0
	v_pk_min_f16 v18, v15, v18
	v_mad_i64_i32 v[14:15], s[8:9], v14, s15, 0
	v_lshl_add_u64 v[14:15], v[14:15], 1, s[2:3]
	v_lshrrev_b32_e32 v19, 16, v18
	v_min3_f16 v17, v17, v18, v19
	v_lshl_add_u64 v[18:19], v[36:37], 1, v[14:15]
	global_store_short v[18:19], v17, off
	s_cbranch_vccnz .LBB265_104
; %bb.103:
	v_lshl_add_u64 v[16:17], v[40:41], 1, v[12:13]
	flat_load_ushort v16, v[16:17]
	s_waitcnt vmcnt(0) lgkmcnt(0)
	v_mul_f16_e32 v16, s12, v16
.LBB265_104:
	v_pk_add_f16 v17, v0, v8
	v_pk_max_f16 v18, v101, v101
	s_and_b64 vcc, exec, s[0:1]
	v_pk_min_f16 v17, v18, v17
	v_pk_add_f16 v18, v1, v9
	s_nop 0
	v_pk_min_f16 v17, v17, v18
	s_nop 0
	v_lshrrev_b32_e32 v18, 16, v17
	v_min3_f16 v18, v16, v17, v18
	v_lshl_add_u64 v[16:17], v[40:41], 1, v[14:15]
	global_store_short v[16:17], v18, off
	v_mov_b32_e32 v16, 0
	v_mov_b32_e32 v17, 0
	s_cbranch_vccnz .LBB265_106
; %bb.105:
	v_lshl_add_u64 v[18:19], v[44:45], 1, v[12:13]
	flat_load_ushort v17, v[18:19]
	s_waitcnt vmcnt(0) lgkmcnt(0)
	v_mul_f16_e32 v17, s12, v17
.LBB265_106:
	v_pk_add_f16 v18, v2, v8
	v_pk_max_f16 v19, v102, v102
	s_and_b64 vcc, exec, s[0:1]
	v_pk_min_f16 v18, v19, v18
	v_pk_add_f16 v19, v3, v9
	s_nop 0
	v_pk_min_f16 v18, v18, v19
	s_nop 0
	v_lshrrev_b32_e32 v19, 16, v18
	v_min3_f16 v17, v17, v18, v19
	v_lshl_add_u64 v[18:19], v[44:45], 1, v[14:15]
	global_store_short v[18:19], v17, off
	s_cbranch_vccnz .LBB265_108
; %bb.107:
	v_lshl_add_u64 v[12:13], v[42:43], 1, v[12:13]
	flat_load_ushort v12, v[12:13]
	s_waitcnt vmcnt(0) lgkmcnt(0)
	v_mul_f16_e32 v16, s12, v12
.LBB265_108:
	v_pk_add_f16 v8, v32, v8
	v_pk_max_f16 v12, v103, v103
	v_pk_add_f16 v9, v33, v9
	v_pk_min_f16 v8, v12, v8
	s_and_b64 vcc, exec, s[0:1]
	v_pk_min_f16 v8, v8, v9
	s_nop 0
	v_lshrrev_b32_e32 v9, 16, v8
	v_min3_f16 v12, v16, v8, v9
	v_lshl_add_u64 v[8:9], v[42:43], 1, v[14:15]
	global_store_short v[8:9], v12, off
	v_add_u32_e32 v12, 0x60, v54
	v_mad_i64_i32 v[8:9], s[8:9], v12, s14, 0
	v_lshl_add_u64 v[8:9], v[8:9], 1, s[6:7]
	v_mov_b32_e32 v14, 0
	v_mov_b32_e32 v15, 0
	s_cbranch_vccnz .LBB265_110
; %bb.109:
	v_lshl_add_u64 v[16:17], v[36:37], 1, v[8:9]
	flat_load_ushort v13, v[16:17]
	s_waitcnt vmcnt(0) lgkmcnt(0)
	v_mul_f16_e32 v15, s12, v13
.LBB265_110:
	v_pk_add_f16 v13, v38, v10
	v_pk_max_f16 v16, v116, v116
	s_and_b64 vcc, exec, s[0:1]
	v_pk_min_f16 v13, v16, v13
	v_pk_add_f16 v16, v39, v11
	s_nop 0
	v_pk_min_f16 v16, v13, v16
	v_mad_i64_i32 v[12:13], s[8:9], v12, s15, 0
	v_lshl_add_u64 v[12:13], v[12:13], 1, s[2:3]
	v_lshrrev_b32_e32 v17, 16, v16
	v_min3_f16 v15, v15, v16, v17
	v_lshl_add_u64 v[16:17], v[36:37], 1, v[12:13]
	global_store_short v[16:17], v15, off
	s_cbranch_vccnz .LBB265_112
; %bb.111:
	v_lshl_add_u64 v[14:15], v[40:41], 1, v[8:9]
	flat_load_ushort v14, v[14:15]
	s_waitcnt vmcnt(0) lgkmcnt(0)
	v_mul_f16_e32 v14, s12, v14
.LBB265_112:
	v_pk_add_f16 v15, v0, v10
	v_pk_max_f16 v16, v113, v113
	s_and_b64 vcc, exec, s[0:1]
	v_pk_min_f16 v15, v16, v15
	v_pk_add_f16 v16, v1, v11
	s_nop 0
	v_pk_min_f16 v15, v15, v16
	s_nop 0
	v_lshrrev_b32_e32 v16, 16, v15
	v_min3_f16 v16, v14, v15, v16
	v_lshl_add_u64 v[14:15], v[40:41], 1, v[12:13]
	global_store_short v[14:15], v16, off
	v_mov_b32_e32 v14, 0
	v_mov_b32_e32 v15, 0
	s_cbranch_vccnz .LBB265_114
; %bb.113:
	v_lshl_add_u64 v[16:17], v[44:45], 1, v[8:9]
	flat_load_ushort v15, v[16:17]
	s_waitcnt vmcnt(0) lgkmcnt(0)
	v_mul_f16_e32 v15, s12, v15
.LBB265_114:
	v_pk_add_f16 v16, v2, v10
	v_pk_max_f16 v17, v114, v114
	s_and_b64 vcc, exec, s[0:1]
	v_pk_min_f16 v16, v17, v16
	v_pk_add_f16 v17, v3, v11
	s_nop 0
	v_pk_min_f16 v16, v16, v17
	s_nop 0
	v_lshrrev_b32_e32 v17, 16, v16
	v_min3_f16 v15, v15, v16, v17
	v_lshl_add_u64 v[16:17], v[44:45], 1, v[12:13]
	global_store_short v[16:17], v15, off
	s_cbranch_vccnz .LBB265_116
; %bb.115:
	v_lshl_add_u64 v[8:9], v[42:43], 1, v[8:9]
	flat_load_ushort v8, v[8:9]
	s_waitcnt vmcnt(0) lgkmcnt(0)
	v_mul_f16_e32 v14, s12, v8
.LBB265_116:
	v_pk_add_f16 v8, v32, v10
	v_pk_max_f16 v9, v115, v115
	s_and_b64 vcc, exec, s[0:1]
	v_pk_min_f16 v8, v9, v8
	v_pk_add_f16 v9, v33, v11
	s_nop 0
	v_pk_min_f16 v8, v8, v9
	s_nop 0
	v_lshrrev_b32_e32 v9, 16, v8
	v_min3_f16 v10, v14, v8, v9
	v_lshl_add_u64 v[8:9], v[42:43], 1, v[12:13]
	global_store_short v[8:9], v10, off
	v_add_u32_e32 v10, 0x68, v54
	v_mad_i64_i32 v[8:9], s[8:9], v10, s14, 0
	v_lshl_add_u64 v[8:9], v[8:9], 1, s[6:7]
	v_mov_b32_e32 v12, 0
	v_mov_b32_e32 v13, 0
	s_cbranch_vccnz .LBB265_118
; %bb.117:
	v_lshl_add_u64 v[14:15], v[36:37], 1, v[8:9]
	flat_load_ushort v11, v[14:15]
	s_waitcnt vmcnt(0) lgkmcnt(0)
	v_mul_f16_e32 v13, s12, v11
.LBB265_118:
	v_pk_add_f16 v11, v38, v4
	v_pk_max_f16 v14, v112, v112
	s_and_b64 vcc, exec, s[0:1]
	v_pk_min_f16 v11, v14, v11
	v_pk_add_f16 v14, v39, v5
	s_nop 0
	v_pk_min_f16 v14, v11, v14
	v_mad_i64_i32 v[10:11], s[8:9], v10, s15, 0
	v_lshl_add_u64 v[10:11], v[10:11], 1, s[2:3]
	v_lshrrev_b32_e32 v15, 16, v14
	v_min3_f16 v13, v13, v14, v15
	v_lshl_add_u64 v[14:15], v[36:37], 1, v[10:11]
	global_store_short v[14:15], v13, off
	s_cbranch_vccnz .LBB265_120
; %bb.119:
	v_lshl_add_u64 v[12:13], v[40:41], 1, v[8:9]
	flat_load_ushort v12, v[12:13]
	s_waitcnt vmcnt(0) lgkmcnt(0)
	v_mul_f16_e32 v12, s12, v12
.LBB265_120:
	v_pk_add_f16 v13, v0, v4
	v_pk_max_f16 v14, v109, v109
	s_and_b64 vcc, exec, s[0:1]
	v_pk_min_f16 v13, v14, v13
	v_pk_add_f16 v14, v1, v5
	s_nop 0
	v_pk_min_f16 v13, v13, v14
	s_nop 0
	v_lshrrev_b32_e32 v14, 16, v13
	v_min3_f16 v14, v12, v13, v14
	v_lshl_add_u64 v[12:13], v[40:41], 1, v[10:11]
	global_store_short v[12:13], v14, off
	v_mov_b32_e32 v12, 0
	v_mov_b32_e32 v13, 0
	s_cbranch_vccnz .LBB265_122
; %bb.121:
	v_lshl_add_u64 v[14:15], v[44:45], 1, v[8:9]
	flat_load_ushort v13, v[14:15]
	s_waitcnt vmcnt(0) lgkmcnt(0)
	v_mul_f16_e32 v13, s12, v13
.LBB265_122:
	v_pk_add_f16 v14, v2, v4
	v_pk_max_f16 v15, v110, v110
	s_and_b64 vcc, exec, s[0:1]
	v_pk_min_f16 v14, v15, v14
	v_pk_add_f16 v15, v3, v5
	s_nop 0
	v_pk_min_f16 v14, v14, v15
	s_nop 0
	v_lshrrev_b32_e32 v15, 16, v14
	v_min3_f16 v13, v13, v14, v15
	v_lshl_add_u64 v[14:15], v[44:45], 1, v[10:11]
	global_store_short v[14:15], v13, off
	s_cbranch_vccnz .LBB265_124
; %bb.123:
	v_lshl_add_u64 v[8:9], v[42:43], 1, v[8:9]
	flat_load_ushort v8, v[8:9]
	s_waitcnt vmcnt(0) lgkmcnt(0)
	v_mul_f16_e32 v12, s12, v8
.LBB265_124:
	v_pk_add_f16 v4, v32, v4
	v_pk_max_f16 v8, v111, v111
	v_pk_add_f16 v5, v33, v5
	v_pk_min_f16 v4, v8, v4
	s_and_b64 vcc, exec, s[0:1]
	v_pk_min_f16 v4, v4, v5
	s_nop 0
	v_lshrrev_b32_e32 v5, 16, v4
	v_min3_f16 v8, v12, v4, v5
	v_lshl_add_u64 v[4:5], v[42:43], 1, v[10:11]
	global_store_short v[4:5], v8, off
	v_add_u32_e32 v8, 0x70, v54
	v_mad_i64_i32 v[4:5], s[8:9], v8, s14, 0
	v_lshl_add_u64 v[4:5], v[4:5], 1, s[6:7]
	v_mov_b32_e32 v10, 0
	v_mov_b32_e32 v11, 0
	s_cbranch_vccnz .LBB265_126
; %bb.125:
	v_lshl_add_u64 v[12:13], v[36:37], 1, v[4:5]
	flat_load_ushort v9, v[12:13]
	s_waitcnt vmcnt(0) lgkmcnt(0)
	v_mul_f16_e32 v11, s12, v9
.LBB265_126:
	v_pk_add_f16 v9, v38, v6
	v_pk_max_f16 v12, v120, v120
	s_and_b64 vcc, exec, s[0:1]
	v_pk_min_f16 v9, v12, v9
	v_pk_add_f16 v12, v39, v7
	s_nop 0
	v_pk_min_f16 v12, v9, v12
	v_mad_i64_i32 v[8:9], s[8:9], v8, s15, 0
	v_lshl_add_u64 v[8:9], v[8:9], 1, s[2:3]
	v_lshrrev_b32_e32 v13, 16, v12
	v_min3_f16 v11, v11, v12, v13
	v_lshl_add_u64 v[12:13], v[36:37], 1, v[8:9]
	global_store_short v[12:13], v11, off
	s_cbranch_vccnz .LBB265_128
; %bb.127:
	v_lshl_add_u64 v[10:11], v[40:41], 1, v[4:5]
	flat_load_ushort v10, v[10:11]
	s_waitcnt vmcnt(0) lgkmcnt(0)
	v_mul_f16_e32 v10, s12, v10
.LBB265_128:
	v_pk_add_f16 v11, v0, v6
	v_pk_max_f16 v12, v119, v119
	s_and_b64 vcc, exec, s[0:1]
	v_pk_min_f16 v11, v12, v11
	v_pk_add_f16 v12, v1, v7
	s_nop 0
	v_pk_min_f16 v11, v11, v12
	s_nop 0
	v_lshrrev_b32_e32 v12, 16, v11
	v_min3_f16 v12, v10, v11, v12
	v_lshl_add_u64 v[10:11], v[40:41], 1, v[8:9]
	global_store_short v[10:11], v12, off
	v_mov_b32_e32 v10, 0
	v_mov_b32_e32 v11, 0
	s_cbranch_vccnz .LBB265_130
; %bb.129:
	v_lshl_add_u64 v[12:13], v[44:45], 1, v[4:5]
	flat_load_ushort v11, v[12:13]
	s_waitcnt vmcnt(0) lgkmcnt(0)
	v_mul_f16_e32 v11, s12, v11
.LBB265_130:
	v_pk_add_f16 v12, v2, v6
	v_pk_max_f16 v13, v118, v118
	s_and_b64 vcc, exec, s[0:1]
	v_pk_min_f16 v12, v13, v12
	v_pk_add_f16 v13, v3, v7
	s_nop 0
	v_pk_min_f16 v12, v12, v13
	s_nop 0
	v_lshrrev_b32_e32 v13, 16, v12
	v_min3_f16 v11, v11, v12, v13
	v_lshl_add_u64 v[12:13], v[44:45], 1, v[8:9]
	global_store_short v[12:13], v11, off
	s_cbranch_vccnz .LBB265_132
; %bb.131:
	v_lshl_add_u64 v[4:5], v[42:43], 1, v[4:5]
	flat_load_ushort v4, v[4:5]
	s_waitcnt vmcnt(0) lgkmcnt(0)
	v_mul_f16_e32 v10, s12, v4
.LBB265_132:
	v_pk_add_f16 v4, v32, v6
	v_pk_max_f16 v5, v117, v117
	s_and_b64 vcc, exec, s[0:1]
	v_pk_min_f16 v4, v5, v4
	v_pk_add_f16 v5, v33, v7
	s_nop 0
	v_pk_min_f16 v4, v4, v5
	s_nop 0
	v_lshrrev_b32_e32 v5, 16, v4
	v_min3_f16 v6, v10, v4, v5
	v_lshl_add_u64 v[4:5], v[42:43], 1, v[8:9]
	global_store_short v[4:5], v6, off
	v_add_u32_e32 v6, 0x78, v54
	v_mad_i64_i32 v[4:5], s[8:9], v6, s14, 0
	v_lshl_add_u64 v[4:5], v[4:5], 1, s[6:7]
	v_mov_b32_e32 v8, 0
	v_mov_b32_e32 v9, 0
	s_cbranch_vccnz .LBB265_134
; %bb.133:
	v_lshl_add_u64 v[10:11], v[36:37], 1, v[4:5]
	flat_load_ushort v7, v[10:11]
	s_waitcnt vmcnt(0) lgkmcnt(0)
	v_mul_f16_e32 v9, s12, v7
.LBB265_134:
	v_pk_add_f16 v7, v38, v34
	v_pk_max_f16 v10, v122, v122
	s_and_b64 vcc, exec, s[0:1]
	v_pk_min_f16 v7, v10, v7
	v_pk_add_f16 v10, v39, v35
	s_nop 0
	v_pk_min_f16 v10, v7, v10
	v_mad_i64_i32 v[6:7], s[6:7], v6, s15, 0
	v_lshl_add_u64 v[6:7], v[6:7], 1, s[2:3]
	v_lshrrev_b32_e32 v11, 16, v10
	v_min3_f16 v9, v9, v10, v11
	v_lshl_add_u64 v[10:11], v[36:37], 1, v[6:7]
	global_store_short v[10:11], v9, off
	s_cbranch_vccnz .LBB265_136
; %bb.135:
	v_lshl_add_u64 v[8:9], v[40:41], 1, v[4:5]
	flat_load_ushort v8, v[8:9]
	s_waitcnt vmcnt(0) lgkmcnt(0)
	v_mul_f16_e32 v8, s12, v8
.LBB265_136:
	v_pk_add_f16 v0, v0, v34
	v_pk_max_f16 v9, v121, v121
	v_pk_add_f16 v2, v2, v34
	v_pk_min_f16 v0, v9, v0
	v_pk_max_f16 v9, v123, v123
	v_pk_add_f16 v1, v1, v35
	v_pk_min_f16 v2, v9, v2
	v_pk_min_f16 v0, v0, v1
	v_pk_add_f16 v1, v3, v35
	s_mov_b64 vcc, s[4:5]
	v_pk_min_f16 v2, v2, v1
	v_lshrrev_b32_e32 v1, 16, v0
	v_min3_f16 v3, v8, v0, v1
	v_lshl_add_u64 v[0:1], v[40:41], 1, v[6:7]
	global_store_short v[0:1], v3, off
	v_min_f16_sdwa v0, v2, v2 dst_sel:DWORD dst_unused:UNUSED_PAD src0_sel:DWORD src1_sel:WORD_1
	v_max_f16_e32 v0, v0, v0
	s_cbranch_vccz .LBB265_139
; %bb.137:
	v_min_f16_e32 v1, 0, v0
	v_lshl_add_u64 v[2:3], v[44:45], 1, v[6:7]
	s_mov_b32 s2, 0
	global_store_short v[2:3], v1, off
	s_cbranch_execz .LBB265_140
; %bb.138:
	v_mov_b32_e32 v0, s2
	s_branch .LBB265_141
.LBB265_139:
                                        ; implicit-def: $sgpr2
.LBB265_140:
	v_lshlrev_b64 v[2:3], 1, v[44:45]
	v_lshl_add_u64 v[8:9], v[4:5], 0, v[2:3]
	flat_load_ushort v1, v[8:9]
	v_lshl_add_u64 v[2:3], v[6:7], 0, v[2:3]
	s_waitcnt vmcnt(0) lgkmcnt(0)
	v_mul_f16_e32 v1, s12, v1
	v_min_f16_e32 v0, v1, v0
	global_store_short v[2:3], v0, off
	v_lshl_add_u64 v[0:1], v[42:43], 1, v[4:5]
	flat_load_ushort v0, v[0:1]
	s_waitcnt vmcnt(0) lgkmcnt(0)
	v_mul_f16_e32 v0, s12, v0
.LBB265_141:
	v_pk_add_f16 v1, v32, v34
	v_pk_max_f16 v2, v124, v124
	s_nop 0
	v_pk_min_f16 v1, v2, v1
	v_pk_add_f16 v2, v33, v35
	s_nop 0
	v_pk_min_f16 v1, v1, v2
	s_nop 0
	v_lshrrev_b32_e32 v2, 16, v1
	v_min3_f16 v2, v0, v1, v2
	v_lshl_add_u64 v[0:1], v[42:43], 1, v[6:7]
	global_store_short v[0:1], v2, off
	s_endpgm
	.section	.rodata,"a",@progbits
	.p2align	6, 0x0
	.amdhsa_kernel _ZN12_GLOBAL__N_120geam_min_plus_kernelIDF16_Dv2_DF16_S1_Li32ELi8ELi128ELi128ELi4ELi4ELi64ELi4ELi64ELc84ELc78ELb1ELb0ELb1EDF16_KDF16_DF16_EEviiiT16_PT17_ilS5_ilS3_S5_ilPT18_ili26rocblas_geam_ex_operation_
		.amdhsa_group_segment_fixed_size 4096
		.amdhsa_private_segment_fixed_size 0
		.amdhsa_kernarg_size 128
		.amdhsa_user_sgpr_count 2
		.amdhsa_user_sgpr_dispatch_ptr 0
		.amdhsa_user_sgpr_queue_ptr 0
		.amdhsa_user_sgpr_kernarg_segment_ptr 1
		.amdhsa_user_sgpr_dispatch_id 0
		.amdhsa_user_sgpr_kernarg_preload_length 0
		.amdhsa_user_sgpr_kernarg_preload_offset 0
		.amdhsa_user_sgpr_private_segment_size 0
		.amdhsa_uses_dynamic_stack 0
		.amdhsa_enable_private_segment 0
		.amdhsa_system_sgpr_workgroup_id_x 1
		.amdhsa_system_sgpr_workgroup_id_y 0
		.amdhsa_system_sgpr_workgroup_id_z 1
		.amdhsa_system_sgpr_workgroup_info 0
		.amdhsa_system_vgpr_workitem_id 1
		.amdhsa_next_free_vgpr 137
		.amdhsa_next_free_sgpr 24
		.amdhsa_accum_offset 140
		.amdhsa_reserve_vcc 1
		.amdhsa_float_round_mode_32 0
		.amdhsa_float_round_mode_16_64 0
		.amdhsa_float_denorm_mode_32 3
		.amdhsa_float_denorm_mode_16_64 3
		.amdhsa_dx10_clamp 1
		.amdhsa_ieee_mode 1
		.amdhsa_fp16_overflow 0
		.amdhsa_tg_split 0
		.amdhsa_exception_fp_ieee_invalid_op 0
		.amdhsa_exception_fp_denorm_src 0
		.amdhsa_exception_fp_ieee_div_zero 0
		.amdhsa_exception_fp_ieee_overflow 0
		.amdhsa_exception_fp_ieee_underflow 0
		.amdhsa_exception_fp_ieee_inexact 0
		.amdhsa_exception_int_div_zero 0
	.end_amdhsa_kernel
	.section	.text._ZN12_GLOBAL__N_120geam_min_plus_kernelIDF16_Dv2_DF16_S1_Li32ELi8ELi128ELi128ELi4ELi4ELi64ELi4ELi64ELc84ELc78ELb1ELb0ELb1EDF16_KDF16_DF16_EEviiiT16_PT17_ilS5_ilS3_S5_ilPT18_ili26rocblas_geam_ex_operation_,"axG",@progbits,_ZN12_GLOBAL__N_120geam_min_plus_kernelIDF16_Dv2_DF16_S1_Li32ELi8ELi128ELi128ELi4ELi4ELi64ELi4ELi64ELc84ELc78ELb1ELb0ELb1EDF16_KDF16_DF16_EEviiiT16_PT17_ilS5_ilS3_S5_ilPT18_ili26rocblas_geam_ex_operation_,comdat
.Lfunc_end265:
	.size	_ZN12_GLOBAL__N_120geam_min_plus_kernelIDF16_Dv2_DF16_S1_Li32ELi8ELi128ELi128ELi4ELi4ELi64ELi4ELi64ELc84ELc78ELb1ELb0ELb1EDF16_KDF16_DF16_EEviiiT16_PT17_ilS5_ilS3_S5_ilPT18_ili26rocblas_geam_ex_operation_, .Lfunc_end265-_ZN12_GLOBAL__N_120geam_min_plus_kernelIDF16_Dv2_DF16_S1_Li32ELi8ELi128ELi128ELi4ELi4ELi64ELi4ELi64ELc84ELc78ELb1ELb0ELb1EDF16_KDF16_DF16_EEviiiT16_PT17_ilS5_ilS3_S5_ilPT18_ili26rocblas_geam_ex_operation_
                                        ; -- End function
	.section	.AMDGPU.csdata,"",@progbits
; Kernel info:
; codeLenInByte = 16760
; NumSgprs: 30
; NumVgprs: 137
; NumAgprs: 0
; TotalNumVgprs: 137
; ScratchSize: 0
; MemoryBound: 0
; FloatMode: 240
; IeeeMode: 1
; LDSByteSize: 4096 bytes/workgroup (compile time only)
; SGPRBlocks: 3
; VGPRBlocks: 17
; NumSGPRsForWavesPerEU: 30
; NumVGPRsForWavesPerEU: 137
; AccumOffset: 140
; Occupancy: 3
; WaveLimiterHint : 0
; COMPUTE_PGM_RSRC2:SCRATCH_EN: 0
; COMPUTE_PGM_RSRC2:USER_SGPR: 2
; COMPUTE_PGM_RSRC2:TRAP_HANDLER: 0
; COMPUTE_PGM_RSRC2:TGID_X_EN: 1
; COMPUTE_PGM_RSRC2:TGID_Y_EN: 0
; COMPUTE_PGM_RSRC2:TGID_Z_EN: 1
; COMPUTE_PGM_RSRC2:TIDIG_COMP_CNT: 1
; COMPUTE_PGM_RSRC3_GFX90A:ACCUM_OFFSET: 34
; COMPUTE_PGM_RSRC3_GFX90A:TG_SPLIT: 0
	.section	.text._ZN12_GLOBAL__N_120geam_min_plus_kernelIDF16_Dv2_DF16_S1_Li32ELi8ELi128ELi128ELi4ELi4ELi64ELi4ELi64ELc84ELc78ELb0ELb0ELb1EDF16_KDF16_DF16_EEviiiT16_PT17_ilS5_ilS3_S5_ilPT18_ili26rocblas_geam_ex_operation_,"axG",@progbits,_ZN12_GLOBAL__N_120geam_min_plus_kernelIDF16_Dv2_DF16_S1_Li32ELi8ELi128ELi128ELi4ELi4ELi64ELi4ELi64ELc84ELc78ELb0ELb0ELb1EDF16_KDF16_DF16_EEviiiT16_PT17_ilS5_ilS3_S5_ilPT18_ili26rocblas_geam_ex_operation_,comdat
	.globl	_ZN12_GLOBAL__N_120geam_min_plus_kernelIDF16_Dv2_DF16_S1_Li32ELi8ELi128ELi128ELi4ELi4ELi64ELi4ELi64ELc84ELc78ELb0ELb0ELb1EDF16_KDF16_DF16_EEviiiT16_PT17_ilS5_ilS3_S5_ilPT18_ili26rocblas_geam_ex_operation_ ; -- Begin function _ZN12_GLOBAL__N_120geam_min_plus_kernelIDF16_Dv2_DF16_S1_Li32ELi8ELi128ELi128ELi4ELi4ELi64ELi4ELi64ELc84ELc78ELb0ELb0ELb1EDF16_KDF16_DF16_EEviiiT16_PT17_ilS5_ilS3_S5_ilPT18_ili26rocblas_geam_ex_operation_
	.p2align	8
	.type	_ZN12_GLOBAL__N_120geam_min_plus_kernelIDF16_Dv2_DF16_S1_Li32ELi8ELi128ELi128ELi4ELi4ELi64ELi4ELi64ELc84ELc78ELb0ELb0ELb1EDF16_KDF16_DF16_EEviiiT16_PT17_ilS5_ilS3_S5_ilPT18_ili26rocblas_geam_ex_operation_,@function
_ZN12_GLOBAL__N_120geam_min_plus_kernelIDF16_Dv2_DF16_S1_Li32ELi8ELi128ELi128ELi4ELi4ELi64ELi4ELi64ELc84ELc78ELb0ELb0ELb1EDF16_KDF16_DF16_EEviiiT16_PT17_ilS5_ilS3_S5_ilPT18_ili26rocblas_geam_ex_operation_: ; @_ZN12_GLOBAL__N_120geam_min_plus_kernelIDF16_Dv2_DF16_S1_Li32ELi8ELi128ELi128ELi4ELi4ELi64ELi4ELi64ELc84ELc78ELb0ELb0ELb1EDF16_KDF16_DF16_EEviiiT16_PT17_ilS5_ilS3_S5_ilPT18_ili26rocblas_geam_ex_operation_
; %bb.0:
	s_load_dwordx2 s[18:19], s[0:1], 0x8
	s_load_dwordx4 s[4:7], s[0:1], 0x20
	s_waitcnt lgkmcnt(0)
	v_cmp_eq_f16_e64 s[8:9], s19, 0
	s_and_b64 vcc, exec, s[8:9]
	s_cbranch_vccnz .LBB266_3
; %bb.1:
	s_load_dwordx2 s[10:11], s[0:1], 0x10
	s_mul_i32 s5, s3, s5
	s_mul_hi_u32 s12, s3, s4
	s_add_i32 s5, s12, s5
	s_mul_i32 s4, s3, s4
	s_lshl_b64 s[4:5], s[4:5], 1
	s_waitcnt lgkmcnt(0)
	s_add_u32 s20, s10, s4
	s_addc_u32 s21, s11, s5
	s_andn2_b64 vcc, exec, s[8:9]
	s_cbranch_vccnz .LBB266_4
.LBB266_2:
	s_mov_b32 s17, 0
	s_mov_b64 s[22:23], 0
	s_cbranch_execz .LBB266_5
	s_branch .LBB266_6
.LBB266_3:
	s_mov_b64 s[20:21], 0
	s_andn2_b64 vcc, exec, s[8:9]
	s_cbranch_vccz .LBB266_2
.LBB266_4:
                                        ; implicit-def: $sgpr22_sgpr23
                                        ; implicit-def: $sgpr16_sgpr17
.LBB266_5:
	s_load_dwordx2 s[4:5], s[0:1], 0x38
	s_mov_b32 s17, 0
	s_waitcnt lgkmcnt(0)
	s_mul_i32 s5, s3, s5
	s_mul_hi_u32 s8, s3, s4
	s_add_i32 s5, s8, s5
	s_mul_i32 s4, s3, s4
	s_lshl_b64 s[4:5], s[4:5], 1
	s_add_u32 s22, s6, s4
	s_addc_u32 s23, s7, s5
.LBB266_6:
	s_load_dword s16, s[0:1], 0x40
	s_load_dwordx4 s[12:15], s[0:1], 0x58
	v_cmp_neq_f16_e64 s[6:7], s19, 0
	s_waitcnt lgkmcnt(0)
	v_cmp_eq_f16_e64 s[4:5], s16, 0
	s_and_b64 s[8:9], exec, s[4:5]
	s_mov_b64 vcc, s[8:9]
	s_cbranch_vccnz .LBB266_8
; %bb.7:
	s_load_dwordx2 s[4:5], s[0:1], 0x48
	s_mul_i32 s10, s3, s13
	s_mul_hi_u32 s11, s3, s12
	s_add_i32 s10, s11, s10
	s_mul_i32 s11, s17, s12
	s_add_i32 s11, s10, s11
	s_mul_i32 s10, s3, s12
	s_lshl_b64 s[10:11], s[10:11], 1
	s_waitcnt lgkmcnt(0)
	s_add_u32 s10, s4, s10
	s_addc_u32 s11, s5, s11
	s_branch .LBB266_9
.LBB266_8:
	s_mov_b64 s[10:11], 0
.LBB266_9:
	s_load_dword s4, s[0:1], 0x0
	s_load_dword s24, s[0:1], 0x18
	v_and_b32_e32 v76, 0x3ff, v0
	v_bfe_u32 v77, v0, 10, 10
	v_lshl_add_u32 v2, v77, 5, v76
	s_waitcnt lgkmcnt(0)
	s_add_i32 s4, s4, -1
	s_ashr_i32 s5, s4, 31
	s_lshr_b32 s5, s5, 25
	s_add_i32 s4, s4, s5
	s_ashr_i32 s12, s4, 7
	s_add_i32 s13, s12, 1
	v_cvt_f32_u32_e32 v1, s13
	s_not_b32 s12, s12
	v_and_b32_e32 v3, 3, v76
	v_lshlrev_b32_e32 v40, 1, v3
	v_rcp_iflag_f32_e32 v0, v1
	v_cndmask_b32_e64 v1, 0, 1, s[6:7]
	v_cmp_ne_u32_e64 s[4:5], 1, v1
	v_mul_f32_e32 v0, 0x4f7ffffe, v0
	v_cvt_u32_f32_e32 v4, v0
	v_lshrrev_b32_e32 v0, 2, v2
	v_readfirstlane_b32 s25, v4
	s_mul_i32 s12, s12, s25
	s_mul_hi_u32 s12, s25, s12
	s_add_i32 s25, s25, s12
	s_mul_hi_u32 s12, s2, s25
	s_mul_i32 s25, s12, s13
	s_sub_i32 s25, s2, s25
	s_add_i32 s26, s12, 1
	s_sub_i32 s27, s25, s13
	s_cmp_ge_u32 s25, s13
	s_cselect_b32 s12, s26, s12
	s_cselect_b32 s25, s27, s25
	s_add_i32 s26, s12, 1
	s_cmp_ge_u32 s25, s13
	s_cselect_b32 s12, s26, s12
	s_mul_i32 s13, s12, s13
	s_sub_i32 s2, s2, s13
	s_lshl_b32 s2, s2, 7
	v_add_u32_e32 v48, s2, v0
	s_andn2_b64 vcc, exec, s[6:7]
	v_add_u32_e32 v46, 64, v48
	s_cbranch_vccnz .LBB266_11
; %bb.10:
	v_mov_b32_e32 v41, 0
	v_lshl_add_u64 v[2:3], s[20:21], 0, v[40:41]
	v_mad_i64_i32 v[4:5], s[26:27], v48, s24, 0
	v_lshl_add_u64 v[4:5], v[4:5], 1, v[2:3]
	v_mad_i64_i32 v[6:7], s[26:27], v46, s24, 0
	v_lshl_add_u64 v[2:3], v[6:7], 1, v[2:3]
	flat_load_ushort v1, v[4:5]
	flat_load_ushort v6, v[2:3]
	s_waitcnt vmcnt(0) lgkmcnt(0)
	v_mul_f16_e32 v1, s19, v1
	v_mul_f16_e32 v2, s19, v6
	s_branch .LBB266_12
.LBB266_11:
	v_mov_b32_e32 v1, 0
	v_mov_b32_e32 v2, 0
.LBB266_12:
	s_load_dword s25, s[0:1], 0x30
	s_lshl_b32 s12, s12, 7
	v_add_u32_e32 v44, s12, v0
	s_and_b64 vcc, exec, s[4:5]
	v_add_u32_e32 v42, 64, v44
	s_cbranch_vccnz .LBB266_16
; %bb.13:
	v_mov_b32_e32 v41, 0
	v_lshl_add_u64 v[4:5], s[22:23], 0, v[40:41]
	s_waitcnt lgkmcnt(0)
	v_mad_i64_i32 v[6:7], s[26:27], v44, s25, 0
	v_lshl_add_u64 v[6:7], v[6:7], 1, v[4:5]
	v_mad_i64_i32 v[8:9], s[26:27], v42, s25, 0
	v_lshl_add_u64 v[4:5], v[8:9], 1, v[4:5]
	flat_load_ushort v3, v[6:7]
	flat_load_ushort v8, v[4:5]
	s_waitcnt vmcnt(0) lgkmcnt(0)
	v_mul_f16_e32 v3, s19, v3
	v_mul_f16_e32 v4, s19, v8
	s_and_b64 vcc, exec, s[4:5]
	s_cbranch_vccnz .LBB266_17
.LBB266_14:
	v_mov_b32_e32 v41, 0
	v_lshl_add_u64 v[6:7], s[20:21], 0, v[40:41]
	v_mad_i64_i32 v[8:9], s[26:27], v48, s24, 0
	v_lshl_add_u64 v[8:9], v[8:9], 1, v[6:7]
	v_mad_i64_i32 v[10:11], s[26:27], v46, s24, 0
	v_lshl_add_u64 v[6:7], v[10:11], 1, v[6:7]
	flat_load_ushort v5, v[8:9] offset:8
	flat_load_ushort v10, v[6:7] offset:8
	s_waitcnt vmcnt(0) lgkmcnt(0)
	v_mul_f16_e32 v43, s19, v5
	v_mul_f16_e32 v45, s19, v10
	v_mov_b32_e32 v41, 0
	s_and_b64 vcc, exec, s[4:5]
	s_cbranch_vccnz .LBB266_18
.LBB266_15:
	v_lshl_add_u64 v[6:7], s[22:23], 0, v[40:41]
	s_waitcnt lgkmcnt(0)
	v_mad_i64_i32 v[8:9], s[26:27], v44, s25, 0
	v_lshl_add_u64 v[8:9], v[8:9], 1, v[6:7]
	v_mad_i64_i32 v[10:11], s[26:27], v42, s25, 0
	v_lshl_add_u64 v[6:7], v[10:11], 1, v[6:7]
	flat_load_ushort v5, v[8:9] offset:8
	flat_load_ushort v10, v[6:7] offset:8
	s_waitcnt vmcnt(0) lgkmcnt(0)
	v_mul_f16_e32 v41, s19, v5
	v_mul_f16_e32 v47, s19, v10
	s_branch .LBB266_19
.LBB266_16:
	v_mov_b32_e32 v3, 0
	v_mov_b32_e32 v4, 0
	s_and_b64 vcc, exec, s[4:5]
	s_cbranch_vccz .LBB266_14
.LBB266_17:
	v_mov_b32_e32 v43, 0
	v_mov_b32_e32 v45, 0
	;; [unrolled: 1-line block ×3, first 2 shown]
	s_and_b64 vcc, exec, s[4:5]
	s_cbranch_vccz .LBB266_15
.LBB266_18:
	v_mov_b32_e32 v47, 0
.LBB266_19:
	v_lshl_or_b32 v98, v0, 3, v40
	v_lshlrev_b32_e32 v86, 3, v76
	ds_write_b16 v98, v1
	ds_write_b16 v98, v2 offset:512
	ds_write_b16 v98, v3 offset:2048
	;; [unrolled: 1-line block ×3, first 2 shown]
	s_waitcnt lgkmcnt(0)
	s_barrier
	ds_read2_b64 v[4:7], v86 offset1:32
	ds_read2_b64 v[0:3], v86 offset0:64 offset1:96
	v_lshlrev_b32_e32 v84, 3, v77
	v_add_u32_e32 v100, 0x800, v84
	ds_read2_b64 v[36:39], v100 offset1:8
	ds_read2_b64 v[32:35], v100 offset0:16 offset1:24
	ds_read2_b64 v[28:31], v100 offset0:32 offset1:40
	;; [unrolled: 1-line block ×7, first 2 shown]
	s_movk_i32 s13, 0x7c00
	s_waitcnt lgkmcnt(7)
	v_pk_add_f16 v49, v4, v36
	s_waitcnt lgkmcnt(2)
	v_pk_add_f16 v83, v0, v16
	v_pk_min_f16 v49, v49, s13 op_sel_hi:[1,0]
	v_pk_min_f16 v128, v83, s13 op_sel_hi:[1,0]
	v_pk_add_f16 v83, v4, v18
	v_pk_add_f16 v50, v6, v36
	v_pk_min_f16 v129, v83, s13 op_sel_hi:[1,0]
	v_pk_add_f16 v83, v6, v18
	v_pk_add_f16 v51, v0, v36
	;; [unrolled: 3-line block ×3, first 2 shown]
	v_pk_min_f16 v131, v83, s13 op_sel_hi:[1,0]
	s_waitcnt lgkmcnt(1)
	v_pk_add_f16 v83, v4, v12
	v_pk_add_f16 v52, v4, v38
	v_pk_min_f16 v132, v83, s13 op_sel_hi:[1,0]
	v_pk_add_f16 v83, v6, v12
	v_pk_add_f16 v53, v6, v38
	v_pk_min_f16 v133, v83, s13 op_sel_hi:[1,0]
	;; [unrolled: 3-line block ×6, first 2 shown]
	s_waitcnt lgkmcnt(0)
	v_pk_add_f16 v83, v4, v8
	v_pk_add_f16 v57, v0, v32
	v_pk_min_f16 v138, v83, s13 op_sel_hi:[1,0]
	v_pk_add_f16 v83, v6, v8
	v_pk_add_f16 v32, v2, v32
	;; [unrolled: 1-line block ×36, first 2 shown]
	v_pk_min_f16 v139, v83, s13 op_sel_hi:[1,0]
	v_pk_add_f16 v83, v0, v8
	v_pk_add_f16 v8, v2, v8
	;; [unrolled: 1-line block ×7, first 2 shown]
	v_pk_min_f16 v50, v50, s13 op_sel_hi:[1,0]
	v_pk_min_f16 v127, v49, v10
	v_pk_add_f16 v10, v7, v37
	v_pk_min_f16 v51, v51, s13 op_sel_hi:[1,0]
	v_pk_min_f16 v126, v50, v10
	v_pk_add_f16 v10, v1, v37
	;; [unrolled: 3-line block ×40, first 2 shown]
	v_pk_min_f16 v82, v82, s13 op_sel_hi:[1,0]
	v_pk_min_f16 v140, v83, s13 op_sel_hi:[1,0]
	v_pk_min_f16 v83, v81, v10
	v_pk_add_f16 v10, v7, v17
	v_pk_min_f16 v16, v16, s13 op_sel_hi:[1,0]
	v_pk_min_f16 v82, v82, v10
	v_pk_add_f16 v10, v1, v17
	;; [unrolled: 3-line block ×10, first 2 shown]
	s_cmp_lt_i32 s18, 9
	v_pk_min_f16 v71, v134, v10
	v_pk_add_f16 v10, v3, v13
	ds_write_b16 v98, v43 offset:1024
	ds_write_b16 v98, v45 offset:1536
	;; [unrolled: 1-line block ×4, first 2 shown]
	v_pk_min_f16 v70, v12, v10
	v_pk_add_f16 v10, v5, v15
	s_waitcnt lgkmcnt(0)
	v_pk_min_f16 v69, v135, v10
	v_pk_add_f16 v10, v7, v15
	s_barrier
	v_pk_min_f16 v68, v136, v10
	v_pk_add_f16 v10, v1, v15
	s_nop 0
	v_pk_min_f16 v67, v137, v10
	v_pk_add_f16 v10, v3, v15
	s_nop 0
	v_pk_min_f16 v66, v14, v10
	v_pk_add_f16 v10, v5, v9
	v_pk_add_f16 v5, v5, v11
	v_pk_min_f16 v65, v138, v10
	v_pk_add_f16 v10, v7, v9
	v_pk_min_f16 v60, v4, v5
	v_pk_min_f16 v64, v139, v10
	v_pk_add_f16 v10, v1, v9
	v_pk_add_f16 v1, v1, v11
	;; [unrolled: 1-line block ×4, first 2 shown]
	v_pk_min_f16 v59, v0, v1
	v_pk_add_f16 v0, v3, v11
	v_pk_min_f16 v62, v140, v10
	v_pk_min_f16 v61, v8, v9
	;; [unrolled: 1-line block ×4, first 2 shown]
	s_cbranch_scc1 .LBB266_33
; %bb.20:
	v_mov_b32_e32 v0, 0x400
	v_lshl_add_u32 v131, v76, 3, v0
	v_mov_b32_e32 v0, 0xc00
	v_lshl_add_u32 v132, v77, 3, v0
	v_mad_i64_i32 v[0:1], s[26:27], s25, v42, 0
	v_lshl_add_u64 v[42:43], v[0:1], 1, s[22:23]
	v_mad_i64_i32 v[0:1], s[26:27], s25, v44, 0
	v_lshl_add_u64 v[44:45], v[0:1], 1, s[22:23]
	;; [unrolled: 2-line block ×3, first 2 shown]
	v_mad_i64_i32 v[0:1], s[22:23], s24, v48, 0
	v_add_u32_e32 v128, 0x800, v98
	v_add_u32_e32 v129, 0x400, v98
	;; [unrolled: 1-line block ×3, first 2 shown]
	s_add_i32 s13, s18, -8
	v_mov_b32_e32 v41, 0
	v_lshl_add_u64 v[48:49], v[0:1], 1, s[20:21]
	s_mov_b32 s18, 0
	s_and_b64 s[6:7], exec, s[6:7]
	s_branch .LBB266_23
.LBB266_21:                             ;   in Loop: Header=BB266_23 Depth=1
	flat_load_ushort v0, v[50:51] offset:24
	flat_load_ushort v1, v[52:53] offset:24
	s_waitcnt vmcnt(0) lgkmcnt(0)
	v_mul_f16_e32 v32, s19, v0
	v_mul_f16_e32 v33, s19, v1
.LBB266_22:                             ;   in Loop: Header=BB266_23 Depth=1
	ds_read2_b64 v[4:7], v86 offset1:32
	ds_read2_b64 v[0:3], v86 offset0:64 offset1:96
	ds_read2_b64 v[50:53], v100 offset1:8
	ds_read2_b64 v[134:137], v100 offset0:16 offset1:24
	ds_read2_b64 v[28:31], v100 offset0:32 offset1:40
	;; [unrolled: 1-line block ×7, first 2 shown]
	s_waitcnt lgkmcnt(7)
	v_pk_add_f16 v120, v4, v50
	v_pk_max_f16 v119, v119, v119
	v_pk_max_f16 v118, v118, v118
	v_pk_min_f16 v119, v119, v120
	v_pk_add_f16 v120, v6, v50
	v_pk_max_f16 v116, v116, v116
	v_pk_min_f16 v118, v118, v120
	v_pk_add_f16 v120, v0, v50
	v_pk_add_f16 v50, v2, v50
	v_pk_max_f16 v115, v115, v115
	v_pk_min_f16 v50, v116, v50
	v_pk_add_f16 v116, v4, v52
	v_pk_max_f16 v114, v114, v114
	v_pk_min_f16 v115, v115, v116
	;; [unrolled: 3-line block ×3, first 2 shown]
	v_pk_add_f16 v116, v0, v52
	v_pk_add_f16 v52, v2, v52
	v_pk_max_f16 v111, v111, v111
	v_pk_min_f16 v52, v112, v52
	s_waitcnt lgkmcnt(6)
	v_pk_add_f16 v112, v4, v134
	v_pk_max_f16 v110, v110, v110
	v_pk_min_f16 v111, v111, v112
	v_pk_add_f16 v112, v6, v134
	v_pk_max_f16 v109, v109, v109
	v_pk_min_f16 v110, v110, v112
	;; [unrolled: 3-line block ×8, first 2 shown]
	s_waitcnt lgkmcnt(5)
	v_pk_add_f16 v112, v4, v28
	v_pk_max_f16 v102, v102, v102
	v_pk_min_f16 v103, v103, v112
	v_pk_add_f16 v112, v6, v28
	v_pk_max_f16 v99, v99, v99
	v_pk_min_f16 v102, v102, v112
	v_pk_add_f16 v112, v0, v28
	v_pk_add_f16 v28, v2, v28
	v_pk_max_f16 v97, v97, v97
	v_pk_min_f16 v28, v99, v28
	v_pk_add_f16 v99, v4, v30
	v_pk_max_f16 v96, v96, v96
	v_pk_min_f16 v97, v97, v99
	v_pk_add_f16 v99, v6, v30
	v_pk_max_f16 v94, v94, v94
	v_pk_min_f16 v96, v96, v99
	v_pk_add_f16 v99, v0, v30
	v_pk_add_f16 v30, v2, v30
	v_pk_max_f16 v93, v93, v93
	v_pk_min_f16 v30, v94, v30
	s_waitcnt lgkmcnt(4)
	v_pk_add_f16 v94, v4, v24
	v_pk_max_f16 v92, v92, v92
	v_pk_min_f16 v93, v93, v94
	v_pk_add_f16 v94, v6, v24
	v_pk_max_f16 v90, v90, v90
	v_pk_min_f16 v92, v92, v94
	v_pk_add_f16 v94, v0, v24
	v_pk_add_f16 v24, v2, v24
	v_pk_max_f16 v89, v89, v89
	v_pk_min_f16 v24, v90, v24
	v_pk_add_f16 v90, v4, v26
	v_pk_max_f16 v88, v88, v88
	v_pk_min_f16 v89, v89, v90
	v_pk_add_f16 v90, v6, v26
	v_pk_max_f16 v85, v85, v85
	v_pk_min_f16 v88, v88, v90
	v_pk_add_f16 v90, v0, v26
	v_pk_add_f16 v26, v2, v26
	v_pk_max_f16 v83, v83, v83
	v_pk_min_f16 v26, v85, v26
	;; [unrolled: 21-line block ×5, first 2 shown]
	s_waitcnt lgkmcnt(0)
	v_pk_add_f16 v58, v4, v8
	v_pk_max_f16 v56, v56, v56
	v_pk_min_f16 v57, v57, v58
	v_pk_add_f16 v58, v6, v8
	v_pk_add_f16 v4, v4, v10
	v_pk_min_f16 v56, v56, v58
	v_pk_add_f16 v58, v0, v8
	v_pk_add_f16 v8, v2, v8
	v_pk_add_f16 v6, v6, v10
	v_pk_add_f16 v0, v0, v10
	v_pk_add_f16 v2, v2, v10
	v_pk_max_f16 v10, v36, v36
	v_pk_max_f16 v117, v117, v117
	v_pk_min_f16 v2, v10, v2
	v_pk_add_f16 v10, v5, v51
	v_pk_min_f16 v117, v117, v120
	v_pk_min_f16 v127, v119, v10
	v_pk_add_f16 v10, v7, v51
	v_pk_max_f16 v113, v113, v113
	v_pk_min_f16 v126, v118, v10
	v_pk_add_f16 v10, v1, v51
	v_pk_min_f16 v113, v113, v116
	v_pk_min_f16 v125, v117, v10
	v_pk_add_f16 v10, v3, v51
	;; [unrolled: 6-line block ×12, first 2 shown]
	v_pk_max_f16 v37, v37, v37
	v_pk_min_f16 v104, v30, v10
	v_pk_add_f16 v10, v5, v25
	v_pk_max_f16 v34, v34, v34
	v_pk_min_f16 v103, v93, v10
	v_pk_add_f16 v10, v7, v25
	;; [unrolled: 3-line block ×4, first 2 shown]
	v_pk_min_f16 v4, v37, v4
	v_pk_min_f16 v99, v24, v10
	v_pk_add_f16 v10, v5, v27
	v_pk_max_f16 v35, v35, v35
	v_pk_min_f16 v97, v89, v10
	v_pk_add_f16 v10, v7, v27
	v_pk_min_f16 v0, v34, v0
	v_pk_min_f16 v96, v88, v10
	v_pk_add_f16 v10, v1, v27
	v_pk_min_f16 v39, v39, v58
	v_pk_min_f16 v95, v87, v10
	v_pk_add_f16 v10, v3, v27
	v_pk_min_f16 v8, v38, v8
	v_pk_min_f16 v94, v26, v10
	v_pk_add_f16 v10, v5, v21
	v_pk_min_f16 v6, v35, v6
	v_pk_min_f16 v93, v83, v10
	v_pk_add_f16 v10, v7, v21
	s_add_i32 s18, s18, 8
	v_pk_min_f16 v92, v82, v10
	v_pk_add_f16 v10, v1, v21
	v_lshl_add_u64 v[42:43], v[42:43], 0, 16
	v_pk_min_f16 v91, v81, v10
	v_pk_add_f16 v10, v3, v21
	v_lshl_add_u64 v[44:45], v[44:45], 0, 16
	;; [unrolled: 3-line block ×3, first 2 shown]
	v_pk_min_f16 v89, v79, v10
	v_pk_add_f16 v10, v7, v23
	s_cmp_ge_i32 s18, s13
	v_pk_min_f16 v88, v78, v10
	v_pk_add_f16 v10, v1, v23
	v_lshl_add_u64 v[48:49], v[48:49], 0, 16
	v_pk_min_f16 v87, v75, v10
	v_pk_add_f16 v10, v3, v23
	ds_write_b16 v129, v54
	ds_write_b16 v129, v55 offset:512
	ds_write_b16 v130, v32
	ds_write_b16 v130, v33 offset:512
	v_pk_min_f16 v85, v22, v10
	v_pk_add_f16 v10, v5, v17
	s_waitcnt lgkmcnt(0)
	v_pk_min_f16 v83, v73, v10
	v_pk_add_f16 v10, v7, v17
	s_barrier
	v_pk_min_f16 v82, v72, v10
	v_pk_add_f16 v10, v1, v17
	s_nop 0
	v_pk_min_f16 v81, v71, v10
	v_pk_add_f16 v10, v3, v17
	s_nop 0
	;; [unrolled: 3-line block ×14, first 2 shown]
	v_pk_min_f16 v66, v14, v10
	v_pk_add_f16 v10, v5, v9
	v_pk_add_f16 v5, v5, v11
	v_pk_min_f16 v65, v57, v10
	v_pk_add_f16 v10, v7, v9
	v_pk_min_f16 v60, v4, v5
	v_pk_min_f16 v64, v56, v10
	v_pk_add_f16 v10, v1, v9
	v_pk_add_f16 v1, v1, v11
	;; [unrolled: 1-line block ×4, first 2 shown]
	v_pk_min_f16 v59, v0, v1
	v_pk_add_f16 v0, v3, v11
	v_pk_min_f16 v62, v39, v10
	v_pk_min_f16 v61, v8, v9
	;; [unrolled: 1-line block ×4, first 2 shown]
	s_cbranch_scc1 .LBB266_33
.LBB266_23:                             ; =>This Inner Loop Header: Depth=1
	s_and_b64 vcc, exec, s[4:5]
	v_lshl_add_u64 v[56:57], v[48:49], 0, v[40:41]
	v_lshl_add_u64 v[54:55], v[46:47], 0, v[40:41]
	s_cbranch_vccnz .LBB266_26
; %bb.24:                               ;   in Loop: Header=BB266_23 Depth=1
	flat_load_ushort v0, v[56:57] offset:16
	flat_load_ushort v1, v[54:55] offset:16
	s_waitcnt vmcnt(0) lgkmcnt(0)
	v_mul_f16_e32 v133, s19, v0
	v_mul_f16_e32 v134, s19, v1
	s_and_b64 vcc, exec, s[4:5]
	v_lshl_add_u64 v[50:51], v[44:45], 0, v[40:41]
	v_lshl_add_u64 v[52:53], v[42:43], 0, v[40:41]
	s_cbranch_vccnz .LBB266_27
.LBB266_25:                             ;   in Loop: Header=BB266_23 Depth=1
	flat_load_ushort v0, v[50:51] offset:16
	flat_load_ushort v1, v[52:53] offset:16
	s_waitcnt vmcnt(0) lgkmcnt(0)
	v_mul_f16_e32 v135, s19, v0
	v_mul_f16_e32 v136, s19, v1
	s_branch .LBB266_28
.LBB266_26:                             ;   in Loop: Header=BB266_23 Depth=1
	v_mov_b32_e32 v133, 0
	v_mov_b32_e32 v134, 0
	s_and_b64 vcc, exec, s[4:5]
	v_lshl_add_u64 v[50:51], v[44:45], 0, v[40:41]
	v_lshl_add_u64 v[52:53], v[42:43], 0, v[40:41]
	s_cbranch_vccz .LBB266_25
.LBB266_27:                             ;   in Loop: Header=BB266_23 Depth=1
	v_mov_b32_e32 v135, 0
	v_mov_b32_e32 v136, 0
.LBB266_28:                             ;   in Loop: Header=BB266_23 Depth=1
	ds_read2_b64 v[4:7], v131 offset1:32
	ds_read2_b64 v[0:3], v131 offset0:64 offset1:96
	ds_read2_b64 v[36:39], v132 offset1:8
	ds_read2_b64 v[32:35], v132 offset0:16 offset1:24
	ds_read2_b64 v[28:31], v132 offset0:32 offset1:40
	ds_read2_b64 v[24:27], v132 offset0:48 offset1:56
	ds_read2_b64 v[20:23], v132 offset0:64 offset1:72
	ds_read2_b64 v[16:19], v132 offset0:80 offset1:88
	ds_read2_b64 v[12:15], v132 offset0:96 offset1:104
	ds_read2_b64 v[8:11], v132 offset0:112 offset1:120
	s_mov_b64 vcc, s[6:7]
	ds_write_b16 v98, v133
	ds_write_b16 v98, v134 offset:512
	ds_write_b16 v128, v135
	ds_write_b16 v128, v136 offset:512
	s_waitcnt lgkmcnt(0)
	s_barrier
	s_cbranch_vccz .LBB266_30
; %bb.29:                               ;   in Loop: Header=BB266_23 Depth=1
	flat_load_ushort v56, v[56:57] offset:24
	s_nop 0
	flat_load_ushort v55, v[54:55] offset:24
	s_waitcnt vmcnt(0) lgkmcnt(0)
	v_mul_f16_e32 v54, s19, v56
	v_mul_f16_e32 v55, s19, v55
	s_branch .LBB266_31
.LBB266_30:                             ;   in Loop: Header=BB266_23 Depth=1
	v_mov_b32_e32 v54, 0
	v_mov_b32_e32 v55, 0
.LBB266_31:                             ;   in Loop: Header=BB266_23 Depth=1
	v_pk_add_f16 v56, v4, v36
	v_pk_max_f16 v57, v127, v127
	v_pk_max_f16 v126, v126, v126
	v_pk_min_f16 v56, v57, v56
	v_pk_add_f16 v57, v6, v36
	v_pk_max_f16 v124, v124, v124
	v_pk_min_f16 v57, v126, v57
	v_pk_add_f16 v126, v0, v36
	v_pk_add_f16 v36, v2, v36
	v_pk_max_f16 v123, v123, v123
	v_pk_min_f16 v36, v124, v36
	v_pk_add_f16 v124, v4, v38
	v_pk_max_f16 v122, v122, v122
	v_pk_min_f16 v123, v123, v124
	;; [unrolled: 3-line block ×3, first 2 shown]
	v_pk_add_f16 v124, v0, v38
	v_pk_add_f16 v38, v2, v38
	v_pk_max_f16 v119, v119, v119
	v_pk_min_f16 v38, v120, v38
	v_pk_add_f16 v120, v4, v32
	v_pk_max_f16 v121, v121, v121
	v_pk_min_f16 v120, v119, v120
	;; [unrolled: 3-line block ×3, first 2 shown]
	v_pk_min_f16 v124, v118, v119
	v_pk_add_f16 v118, v0, v32
	v_pk_add_f16 v32, v2, v32
	v_pk_max_f16 v116, v116, v116
	v_pk_max_f16 v115, v115, v115
	v_pk_min_f16 v32, v116, v32
	v_pk_add_f16 v116, v4, v34
	v_pk_max_f16 v114, v114, v114
	v_pk_min_f16 v127, v115, v116
	v_pk_add_f16 v115, v6, v34
	v_pk_max_f16 v112, v112, v112
	v_pk_min_f16 v133, v114, v115
	v_pk_add_f16 v114, v0, v34
	v_pk_add_f16 v34, v2, v34
	v_pk_max_f16 v111, v111, v111
	v_pk_min_f16 v34, v112, v34
	v_pk_add_f16 v112, v4, v28
	v_pk_max_f16 v110, v110, v110
	v_pk_min_f16 v135, v111, v112
	v_pk_add_f16 v111, v6, v28
	v_pk_max_f16 v108, v108, v108
	v_pk_min_f16 v136, v110, v111
	v_pk_add_f16 v110, v0, v28
	v_pk_add_f16 v28, v2, v28
	;; [unrolled: 10-line block ×11, first 2 shown]
	v_pk_max_f16 v65, v65, v65
	v_pk_min_f16 v14, v66, v14
	v_pk_add_f16 v66, v4, v8
	v_pk_max_f16 v64, v64, v64
	v_pk_min_f16 v165, v65, v66
	v_pk_add_f16 v65, v6, v8
	v_pk_add_f16 v4, v4, v10
	v_pk_min_f16 v166, v64, v65
	v_pk_add_f16 v64, v0, v8
	v_pk_add_f16 v8, v2, v8
	;; [unrolled: 1-line block ×5, first 2 shown]
	v_pk_max_f16 v10, v63, v63
	v_pk_max_f16 v125, v125, v125
	v_pk_min_f16 v2, v10, v2
	v_pk_add_f16 v10, v5, v37
	v_pk_max_f16 v117, v117, v117
	v_pk_min_f16 v119, v56, v10
	v_pk_add_f16 v10, v7, v37
	v_pk_min_f16 v125, v125, v126
	v_pk_min_f16 v126, v117, v118
	v_pk_min_f16 v118, v57, v10
	v_pk_add_f16 v10, v1, v37
	v_pk_max_f16 v113, v113, v113
	v_pk_min_f16 v117, v125, v10
	v_pk_add_f16 v10, v3, v37
	v_pk_min_f16 v134, v113, v114
	v_pk_min_f16 v116, v36, v10
	v_pk_add_f16 v10, v5, v39
	v_pk_max_f16 v109, v109, v109
	v_pk_min_f16 v115, v123, v10
	v_pk_add_f16 v10, v7, v39
	v_pk_min_f16 v137, v109, v110
	v_pk_min_f16 v114, v122, v10
	;; [unrolled: 6-line block ×16, first 2 shown]
	v_pk_add_f16 v10, v1, v21
	s_and_b64 vcc, exec, s[4:5]
	v_pk_min_f16 v81, v149, v10
	v_pk_add_f16 v10, v3, v21
	s_nop 0
	v_pk_min_f16 v80, v20, v10
	v_pk_add_f16 v10, v5, v23
	s_nop 0
	;; [unrolled: 3-line block ×21, first 2 shown]
	v_pk_min_f16 v58, v14, v10
	v_pk_add_f16 v10, v5, v9
	v_pk_add_f16 v5, v5, v11
	v_pk_min_f16 v57, v165, v10
	v_pk_add_f16 v10, v7, v9
	v_pk_min_f16 v37, v4, v5
	v_pk_min_f16 v56, v166, v10
	v_pk_add_f16 v10, v1, v9
	v_pk_add_f16 v1, v1, v11
	;; [unrolled: 1-line block ×4, first 2 shown]
	v_pk_min_f16 v34, v0, v1
	v_pk_add_f16 v0, v3, v11
	v_pk_min_f16 v39, v167, v10
	v_pk_min_f16 v38, v8, v9
	;; [unrolled: 1-line block ×4, first 2 shown]
	s_cbranch_vccz .LBB266_21
; %bb.32:                               ;   in Loop: Header=BB266_23 Depth=1
	v_mov_b32_e32 v32, 0
	v_mov_b32_e32 v33, 0
	s_branch .LBB266_22
.LBB266_33:
	s_load_dword s6, s[0:1], 0x50
	ds_read_b64 v[38:39], v86 offset:1024
	ds_read_b64 v[46:47], v84 offset:3072
	v_add_u32_e32 v52, s12, v77
	v_cmp_neq_f16_e64 s[4:5], s16, 0
	v_add_u32_e32 v36, s2, v76
	s_waitcnt lgkmcnt(0)
	v_mad_i64_i32 v[0:1], s[12:13], v52, s6, 0
	v_ashrrev_i32_e32 v37, 31, v36
	v_lshl_add_u64 v[48:49], v[0:1], 1, s[10:11]
	s_and_b64 vcc, exec, s[4:5]
	v_mov_b32_e32 v42, 0
	v_mov_b32_e32 v43, 0
	s_cbranch_vccz .LBB266_35
; %bb.34:
	v_lshl_add_u64 v[0:1], v[36:37], 1, v[48:49]
	flat_load_ushort v0, v[0:1]
	s_waitcnt vmcnt(0) lgkmcnt(0)
	v_mul_f16_e32 v43, s16, v0
.LBB266_35:
	v_add_u32_e32 v4, 0x800, v84
	ds_read2_b64 v[0:3], v86 offset0:160 offset1:192
	ds_read_b64 v[32:33], v86 offset:1792
	ds_read2_b64 v[28:31], v4 offset0:136 offset1:144
	ds_read2_b64 v[24:27], v4 offset0:152 offset1:160
	;; [unrolled: 1-line block ×4, first 2 shown]
	s_load_dword s7, s[0:1], 0x68
	s_load_dwordx2 s[12:13], s[0:1], 0x70
	ds_read2_b64 v[12:15], v4 offset0:200 offset1:208
	ds_read2_b64 v[8:11], v4 offset0:216 offset1:224
	;; [unrolled: 1-line block ×3, first 2 shown]
	ds_read_b64 v[34:35], v84 offset:4032
	v_pk_add_f16 v40, v38, v46
	v_pk_max_f16 v41, v127, v127
	s_waitcnt lgkmcnt(0)
	s_mul_i32 s0, s3, s13
	s_mul_hi_u32 s1, s3, s12
	s_add_i32 s0, s1, s0
	s_mul_i32 s1, s17, s12
	s_add_i32 s1, s0, s1
	s_mul_i32 s0, s3, s12
	s_lshl_b64 s[0:1], s[0:1], 1
	s_add_u32 s2, s14, s0
	v_pk_min_f16 v40, v41, v40
	v_pk_add_f16 v41, v39, v47
	s_addc_u32 s3, s15, s1
	v_pk_min_f16 v53, v40, v41
	v_mad_i64_i32 v[44:45], s[0:1], v52, s7, 0
	v_lshl_add_u64 v[50:51], v[44:45], 1, s[2:3]
	v_lshrrev_b32_e32 v44, 16, v53
	v_add_u32_e32 v40, 32, v36
	v_min3_f16 v43, v43, v53, v44
	v_cndmask_b32_e64 v53, 0, 1, s[4:5]
	v_ashrrev_i32_e32 v41, 31, v40
	v_lshl_add_u64 v[44:45], v[36:37], 1, v[50:51]
	v_cmp_ne_u32_e64 s[0:1], 1, v53
	s_andn2_b64 vcc, exec, s[4:5]
	global_store_short v[44:45], v43, off
	s_cbranch_vccnz .LBB266_37
; %bb.36:
	v_lshl_add_u64 v[42:43], v[40:41], 1, v[48:49]
	flat_load_ushort v42, v[42:43]
	s_waitcnt vmcnt(0) lgkmcnt(0)
	v_mul_f16_e32 v42, s16, v42
.LBB266_37:
	v_pk_add_f16 v43, v0, v46
	v_pk_max_f16 v44, v126, v126
	s_and_b64 vcc, exec, s[0:1]
	v_pk_min_f16 v43, v44, v43
	v_pk_add_f16 v44, v1, v47
	v_mov_b32_e32 v54, 0
	v_pk_min_f16 v43, v43, v44
	v_add_u32_e32 v44, 64, v36
	v_lshrrev_b32_e32 v53, 16, v43
	v_min3_f16 v53, v42, v43, v53
	v_lshl_add_u64 v[42:43], v[40:41], 1, v[50:51]
	v_ashrrev_i32_e32 v45, 31, v44
	global_store_short v[42:43], v53, off
	v_mov_b32_e32 v53, 0
	s_cbranch_vccnz .LBB266_39
; %bb.38:
	v_lshl_add_u64 v[42:43], v[44:45], 1, v[48:49]
	flat_load_ushort v42, v[42:43]
	s_waitcnt vmcnt(0) lgkmcnt(0)
	v_mul_f16_e32 v54, s16, v42
.LBB266_39:
	v_pk_add_f16 v42, v2, v46
	v_pk_max_f16 v43, v125, v125
	s_and_b64 vcc, exec, s[0:1]
	v_pk_min_f16 v42, v43, v42
	v_pk_add_f16 v43, v3, v47
	s_nop 0
	v_pk_min_f16 v55, v42, v43
	v_add_u32_e32 v42, 0x60, v36
	v_lshrrev_b32_e32 v56, 16, v55
	v_ashrrev_i32_e32 v43, 31, v42
	v_min3_f16 v56, v54, v55, v56
	v_lshl_add_u64 v[54:55], v[44:45], 1, v[50:51]
	global_store_short v[54:55], v56, off
	s_cbranch_vccnz .LBB266_41
; %bb.40:
	v_lshl_add_u64 v[48:49], v[42:43], 1, v[48:49]
	flat_load_ushort v48, v[48:49]
	s_waitcnt vmcnt(0) lgkmcnt(0)
	v_mul_f16_e32 v53, s16, v48
.LBB266_41:
	v_pk_add_f16 v46, v32, v46
	v_pk_max_f16 v48, v124, v124
	v_pk_add_f16 v47, v33, v47
	v_pk_min_f16 v46, v48, v46
	s_and_b64 vcc, exec, s[0:1]
	v_pk_min_f16 v46, v46, v47
	s_nop 0
	v_lshrrev_b32_e32 v47, 16, v46
	v_min3_f16 v48, v53, v46, v47
	v_lshl_add_u64 v[46:47], v[42:43], 1, v[50:51]
	global_store_short v[46:47], v48, off
	v_add_u32_e32 v48, 8, v52
	v_mad_i64_i32 v[46:47], s[4:5], v48, s6, 0
	v_lshl_add_u64 v[46:47], v[46:47], 1, s[10:11]
	v_mov_b32_e32 v50, 0
	v_mov_b32_e32 v51, 0
	s_cbranch_vccnz .LBB266_43
; %bb.42:
	v_lshl_add_u64 v[54:55], v[36:37], 1, v[46:47]
	flat_load_ushort v49, v[54:55]
	s_waitcnt vmcnt(0) lgkmcnt(0)
	v_mul_f16_e32 v51, s16, v49
.LBB266_43:
	v_pk_add_f16 v49, v38, v28
	v_pk_max_f16 v53, v123, v123
	s_and_b64 vcc, exec, s[0:1]
	v_pk_min_f16 v49, v53, v49
	v_pk_add_f16 v53, v39, v29
	s_nop 0
	v_pk_min_f16 v53, v49, v53
	v_mad_i64_i32 v[48:49], s[4:5], v48, s7, 0
	v_lshl_add_u64 v[48:49], v[48:49], 1, s[2:3]
	v_lshrrev_b32_e32 v54, 16, v53
	v_min3_f16 v51, v51, v53, v54
	v_lshl_add_u64 v[54:55], v[36:37], 1, v[48:49]
	global_store_short v[54:55], v51, off
	s_cbranch_vccnz .LBB266_45
; %bb.44:
	v_lshl_add_u64 v[50:51], v[40:41], 1, v[46:47]
	flat_load_ushort v50, v[50:51]
	s_waitcnt vmcnt(0) lgkmcnt(0)
	v_mul_f16_e32 v50, s16, v50
.LBB266_45:
	v_pk_add_f16 v51, v0, v28
	v_pk_max_f16 v53, v122, v122
	s_and_b64 vcc, exec, s[0:1]
	v_pk_min_f16 v51, v53, v51
	v_pk_add_f16 v53, v1, v29
	s_nop 0
	v_pk_min_f16 v51, v51, v53
	s_nop 0
	v_lshrrev_b32_e32 v53, 16, v51
	v_min3_f16 v53, v50, v51, v53
	v_lshl_add_u64 v[50:51], v[40:41], 1, v[48:49]
	global_store_short v[50:51], v53, off
	v_mov_b32_e32 v50, 0
	v_mov_b32_e32 v51, 0
	s_cbranch_vccnz .LBB266_47
; %bb.46:
	v_lshl_add_u64 v[54:55], v[44:45], 1, v[46:47]
	flat_load_ushort v51, v[54:55]
	s_waitcnt vmcnt(0) lgkmcnt(0)
	v_mul_f16_e32 v51, s16, v51
.LBB266_47:
	v_pk_add_f16 v53, v2, v28
	v_pk_max_f16 v54, v121, v121
	s_and_b64 vcc, exec, s[0:1]
	v_pk_min_f16 v53, v54, v53
	v_pk_add_f16 v54, v3, v29
	s_nop 0
	v_pk_min_f16 v53, v53, v54
	s_nop 0
	v_lshrrev_b32_e32 v54, 16, v53
	v_min3_f16 v51, v51, v53, v54
	v_lshl_add_u64 v[54:55], v[44:45], 1, v[48:49]
	global_store_short v[54:55], v51, off
	s_cbranch_vccnz .LBB266_49
; %bb.48:
	v_lshl_add_u64 v[46:47], v[42:43], 1, v[46:47]
	flat_load_ushort v46, v[46:47]
	s_waitcnt vmcnt(0) lgkmcnt(0)
	v_mul_f16_e32 v50, s16, v46
.LBB266_49:
	v_pk_add_f16 v28, v32, v28
	v_pk_max_f16 v46, v120, v120
	v_pk_add_f16 v29, v33, v29
	v_pk_min_f16 v28, v46, v28
	s_and_b64 vcc, exec, s[0:1]
	v_pk_min_f16 v28, v28, v29
	s_nop 0
	v_lshrrev_b32_e32 v29, 16, v28
	v_min3_f16 v46, v50, v28, v29
	v_lshl_add_u64 v[28:29], v[42:43], 1, v[48:49]
	global_store_short v[28:29], v46, off
	v_add_u32_e32 v46, 16, v52
	v_mad_i64_i32 v[28:29], s[4:5], v46, s6, 0
	v_lshl_add_u64 v[28:29], v[28:29], 1, s[10:11]
	v_mov_b32_e32 v48, 0
	v_mov_b32_e32 v49, 0
	s_cbranch_vccnz .LBB266_51
; %bb.50:
	v_lshl_add_u64 v[50:51], v[36:37], 1, v[28:29]
	flat_load_ushort v47, v[50:51]
	s_waitcnt vmcnt(0) lgkmcnt(0)
	v_mul_f16_e32 v49, s16, v47
.LBB266_51:
	v_pk_add_f16 v47, v38, v30
	v_pk_max_f16 v50, v119, v119
	s_and_b64 vcc, exec, s[0:1]
	v_pk_min_f16 v47, v50, v47
	v_pk_add_f16 v50, v39, v31
	s_nop 0
	v_pk_min_f16 v50, v47, v50
	v_mad_i64_i32 v[46:47], s[4:5], v46, s7, 0
	v_lshl_add_u64 v[46:47], v[46:47], 1, s[2:3]
	v_lshrrev_b32_e32 v51, 16, v50
	v_min3_f16 v49, v49, v50, v51
	v_lshl_add_u64 v[50:51], v[36:37], 1, v[46:47]
	global_store_short v[50:51], v49, off
	s_cbranch_vccnz .LBB266_53
; %bb.52:
	v_lshl_add_u64 v[48:49], v[40:41], 1, v[28:29]
	flat_load_ushort v48, v[48:49]
	s_waitcnt vmcnt(0) lgkmcnt(0)
	v_mul_f16_e32 v48, s16, v48
.LBB266_53:
	v_pk_add_f16 v49, v0, v30
	v_pk_max_f16 v50, v118, v118
	s_and_b64 vcc, exec, s[0:1]
	v_pk_min_f16 v49, v50, v49
	v_pk_add_f16 v50, v1, v31
	s_nop 0
	v_pk_min_f16 v49, v49, v50
	s_nop 0
	v_lshrrev_b32_e32 v50, 16, v49
	v_min3_f16 v50, v48, v49, v50
	v_lshl_add_u64 v[48:49], v[40:41], 1, v[46:47]
	global_store_short v[48:49], v50, off
	v_mov_b32_e32 v48, 0
	v_mov_b32_e32 v49, 0
	s_cbranch_vccnz .LBB266_55
; %bb.54:
	v_lshl_add_u64 v[50:51], v[44:45], 1, v[28:29]
	flat_load_ushort v49, v[50:51]
	s_waitcnt vmcnt(0) lgkmcnt(0)
	v_mul_f16_e32 v49, s16, v49
.LBB266_55:
	v_pk_add_f16 v50, v2, v30
	v_pk_max_f16 v51, v117, v117
	s_and_b64 vcc, exec, s[0:1]
	v_pk_min_f16 v50, v51, v50
	v_pk_add_f16 v51, v3, v31
	s_nop 0
	v_pk_min_f16 v50, v50, v51
	s_nop 0
	v_lshrrev_b32_e32 v51, 16, v50
	v_min3_f16 v49, v49, v50, v51
	v_lshl_add_u64 v[50:51], v[44:45], 1, v[46:47]
	global_store_short v[50:51], v49, off
	s_cbranch_vccnz .LBB266_57
; %bb.56:
	v_lshl_add_u64 v[28:29], v[42:43], 1, v[28:29]
	flat_load_ushort v28, v[28:29]
	s_waitcnt vmcnt(0) lgkmcnt(0)
	v_mul_f16_e32 v48, s16, v28
.LBB266_57:
	v_pk_add_f16 v28, v32, v30
	v_pk_max_f16 v29, v116, v116
	s_and_b64 vcc, exec, s[0:1]
	v_pk_min_f16 v28, v29, v28
	v_pk_add_f16 v29, v33, v31
	s_nop 0
	v_pk_min_f16 v28, v28, v29
	s_nop 0
	v_lshrrev_b32_e32 v29, 16, v28
	v_min3_f16 v30, v48, v28, v29
	v_lshl_add_u64 v[28:29], v[42:43], 1, v[46:47]
	global_store_short v[28:29], v30, off
	v_add_u32_e32 v30, 24, v52
	v_mad_i64_i32 v[28:29], s[4:5], v30, s6, 0
	v_lshl_add_u64 v[28:29], v[28:29], 1, s[10:11]
	v_mov_b32_e32 v46, 0
	v_mov_b32_e32 v47, 0
	s_cbranch_vccnz .LBB266_59
; %bb.58:
	v_lshl_add_u64 v[48:49], v[36:37], 1, v[28:29]
	flat_load_ushort v31, v[48:49]
	s_waitcnt vmcnt(0) lgkmcnt(0)
	v_mul_f16_e32 v47, s16, v31
.LBB266_59:
	v_pk_add_f16 v31, v38, v24
	v_pk_max_f16 v48, v115, v115
	s_and_b64 vcc, exec, s[0:1]
	v_pk_min_f16 v31, v48, v31
	v_pk_add_f16 v48, v39, v25
	s_nop 0
	v_pk_min_f16 v48, v31, v48
	v_mad_i64_i32 v[30:31], s[4:5], v30, s7, 0
	v_lshl_add_u64 v[30:31], v[30:31], 1, s[2:3]
	v_lshrrev_b32_e32 v49, 16, v48
	v_min3_f16 v47, v47, v48, v49
	v_lshl_add_u64 v[48:49], v[36:37], 1, v[30:31]
	global_store_short v[48:49], v47, off
	s_cbranch_vccnz .LBB266_61
; %bb.60:
	v_lshl_add_u64 v[46:47], v[40:41], 1, v[28:29]
	flat_load_ushort v46, v[46:47]
	s_waitcnt vmcnt(0) lgkmcnt(0)
	v_mul_f16_e32 v46, s16, v46
.LBB266_61:
	v_pk_add_f16 v47, v0, v24
	v_pk_max_f16 v48, v114, v114
	s_and_b64 vcc, exec, s[0:1]
	v_pk_min_f16 v47, v48, v47
	v_pk_add_f16 v48, v1, v25
	s_nop 0
	v_pk_min_f16 v47, v47, v48
	s_nop 0
	v_lshrrev_b32_e32 v48, 16, v47
	v_min3_f16 v48, v46, v47, v48
	v_lshl_add_u64 v[46:47], v[40:41], 1, v[30:31]
	global_store_short v[46:47], v48, off
	v_mov_b32_e32 v46, 0
	v_mov_b32_e32 v47, 0
	s_cbranch_vccnz .LBB266_63
; %bb.62:
	v_lshl_add_u64 v[48:49], v[44:45], 1, v[28:29]
	flat_load_ushort v47, v[48:49]
	s_waitcnt vmcnt(0) lgkmcnt(0)
	v_mul_f16_e32 v47, s16, v47
.LBB266_63:
	v_pk_add_f16 v48, v2, v24
	v_pk_max_f16 v49, v113, v113
	s_and_b64 vcc, exec, s[0:1]
	v_pk_min_f16 v48, v49, v48
	v_pk_add_f16 v49, v3, v25
	s_nop 0
	v_pk_min_f16 v48, v48, v49
	s_nop 0
	v_lshrrev_b32_e32 v49, 16, v48
	v_min3_f16 v47, v47, v48, v49
	v_lshl_add_u64 v[48:49], v[44:45], 1, v[30:31]
	global_store_short v[48:49], v47, off
	s_cbranch_vccnz .LBB266_65
; %bb.64:
	v_lshl_add_u64 v[28:29], v[42:43], 1, v[28:29]
	flat_load_ushort v28, v[28:29]
	s_waitcnt vmcnt(0) lgkmcnt(0)
	v_mul_f16_e32 v46, s16, v28
.LBB266_65:
	v_pk_add_f16 v24, v32, v24
	v_pk_max_f16 v28, v112, v112
	v_pk_add_f16 v25, v33, v25
	v_pk_min_f16 v24, v28, v24
	s_and_b64 vcc, exec, s[0:1]
	v_pk_min_f16 v24, v24, v25
	s_nop 0
	v_lshrrev_b32_e32 v25, 16, v24
	v_min3_f16 v28, v46, v24, v25
	v_lshl_add_u64 v[24:25], v[42:43], 1, v[30:31]
	global_store_short v[24:25], v28, off
	v_add_u32_e32 v28, 32, v52
	v_mad_i64_i32 v[24:25], s[4:5], v28, s6, 0
	v_lshl_add_u64 v[24:25], v[24:25], 1, s[10:11]
	v_mov_b32_e32 v30, 0
	v_mov_b32_e32 v31, 0
	s_cbranch_vccnz .LBB266_67
; %bb.66:
	v_lshl_add_u64 v[46:47], v[36:37], 1, v[24:25]
	flat_load_ushort v29, v[46:47]
	s_waitcnt vmcnt(0) lgkmcnt(0)
	v_mul_f16_e32 v31, s16, v29
.LBB266_67:
	v_pk_add_f16 v29, v38, v26
	v_pk_max_f16 v46, v111, v111
	s_and_b64 vcc, exec, s[0:1]
	v_pk_min_f16 v29, v46, v29
	v_pk_add_f16 v46, v39, v27
	s_nop 0
	v_pk_min_f16 v46, v29, v46
	v_mad_i64_i32 v[28:29], s[4:5], v28, s7, 0
	v_lshl_add_u64 v[28:29], v[28:29], 1, s[2:3]
	v_lshrrev_b32_e32 v47, 16, v46
	v_min3_f16 v31, v31, v46, v47
	v_lshl_add_u64 v[46:47], v[36:37], 1, v[28:29]
	global_store_short v[46:47], v31, off
	s_cbranch_vccnz .LBB266_69
; %bb.68:
	v_lshl_add_u64 v[30:31], v[40:41], 1, v[24:25]
	flat_load_ushort v30, v[30:31]
	s_waitcnt vmcnt(0) lgkmcnt(0)
	v_mul_f16_e32 v30, s16, v30
.LBB266_69:
	v_pk_add_f16 v31, v0, v26
	v_pk_max_f16 v46, v110, v110
	s_and_b64 vcc, exec, s[0:1]
	v_pk_min_f16 v31, v46, v31
	v_pk_add_f16 v46, v1, v27
	s_nop 0
	v_pk_min_f16 v31, v31, v46
	s_nop 0
	v_lshrrev_b32_e32 v46, 16, v31
	v_min3_f16 v46, v30, v31, v46
	v_lshl_add_u64 v[30:31], v[40:41], 1, v[28:29]
	global_store_short v[30:31], v46, off
	v_mov_b32_e32 v30, 0
	v_mov_b32_e32 v31, 0
	s_cbranch_vccnz .LBB266_71
; %bb.70:
	v_lshl_add_u64 v[46:47], v[44:45], 1, v[24:25]
	flat_load_ushort v31, v[46:47]
	s_waitcnt vmcnt(0) lgkmcnt(0)
	v_mul_f16_e32 v31, s16, v31
.LBB266_71:
	v_pk_add_f16 v46, v2, v26
	v_pk_max_f16 v47, v109, v109
	s_and_b64 vcc, exec, s[0:1]
	v_pk_min_f16 v46, v47, v46
	v_pk_add_f16 v47, v3, v27
	s_nop 0
	v_pk_min_f16 v46, v46, v47
	s_nop 0
	v_lshrrev_b32_e32 v47, 16, v46
	v_min3_f16 v31, v31, v46, v47
	v_lshl_add_u64 v[46:47], v[44:45], 1, v[28:29]
	global_store_short v[46:47], v31, off
	s_cbranch_vccnz .LBB266_73
; %bb.72:
	v_lshl_add_u64 v[24:25], v[42:43], 1, v[24:25]
	flat_load_ushort v24, v[24:25]
	s_waitcnt vmcnt(0) lgkmcnt(0)
	v_mul_f16_e32 v30, s16, v24
.LBB266_73:
	v_pk_add_f16 v24, v32, v26
	v_pk_max_f16 v25, v108, v108
	s_and_b64 vcc, exec, s[0:1]
	v_pk_min_f16 v24, v25, v24
	v_pk_add_f16 v25, v33, v27
	s_nop 0
	v_pk_min_f16 v24, v24, v25
	s_nop 0
	v_lshrrev_b32_e32 v25, 16, v24
	v_min3_f16 v26, v30, v24, v25
	v_lshl_add_u64 v[24:25], v[42:43], 1, v[28:29]
	global_store_short v[24:25], v26, off
	v_add_u32_e32 v26, 40, v52
	v_mad_i64_i32 v[24:25], s[4:5], v26, s6, 0
	v_lshl_add_u64 v[24:25], v[24:25], 1, s[10:11]
	v_mov_b32_e32 v28, 0
	v_mov_b32_e32 v29, 0
	s_cbranch_vccnz .LBB266_75
; %bb.74:
	v_lshl_add_u64 v[30:31], v[36:37], 1, v[24:25]
	flat_load_ushort v27, v[30:31]
	s_waitcnt vmcnt(0) lgkmcnt(0)
	v_mul_f16_e32 v29, s16, v27
.LBB266_75:
	v_pk_add_f16 v27, v38, v20
	v_pk_max_f16 v30, v107, v107
	s_and_b64 vcc, exec, s[0:1]
	v_pk_min_f16 v27, v30, v27
	v_pk_add_f16 v30, v39, v21
	s_nop 0
	v_pk_min_f16 v30, v27, v30
	v_mad_i64_i32 v[26:27], s[4:5], v26, s7, 0
	v_lshl_add_u64 v[26:27], v[26:27], 1, s[2:3]
	v_lshrrev_b32_e32 v31, 16, v30
	v_min3_f16 v29, v29, v30, v31
	v_lshl_add_u64 v[30:31], v[36:37], 1, v[26:27]
	global_store_short v[30:31], v29, off
	s_cbranch_vccnz .LBB266_77
; %bb.76:
	v_lshl_add_u64 v[28:29], v[40:41], 1, v[24:25]
	flat_load_ushort v28, v[28:29]
	s_waitcnt vmcnt(0) lgkmcnt(0)
	v_mul_f16_e32 v28, s16, v28
.LBB266_77:
	v_pk_add_f16 v29, v0, v20
	v_pk_max_f16 v30, v106, v106
	s_and_b64 vcc, exec, s[0:1]
	v_pk_min_f16 v29, v30, v29
	v_pk_add_f16 v30, v1, v21
	s_nop 0
	v_pk_min_f16 v29, v29, v30
	s_nop 0
	v_lshrrev_b32_e32 v30, 16, v29
	v_min3_f16 v30, v28, v29, v30
	v_lshl_add_u64 v[28:29], v[40:41], 1, v[26:27]
	global_store_short v[28:29], v30, off
	v_mov_b32_e32 v28, 0
	v_mov_b32_e32 v29, 0
	s_cbranch_vccnz .LBB266_79
; %bb.78:
	v_lshl_add_u64 v[30:31], v[44:45], 1, v[24:25]
	flat_load_ushort v29, v[30:31]
	s_waitcnt vmcnt(0) lgkmcnt(0)
	v_mul_f16_e32 v29, s16, v29
.LBB266_79:
	v_pk_add_f16 v30, v2, v20
	v_pk_max_f16 v31, v105, v105
	s_and_b64 vcc, exec, s[0:1]
	v_pk_min_f16 v30, v31, v30
	v_pk_add_f16 v31, v3, v21
	s_nop 0
	v_pk_min_f16 v30, v30, v31
	s_nop 0
	v_lshrrev_b32_e32 v31, 16, v30
	v_min3_f16 v29, v29, v30, v31
	v_lshl_add_u64 v[30:31], v[44:45], 1, v[26:27]
	global_store_short v[30:31], v29, off
	s_cbranch_vccnz .LBB266_81
; %bb.80:
	v_lshl_add_u64 v[24:25], v[42:43], 1, v[24:25]
	flat_load_ushort v24, v[24:25]
	s_waitcnt vmcnt(0) lgkmcnt(0)
	v_mul_f16_e32 v28, s16, v24
.LBB266_81:
	v_pk_add_f16 v20, v32, v20
	v_pk_max_f16 v24, v104, v104
	v_pk_add_f16 v21, v33, v21
	v_pk_min_f16 v20, v24, v20
	s_and_b64 vcc, exec, s[0:1]
	v_pk_min_f16 v20, v20, v21
	s_nop 0
	v_lshrrev_b32_e32 v21, 16, v20
	v_min3_f16 v24, v28, v20, v21
	v_lshl_add_u64 v[20:21], v[42:43], 1, v[26:27]
	global_store_short v[20:21], v24, off
	v_add_u32_e32 v24, 48, v52
	v_mad_i64_i32 v[20:21], s[4:5], v24, s6, 0
	v_lshl_add_u64 v[20:21], v[20:21], 1, s[10:11]
	v_mov_b32_e32 v26, 0
	v_mov_b32_e32 v27, 0
	s_cbranch_vccnz .LBB266_83
; %bb.82:
	v_lshl_add_u64 v[28:29], v[36:37], 1, v[20:21]
	flat_load_ushort v25, v[28:29]
	s_waitcnt vmcnt(0) lgkmcnt(0)
	v_mul_f16_e32 v27, s16, v25
.LBB266_83:
	v_pk_add_f16 v25, v38, v22
	v_pk_max_f16 v28, v103, v103
	s_and_b64 vcc, exec, s[0:1]
	v_pk_min_f16 v25, v28, v25
	v_pk_add_f16 v28, v39, v23
	s_nop 0
	v_pk_min_f16 v28, v25, v28
	v_mad_i64_i32 v[24:25], s[4:5], v24, s7, 0
	v_lshl_add_u64 v[24:25], v[24:25], 1, s[2:3]
	v_lshrrev_b32_e32 v29, 16, v28
	v_min3_f16 v27, v27, v28, v29
	v_lshl_add_u64 v[28:29], v[36:37], 1, v[24:25]
	global_store_short v[28:29], v27, off
	s_cbranch_vccnz .LBB266_85
; %bb.84:
	v_lshl_add_u64 v[26:27], v[40:41], 1, v[20:21]
	flat_load_ushort v26, v[26:27]
	s_waitcnt vmcnt(0) lgkmcnt(0)
	v_mul_f16_e32 v26, s16, v26
.LBB266_85:
	v_pk_add_f16 v27, v0, v22
	v_pk_max_f16 v28, v102, v102
	s_and_b64 vcc, exec, s[0:1]
	v_pk_min_f16 v27, v28, v27
	v_pk_add_f16 v28, v1, v23
	s_nop 0
	v_pk_min_f16 v27, v27, v28
	s_nop 0
	v_lshrrev_b32_e32 v28, 16, v27
	v_min3_f16 v28, v26, v27, v28
	v_lshl_add_u64 v[26:27], v[40:41], 1, v[24:25]
	global_store_short v[26:27], v28, off
	v_mov_b32_e32 v26, 0
	v_mov_b32_e32 v27, 0
	s_cbranch_vccnz .LBB266_87
; %bb.86:
	v_lshl_add_u64 v[28:29], v[44:45], 1, v[20:21]
	flat_load_ushort v27, v[28:29]
	s_waitcnt vmcnt(0) lgkmcnt(0)
	v_mul_f16_e32 v27, s16, v27
.LBB266_87:
	v_pk_add_f16 v28, v2, v22
	v_pk_max_f16 v29, v101, v101
	s_and_b64 vcc, exec, s[0:1]
	v_pk_min_f16 v28, v29, v28
	v_pk_add_f16 v29, v3, v23
	s_nop 0
	v_pk_min_f16 v28, v28, v29
	s_nop 0
	v_lshrrev_b32_e32 v29, 16, v28
	v_min3_f16 v27, v27, v28, v29
	v_lshl_add_u64 v[28:29], v[44:45], 1, v[24:25]
	global_store_short v[28:29], v27, off
	s_cbranch_vccnz .LBB266_89
; %bb.88:
	v_lshl_add_u64 v[20:21], v[42:43], 1, v[20:21]
	flat_load_ushort v20, v[20:21]
	s_waitcnt vmcnt(0) lgkmcnt(0)
	v_mul_f16_e32 v26, s16, v20
.LBB266_89:
	v_pk_add_f16 v20, v32, v22
	v_pk_max_f16 v21, v99, v99
	s_and_b64 vcc, exec, s[0:1]
	v_pk_min_f16 v20, v21, v20
	v_pk_add_f16 v21, v33, v23
	s_nop 0
	v_pk_min_f16 v20, v20, v21
	s_nop 0
	v_lshrrev_b32_e32 v21, 16, v20
	v_min3_f16 v22, v26, v20, v21
	v_lshl_add_u64 v[20:21], v[42:43], 1, v[24:25]
	global_store_short v[20:21], v22, off
	v_add_u32_e32 v22, 56, v52
	v_mad_i64_i32 v[20:21], s[4:5], v22, s6, 0
	v_lshl_add_u64 v[20:21], v[20:21], 1, s[10:11]
	v_mov_b32_e32 v24, 0
	v_mov_b32_e32 v25, 0
	s_cbranch_vccnz .LBB266_91
; %bb.90:
	v_lshl_add_u64 v[26:27], v[36:37], 1, v[20:21]
	flat_load_ushort v23, v[26:27]
	s_waitcnt vmcnt(0) lgkmcnt(0)
	v_mul_f16_e32 v25, s16, v23
.LBB266_91:
	v_pk_add_f16 v23, v38, v16
	v_pk_max_f16 v26, v97, v97
	s_and_b64 vcc, exec, s[0:1]
	v_pk_min_f16 v23, v26, v23
	v_pk_add_f16 v26, v39, v17
	s_nop 0
	v_pk_min_f16 v26, v23, v26
	v_mad_i64_i32 v[22:23], s[4:5], v22, s7, 0
	v_lshl_add_u64 v[22:23], v[22:23], 1, s[2:3]
	v_lshrrev_b32_e32 v27, 16, v26
	v_min3_f16 v25, v25, v26, v27
	v_lshl_add_u64 v[26:27], v[36:37], 1, v[22:23]
	global_store_short v[26:27], v25, off
	s_cbranch_vccnz .LBB266_93
; %bb.92:
	v_lshl_add_u64 v[24:25], v[40:41], 1, v[20:21]
	flat_load_ushort v24, v[24:25]
	s_waitcnt vmcnt(0) lgkmcnt(0)
	v_mul_f16_e32 v24, s16, v24
.LBB266_93:
	v_pk_add_f16 v25, v0, v16
	v_pk_max_f16 v26, v96, v96
	s_and_b64 vcc, exec, s[0:1]
	v_pk_min_f16 v25, v26, v25
	v_pk_add_f16 v26, v1, v17
	s_nop 0
	v_pk_min_f16 v25, v25, v26
	s_nop 0
	v_lshrrev_b32_e32 v26, 16, v25
	v_min3_f16 v26, v24, v25, v26
	v_lshl_add_u64 v[24:25], v[40:41], 1, v[22:23]
	global_store_short v[24:25], v26, off
	v_mov_b32_e32 v24, 0
	v_mov_b32_e32 v25, 0
	s_cbranch_vccnz .LBB266_95
; %bb.94:
	v_lshl_add_u64 v[26:27], v[44:45], 1, v[20:21]
	flat_load_ushort v25, v[26:27]
	s_waitcnt vmcnt(0) lgkmcnt(0)
	v_mul_f16_e32 v25, s16, v25
.LBB266_95:
	v_pk_add_f16 v26, v2, v16
	v_pk_max_f16 v27, v95, v95
	s_and_b64 vcc, exec, s[0:1]
	v_pk_min_f16 v26, v27, v26
	v_pk_add_f16 v27, v3, v17
	s_nop 0
	v_pk_min_f16 v26, v26, v27
	s_nop 0
	v_lshrrev_b32_e32 v27, 16, v26
	v_min3_f16 v25, v25, v26, v27
	v_lshl_add_u64 v[26:27], v[44:45], 1, v[22:23]
	global_store_short v[26:27], v25, off
	s_cbranch_vccnz .LBB266_97
; %bb.96:
	v_lshl_add_u64 v[20:21], v[42:43], 1, v[20:21]
	flat_load_ushort v20, v[20:21]
	s_waitcnt vmcnt(0) lgkmcnt(0)
	v_mul_f16_e32 v24, s16, v20
.LBB266_97:
	v_pk_add_f16 v16, v32, v16
	v_pk_max_f16 v20, v94, v94
	v_pk_add_f16 v17, v33, v17
	v_pk_min_f16 v16, v20, v16
	s_and_b64 vcc, exec, s[0:1]
	v_pk_min_f16 v16, v16, v17
	s_nop 0
	v_lshrrev_b32_e32 v17, 16, v16
	v_min3_f16 v20, v24, v16, v17
	v_lshl_add_u64 v[16:17], v[42:43], 1, v[22:23]
	global_store_short v[16:17], v20, off
	v_add_u32_e32 v20, 64, v52
	v_mad_i64_i32 v[16:17], s[4:5], v20, s6, 0
	v_lshl_add_u64 v[16:17], v[16:17], 1, s[10:11]
	v_mov_b32_e32 v22, 0
	v_mov_b32_e32 v23, 0
	s_cbranch_vccnz .LBB266_99
; %bb.98:
	v_lshl_add_u64 v[24:25], v[36:37], 1, v[16:17]
	flat_load_ushort v21, v[24:25]
	s_waitcnt vmcnt(0) lgkmcnt(0)
	v_mul_f16_e32 v23, s16, v21
.LBB266_99:
	v_pk_add_f16 v21, v38, v18
	v_pk_max_f16 v24, v93, v93
	s_and_b64 vcc, exec, s[0:1]
	v_pk_min_f16 v21, v24, v21
	v_pk_add_f16 v24, v39, v19
	s_nop 0
	v_pk_min_f16 v24, v21, v24
	v_mad_i64_i32 v[20:21], s[4:5], v20, s7, 0
	v_lshl_add_u64 v[20:21], v[20:21], 1, s[2:3]
	v_lshrrev_b32_e32 v25, 16, v24
	v_min3_f16 v23, v23, v24, v25
	v_lshl_add_u64 v[24:25], v[36:37], 1, v[20:21]
	global_store_short v[24:25], v23, off
	s_cbranch_vccnz .LBB266_101
; %bb.100:
	v_lshl_add_u64 v[22:23], v[40:41], 1, v[16:17]
	flat_load_ushort v22, v[22:23]
	s_waitcnt vmcnt(0) lgkmcnt(0)
	v_mul_f16_e32 v22, s16, v22
.LBB266_101:
	v_pk_add_f16 v23, v0, v18
	v_pk_max_f16 v24, v92, v92
	s_and_b64 vcc, exec, s[0:1]
	v_pk_min_f16 v23, v24, v23
	v_pk_add_f16 v24, v1, v19
	s_nop 0
	v_pk_min_f16 v23, v23, v24
	s_nop 0
	v_lshrrev_b32_e32 v24, 16, v23
	v_min3_f16 v24, v22, v23, v24
	v_lshl_add_u64 v[22:23], v[40:41], 1, v[20:21]
	global_store_short v[22:23], v24, off
	v_mov_b32_e32 v22, 0
	v_mov_b32_e32 v23, 0
	s_cbranch_vccnz .LBB266_103
; %bb.102:
	v_lshl_add_u64 v[24:25], v[44:45], 1, v[16:17]
	flat_load_ushort v23, v[24:25]
	s_waitcnt vmcnt(0) lgkmcnt(0)
	v_mul_f16_e32 v23, s16, v23
.LBB266_103:
	v_pk_add_f16 v24, v2, v18
	v_pk_max_f16 v25, v91, v91
	s_and_b64 vcc, exec, s[0:1]
	v_pk_min_f16 v24, v25, v24
	v_pk_add_f16 v25, v3, v19
	s_nop 0
	v_pk_min_f16 v24, v24, v25
	s_nop 0
	v_lshrrev_b32_e32 v25, 16, v24
	v_min3_f16 v23, v23, v24, v25
	v_lshl_add_u64 v[24:25], v[44:45], 1, v[20:21]
	global_store_short v[24:25], v23, off
	s_cbranch_vccnz .LBB266_105
; %bb.104:
	v_lshl_add_u64 v[16:17], v[42:43], 1, v[16:17]
	flat_load_ushort v16, v[16:17]
	s_waitcnt vmcnt(0) lgkmcnt(0)
	v_mul_f16_e32 v22, s16, v16
.LBB266_105:
	v_pk_add_f16 v16, v32, v18
	v_pk_max_f16 v17, v90, v90
	s_and_b64 vcc, exec, s[0:1]
	v_pk_min_f16 v16, v17, v16
	v_pk_add_f16 v17, v33, v19
	s_nop 0
	v_pk_min_f16 v16, v16, v17
	s_nop 0
	v_lshrrev_b32_e32 v17, 16, v16
	v_min3_f16 v18, v22, v16, v17
	v_lshl_add_u64 v[16:17], v[42:43], 1, v[20:21]
	global_store_short v[16:17], v18, off
	v_add_u32_e32 v18, 0x48, v52
	v_mad_i64_i32 v[16:17], s[4:5], v18, s6, 0
	v_lshl_add_u64 v[16:17], v[16:17], 1, s[10:11]
	v_mov_b32_e32 v20, 0
	v_mov_b32_e32 v21, 0
	s_cbranch_vccnz .LBB266_107
; %bb.106:
	v_lshl_add_u64 v[22:23], v[36:37], 1, v[16:17]
	flat_load_ushort v19, v[22:23]
	s_waitcnt vmcnt(0) lgkmcnt(0)
	v_mul_f16_e32 v21, s16, v19
.LBB266_107:
	v_pk_add_f16 v19, v38, v12
	v_pk_max_f16 v22, v89, v89
	s_and_b64 vcc, exec, s[0:1]
	v_pk_min_f16 v19, v22, v19
	v_pk_add_f16 v22, v39, v13
	s_nop 0
	v_pk_min_f16 v22, v19, v22
	v_mad_i64_i32 v[18:19], s[4:5], v18, s7, 0
	v_lshl_add_u64 v[18:19], v[18:19], 1, s[2:3]
	v_lshrrev_b32_e32 v23, 16, v22
	v_min3_f16 v21, v21, v22, v23
	v_lshl_add_u64 v[22:23], v[36:37], 1, v[18:19]
	global_store_short v[22:23], v21, off
	s_cbranch_vccnz .LBB266_109
; %bb.108:
	v_lshl_add_u64 v[20:21], v[40:41], 1, v[16:17]
	flat_load_ushort v20, v[20:21]
	s_waitcnt vmcnt(0) lgkmcnt(0)
	v_mul_f16_e32 v20, s16, v20
.LBB266_109:
	v_pk_add_f16 v21, v0, v12
	v_pk_max_f16 v22, v88, v88
	s_and_b64 vcc, exec, s[0:1]
	v_pk_min_f16 v21, v22, v21
	v_pk_add_f16 v22, v1, v13
	s_nop 0
	v_pk_min_f16 v21, v21, v22
	s_nop 0
	v_lshrrev_b32_e32 v22, 16, v21
	v_min3_f16 v22, v20, v21, v22
	v_lshl_add_u64 v[20:21], v[40:41], 1, v[18:19]
	global_store_short v[20:21], v22, off
	v_mov_b32_e32 v20, 0
	v_mov_b32_e32 v21, 0
	s_cbranch_vccnz .LBB266_111
; %bb.110:
	v_lshl_add_u64 v[22:23], v[44:45], 1, v[16:17]
	flat_load_ushort v21, v[22:23]
	s_waitcnt vmcnt(0) lgkmcnt(0)
	v_mul_f16_e32 v21, s16, v21
.LBB266_111:
	v_pk_add_f16 v22, v2, v12
	v_pk_max_f16 v23, v87, v87
	s_and_b64 vcc, exec, s[0:1]
	v_pk_min_f16 v22, v23, v22
	v_pk_add_f16 v23, v3, v13
	s_nop 0
	v_pk_min_f16 v22, v22, v23
	s_nop 0
	v_lshrrev_b32_e32 v23, 16, v22
	v_min3_f16 v21, v21, v22, v23
	v_lshl_add_u64 v[22:23], v[44:45], 1, v[18:19]
	global_store_short v[22:23], v21, off
	s_cbranch_vccnz .LBB266_113
; %bb.112:
	v_lshl_add_u64 v[16:17], v[42:43], 1, v[16:17]
	flat_load_ushort v16, v[16:17]
	s_waitcnt vmcnt(0) lgkmcnt(0)
	v_mul_f16_e32 v20, s16, v16
.LBB266_113:
	v_pk_add_f16 v12, v32, v12
	v_pk_max_f16 v16, v85, v85
	v_pk_add_f16 v13, v33, v13
	v_pk_min_f16 v12, v16, v12
	s_and_b64 vcc, exec, s[0:1]
	v_pk_min_f16 v12, v12, v13
	s_nop 0
	v_lshrrev_b32_e32 v13, 16, v12
	v_min3_f16 v16, v20, v12, v13
	v_lshl_add_u64 v[12:13], v[42:43], 1, v[18:19]
	global_store_short v[12:13], v16, off
	v_add_u32_e32 v16, 0x50, v52
	v_mad_i64_i32 v[12:13], s[4:5], v16, s6, 0
	v_lshl_add_u64 v[12:13], v[12:13], 1, s[10:11]
	v_mov_b32_e32 v18, 0
	v_mov_b32_e32 v19, 0
	s_cbranch_vccnz .LBB266_115
; %bb.114:
	v_lshl_add_u64 v[20:21], v[36:37], 1, v[12:13]
	flat_load_ushort v17, v[20:21]
	s_waitcnt vmcnt(0) lgkmcnt(0)
	v_mul_f16_e32 v19, s16, v17
.LBB266_115:
	v_pk_add_f16 v17, v38, v14
	v_pk_max_f16 v20, v83, v83
	s_and_b64 vcc, exec, s[0:1]
	v_pk_min_f16 v17, v20, v17
	v_pk_add_f16 v20, v39, v15
	s_nop 0
	v_pk_min_f16 v20, v17, v20
	v_mad_i64_i32 v[16:17], s[4:5], v16, s7, 0
	v_lshl_add_u64 v[16:17], v[16:17], 1, s[2:3]
	v_lshrrev_b32_e32 v21, 16, v20
	v_min3_f16 v19, v19, v20, v21
	v_lshl_add_u64 v[20:21], v[36:37], 1, v[16:17]
	global_store_short v[20:21], v19, off
	s_cbranch_vccnz .LBB266_117
; %bb.116:
	v_lshl_add_u64 v[18:19], v[40:41], 1, v[12:13]
	flat_load_ushort v18, v[18:19]
	s_waitcnt vmcnt(0) lgkmcnt(0)
	v_mul_f16_e32 v18, s16, v18
.LBB266_117:
	v_pk_add_f16 v19, v0, v14
	v_pk_max_f16 v20, v82, v82
	s_and_b64 vcc, exec, s[0:1]
	v_pk_min_f16 v19, v20, v19
	v_pk_add_f16 v20, v1, v15
	s_nop 0
	v_pk_min_f16 v19, v19, v20
	s_nop 0
	v_lshrrev_b32_e32 v20, 16, v19
	v_min3_f16 v20, v18, v19, v20
	v_lshl_add_u64 v[18:19], v[40:41], 1, v[16:17]
	global_store_short v[18:19], v20, off
	v_mov_b32_e32 v18, 0
	v_mov_b32_e32 v19, 0
	s_cbranch_vccnz .LBB266_119
; %bb.118:
	v_lshl_add_u64 v[20:21], v[44:45], 1, v[12:13]
	flat_load_ushort v19, v[20:21]
	s_waitcnt vmcnt(0) lgkmcnt(0)
	v_mul_f16_e32 v19, s16, v19
.LBB266_119:
	v_pk_add_f16 v20, v2, v14
	v_pk_max_f16 v21, v81, v81
	s_and_b64 vcc, exec, s[0:1]
	v_pk_min_f16 v20, v21, v20
	v_pk_add_f16 v21, v3, v15
	s_nop 0
	v_pk_min_f16 v20, v20, v21
	s_nop 0
	v_lshrrev_b32_e32 v21, 16, v20
	v_min3_f16 v19, v19, v20, v21
	v_lshl_add_u64 v[20:21], v[44:45], 1, v[16:17]
	global_store_short v[20:21], v19, off
	s_cbranch_vccnz .LBB266_121
; %bb.120:
	v_lshl_add_u64 v[12:13], v[42:43], 1, v[12:13]
	flat_load_ushort v12, v[12:13]
	s_waitcnt vmcnt(0) lgkmcnt(0)
	v_mul_f16_e32 v18, s16, v12
.LBB266_121:
	v_pk_add_f16 v12, v32, v14
	v_pk_max_f16 v13, v80, v80
	s_and_b64 vcc, exec, s[0:1]
	v_pk_min_f16 v12, v13, v12
	v_pk_add_f16 v13, v33, v15
	s_nop 0
	v_pk_min_f16 v12, v12, v13
	s_nop 0
	v_lshrrev_b32_e32 v13, 16, v12
	v_min3_f16 v14, v18, v12, v13
	v_lshl_add_u64 v[12:13], v[42:43], 1, v[16:17]
	global_store_short v[12:13], v14, off
	v_add_u32_e32 v14, 0x58, v52
	v_mad_i64_i32 v[12:13], s[4:5], v14, s6, 0
	v_lshl_add_u64 v[12:13], v[12:13], 1, s[10:11]
	v_mov_b32_e32 v16, 0
	v_mov_b32_e32 v17, 0
	s_cbranch_vccnz .LBB266_123
; %bb.122:
	v_lshl_add_u64 v[18:19], v[36:37], 1, v[12:13]
	flat_load_ushort v15, v[18:19]
	s_waitcnt vmcnt(0) lgkmcnt(0)
	v_mul_f16_e32 v17, s16, v15
.LBB266_123:
	v_pk_add_f16 v15, v38, v8
	v_pk_max_f16 v18, v79, v79
	s_and_b64 vcc, exec, s[0:1]
	v_pk_min_f16 v15, v18, v15
	v_pk_add_f16 v18, v39, v9
	s_nop 0
	v_pk_min_f16 v18, v15, v18
	v_mad_i64_i32 v[14:15], s[4:5], v14, s7, 0
	v_lshl_add_u64 v[14:15], v[14:15], 1, s[2:3]
	v_lshrrev_b32_e32 v19, 16, v18
	v_min3_f16 v17, v17, v18, v19
	v_lshl_add_u64 v[18:19], v[36:37], 1, v[14:15]
	global_store_short v[18:19], v17, off
	s_cbranch_vccnz .LBB266_125
; %bb.124:
	v_lshl_add_u64 v[16:17], v[40:41], 1, v[12:13]
	flat_load_ushort v16, v[16:17]
	s_waitcnt vmcnt(0) lgkmcnt(0)
	v_mul_f16_e32 v16, s16, v16
.LBB266_125:
	v_pk_add_f16 v17, v0, v8
	v_pk_max_f16 v18, v78, v78
	s_and_b64 vcc, exec, s[0:1]
	v_pk_min_f16 v17, v18, v17
	v_pk_add_f16 v18, v1, v9
	s_nop 0
	v_pk_min_f16 v17, v17, v18
	s_nop 0
	v_lshrrev_b32_e32 v18, 16, v17
	v_min3_f16 v18, v16, v17, v18
	v_lshl_add_u64 v[16:17], v[40:41], 1, v[14:15]
	global_store_short v[16:17], v18, off
	v_mov_b32_e32 v16, 0
	v_mov_b32_e32 v17, 0
	s_cbranch_vccnz .LBB266_127
; %bb.126:
	v_lshl_add_u64 v[18:19], v[44:45], 1, v[12:13]
	flat_load_ushort v17, v[18:19]
	s_waitcnt vmcnt(0) lgkmcnt(0)
	v_mul_f16_e32 v17, s16, v17
.LBB266_127:
	v_pk_add_f16 v18, v2, v8
	v_pk_max_f16 v19, v75, v75
	s_and_b64 vcc, exec, s[0:1]
	v_pk_min_f16 v18, v19, v18
	v_pk_add_f16 v19, v3, v9
	s_nop 0
	v_pk_min_f16 v18, v18, v19
	s_nop 0
	v_lshrrev_b32_e32 v19, 16, v18
	v_min3_f16 v17, v17, v18, v19
	v_lshl_add_u64 v[18:19], v[44:45], 1, v[14:15]
	global_store_short v[18:19], v17, off
	s_cbranch_vccnz .LBB266_129
; %bb.128:
	v_lshl_add_u64 v[12:13], v[42:43], 1, v[12:13]
	flat_load_ushort v12, v[12:13]
	s_waitcnt vmcnt(0) lgkmcnt(0)
	v_mul_f16_e32 v16, s16, v12
.LBB266_129:
	v_pk_add_f16 v8, v32, v8
	v_pk_max_f16 v12, v74, v74
	v_pk_add_f16 v9, v33, v9
	v_pk_min_f16 v8, v12, v8
	s_and_b64 vcc, exec, s[0:1]
	v_pk_min_f16 v8, v8, v9
	s_nop 0
	v_lshrrev_b32_e32 v9, 16, v8
	v_min3_f16 v12, v16, v8, v9
	v_lshl_add_u64 v[8:9], v[42:43], 1, v[14:15]
	global_store_short v[8:9], v12, off
	v_add_u32_e32 v12, 0x60, v52
	v_mad_i64_i32 v[8:9], s[4:5], v12, s6, 0
	v_lshl_add_u64 v[8:9], v[8:9], 1, s[10:11]
	v_mov_b32_e32 v14, 0
	v_mov_b32_e32 v15, 0
	s_cbranch_vccnz .LBB266_131
; %bb.130:
	v_lshl_add_u64 v[16:17], v[36:37], 1, v[8:9]
	flat_load_ushort v13, v[16:17]
	s_waitcnt vmcnt(0) lgkmcnt(0)
	v_mul_f16_e32 v15, s16, v13
.LBB266_131:
	v_pk_add_f16 v13, v38, v10
	v_pk_max_f16 v16, v73, v73
	s_and_b64 vcc, exec, s[0:1]
	v_pk_min_f16 v13, v16, v13
	v_pk_add_f16 v16, v39, v11
	s_nop 0
	v_pk_min_f16 v16, v13, v16
	v_mad_i64_i32 v[12:13], s[4:5], v12, s7, 0
	v_lshl_add_u64 v[12:13], v[12:13], 1, s[2:3]
	v_lshrrev_b32_e32 v17, 16, v16
	v_min3_f16 v15, v15, v16, v17
	v_lshl_add_u64 v[16:17], v[36:37], 1, v[12:13]
	global_store_short v[16:17], v15, off
	s_cbranch_vccnz .LBB266_133
; %bb.132:
	v_lshl_add_u64 v[14:15], v[40:41], 1, v[8:9]
	flat_load_ushort v14, v[14:15]
	s_waitcnt vmcnt(0) lgkmcnt(0)
	v_mul_f16_e32 v14, s16, v14
.LBB266_133:
	v_pk_add_f16 v15, v0, v10
	v_pk_max_f16 v16, v72, v72
	s_and_b64 vcc, exec, s[0:1]
	v_pk_min_f16 v15, v16, v15
	v_pk_add_f16 v16, v1, v11
	s_nop 0
	v_pk_min_f16 v15, v15, v16
	s_nop 0
	v_lshrrev_b32_e32 v16, 16, v15
	v_min3_f16 v16, v14, v15, v16
	v_lshl_add_u64 v[14:15], v[40:41], 1, v[12:13]
	global_store_short v[14:15], v16, off
	v_mov_b32_e32 v14, 0
	v_mov_b32_e32 v15, 0
	s_cbranch_vccnz .LBB266_135
; %bb.134:
	v_lshl_add_u64 v[16:17], v[44:45], 1, v[8:9]
	flat_load_ushort v15, v[16:17]
	s_waitcnt vmcnt(0) lgkmcnt(0)
	v_mul_f16_e32 v15, s16, v15
.LBB266_135:
	v_pk_add_f16 v16, v2, v10
	v_pk_max_f16 v17, v71, v71
	s_and_b64 vcc, exec, s[0:1]
	v_pk_min_f16 v16, v17, v16
	v_pk_add_f16 v17, v3, v11
	s_nop 0
	v_pk_min_f16 v16, v16, v17
	s_nop 0
	v_lshrrev_b32_e32 v17, 16, v16
	v_min3_f16 v15, v15, v16, v17
	v_lshl_add_u64 v[16:17], v[44:45], 1, v[12:13]
	global_store_short v[16:17], v15, off
	s_cbranch_vccnz .LBB266_137
; %bb.136:
	v_lshl_add_u64 v[8:9], v[42:43], 1, v[8:9]
	flat_load_ushort v8, v[8:9]
	s_waitcnt vmcnt(0) lgkmcnt(0)
	v_mul_f16_e32 v14, s16, v8
.LBB266_137:
	v_pk_add_f16 v8, v32, v10
	v_pk_max_f16 v9, v70, v70
	s_and_b64 vcc, exec, s[0:1]
	v_pk_min_f16 v8, v9, v8
	v_pk_add_f16 v9, v33, v11
	s_nop 0
	v_pk_min_f16 v8, v8, v9
	s_nop 0
	v_lshrrev_b32_e32 v9, 16, v8
	v_min3_f16 v10, v14, v8, v9
	v_lshl_add_u64 v[8:9], v[42:43], 1, v[12:13]
	global_store_short v[8:9], v10, off
	v_add_u32_e32 v10, 0x68, v52
	v_mad_i64_i32 v[8:9], s[4:5], v10, s6, 0
	v_lshl_add_u64 v[8:9], v[8:9], 1, s[10:11]
	v_mov_b32_e32 v12, 0
	v_mov_b32_e32 v13, 0
	s_cbranch_vccnz .LBB266_139
; %bb.138:
	v_lshl_add_u64 v[14:15], v[36:37], 1, v[8:9]
	flat_load_ushort v11, v[14:15]
	s_waitcnt vmcnt(0) lgkmcnt(0)
	v_mul_f16_e32 v13, s16, v11
.LBB266_139:
	v_pk_add_f16 v11, v38, v4
	v_pk_max_f16 v14, v69, v69
	s_and_b64 vcc, exec, s[0:1]
	v_pk_min_f16 v11, v14, v11
	v_pk_add_f16 v14, v39, v5
	s_nop 0
	v_pk_min_f16 v14, v11, v14
	v_mad_i64_i32 v[10:11], s[4:5], v10, s7, 0
	v_lshl_add_u64 v[10:11], v[10:11], 1, s[2:3]
	v_lshrrev_b32_e32 v15, 16, v14
	v_min3_f16 v13, v13, v14, v15
	v_lshl_add_u64 v[14:15], v[36:37], 1, v[10:11]
	global_store_short v[14:15], v13, off
	s_cbranch_vccnz .LBB266_141
; %bb.140:
	v_lshl_add_u64 v[12:13], v[40:41], 1, v[8:9]
	flat_load_ushort v12, v[12:13]
	s_waitcnt vmcnt(0) lgkmcnt(0)
	v_mul_f16_e32 v12, s16, v12
.LBB266_141:
	v_pk_add_f16 v13, v0, v4
	v_pk_max_f16 v14, v68, v68
	s_and_b64 vcc, exec, s[0:1]
	v_pk_min_f16 v13, v14, v13
	v_pk_add_f16 v14, v1, v5
	s_nop 0
	v_pk_min_f16 v13, v13, v14
	s_nop 0
	v_lshrrev_b32_e32 v14, 16, v13
	v_min3_f16 v14, v12, v13, v14
	v_lshl_add_u64 v[12:13], v[40:41], 1, v[10:11]
	global_store_short v[12:13], v14, off
	v_mov_b32_e32 v12, 0
	v_mov_b32_e32 v13, 0
	s_cbranch_vccnz .LBB266_143
; %bb.142:
	v_lshl_add_u64 v[14:15], v[44:45], 1, v[8:9]
	flat_load_ushort v13, v[14:15]
	s_waitcnt vmcnt(0) lgkmcnt(0)
	v_mul_f16_e32 v13, s16, v13
.LBB266_143:
	v_pk_add_f16 v14, v2, v4
	v_pk_max_f16 v15, v67, v67
	s_and_b64 vcc, exec, s[0:1]
	v_pk_min_f16 v14, v15, v14
	v_pk_add_f16 v15, v3, v5
	s_nop 0
	v_pk_min_f16 v14, v14, v15
	s_nop 0
	v_lshrrev_b32_e32 v15, 16, v14
	v_min3_f16 v13, v13, v14, v15
	v_lshl_add_u64 v[14:15], v[44:45], 1, v[10:11]
	global_store_short v[14:15], v13, off
	s_cbranch_vccnz .LBB266_145
; %bb.144:
	v_lshl_add_u64 v[8:9], v[42:43], 1, v[8:9]
	flat_load_ushort v8, v[8:9]
	s_waitcnt vmcnt(0) lgkmcnt(0)
	v_mul_f16_e32 v12, s16, v8
.LBB266_145:
	v_pk_add_f16 v4, v32, v4
	v_pk_max_f16 v8, v66, v66
	v_pk_add_f16 v5, v33, v5
	v_pk_min_f16 v4, v8, v4
	s_and_b64 vcc, exec, s[0:1]
	v_pk_min_f16 v4, v4, v5
	s_nop 0
	v_lshrrev_b32_e32 v5, 16, v4
	v_min3_f16 v8, v12, v4, v5
	v_lshl_add_u64 v[4:5], v[42:43], 1, v[10:11]
	global_store_short v[4:5], v8, off
	v_add_u32_e32 v8, 0x70, v52
	v_mad_i64_i32 v[4:5], s[4:5], v8, s6, 0
	v_lshl_add_u64 v[4:5], v[4:5], 1, s[10:11]
	v_mov_b32_e32 v10, 0
	v_mov_b32_e32 v11, 0
	s_cbranch_vccnz .LBB266_147
; %bb.146:
	v_lshl_add_u64 v[12:13], v[36:37], 1, v[4:5]
	flat_load_ushort v9, v[12:13]
	s_waitcnt vmcnt(0) lgkmcnt(0)
	v_mul_f16_e32 v11, s16, v9
.LBB266_147:
	v_pk_add_f16 v9, v38, v6
	v_pk_max_f16 v12, v65, v65
	s_and_b64 vcc, exec, s[0:1]
	v_pk_min_f16 v9, v12, v9
	v_pk_add_f16 v12, v39, v7
	s_nop 0
	v_pk_min_f16 v12, v9, v12
	v_mad_i64_i32 v[8:9], s[4:5], v8, s7, 0
	v_lshl_add_u64 v[8:9], v[8:9], 1, s[2:3]
	v_lshrrev_b32_e32 v13, 16, v12
	v_min3_f16 v11, v11, v12, v13
	v_lshl_add_u64 v[12:13], v[36:37], 1, v[8:9]
	global_store_short v[12:13], v11, off
	s_cbranch_vccnz .LBB266_149
; %bb.148:
	v_lshl_add_u64 v[10:11], v[40:41], 1, v[4:5]
	flat_load_ushort v10, v[10:11]
	s_waitcnt vmcnt(0) lgkmcnt(0)
	v_mul_f16_e32 v10, s16, v10
.LBB266_149:
	v_pk_add_f16 v11, v0, v6
	v_pk_max_f16 v12, v64, v64
	s_and_b64 vcc, exec, s[0:1]
	v_pk_min_f16 v11, v12, v11
	v_pk_add_f16 v12, v1, v7
	s_nop 0
	v_pk_min_f16 v11, v11, v12
	s_nop 0
	v_lshrrev_b32_e32 v12, 16, v11
	v_min3_f16 v12, v10, v11, v12
	v_lshl_add_u64 v[10:11], v[40:41], 1, v[8:9]
	global_store_short v[10:11], v12, off
	v_mov_b32_e32 v10, 0
	v_mov_b32_e32 v11, 0
	s_cbranch_vccnz .LBB266_151
; %bb.150:
	v_lshl_add_u64 v[12:13], v[44:45], 1, v[4:5]
	flat_load_ushort v11, v[12:13]
	s_waitcnt vmcnt(0) lgkmcnt(0)
	v_mul_f16_e32 v11, s16, v11
.LBB266_151:
	v_pk_add_f16 v12, v2, v6
	v_pk_max_f16 v13, v62, v62
	s_and_b64 vcc, exec, s[0:1]
	v_pk_min_f16 v12, v13, v12
	v_pk_add_f16 v13, v3, v7
	s_nop 0
	v_pk_min_f16 v12, v12, v13
	s_nop 0
	v_lshrrev_b32_e32 v13, 16, v12
	v_min3_f16 v11, v11, v12, v13
	v_lshl_add_u64 v[12:13], v[44:45], 1, v[8:9]
	global_store_short v[12:13], v11, off
	s_cbranch_vccnz .LBB266_153
; %bb.152:
	v_lshl_add_u64 v[4:5], v[42:43], 1, v[4:5]
	flat_load_ushort v4, v[4:5]
	s_waitcnt vmcnt(0) lgkmcnt(0)
	v_mul_f16_e32 v10, s16, v4
.LBB266_153:
	v_pk_add_f16 v4, v32, v6
	v_pk_max_f16 v5, v61, v61
	s_and_b64 vcc, exec, s[0:1]
	v_pk_min_f16 v4, v5, v4
	v_pk_add_f16 v5, v33, v7
	s_nop 0
	v_pk_min_f16 v4, v4, v5
	s_nop 0
	v_lshrrev_b32_e32 v5, 16, v4
	v_min3_f16 v6, v10, v4, v5
	v_lshl_add_u64 v[4:5], v[42:43], 1, v[8:9]
	global_store_short v[4:5], v6, off
	v_add_u32_e32 v6, 0x78, v52
	v_mad_i64_i32 v[4:5], s[4:5], v6, s6, 0
	v_lshl_add_u64 v[4:5], v[4:5], 1, s[10:11]
	v_mov_b32_e32 v8, 0
	v_mov_b32_e32 v9, 0
	s_cbranch_vccnz .LBB266_155
; %bb.154:
	v_lshl_add_u64 v[10:11], v[36:37], 1, v[4:5]
	flat_load_ushort v7, v[10:11]
	s_waitcnt vmcnt(0) lgkmcnt(0)
	v_mul_f16_e32 v9, s16, v7
.LBB266_155:
	v_pk_add_f16 v7, v38, v34
	v_pk_max_f16 v10, v60, v60
	s_and_b64 vcc, exec, s[0:1]
	v_pk_min_f16 v7, v10, v7
	v_pk_add_f16 v10, v39, v35
	s_nop 0
	v_pk_min_f16 v10, v7, v10
	v_mad_i64_i32 v[6:7], s[4:5], v6, s7, 0
	v_lshl_add_u64 v[6:7], v[6:7], 1, s[2:3]
	v_lshrrev_b32_e32 v11, 16, v10
	v_min3_f16 v9, v9, v10, v11
	v_lshl_add_u64 v[10:11], v[36:37], 1, v[6:7]
	global_store_short v[10:11], v9, off
	s_cbranch_vccnz .LBB266_157
; %bb.156:
	v_lshl_add_u64 v[8:9], v[40:41], 1, v[4:5]
	flat_load_ushort v8, v[8:9]
	s_waitcnt vmcnt(0) lgkmcnt(0)
	v_mul_f16_e32 v8, s16, v8
.LBB266_157:
	v_pk_add_f16 v0, v0, v34
	v_pk_max_f16 v9, v58, v58
	v_pk_add_f16 v2, v2, v34
	v_pk_min_f16 v0, v9, v0
	v_pk_max_f16 v9, v59, v59
	v_pk_add_f16 v1, v1, v35
	v_pk_min_f16 v2, v9, v2
	v_pk_min_f16 v0, v0, v1
	v_pk_add_f16 v1, v3, v35
	s_mov_b64 vcc, s[8:9]
	v_pk_min_f16 v2, v2, v1
	v_lshrrev_b32_e32 v1, 16, v0
	v_min3_f16 v3, v8, v0, v1
	v_lshl_add_u64 v[0:1], v[40:41], 1, v[6:7]
	global_store_short v[0:1], v3, off
	v_min_f16_sdwa v0, v2, v2 dst_sel:DWORD dst_unused:UNUSED_PAD src0_sel:DWORD src1_sel:WORD_1
	v_max_f16_e32 v0, v0, v0
	s_cbranch_vccz .LBB266_160
; %bb.158:
	v_min_f16_e32 v1, 0, v0
	v_lshl_add_u64 v[2:3], v[44:45], 1, v[6:7]
	s_mov_b32 s2, 0
	global_store_short v[2:3], v1, off
	s_cbranch_execz .LBB266_161
; %bb.159:
	v_mov_b32_e32 v0, s2
	s_branch .LBB266_162
.LBB266_160:
                                        ; implicit-def: $sgpr2
.LBB266_161:
	v_lshlrev_b64 v[2:3], 1, v[44:45]
	v_lshl_add_u64 v[8:9], v[4:5], 0, v[2:3]
	flat_load_ushort v1, v[8:9]
	v_lshl_add_u64 v[2:3], v[6:7], 0, v[2:3]
	s_waitcnt vmcnt(0) lgkmcnt(0)
	v_mul_f16_e32 v1, s16, v1
	v_min_f16_e32 v0, v1, v0
	global_store_short v[2:3], v0, off
	v_lshl_add_u64 v[0:1], v[42:43], 1, v[4:5]
	flat_load_ushort v0, v[0:1]
	s_waitcnt vmcnt(0) lgkmcnt(0)
	v_mul_f16_e32 v0, s16, v0
.LBB266_162:
	v_pk_add_f16 v1, v32, v34
	v_pk_max_f16 v2, v63, v63
	s_nop 0
	v_pk_min_f16 v1, v2, v1
	v_pk_add_f16 v2, v33, v35
	s_nop 0
	v_pk_min_f16 v1, v1, v2
	s_nop 0
	v_lshrrev_b32_e32 v2, 16, v1
	v_min3_f16 v2, v0, v1, v2
	v_lshl_add_u64 v[0:1], v[42:43], 1, v[6:7]
	global_store_short v[0:1], v2, off
	s_endpgm
	.section	.rodata,"a",@progbits
	.p2align	6, 0x0
	.amdhsa_kernel _ZN12_GLOBAL__N_120geam_min_plus_kernelIDF16_Dv2_DF16_S1_Li32ELi8ELi128ELi128ELi4ELi4ELi64ELi4ELi64ELc84ELc78ELb0ELb0ELb1EDF16_KDF16_DF16_EEviiiT16_PT17_ilS5_ilS3_S5_ilPT18_ili26rocblas_geam_ex_operation_
		.amdhsa_group_segment_fixed_size 4096
		.amdhsa_private_segment_fixed_size 0
		.amdhsa_kernarg_size 128
		.amdhsa_user_sgpr_count 2
		.amdhsa_user_sgpr_dispatch_ptr 0
		.amdhsa_user_sgpr_queue_ptr 0
		.amdhsa_user_sgpr_kernarg_segment_ptr 1
		.amdhsa_user_sgpr_dispatch_id 0
		.amdhsa_user_sgpr_kernarg_preload_length 0
		.amdhsa_user_sgpr_kernarg_preload_offset 0
		.amdhsa_user_sgpr_private_segment_size 0
		.amdhsa_uses_dynamic_stack 0
		.amdhsa_enable_private_segment 0
		.amdhsa_system_sgpr_workgroup_id_x 1
		.amdhsa_system_sgpr_workgroup_id_y 0
		.amdhsa_system_sgpr_workgroup_id_z 1
		.amdhsa_system_sgpr_workgroup_info 0
		.amdhsa_system_vgpr_workitem_id 1
		.amdhsa_next_free_vgpr 168
		.amdhsa_next_free_sgpr 28
		.amdhsa_accum_offset 168
		.amdhsa_reserve_vcc 1
		.amdhsa_float_round_mode_32 0
		.amdhsa_float_round_mode_16_64 0
		.amdhsa_float_denorm_mode_32 3
		.amdhsa_float_denorm_mode_16_64 3
		.amdhsa_dx10_clamp 1
		.amdhsa_ieee_mode 1
		.amdhsa_fp16_overflow 0
		.amdhsa_tg_split 0
		.amdhsa_exception_fp_ieee_invalid_op 0
		.amdhsa_exception_fp_denorm_src 0
		.amdhsa_exception_fp_ieee_div_zero 0
		.amdhsa_exception_fp_ieee_overflow 0
		.amdhsa_exception_fp_ieee_underflow 0
		.amdhsa_exception_fp_ieee_inexact 0
		.amdhsa_exception_int_div_zero 0
	.end_amdhsa_kernel
	.section	.text._ZN12_GLOBAL__N_120geam_min_plus_kernelIDF16_Dv2_DF16_S1_Li32ELi8ELi128ELi128ELi4ELi4ELi64ELi4ELi64ELc84ELc78ELb0ELb0ELb1EDF16_KDF16_DF16_EEviiiT16_PT17_ilS5_ilS3_S5_ilPT18_ili26rocblas_geam_ex_operation_,"axG",@progbits,_ZN12_GLOBAL__N_120geam_min_plus_kernelIDF16_Dv2_DF16_S1_Li32ELi8ELi128ELi128ELi4ELi4ELi64ELi4ELi64ELc84ELc78ELb0ELb0ELb1EDF16_KDF16_DF16_EEviiiT16_PT17_ilS5_ilS3_S5_ilPT18_ili26rocblas_geam_ex_operation_,comdat
.Lfunc_end266:
	.size	_ZN12_GLOBAL__N_120geam_min_plus_kernelIDF16_Dv2_DF16_S1_Li32ELi8ELi128ELi128ELi4ELi4ELi64ELi4ELi64ELc84ELc78ELb0ELb0ELb1EDF16_KDF16_DF16_EEviiiT16_PT17_ilS5_ilS3_S5_ilPT18_ili26rocblas_geam_ex_operation_, .Lfunc_end266-_ZN12_GLOBAL__N_120geam_min_plus_kernelIDF16_Dv2_DF16_S1_Li32ELi8ELi128ELi128ELi4ELi4ELi64ELi4ELi64ELc84ELc78ELb0ELb0ELb1EDF16_KDF16_DF16_EEviiiT16_PT17_ilS5_ilS3_S5_ilPT18_ili26rocblas_geam_ex_operation_
                                        ; -- End function
	.section	.AMDGPU.csdata,"",@progbits
; Kernel info:
; codeLenInByte = 17012
; NumSgprs: 34
; NumVgprs: 168
; NumAgprs: 0
; TotalNumVgprs: 168
; ScratchSize: 0
; MemoryBound: 0
; FloatMode: 240
; IeeeMode: 1
; LDSByteSize: 4096 bytes/workgroup (compile time only)
; SGPRBlocks: 4
; VGPRBlocks: 20
; NumSGPRsForWavesPerEU: 34
; NumVGPRsForWavesPerEU: 168
; AccumOffset: 168
; Occupancy: 3
; WaveLimiterHint : 0
; COMPUTE_PGM_RSRC2:SCRATCH_EN: 0
; COMPUTE_PGM_RSRC2:USER_SGPR: 2
; COMPUTE_PGM_RSRC2:TRAP_HANDLER: 0
; COMPUTE_PGM_RSRC2:TGID_X_EN: 1
; COMPUTE_PGM_RSRC2:TGID_Y_EN: 0
; COMPUTE_PGM_RSRC2:TGID_Z_EN: 1
; COMPUTE_PGM_RSRC2:TIDIG_COMP_CNT: 1
; COMPUTE_PGM_RSRC3_GFX90A:ACCUM_OFFSET: 41
; COMPUTE_PGM_RSRC3_GFX90A:TG_SPLIT: 0
	.section	.text._ZN12_GLOBAL__N_120geam_min_plus_kernelIDF16_Dv2_DF16_S1_Li32ELi8ELi128ELi128ELi4ELi4ELi64ELi4ELi64ELc84ELc78ELb0ELb1ELb1EPKDF16_S2_DF16_EEviiiT16_PT17_ilS6_ilS4_S6_ilPT18_ili26rocblas_geam_ex_operation_,"axG",@progbits,_ZN12_GLOBAL__N_120geam_min_plus_kernelIDF16_Dv2_DF16_S1_Li32ELi8ELi128ELi128ELi4ELi4ELi64ELi4ELi64ELc84ELc78ELb0ELb1ELb1EPKDF16_S2_DF16_EEviiiT16_PT17_ilS6_ilS4_S6_ilPT18_ili26rocblas_geam_ex_operation_,comdat
	.globl	_ZN12_GLOBAL__N_120geam_min_plus_kernelIDF16_Dv2_DF16_S1_Li32ELi8ELi128ELi128ELi4ELi4ELi64ELi4ELi64ELc84ELc78ELb0ELb1ELb1EPKDF16_S2_DF16_EEviiiT16_PT17_ilS6_ilS4_S6_ilPT18_ili26rocblas_geam_ex_operation_ ; -- Begin function _ZN12_GLOBAL__N_120geam_min_plus_kernelIDF16_Dv2_DF16_S1_Li32ELi8ELi128ELi128ELi4ELi4ELi64ELi4ELi64ELc84ELc78ELb0ELb1ELb1EPKDF16_S2_DF16_EEviiiT16_PT17_ilS6_ilS4_S6_ilPT18_ili26rocblas_geam_ex_operation_
	.p2align	8
	.type	_ZN12_GLOBAL__N_120geam_min_plus_kernelIDF16_Dv2_DF16_S1_Li32ELi8ELi128ELi128ELi4ELi4ELi64ELi4ELi64ELc84ELc78ELb0ELb1ELb1EPKDF16_S2_DF16_EEviiiT16_PT17_ilS6_ilS4_S6_ilPT18_ili26rocblas_geam_ex_operation_,@function
_ZN12_GLOBAL__N_120geam_min_plus_kernelIDF16_Dv2_DF16_S1_Li32ELi8ELi128ELi128ELi4ELi4ELi64ELi4ELi64ELc84ELc78ELb0ELb1ELb1EPKDF16_S2_DF16_EEviiiT16_PT17_ilS6_ilS4_S6_ilPT18_ili26rocblas_geam_ex_operation_: ; @_ZN12_GLOBAL__N_120geam_min_plus_kernelIDF16_Dv2_DF16_S1_Li32ELi8ELi128ELi128ELi4ELi4ELi64ELi4ELi64ELc84ELc78ELb0ELb1ELb1EPKDF16_S2_DF16_EEviiiT16_PT17_ilS6_ilS4_S6_ilPT18_ili26rocblas_geam_ex_operation_
; %bb.0:
	s_load_dwordx4 s[4:7], s[0:1], 0x10
	s_load_dwordx4 s[8:11], s[0:1], 0x28
	;; [unrolled: 1-line block ×3, first 2 shown]
	s_load_dwordx2 s[16:17], s[0:1], 0x50
	s_mov_b32 s24, s3
	s_mov_b32 s25, 0
	s_lshl_b64 s[18:19], s[24:25], 1
	s_waitcnt lgkmcnt(0)
	s_add_u32 s4, s4, s18
	s_addc_u32 s5, s5, s19
	v_mov_b32_e32 v1, 0
	global_load_ushort v92, v1, s[4:5]
	s_add_u32 s4, s14, s18
	s_addc_u32 s5, s15, s19
	global_load_ushort v52, v1, s[4:5]
	s_mov_b64 s[26:27], 0
	s_mov_b64 s[28:29], 0
	s_waitcnt vmcnt(1)
	v_cmp_eq_f16_e32 vcc, 0, v92
	v_cmp_neq_f16_e64 s[4:5], 0, v92
	s_cbranch_vccnz .LBB267_2
; %bb.1:
	s_mul_i32 s3, s24, s9
	s_mul_hi_u32 s9, s24, s8
	s_add_i32 s9, s9, s3
	s_mul_i32 s8, s24, s8
	s_lshl_b64 s[8:9], s[8:9], 1
	s_add_u32 s28, s6, s8
	s_addc_u32 s29, s7, s9
.LBB267_2:
	s_andn2_b64 vcc, exec, s[4:5]
	s_cbranch_vccnz .LBB267_4
; %bb.3:
	s_mul_i32 s3, s24, s13
	s_mul_hi_u32 s4, s24, s12
	s_add_i32 s5, s4, s3
	s_mul_i32 s4, s24, s12
	s_lshl_b64 s[4:5], s[4:5], 1
	s_add_u32 s26, s10, s4
	s_addc_u32 s27, s11, s5
.LBB267_4:
	s_load_dwordx4 s[20:23], s[0:1], 0x60
	s_waitcnt vmcnt(0)
	v_cmp_eq_f16_e32 vcc, 0, v52
	v_cmp_neq_f16_e64 s[14:15], 0, v52
	s_cbranch_vccnz .LBB267_6
; %bb.5:
	s_waitcnt lgkmcnt(0)
	s_mul_i32 s3, s24, s21
	s_mul_hi_u32 s4, s24, s20
	s_add_i32 s5, s4, s3
	s_mul_i32 s4, s24, s20
	s_lshl_b64 s[4:5], s[4:5], 1
	s_add_u32 s20, s16, s4
	s_addc_u32 s21, s17, s5
	s_branch .LBB267_7
.LBB267_6:
	s_waitcnt lgkmcnt(0)
	s_mov_b64 s[20:21], 0
.LBB267_7:
	s_load_dwordx4 s[16:19], s[0:1], 0x0
	s_load_dword s33, s[0:1], 0x20
	v_and_b32_e32 v86, 0x3ff, v0
	v_bfe_u32 v87, v0, 10, 10
	v_and_b32_e32 v97, 3, v86
	s_waitcnt lgkmcnt(0)
	s_add_i32 s8, s16, -1
	s_ashr_i32 s3, s8, 31
	s_lshr_b32 s3, s3, 25
	s_add_i32 s3, s8, s3
	s_ashr_i32 s3, s3, 7
	s_add_i32 s4, s3, 1
	v_cvt_f32_u32_e32 v1, s4
	s_not_b32 s3, s3
	v_cmp_le_i32_e64 s[12:13], s18, v97
	v_cmp_eq_f16_e32 vcc, 0, v92
	v_rcp_iflag_f32_e32 v0, v1
	v_lshl_add_u32 v1, v87, 5, v86
	v_lshrrev_b32_e32 v4, 2, v1
	v_mov_b32_e32 v6, 0x7c00
	v_mul_f32_e32 v0, 0x4f7ffffe, v0
	v_cvt_u32_f32_e32 v0, v0
	s_nop 0
	v_readfirstlane_b32 s5, v0
	s_mul_i32 s3, s3, s5
	s_mul_hi_u32 s3, s5, s3
	s_add_i32 s5, s5, s3
	s_mul_hi_u32 s3, s2, s5
	s_mul_i32 s5, s3, s4
	s_sub_i32 s5, s2, s5
	s_add_i32 s6, s3, 1
	s_sub_i32 s7, s5, s4
	s_cmp_ge_u32 s5, s4
	s_cselect_b32 s3, s6, s3
	s_cselect_b32 s5, s7, s5
	s_add_i32 s6, s3, 1
	s_cmp_ge_u32 s5, s4
	s_cselect_b32 s9, s6, s3
	s_mul_i32 s3, s9, s4
	s_sub_i32 s2, s2, s3
	s_lshl_b32 s25, s2, 7
	v_add_u32_e32 v40, s25, v4
	s_add_i32 s19, s18, -1
	v_cmp_le_i32_e64 s[4:5], s16, v40
	v_min_i32_e32 v0, s19, v97
	s_or_b64 s[2:3], s[12:13], s[4:5]
	v_ashrrev_i32_e32 v1, 31, v0
	v_cndmask_b32_e64 v5, 0, v6, s[2:3]
	s_or_b64 s[2:3], vcc, s[2:3]
	v_lshl_add_u64 v[2:3], v[0:1], 1, s[28:29]
	s_xor_b64 s[6:7], s[2:3], -1
	s_and_saveexec_b64 s[2:3], s[6:7]
	s_cbranch_execz .LBB267_9
; %bb.8:
	v_mad_i64_i32 v[8:9], s[6:7], v40, s33, 0
	v_lshl_add_u64 v[8:9], v[8:9], 1, v[2:3]
	flat_load_ushort v5, v[8:9]
	s_waitcnt vmcnt(0) lgkmcnt(0)
	v_mul_f16_e32 v5, v92, v5
.LBB267_9:
	s_or_b64 exec, exec, s[2:3]
	v_add_u32_e32 v7, 64, v40
	v_cmp_le_i32_e64 s[6:7], s16, v7
	s_or_b64 s[2:3], s[12:13], s[6:7]
	v_cndmask_b32_e64 v6, 0, v6, s[2:3]
	s_or_b64 s[2:3], vcc, s[2:3]
	v_min_i32_e32 v42, s8, v7
	s_xor_b64 s[10:11], s[2:3], -1
	s_and_saveexec_b64 s[2:3], s[10:11]
	s_cbranch_execz .LBB267_11
; %bb.10:
	v_mad_i64_i32 v[6:7], s[10:11], v42, s33, 0
	v_lshl_add_u64 v[2:3], v[6:7], 1, v[2:3]
	flat_load_ushort v2, v[2:3]
	s_waitcnt vmcnt(0) lgkmcnt(0)
	v_mul_f16_e32 v6, v92, v2
.LBB267_11:
	s_or_b64 exec, exec, s[2:3]
	s_lshl_b32 s30, s9, 7
	s_load_dword s34, s[0:1], 0x38
	v_add_u32_e32 v44, s30, v4
	v_cmp_le_i32_e64 s[8:9], s17, v44
	v_mov_b32_e32 v2, 0x7c00
	s_or_b64 s[2:3], s[12:13], s[8:9]
	v_cndmask_b32_e64 v7, 0, v2, s[2:3]
	s_or_b64 s[2:3], vcc, s[2:3]
	v_lshl_add_u64 v[0:1], v[0:1], 1, s[26:27]
	s_xor_b64 s[10:11], s[2:3], -1
	s_and_saveexec_b64 s[2:3], s[10:11]
	s_cbranch_execz .LBB267_13
; %bb.12:
	s_waitcnt lgkmcnt(0)
	v_mad_i64_i32 v[8:9], s[10:11], v44, s34, 0
	v_lshl_add_u64 v[8:9], v[8:9], 1, v[0:1]
	flat_load_ushort v3, v[8:9]
	s_waitcnt vmcnt(0) lgkmcnt(0)
	v_mul_f16_e32 v7, v92, v3
.LBB267_13:
	s_or_b64 exec, exec, s[2:3]
	v_add_u32_e32 v3, 64, v44
	s_add_i32 s2, s17, -1
	v_cmp_le_i32_e64 s[10:11], s17, v3
	v_min_i32_e32 v46, s2, v3
	s_or_b64 s[2:3], s[12:13], s[10:11]
	v_cndmask_b32_e64 v8, 0, v2, s[2:3]
	s_or_b64 s[2:3], vcc, s[2:3]
	s_xor_b64 s[12:13], s[2:3], -1
	s_and_saveexec_b64 s[2:3], s[12:13]
	s_cbranch_execz .LBB267_15
; %bb.14:
	s_waitcnt lgkmcnt(0)
	v_mad_i64_i32 v[2:3], s[12:13], v46, s34, 0
	v_lshl_add_u64 v[0:1], v[2:3], 1, v[0:1]
	flat_load_ushort v0, v[0:1]
	s_waitcnt vmcnt(0) lgkmcnt(0)
	v_mul_f16_e32 v8, v92, v0
.LBB267_15:
	s_or_b64 exec, exec, s[2:3]
	v_or_b32_e32 v0, 4, v97
	v_cmp_le_i32_e64 s[12:13], s18, v0
	v_min_i32_e32 v0, s19, v0
	v_mov_b32_e32 v9, 0x7c00
	s_or_b64 s[2:3], s[12:13], s[4:5]
	v_ashrrev_i32_e32 v1, 31, v0
	v_cndmask_b32_e64 v41, 0, v9, s[2:3]
	s_or_b64 s[2:3], vcc, s[2:3]
	v_lshl_add_u64 v[2:3], v[0:1], 1, s[28:29]
	s_xor_b64 s[36:37], s[2:3], -1
	s_and_saveexec_b64 s[2:3], s[36:37]
	s_cbranch_execz .LBB267_17
; %bb.16:
	v_mad_i64_i32 v[10:11], s[36:37], v40, s33, 0
	v_lshl_add_u64 v[10:11], v[10:11], 1, v[2:3]
	flat_load_ushort v10, v[10:11]
	s_waitcnt vmcnt(0) lgkmcnt(0)
	v_mul_f16_e32 v41, v92, v10
.LBB267_17:
	s_or_b64 exec, exec, s[2:3]
	s_or_b64 s[2:3], s[12:13], s[6:7]
	v_cndmask_b32_e64 v43, 0, v9, s[2:3]
	s_or_b64 s[2:3], vcc, s[2:3]
	s_xor_b64 s[36:37], s[2:3], -1
	s_and_saveexec_b64 s[2:3], s[36:37]
	s_cbranch_execz .LBB267_19
; %bb.18:
	v_mad_i64_i32 v[10:11], s[36:37], v42, s33, 0
	v_lshl_add_u64 v[2:3], v[10:11], 1, v[2:3]
	flat_load_ushort v2, v[2:3]
	s_waitcnt vmcnt(0) lgkmcnt(0)
	v_mul_f16_e32 v43, v92, v2
.LBB267_19:
	s_or_b64 exec, exec, s[2:3]
	v_mov_b32_e32 v2, 0x7c00
	s_or_b64 s[2:3], s[12:13], s[8:9]
	v_cndmask_b32_e64 v45, 0, v2, s[2:3]
	s_or_b64 s[2:3], vcc, s[2:3]
	v_lshl_add_u64 v[0:1], v[0:1], 1, s[26:27]
	s_xor_b64 s[36:37], s[2:3], -1
	s_and_saveexec_b64 s[2:3], s[36:37]
	s_cbranch_execz .LBB267_21
; %bb.20:
	s_waitcnt lgkmcnt(0)
	v_mad_i64_i32 v[10:11], s[36:37], v44, s34, 0
	v_lshl_add_u64 v[10:11], v[10:11], 1, v[0:1]
	flat_load_ushort v3, v[10:11]
	s_waitcnt vmcnt(0) lgkmcnt(0)
	v_mul_f16_e32 v45, v92, v3
.LBB267_21:
	s_or_b64 exec, exec, s[2:3]
	s_or_b64 s[2:3], s[12:13], s[10:11]
	v_cndmask_b32_e64 v47, 0, v2, s[2:3]
	s_or_b64 s[2:3], vcc, s[2:3]
	s_xor_b64 s[36:37], s[2:3], -1
	s_movk_i32 s12, 0x7c00
	s_and_saveexec_b64 s[2:3], s[36:37]
	s_cbranch_execz .LBB267_23
; %bb.22:
	s_waitcnt lgkmcnt(0)
	v_mad_i64_i32 v[2:3], s[36:37], v46, s34, 0
	v_lshl_add_u64 v[0:1], v[2:3], 1, v[0:1]
	flat_load_ushort v0, v[0:1]
	s_waitcnt vmcnt(0) lgkmcnt(0)
	v_mul_f16_e32 v47, v92, v0
.LBB267_23:
	s_or_b64 exec, exec, s[2:3]
	v_lshlrev_b32_e32 v0, 1, v97
	v_lshl_or_b32 v107, v4, 3, v0
	v_lshlrev_b32_e32 v99, 3, v86
	v_lshlrev_b32_e32 v100, 3, v87
	ds_write_b16 v107, v5
	ds_write_b16 v107, v6 offset:512
	ds_write_b16 v107, v7 offset:2048
	;; [unrolled: 1-line block ×3, first 2 shown]
	s_waitcnt lgkmcnt(0)
	s_barrier
	ds_read2_b64 v[4:7], v99 offset1:32
	ds_read2_b64 v[0:3], v99 offset0:64 offset1:96
	v_add_u32_e32 v108, 0x800, v100
	ds_read2_b64 v[36:39], v108 offset1:8
	ds_read2_b64 v[32:35], v108 offset0:16 offset1:24
	ds_read2_b64 v[28:31], v108 offset0:32 offset1:40
	ds_read2_b64 v[24:27], v108 offset0:48 offset1:56
	ds_read2_b64 v[20:23], v108 offset0:64 offset1:72
	ds_read2_b64 v[16:19], v108 offset0:80 offset1:88
	ds_read2_b64 v[12:15], v108 offset0:96 offset1:104
	ds_read2_b64 v[8:11], v108 offset0:112 offset1:120
	s_cmp_lt_i32 s18, 9
	s_waitcnt lgkmcnt(7)
	v_pk_add_f16 v48, v4, v36
	s_waitcnt lgkmcnt(2)
	v_pk_add_f16 v79, v4, v16
	v_pk_min_f16 v48, v48, s12 op_sel_hi:[1,0]
	v_pk_min_f16 v125, v79, s12 op_sel_hi:[1,0]
	v_pk_add_f16 v79, v6, v16
	v_pk_add_f16 v49, v6, v36
	v_pk_min_f16 v126, v79, s12 op_sel_hi:[1,0]
	v_pk_add_f16 v79, v0, v16
	v_pk_add_f16 v50, v0, v36
	;; [unrolled: 3-line block ×5, first 2 shown]
	v_pk_min_f16 v130, v79, s12 op_sel_hi:[1,0]
	s_waitcnt lgkmcnt(1)
	v_pk_add_f16 v79, v4, v12
	v_pk_add_f16 v54, v0, v38
	v_pk_min_f16 v131, v79, s12 op_sel_hi:[1,0]
	v_pk_add_f16 v79, v6, v12
	v_pk_add_f16 v38, v2, v38
	v_pk_min_f16 v132, v79, s12 op_sel_hi:[1,0]
	;; [unrolled: 3-line block ×6, first 2 shown]
	s_waitcnt lgkmcnt(0)
	v_pk_add_f16 v79, v4, v8
	v_pk_add_f16 v58, v4, v34
	v_pk_min_f16 v137, v79, s12 op_sel_hi:[1,0]
	v_pk_add_f16 v79, v6, v8
	v_pk_add_f16 v59, v6, v34
	;; [unrolled: 1-line block ×32, first 2 shown]
	v_pk_min_f16 v138, v79, s12 op_sel_hi:[1,0]
	v_pk_add_f16 v79, v0, v8
	v_pk_add_f16 v8, v2, v8
	v_pk_add_f16 v4, v4, v10
	v_pk_add_f16 v6, v6, v10
	v_pk_add_f16 v0, v0, v10
	v_pk_add_f16 v2, v2, v10
	v_pk_add_f16 v10, v5, v37
	v_pk_min_f16 v49, v49, s12 op_sel_hi:[1,0]
	v_pk_min_f16 v124, v48, v10
	v_pk_add_f16 v10, v7, v37
	v_pk_min_f16 v50, v50, s12 op_sel_hi:[1,0]
	v_pk_min_f16 v123, v49, v10
	v_pk_add_f16 v10, v1, v37
	;; [unrolled: 3-line block ×37, first 2 shown]
	v_pk_min_f16 v78, v78, s12 op_sel_hi:[1,0]
	v_pk_min_f16 v139, v79, s12 op_sel_hi:[1,0]
	v_pk_min_f16 v79, v77, v10
	v_pk_add_f16 v10, v1, v23
	v_pk_min_f16 v22, v22, s12 op_sel_hi:[1,0]
	v_pk_min_f16 v78, v78, v10
	v_pk_add_f16 v10, v3, v23
	;; [unrolled: 3-line block ×11, first 2 shown]
	ds_write_b16 v107, v41 offset:1024
	ds_write_b16 v107, v43 offset:1536
	ds_write_b16 v107, v45 offset:3072
	ds_write_b16 v107, v47 offset:3584
	v_pk_min_f16 v68, v131, v10
	v_pk_add_f16 v10, v7, v13
	s_waitcnt lgkmcnt(0)
	v_pk_min_f16 v67, v132, v10
	v_pk_add_f16 v10, v1, v13
	s_barrier
	v_pk_min_f16 v66, v133, v10
	v_pk_add_f16 v10, v3, v13
	s_nop 0
	v_pk_min_f16 v65, v12, v10
	v_pk_add_f16 v10, v5, v15
	s_nop 0
	;; [unrolled: 3-line block ×5, first 2 shown]
	v_pk_min_f16 v61, v14, v10
	v_pk_add_f16 v10, v5, v9
	v_pk_add_f16 v5, v5, v11
	v_pk_min_f16 v60, v137, v10
	v_pk_add_f16 v10, v7, v9
	v_pk_min_f16 v55, v4, v5
	v_pk_min_f16 v59, v138, v10
	v_pk_add_f16 v10, v1, v9
	v_pk_add_f16 v1, v1, v11
	;; [unrolled: 1-line block ×4, first 2 shown]
	v_pk_min_f16 v53, v0, v1
	v_pk_add_f16 v0, v3, v11
	v_pk_min_f16 v58, v139, v10
	v_pk_min_f16 v57, v8, v9
	v_pk_min_f16 v54, v6, v4
	v_pk_min_f16 v56, v2, v0
	s_cbranch_scc1 .LBB267_42
; %bb.24:
	v_mov_b32_e32 v0, 0x400
	v_lshl_add_u32 v128, v86, 3, v0
	v_mov_b32_e32 v0, 0xc00
	v_add_u32_e32 v125, 0x800, v107
	v_add_u32_e32 v126, 0x400, v107
	;; [unrolled: 1-line block ×3, first 2 shown]
	s_add_i32 s31, s18, -8
	v_mad_i64_i32 v[40:41], s[2:3], v40, s33, 0
	v_mad_i64_i32 v[42:43], s[2:3], v42, s33, 0
	v_mad_i64_i32 v[44:45], s[2:3], v44, s34, 0
	v_mad_i64_i32 v[46:47], s[2:3], v46, s34, 0
	v_lshl_add_u32 v129, v87, 3, v0
	s_mov_b32 s33, 0
	v_mov_b32_e32 v130, 0x7c00
	s_branch .LBB267_26
.LBB267_25:                             ;   in Loop: Header=BB267_26 Depth=1
	s_or_b64 exec, exec, s[2:3]
	ds_read2_b64 v[4:7], v99 offset1:32
	ds_read2_b64 v[0:3], v99 offset0:64 offset1:96
	ds_read2_b64 v[134:137], v108 offset1:8
	ds_read2_b64 v[138:141], v108 offset0:16 offset1:24
	ds_read2_b64 v[28:31], v108 offset0:32 offset1:40
	;; [unrolled: 1-line block ×7, first 2 shown]
	s_waitcnt lgkmcnt(7)
	v_pk_add_f16 v48, v4, v134
	v_pk_max_f16 v49, v116, v116
	v_pk_max_f16 v115, v115, v115
	v_pk_min_f16 v48, v49, v48
	v_pk_add_f16 v49, v6, v134
	v_pk_max_f16 v114, v114, v114
	v_pk_min_f16 v49, v115, v49
	v_pk_add_f16 v115, v0, v134
	;; [unrolled: 3-line block ×7, first 2 shown]
	v_pk_max_f16 v106, v106, v106
	v_pk_min_f16 v109, v109, v115
	s_waitcnt lgkmcnt(6)
	v_pk_add_f16 v115, v4, v138
	v_pk_max_f16 v105, v105, v105
	v_pk_min_f16 v106, v106, v115
	v_pk_add_f16 v115, v6, v138
	v_pk_max_f16 v104, v104, v104
	v_pk_min_f16 v105, v105, v115
	;; [unrolled: 3-line block ×8, first 2 shown]
	s_waitcnt lgkmcnt(5)
	v_pk_add_f16 v115, v4, v28
	v_pk_max_f16 v94, v94, v94
	v_pk_min_f16 v95, v95, v115
	v_pk_add_f16 v115, v6, v28
	v_pk_max_f16 v91, v91, v91
	v_pk_min_f16 v94, v94, v115
	v_pk_add_f16 v115, v0, v28
	v_pk_add_f16 v28, v2, v28
	v_pk_max_f16 v90, v90, v90
	v_pk_min_f16 v28, v91, v28
	v_pk_add_f16 v91, v4, v30
	v_pk_max_f16 v89, v89, v89
	v_pk_min_f16 v90, v90, v91
	v_pk_add_f16 v91, v6, v30
	v_pk_max_f16 v85, v85, v85
	v_pk_min_f16 v89, v89, v91
	v_pk_add_f16 v91, v0, v30
	v_pk_add_f16 v30, v2, v30
	v_pk_max_f16 v84, v84, v84
	v_pk_min_f16 v30, v85, v30
	s_waitcnt lgkmcnt(4)
	v_pk_add_f16 v85, v4, v24
	v_pk_max_f16 v83, v83, v83
	v_pk_min_f16 v84, v84, v85
	v_pk_add_f16 v85, v6, v24
	v_pk_max_f16 v81, v81, v81
	v_pk_min_f16 v83, v83, v85
	v_pk_add_f16 v85, v0, v24
	v_pk_add_f16 v24, v2, v24
	v_pk_max_f16 v80, v80, v80
	v_pk_min_f16 v24, v81, v24
	v_pk_add_f16 v81, v4, v26
	v_pk_max_f16 v79, v79, v79
	v_pk_min_f16 v80, v80, v81
	v_pk_add_f16 v81, v6, v26
	v_pk_max_f16 v77, v77, v77
	v_pk_min_f16 v79, v79, v81
	v_pk_add_f16 v81, v0, v26
	v_pk_add_f16 v26, v2, v26
	v_pk_max_f16 v76, v76, v76
	v_pk_min_f16 v26, v77, v26
	;; [unrolled: 21-line block ×5, first 2 shown]
	s_waitcnt lgkmcnt(0)
	v_pk_add_f16 v53, v4, v8
	v_pk_max_f16 v39, v39, v39
	v_pk_min_f16 v51, v51, v53
	v_pk_add_f16 v53, v6, v8
	v_pk_add_f16 v4, v4, v10
	v_pk_min_f16 v39, v39, v53
	v_pk_add_f16 v53, v0, v8
	v_pk_add_f16 v8, v2, v8
	;; [unrolled: 1-line block ×5, first 2 shown]
	v_pk_max_f16 v10, v33, v33
	v_pk_max_f16 v93, v93, v93
	v_pk_min_f16 v2, v10, v2
	v_pk_add_f16 v10, v5, v135
	v_pk_min_f16 v93, v93, v115
	v_pk_min_f16 v124, v48, v10
	v_pk_add_f16 v10, v7, v135
	v_pk_max_f16 v88, v88, v88
	v_pk_min_f16 v123, v49, v10
	v_pk_add_f16 v10, v1, v135
	v_pk_min_f16 v88, v88, v91
	v_pk_min_f16 v122, v114, v10
	v_pk_add_f16 v10, v3, v135
	;; [unrolled: 6-line block ×10, first 2 shown]
	v_pk_max_f16 v36, v36, v36
	v_pk_min_f16 v103, v28, v10
	v_pk_add_f16 v10, v5, v31
	v_pk_max_f16 v34, v34, v34
	v_pk_min_f16 v102, v90, v10
	v_pk_add_f16 v10, v7, v31
	;; [unrolled: 3-line block ×4, first 2 shown]
	v_pk_min_f16 v4, v36, v4
	v_pk_min_f16 v96, v30, v10
	v_pk_add_f16 v10, v5, v25
	v_pk_max_f16 v35, v35, v35
	v_pk_min_f16 v95, v84, v10
	v_pk_add_f16 v10, v7, v25
	v_pk_min_f16 v0, v34, v0
	v_pk_min_f16 v94, v83, v10
	v_pk_add_f16 v10, v1, v25
	v_pk_min_f16 v38, v38, v53
	;; [unrolled: 3-line block ×4, first 2 shown]
	v_pk_min_f16 v90, v80, v10
	v_pk_add_f16 v10, v7, v27
	s_add_i32 s33, s33, 8
	v_pk_min_f16 v89, v79, v10
	v_pk_add_f16 v10, v1, v27
	s_cmp_ge_i32 s33, s31
	v_pk_min_f16 v88, v78, v10
	v_pk_add_f16 v10, v3, v27
	ds_write_b16 v126, v131
	ds_write_b16 v126, v132 offset:512
	ds_write_b16 v127, v50
	ds_write_b16 v127, v32 offset:512
	v_pk_min_f16 v85, v26, v10
	v_pk_add_f16 v10, v5, v21
	s_waitcnt lgkmcnt(0)
	v_pk_min_f16 v84, v76, v10
	v_pk_add_f16 v10, v7, v21
	s_barrier
	v_pk_min_f16 v83, v75, v10
	v_pk_add_f16 v10, v1, v21
	s_nop 0
	v_pk_min_f16 v82, v74, v10
	v_pk_add_f16 v10, v3, v21
	s_nop 0
	v_pk_min_f16 v81, v20, v10
	v_pk_add_f16 v10, v5, v23
	s_nop 0
	v_pk_min_f16 v80, v72, v10
	v_pk_add_f16 v10, v7, v23
	s_nop 0
	v_pk_min_f16 v79, v71, v10
	v_pk_add_f16 v10, v1, v23
	s_nop 0
	v_pk_min_f16 v78, v70, v10
	v_pk_add_f16 v10, v3, v23
	s_nop 0
	v_pk_min_f16 v77, v22, v10
	v_pk_add_f16 v10, v5, v17
	s_nop 0
	v_pk_min_f16 v76, v68, v10
	v_pk_add_f16 v10, v7, v17
	s_nop 0
	v_pk_min_f16 v75, v67, v10
	v_pk_add_f16 v10, v1, v17
	s_nop 0
	v_pk_min_f16 v74, v66, v10
	v_pk_add_f16 v10, v3, v17
	s_nop 0
	v_pk_min_f16 v73, v16, v10
	v_pk_add_f16 v10, v5, v19
	s_nop 0
	v_pk_min_f16 v72, v64, v10
	v_pk_add_f16 v10, v7, v19
	s_nop 0
	v_pk_min_f16 v71, v63, v10
	v_pk_add_f16 v10, v1, v19
	s_nop 0
	v_pk_min_f16 v70, v62, v10
	v_pk_add_f16 v10, v3, v19
	s_nop 0
	v_pk_min_f16 v69, v18, v10
	v_pk_add_f16 v10, v5, v13
	s_nop 0
	v_pk_min_f16 v68, v60, v10
	v_pk_add_f16 v10, v7, v13
	s_nop 0
	v_pk_min_f16 v67, v59, v10
	v_pk_add_f16 v10, v1, v13
	s_nop 0
	v_pk_min_f16 v66, v58, v10
	v_pk_add_f16 v10, v3, v13
	s_nop 0
	v_pk_min_f16 v65, v12, v10
	v_pk_add_f16 v10, v5, v15
	s_nop 0
	v_pk_min_f16 v64, v56, v10
	v_pk_add_f16 v10, v7, v15
	s_nop 0
	v_pk_min_f16 v63, v55, v10
	v_pk_add_f16 v10, v1, v15
	s_nop 0
	v_pk_min_f16 v62, v54, v10
	v_pk_add_f16 v10, v3, v15
	s_nop 0
	v_pk_min_f16 v61, v14, v10
	v_pk_add_f16 v10, v5, v9
	v_pk_add_f16 v5, v5, v11
	v_pk_min_f16 v60, v51, v10
	v_pk_add_f16 v10, v7, v9
	v_pk_min_f16 v55, v4, v5
	v_pk_min_f16 v59, v39, v10
	v_pk_add_f16 v10, v1, v9
	v_pk_add_f16 v1, v1, v11
	;; [unrolled: 1-line block ×4, first 2 shown]
	v_pk_min_f16 v53, v0, v1
	v_pk_add_f16 v0, v3, v11
	v_pk_min_f16 v58, v38, v10
	v_pk_min_f16 v57, v8, v9
	;; [unrolled: 1-line block ×4, first 2 shown]
	s_cbranch_scc1 .LBB267_42
.LBB267_26:                             ; =>This Inner Loop Header: Depth=1
	v_add_u32_e32 v48, s33, v97
	v_add_u32_e32 v0, 8, v48
	v_cmp_le_i32_e64 s[12:13], s18, v0
	v_min_i32_e32 v0, s19, v0
	s_or_b64 s[2:3], s[4:5], s[12:13]
	v_ashrrev_i32_e32 v1, 31, v0
	v_cndmask_b32_e64 v49, 0, v130, s[2:3]
	s_or_b64 s[2:3], vcc, s[2:3]
	v_lshl_add_u64 v[2:3], v[0:1], 1, s[28:29]
	s_xor_b64 s[34:35], s[2:3], -1
	s_and_saveexec_b64 s[2:3], s[34:35]
	s_cbranch_execz .LBB267_28
; %bb.27:                               ;   in Loop: Header=BB267_26 Depth=1
	v_lshl_add_u64 v[4:5], v[40:41], 1, v[2:3]
	flat_load_ushort v4, v[4:5]
	s_waitcnt vmcnt(0) lgkmcnt(0)
	v_mul_f16_e32 v49, v92, v4
.LBB267_28:                             ;   in Loop: Header=BB267_26 Depth=1
	s_or_b64 exec, exec, s[2:3]
	s_or_b64 s[2:3], s[6:7], s[12:13]
	v_cndmask_b32_e64 v50, 0, v130, s[2:3]
	s_or_b64 s[2:3], vcc, s[2:3]
	s_xor_b64 s[34:35], s[2:3], -1
	s_and_saveexec_b64 s[2:3], s[34:35]
	s_cbranch_execz .LBB267_30
; %bb.29:                               ;   in Loop: Header=BB267_26 Depth=1
	v_lshl_add_u64 v[2:3], v[42:43], 1, v[2:3]
	flat_load_ushort v2, v[2:3]
	s_waitcnt vmcnt(0) lgkmcnt(0)
	v_mul_f16_e32 v50, v92, v2
.LBB267_30:                             ;   in Loop: Header=BB267_26 Depth=1
	s_or_b64 exec, exec, s[2:3]
	s_or_b64 s[2:3], s[8:9], s[12:13]
	v_cndmask_b32_e64 v51, 0, v130, s[2:3]
	s_or_b64 s[2:3], vcc, s[2:3]
	v_lshl_add_u64 v[0:1], v[0:1], 1, s[26:27]
	s_xor_b64 s[34:35], s[2:3], -1
	s_and_saveexec_b64 s[2:3], s[34:35]
	s_cbranch_execz .LBB267_32
; %bb.31:                               ;   in Loop: Header=BB267_26 Depth=1
	v_lshl_add_u64 v[2:3], v[44:45], 1, v[0:1]
	flat_load_ushort v2, v[2:3]
	s_waitcnt vmcnt(0) lgkmcnt(0)
	v_mul_f16_e32 v51, v92, v2
.LBB267_32:                             ;   in Loop: Header=BB267_26 Depth=1
	s_or_b64 exec, exec, s[2:3]
	s_or_b64 s[2:3], s[10:11], s[12:13]
	v_cndmask_b32_e64 v131, 0, v130, s[2:3]
	s_or_b64 s[2:3], vcc, s[2:3]
	s_xor_b64 s[12:13], s[2:3], -1
	s_and_saveexec_b64 s[2:3], s[12:13]
	s_cbranch_execz .LBB267_34
; %bb.33:                               ;   in Loop: Header=BB267_26 Depth=1
	v_lshl_add_u64 v[0:1], v[46:47], 1, v[0:1]
	flat_load_ushort v0, v[0:1]
	s_waitcnt vmcnt(0) lgkmcnt(0)
	v_mul_f16_e32 v131, v92, v0
.LBB267_34:                             ;   in Loop: Header=BB267_26 Depth=1
	s_or_b64 exec, exec, s[2:3]
	ds_read2_b64 v[4:7], v128 offset1:32
	ds_read2_b64 v[0:3], v128 offset0:64 offset1:96
	ds_read2_b64 v[36:39], v129 offset1:8
	ds_read2_b64 v[32:35], v129 offset0:16 offset1:24
	ds_read2_b64 v[28:31], v129 offset0:32 offset1:40
	;; [unrolled: 1-line block ×7, first 2 shown]
	v_add_u32_e32 v48, 12, v48
	v_cmp_le_i32_e64 s[12:13], s18, v48
	v_min_i32_e32 v48, s19, v48
	s_or_b64 s[2:3], s[4:5], s[12:13]
	ds_write_b16 v107, v49
	ds_write_b16 v107, v50 offset:512
	ds_write_b16 v125, v51
	ds_write_b16 v125, v131 offset:512
	v_ashrrev_i32_e32 v49, 31, v48
	v_cndmask_b32_e64 v131, 0, v130, s[2:3]
	s_or_b64 s[2:3], vcc, s[2:3]
	v_lshl_add_u64 v[50:51], v[48:49], 1, s[28:29]
	s_xor_b64 s[2:3], s[2:3], -1
	s_waitcnt lgkmcnt(0)
	s_barrier
	s_and_saveexec_b64 s[34:35], s[2:3]
	s_xor_b64 s[2:3], exec, s[34:35]
	s_cbranch_execz .LBB267_36
; %bb.35:                               ;   in Loop: Header=BB267_26 Depth=1
	v_lshl_add_u64 v[132:133], v[40:41], 1, v[50:51]
	flat_load_ushort v131, v[132:133]
	s_waitcnt vmcnt(0) lgkmcnt(0)
	v_mul_f16_e32 v131, v92, v131
.LBB267_36:                             ;   in Loop: Header=BB267_26 Depth=1
	s_or_b64 exec, exec, s[2:3]
	s_or_b64 s[2:3], s[6:7], s[12:13]
	v_cndmask_b32_e64 v132, 0, v130, s[2:3]
	s_or_b64 s[2:3], vcc, s[2:3]
	s_xor_b64 s[34:35], s[2:3], -1
	s_and_saveexec_b64 s[2:3], s[34:35]
	s_cbranch_execz .LBB267_38
; %bb.37:                               ;   in Loop: Header=BB267_26 Depth=1
	v_lshl_add_u64 v[50:51], v[42:43], 1, v[50:51]
	flat_load_ushort v50, v[50:51]
	s_waitcnt vmcnt(0) lgkmcnt(0)
	v_mul_f16_e32 v132, v92, v50
.LBB267_38:                             ;   in Loop: Header=BB267_26 Depth=1
	s_or_b64 exec, exec, s[2:3]
	s_or_b64 s[2:3], s[8:9], s[12:13]
	v_cndmask_b32_e64 v50, 0, v130, s[2:3]
	s_or_b64 s[2:3], vcc, s[2:3]
	v_lshl_add_u64 v[48:49], v[48:49], 1, s[26:27]
	s_xor_b64 s[34:35], s[2:3], -1
	s_and_saveexec_b64 s[2:3], s[34:35]
	s_cbranch_execz .LBB267_40
; %bb.39:                               ;   in Loop: Header=BB267_26 Depth=1
	v_lshl_add_u64 v[50:51], v[44:45], 1, v[48:49]
	flat_load_ushort v50, v[50:51]
	s_waitcnt vmcnt(0) lgkmcnt(0)
	v_mul_f16_e32 v50, v92, v50
.LBB267_40:                             ;   in Loop: Header=BB267_26 Depth=1
	s_or_b64 exec, exec, s[2:3]
	v_pk_add_f16 v51, v4, v36
	v_pk_max_f16 v124, v124, v124
	v_pk_max_f16 v123, v123, v123
	v_pk_min_f16 v51, v124, v51
	v_pk_add_f16 v124, v6, v36
	v_pk_max_f16 v121, v121, v121
	v_pk_min_f16 v123, v123, v124
	v_pk_add_f16 v124, v0, v36
	v_pk_add_f16 v36, v2, v36
	v_pk_max_f16 v120, v120, v120
	v_pk_min_f16 v36, v121, v36
	v_pk_add_f16 v121, v4, v38
	v_pk_max_f16 v119, v119, v119
	v_pk_min_f16 v120, v120, v121
	v_pk_add_f16 v121, v6, v38
	v_pk_max_f16 v117, v117, v117
	v_pk_min_f16 v119, v119, v121
	v_pk_add_f16 v121, v0, v38
	v_pk_add_f16 v38, v2, v38
	v_pk_max_f16 v116, v116, v116
	v_pk_min_f16 v38, v117, v38
	v_pk_add_f16 v117, v4, v32
	v_pk_max_f16 v118, v118, v118
	v_pk_min_f16 v117, v116, v117
	;; [unrolled: 3-line block ×3, first 2 shown]
	v_pk_min_f16 v121, v115, v116
	v_pk_add_f16 v115, v0, v32
	v_pk_add_f16 v32, v2, v32
	v_pk_max_f16 v113, v113, v113
	v_pk_max_f16 v112, v112, v112
	v_pk_min_f16 v32, v113, v32
	v_pk_add_f16 v113, v4, v34
	v_pk_max_f16 v111, v111, v111
	v_pk_min_f16 v133, v112, v113
	v_pk_add_f16 v112, v6, v34
	v_pk_max_f16 v109, v109, v109
	v_pk_min_f16 v134, v111, v112
	v_pk_add_f16 v111, v0, v34
	v_pk_add_f16 v34, v2, v34
	v_pk_max_f16 v106, v106, v106
	v_pk_min_f16 v34, v109, v34
	v_pk_add_f16 v109, v4, v28
	v_pk_max_f16 v105, v105, v105
	v_pk_min_f16 v136, v106, v109
	v_pk_add_f16 v106, v6, v28
	v_pk_max_f16 v103, v103, v103
	v_pk_min_f16 v137, v105, v106
	v_pk_add_f16 v105, v0, v28
	v_pk_add_f16 v28, v2, v28
	;; [unrolled: 10-line block ×11, first 2 shown]
	v_pk_max_f16 v60, v60, v60
	v_pk_min_f16 v14, v61, v14
	v_pk_add_f16 v61, v4, v8
	v_pk_max_f16 v59, v59, v59
	v_pk_min_f16 v166, v60, v61
	v_pk_add_f16 v60, v6, v8
	v_pk_add_f16 v4, v4, v10
	v_pk_min_f16 v167, v59, v60
	v_pk_add_f16 v59, v0, v8
	v_pk_add_f16 v8, v2, v8
	;; [unrolled: 1-line block ×5, first 2 shown]
	v_pk_max_f16 v10, v56, v56
	v_pk_max_f16 v122, v122, v122
	v_pk_min_f16 v2, v10, v2
	v_pk_add_f16 v10, v5, v37
	v_pk_max_f16 v114, v114, v114
	v_pk_min_f16 v116, v51, v10
	v_pk_add_f16 v10, v7, v37
	v_pk_min_f16 v122, v122, v124
	v_pk_min_f16 v124, v114, v115
	;; [unrolled: 1-line block ×3, first 2 shown]
	v_pk_add_f16 v10, v1, v37
	v_pk_max_f16 v110, v110, v110
	v_pk_min_f16 v114, v122, v10
	v_pk_add_f16 v10, v3, v37
	v_pk_min_f16 v135, v110, v111
	v_pk_min_f16 v113, v36, v10
	v_pk_add_f16 v10, v5, v39
	v_pk_max_f16 v104, v104, v104
	v_pk_min_f16 v112, v120, v10
	v_pk_add_f16 v10, v7, v39
	v_pk_min_f16 v138, v104, v105
	v_pk_min_f16 v111, v119, v10
	;; [unrolled: 6-line block ×16, first 2 shown]
	v_pk_add_f16 v10, v1, v21
	s_or_b64 s[2:3], s[10:11], s[12:13]
	v_pk_min_f16 v74, v150, v10
	v_pk_add_f16 v10, v3, v21
	v_cndmask_b32_e64 v32, 0, v130, s[2:3]
	v_pk_min_f16 v73, v20, v10
	v_pk_add_f16 v10, v5, v23
	s_or_b64 s[2:3], vcc, s[2:3]
	v_pk_min_f16 v72, v151, v10
	v_pk_add_f16 v10, v7, v23
	s_xor_b64 s[12:13], s[2:3], -1
	v_pk_min_f16 v71, v152, v10
	v_pk_add_f16 v10, v1, v23
	s_nop 0
	v_pk_min_f16 v70, v153, v10
	v_pk_add_f16 v10, v3, v23
	s_nop 0
	;; [unrolled: 3-line block ×18, first 2 shown]
	v_pk_min_f16 v53, v14, v10
	v_pk_add_f16 v10, v5, v9
	v_pk_add_f16 v5, v5, v11
	v_pk_min_f16 v51, v166, v10
	v_pk_add_f16 v10, v7, v9
	v_pk_min_f16 v36, v4, v5
	v_pk_min_f16 v39, v167, v10
	v_pk_add_f16 v10, v1, v9
	v_pk_add_f16 v1, v1, v11
	;; [unrolled: 1-line block ×4, first 2 shown]
	v_pk_min_f16 v34, v0, v1
	v_pk_add_f16 v0, v3, v11
	v_pk_min_f16 v38, v168, v10
	v_pk_min_f16 v37, v8, v9
	;; [unrolled: 1-line block ×4, first 2 shown]
	s_and_saveexec_b64 s[2:3], s[12:13]
	s_cbranch_execz .LBB267_25
; %bb.41:                               ;   in Loop: Header=BB267_26 Depth=1
	v_lshl_add_u64 v[0:1], v[46:47], 1, v[48:49]
	flat_load_ushort v0, v[0:1]
	s_waitcnt vmcnt(0) lgkmcnt(0)
	v_mul_f16_e32 v32, v92, v0
	s_branch .LBB267_25
.LBB267_42:
	v_add_u32_e32 v4, 0x800, v100
	s_load_dwordx2 s[2:3], s[0:1], 0x78
	s_load_dword s19, s[0:1], 0x58
	s_load_dword s18, s[0:1], 0x70
	ds_read2_b64 v[8:11], v99 offset0:128 offset1:160
	ds_read2_b64 v[0:3], v99 offset0:192 offset1:224
	;; [unrolled: 1-line block ×10, first 2 shown]
	s_waitcnt lgkmcnt(0)
	s_mul_i32 s1, s24, s3
	s_mul_hi_u32 s3, s24, s2
	s_mul_i32 s0, s24, s2
	s_add_i32 s1, s3, s1
	s_lshl_b64 s[0:1], s[0:1], 1
	s_add_u32 s12, s22, s0
	v_add_u32_e32 v40, s25, v86
	v_add_u32_e32 v86, s30, v87
	s_addc_u32 s13, s23, s1
	v_mad_i64_i32 v[42:43], s[0:1], v86, s19, 0
	v_lshl_add_u64 v[50:51], v[42:43], 1, s[20:21]
	v_mad_i64_i32 v[42:43], s[0:1], v86, s18, 0
	v_cmp_gt_i32_e64 s[4:5], s16, v40
	v_cmp_gt_i32_e64 s[10:11], s17, v86
	v_lshl_add_u64 v[48:49], v[42:43], 1, s[12:13]
	v_cndmask_b32_e64 v42, 0, 1, s[14:15]
	v_ashrrev_i32_e32 v41, 31, v40
	s_and_b64 s[2:3], s[4:5], s[10:11]
	v_cmp_ne_u32_e64 s[0:1], 1, v42
	s_and_saveexec_b64 s[6:7], s[2:3]
	s_xor_b64 s[2:3], exec, s[6:7]
	s_cbranch_execz .LBB267_47
; %bb.43:
	s_and_b64 vcc, exec, s[0:1]
	s_cbranch_vccnz .LBB267_45
; %bb.44:
	v_lshl_add_u64 v[42:43], v[40:41], 1, v[50:51]
	flat_load_ushort v42, v[42:43]
	s_waitcnt vmcnt(0) lgkmcnt(0)
	v_mul_f16_e32 v42, v52, v42
	s_branch .LBB267_46
.LBB267_45:
	v_mov_b32_e32 v42, 0
.LBB267_46:
	v_pk_add_f16 v43, v8, v36
	v_pk_max_f16 v44, v124, v124
	s_nop 0
	v_pk_min_f16 v43, v44, v43
	v_pk_add_f16 v44, v9, v37
	s_nop 0
	v_pk_min_f16 v43, v43, v44
	s_nop 0
	v_lshrrev_b32_e32 v44, 16, v43
	v_min3_f16 v44, v42, v43, v44
	v_lshl_add_u64 v[42:43], v[40:41], 1, v[48:49]
	global_store_short v[42:43], v44, off
.LBB267_47:
	s_or_b64 exec, exec, s[2:3]
	v_add_u32_e32 v42, 32, v40
	v_cmp_gt_i32_e64 s[2:3], s16, v42
	v_ashrrev_i32_e32 v43, 31, v42
	s_and_b64 s[8:9], s[2:3], s[10:11]
	s_and_saveexec_b64 s[6:7], s[8:9]
	s_cbranch_execz .LBB267_52
; %bb.48:
	s_and_b64 vcc, exec, s[0:1]
	s_cbranch_vccnz .LBB267_50
; %bb.49:
	v_lshl_add_u64 v[44:45], v[42:43], 1, v[50:51]
	flat_load_ushort v44, v[44:45]
	s_waitcnt vmcnt(0) lgkmcnt(0)
	v_mul_f16_e32 v44, v52, v44
	s_branch .LBB267_51
.LBB267_50:
	v_mov_b32_e32 v44, 0
.LBB267_51:
	v_pk_add_f16 v45, v10, v36
	v_pk_max_f16 v46, v123, v123
	s_nop 0
	v_pk_min_f16 v45, v46, v45
	v_pk_add_f16 v46, v11, v37
	s_nop 0
	v_pk_min_f16 v45, v45, v46
	s_nop 0
	v_lshrrev_b32_e32 v46, 16, v45
	v_min3_f16 v46, v44, v45, v46
	v_lshl_add_u64 v[44:45], v[42:43], 1, v[48:49]
	global_store_short v[44:45], v46, off
.LBB267_52:
	s_or_b64 exec, exec, s[6:7]
	v_add_u32_e32 v44, 64, v40
	v_cmp_gt_i32_e64 s[6:7], s16, v44
	v_ashrrev_i32_e32 v45, 31, v44
	s_and_b64 s[14:15], s[6:7], s[10:11]
	s_and_saveexec_b64 s[8:9], s[14:15]
	;; [unrolled: 32-line block ×3, first 2 shown]
	s_cbranch_execz .LBB267_62
; %bb.58:
	s_and_b64 vcc, exec, s[0:1]
	s_cbranch_vccnz .LBB267_60
; %bb.59:
	v_lshl_add_u64 v[50:51], v[46:47], 1, v[50:51]
	flat_load_ushort v50, v[50:51]
	s_waitcnt vmcnt(0) lgkmcnt(0)
	v_mul_f16_e32 v50, v52, v50
	s_branch .LBB267_61
.LBB267_60:
	v_mov_b32_e32 v50, 0
.LBB267_61:
	v_pk_add_f16 v36, v2, v36
	v_pk_max_f16 v51, v121, v121
	v_pk_add_f16 v37, v3, v37
	v_pk_min_f16 v36, v51, v36
	s_nop 0
	v_pk_min_f16 v36, v36, v37
	s_nop 0
	v_lshrrev_b32_e32 v37, 16, v36
	v_min3_f16 v50, v50, v36, v37
	v_lshl_add_u64 v[36:37], v[46:47], 1, v[48:49]
	global_store_short v[36:37], v50, off
.LBB267_62:
	s_or_b64 exec, exec, s[10:11]
	v_add_u32_e32 v50, 8, v86
	v_mad_i64_i32 v[36:37], s[14:15], v50, s19, 0
	v_cmp_gt_i32_e64 s[10:11], s17, v50
	v_lshl_add_u64 v[48:49], v[36:37], 1, s[20:21]
	v_mad_i64_i32 v[36:37], s[14:15], v50, s18, 0
	v_lshl_add_u64 v[36:37], v[36:37], 1, s[12:13]
	s_and_b64 s[22:23], s[4:5], s[10:11]
	s_and_saveexec_b64 s[14:15], s[22:23]
	s_cbranch_execnz .LBB267_66
; %bb.63:
	s_or_b64 exec, exec, s[14:15]
	s_and_b64 s[22:23], s[2:3], s[10:11]
	s_and_saveexec_b64 s[14:15], s[22:23]
	s_cbranch_execnz .LBB267_70
.LBB267_64:
	s_or_b64 exec, exec, s[14:15]
	s_and_b64 s[22:23], s[6:7], s[10:11]
	s_and_saveexec_b64 s[14:15], s[22:23]
	s_cbranch_execnz .LBB267_74
.LBB267_65:
	s_or_b64 exec, exec, s[14:15]
	s_and_b64 s[14:15], s[8:9], s[10:11]
	s_and_saveexec_b64 s[10:11], s[14:15]
	s_cbranch_execnz .LBB267_78
	s_branch .LBB267_82
.LBB267_66:
	s_and_b64 vcc, exec, s[0:1]
	s_cbranch_vccnz .LBB267_68
; %bb.67:
	v_lshl_add_u64 v[50:51], v[40:41], 1, v[48:49]
	flat_load_ushort v50, v[50:51]
	s_waitcnt vmcnt(0) lgkmcnt(0)
	v_mul_f16_e32 v50, v52, v50
	s_branch .LBB267_69
.LBB267_68:
	v_mov_b32_e32 v50, 0
.LBB267_69:
	v_pk_add_f16 v51, v8, v38
	v_pk_max_f16 v87, v120, v120
	s_nop 0
	v_pk_min_f16 v51, v87, v51
	v_pk_add_f16 v87, v9, v39
	s_nop 0
	v_pk_min_f16 v51, v51, v87
	s_nop 0
	v_lshrrev_b32_e32 v87, 16, v51
	v_min3_f16 v87, v50, v51, v87
	v_lshl_add_u64 v[50:51], v[40:41], 1, v[36:37]
	global_store_short v[50:51], v87, off
	s_or_b64 exec, exec, s[14:15]
	s_and_b64 s[22:23], s[2:3], s[10:11]
	s_and_saveexec_b64 s[14:15], s[22:23]
	s_cbranch_execz .LBB267_64
.LBB267_70:
	s_and_b64 vcc, exec, s[0:1]
	s_cbranch_vccnz .LBB267_72
; %bb.71:
	v_lshl_add_u64 v[50:51], v[42:43], 1, v[48:49]
	flat_load_ushort v50, v[50:51]
	s_waitcnt vmcnt(0) lgkmcnt(0)
	v_mul_f16_e32 v50, v52, v50
	s_branch .LBB267_73
.LBB267_72:
	v_mov_b32_e32 v50, 0
.LBB267_73:
	v_pk_add_f16 v51, v10, v38
	v_pk_max_f16 v87, v119, v119
	s_nop 0
	v_pk_min_f16 v51, v87, v51
	v_pk_add_f16 v87, v11, v39
	s_nop 0
	v_pk_min_f16 v51, v51, v87
	s_nop 0
	v_lshrrev_b32_e32 v87, 16, v51
	v_min3_f16 v87, v50, v51, v87
	v_lshl_add_u64 v[50:51], v[42:43], 1, v[36:37]
	global_store_short v[50:51], v87, off
	s_or_b64 exec, exec, s[14:15]
	s_and_b64 s[22:23], s[6:7], s[10:11]
	s_and_saveexec_b64 s[14:15], s[22:23]
	s_cbranch_execz .LBB267_65
.LBB267_74:
	s_and_b64 vcc, exec, s[0:1]
	s_cbranch_vccnz .LBB267_76
; %bb.75:
	v_lshl_add_u64 v[50:51], v[44:45], 1, v[48:49]
	flat_load_ushort v50, v[50:51]
	s_waitcnt vmcnt(0) lgkmcnt(0)
	v_mul_f16_e32 v50, v52, v50
	s_branch .LBB267_77
.LBB267_76:
	v_mov_b32_e32 v50, 0
.LBB267_77:
	v_pk_add_f16 v51, v0, v38
	v_pk_max_f16 v87, v118, v118
	s_nop 0
	v_pk_min_f16 v51, v87, v51
	v_pk_add_f16 v87, v1, v39
	s_nop 0
	v_pk_min_f16 v51, v51, v87
	s_nop 0
	v_lshrrev_b32_e32 v87, 16, v51
	v_min3_f16 v87, v50, v51, v87
	v_lshl_add_u64 v[50:51], v[44:45], 1, v[36:37]
	global_store_short v[50:51], v87, off
	s_or_b64 exec, exec, s[14:15]
	s_and_b64 s[14:15], s[8:9], s[10:11]
	s_and_saveexec_b64 s[10:11], s[14:15]
	s_cbranch_execz .LBB267_82
.LBB267_78:
	s_and_b64 vcc, exec, s[0:1]
	s_cbranch_vccnz .LBB267_80
; %bb.79:
	v_lshl_add_u64 v[48:49], v[46:47], 1, v[48:49]
	flat_load_ushort v48, v[48:49]
	s_waitcnt vmcnt(0) lgkmcnt(0)
	v_mul_f16_e32 v48, v52, v48
	s_branch .LBB267_81
.LBB267_80:
	v_mov_b32_e32 v48, 0
.LBB267_81:
	v_pk_add_f16 v38, v2, v38
	v_pk_max_f16 v49, v117, v117
	v_pk_add_f16 v39, v3, v39
	v_pk_min_f16 v38, v49, v38
	v_lshl_add_u64 v[36:37], v[46:47], 1, v[36:37]
	v_pk_min_f16 v38, v38, v39
	s_nop 0
	v_lshrrev_b32_e32 v39, 16, v38
	v_min3_f16 v38, v48, v38, v39
	global_store_short v[36:37], v38, off
.LBB267_82:
	s_or_b64 exec, exec, s[10:11]
	v_add_u32_e32 v48, 16, v86
	v_mad_i64_i32 v[36:37], s[14:15], v48, s19, 0
	v_cmp_gt_i32_e64 s[10:11], s17, v48
	v_lshl_add_u64 v[38:39], v[36:37], 1, s[20:21]
	v_mad_i64_i32 v[36:37], s[14:15], v48, s18, 0
	v_lshl_add_u64 v[36:37], v[36:37], 1, s[12:13]
	s_and_b64 s[22:23], s[4:5], s[10:11]
	s_and_saveexec_b64 s[14:15], s[22:23]
	s_cbranch_execnz .LBB267_86
; %bb.83:
	s_or_b64 exec, exec, s[14:15]
	s_and_b64 s[22:23], s[2:3], s[10:11]
	s_and_saveexec_b64 s[14:15], s[22:23]
	s_cbranch_execnz .LBB267_90
.LBB267_84:
	s_or_b64 exec, exec, s[14:15]
	s_and_b64 s[22:23], s[6:7], s[10:11]
	s_and_saveexec_b64 s[14:15], s[22:23]
	s_cbranch_execnz .LBB267_94
.LBB267_85:
	s_or_b64 exec, exec, s[14:15]
	s_and_b64 s[14:15], s[8:9], s[10:11]
	s_and_saveexec_b64 s[10:11], s[14:15]
	s_cbranch_execnz .LBB267_98
	s_branch .LBB267_102
.LBB267_86:
	s_and_b64 vcc, exec, s[0:1]
	s_cbranch_vccnz .LBB267_88
; %bb.87:
	v_lshl_add_u64 v[48:49], v[40:41], 1, v[38:39]
	flat_load_ushort v48, v[48:49]
	s_waitcnt vmcnt(0) lgkmcnt(0)
	v_mul_f16_e32 v48, v52, v48
	s_branch .LBB267_89
.LBB267_88:
	v_mov_b32_e32 v48, 0
.LBB267_89:
	v_pk_add_f16 v49, v8, v32
	v_pk_max_f16 v50, v116, v116
	s_nop 0
	v_pk_min_f16 v49, v50, v49
	v_pk_add_f16 v50, v9, v33
	s_nop 0
	v_pk_min_f16 v49, v49, v50
	s_nop 0
	v_lshrrev_b32_e32 v50, 16, v49
	v_min3_f16 v50, v48, v49, v50
	v_lshl_add_u64 v[48:49], v[40:41], 1, v[36:37]
	global_store_short v[48:49], v50, off
	s_or_b64 exec, exec, s[14:15]
	s_and_b64 s[22:23], s[2:3], s[10:11]
	s_and_saveexec_b64 s[14:15], s[22:23]
	s_cbranch_execz .LBB267_84
.LBB267_90:
	s_and_b64 vcc, exec, s[0:1]
	s_cbranch_vccnz .LBB267_92
; %bb.91:
	v_lshl_add_u64 v[48:49], v[42:43], 1, v[38:39]
	flat_load_ushort v48, v[48:49]
	s_waitcnt vmcnt(0) lgkmcnt(0)
	v_mul_f16_e32 v48, v52, v48
	s_branch .LBB267_93
.LBB267_92:
	v_mov_b32_e32 v48, 0
.LBB267_93:
	v_pk_add_f16 v49, v10, v32
	v_pk_max_f16 v50, v115, v115
	s_nop 0
	v_pk_min_f16 v49, v50, v49
	v_pk_add_f16 v50, v11, v33
	s_nop 0
	v_pk_min_f16 v49, v49, v50
	s_nop 0
	v_lshrrev_b32_e32 v50, 16, v49
	v_min3_f16 v50, v48, v49, v50
	v_lshl_add_u64 v[48:49], v[42:43], 1, v[36:37]
	global_store_short v[48:49], v50, off
	s_or_b64 exec, exec, s[14:15]
	s_and_b64 s[22:23], s[6:7], s[10:11]
	s_and_saveexec_b64 s[14:15], s[22:23]
	s_cbranch_execz .LBB267_85
.LBB267_94:
	s_and_b64 vcc, exec, s[0:1]
	s_cbranch_vccnz .LBB267_96
; %bb.95:
	v_lshl_add_u64 v[48:49], v[44:45], 1, v[38:39]
	flat_load_ushort v48, v[48:49]
	s_waitcnt vmcnt(0) lgkmcnt(0)
	v_mul_f16_e32 v48, v52, v48
	s_branch .LBB267_97
.LBB267_96:
	v_mov_b32_e32 v48, 0
.LBB267_97:
	v_pk_add_f16 v49, v0, v32
	v_pk_max_f16 v50, v114, v114
	s_nop 0
	v_pk_min_f16 v49, v50, v49
	v_pk_add_f16 v50, v1, v33
	s_nop 0
	v_pk_min_f16 v49, v49, v50
	s_nop 0
	v_lshrrev_b32_e32 v50, 16, v49
	v_min3_f16 v50, v48, v49, v50
	v_lshl_add_u64 v[48:49], v[44:45], 1, v[36:37]
	global_store_short v[48:49], v50, off
	s_or_b64 exec, exec, s[14:15]
	s_and_b64 s[14:15], s[8:9], s[10:11]
	s_and_saveexec_b64 s[10:11], s[14:15]
	s_cbranch_execz .LBB267_102
.LBB267_98:
	s_and_b64 vcc, exec, s[0:1]
	s_cbranch_vccnz .LBB267_100
; %bb.99:
	v_lshl_add_u64 v[38:39], v[46:47], 1, v[38:39]
	flat_load_ushort v38, v[38:39]
	s_waitcnt vmcnt(0) lgkmcnt(0)
	v_mul_f16_e32 v38, v52, v38
	s_branch .LBB267_101
.LBB267_100:
	v_mov_b32_e32 v38, 0
.LBB267_101:
	v_pk_add_f16 v32, v2, v32
	v_pk_max_f16 v39, v113, v113
	v_pk_add_f16 v33, v3, v33
	v_pk_min_f16 v32, v39, v32
	s_nop 0
	v_pk_min_f16 v32, v32, v33
	s_nop 0
	v_lshrrev_b32_e32 v33, 16, v32
	v_min3_f16 v38, v38, v32, v33
	v_lshl_add_u64 v[32:33], v[46:47], 1, v[36:37]
	global_store_short v[32:33], v38, off
.LBB267_102:
	s_or_b64 exec, exec, s[10:11]
	v_add_u32_e32 v38, 24, v86
	v_mad_i64_i32 v[32:33], s[14:15], v38, s19, 0
	v_cmp_gt_i32_e64 s[10:11], s17, v38
	v_lshl_add_u64 v[36:37], v[32:33], 1, s[20:21]
	v_mad_i64_i32 v[32:33], s[14:15], v38, s18, 0
	v_lshl_add_u64 v[32:33], v[32:33], 1, s[12:13]
	s_and_b64 s[22:23], s[4:5], s[10:11]
	s_and_saveexec_b64 s[14:15], s[22:23]
	s_cbranch_execnz .LBB267_106
; %bb.103:
	s_or_b64 exec, exec, s[14:15]
	s_and_b64 s[22:23], s[2:3], s[10:11]
	s_and_saveexec_b64 s[14:15], s[22:23]
	s_cbranch_execnz .LBB267_110
.LBB267_104:
	s_or_b64 exec, exec, s[14:15]
	s_and_b64 s[22:23], s[6:7], s[10:11]
	s_and_saveexec_b64 s[14:15], s[22:23]
	s_cbranch_execnz .LBB267_114
.LBB267_105:
	s_or_b64 exec, exec, s[14:15]
	s_and_b64 s[14:15], s[8:9], s[10:11]
	s_and_saveexec_b64 s[10:11], s[14:15]
	s_cbranch_execnz .LBB267_118
	s_branch .LBB267_122
.LBB267_106:
	s_and_b64 vcc, exec, s[0:1]
	s_cbranch_vccnz .LBB267_108
; %bb.107:
	v_lshl_add_u64 v[38:39], v[40:41], 1, v[36:37]
	flat_load_ushort v38, v[38:39]
	s_waitcnt vmcnt(0) lgkmcnt(0)
	v_mul_f16_e32 v38, v52, v38
	s_branch .LBB267_109
.LBB267_108:
	v_mov_b32_e32 v38, 0
.LBB267_109:
	v_pk_add_f16 v39, v8, v34
	v_pk_max_f16 v48, v112, v112
	s_nop 0
	v_pk_min_f16 v39, v48, v39
	v_pk_add_f16 v48, v9, v35
	s_nop 0
	v_pk_min_f16 v39, v39, v48
	s_nop 0
	v_lshrrev_b32_e32 v48, 16, v39
	v_min3_f16 v48, v38, v39, v48
	v_lshl_add_u64 v[38:39], v[40:41], 1, v[32:33]
	global_store_short v[38:39], v48, off
	s_or_b64 exec, exec, s[14:15]
	s_and_b64 s[22:23], s[2:3], s[10:11]
	s_and_saveexec_b64 s[14:15], s[22:23]
	s_cbranch_execz .LBB267_104
.LBB267_110:
	s_and_b64 vcc, exec, s[0:1]
	s_cbranch_vccnz .LBB267_112
; %bb.111:
	v_lshl_add_u64 v[38:39], v[42:43], 1, v[36:37]
	flat_load_ushort v38, v[38:39]
	s_waitcnt vmcnt(0) lgkmcnt(0)
	v_mul_f16_e32 v38, v52, v38
	s_branch .LBB267_113
.LBB267_112:
	v_mov_b32_e32 v38, 0
.LBB267_113:
	v_pk_add_f16 v39, v10, v34
	v_pk_max_f16 v48, v111, v111
	s_nop 0
	v_pk_min_f16 v39, v48, v39
	v_pk_add_f16 v48, v11, v35
	s_nop 0
	v_pk_min_f16 v39, v39, v48
	s_nop 0
	v_lshrrev_b32_e32 v48, 16, v39
	v_min3_f16 v48, v38, v39, v48
	v_lshl_add_u64 v[38:39], v[42:43], 1, v[32:33]
	global_store_short v[38:39], v48, off
	s_or_b64 exec, exec, s[14:15]
	s_and_b64 s[22:23], s[6:7], s[10:11]
	s_and_saveexec_b64 s[14:15], s[22:23]
	s_cbranch_execz .LBB267_105
.LBB267_114:
	s_and_b64 vcc, exec, s[0:1]
	s_cbranch_vccnz .LBB267_116
; %bb.115:
	v_lshl_add_u64 v[38:39], v[44:45], 1, v[36:37]
	flat_load_ushort v38, v[38:39]
	s_waitcnt vmcnt(0) lgkmcnt(0)
	v_mul_f16_e32 v38, v52, v38
	s_branch .LBB267_117
.LBB267_116:
	v_mov_b32_e32 v38, 0
.LBB267_117:
	v_pk_add_f16 v39, v0, v34
	v_pk_max_f16 v48, v110, v110
	s_nop 0
	v_pk_min_f16 v39, v48, v39
	v_pk_add_f16 v48, v1, v35
	s_nop 0
	v_pk_min_f16 v39, v39, v48
	s_nop 0
	v_lshrrev_b32_e32 v48, 16, v39
	v_min3_f16 v48, v38, v39, v48
	v_lshl_add_u64 v[38:39], v[44:45], 1, v[32:33]
	global_store_short v[38:39], v48, off
	s_or_b64 exec, exec, s[14:15]
	s_and_b64 s[14:15], s[8:9], s[10:11]
	s_and_saveexec_b64 s[10:11], s[14:15]
	s_cbranch_execz .LBB267_122
.LBB267_118:
	s_and_b64 vcc, exec, s[0:1]
	s_cbranch_vccnz .LBB267_120
; %bb.119:
	v_lshl_add_u64 v[36:37], v[46:47], 1, v[36:37]
	flat_load_ushort v36, v[36:37]
	s_waitcnt vmcnt(0) lgkmcnt(0)
	v_mul_f16_e32 v36, v52, v36
	s_branch .LBB267_121
.LBB267_120:
	v_mov_b32_e32 v36, 0
.LBB267_121:
	v_pk_add_f16 v34, v2, v34
	v_pk_max_f16 v37, v109, v109
	v_pk_add_f16 v35, v3, v35
	v_pk_min_f16 v34, v37, v34
	v_lshl_add_u64 v[32:33], v[46:47], 1, v[32:33]
	v_pk_min_f16 v34, v34, v35
	s_nop 0
	v_lshrrev_b32_e32 v35, 16, v34
	v_min3_f16 v34, v36, v34, v35
	global_store_short v[32:33], v34, off
.LBB267_122:
	s_or_b64 exec, exec, s[10:11]
	v_add_u32_e32 v36, 32, v86
	v_mad_i64_i32 v[32:33], s[14:15], v36, s19, 0
	v_cmp_gt_i32_e64 s[10:11], s17, v36
	v_lshl_add_u64 v[34:35], v[32:33], 1, s[20:21]
	v_mad_i64_i32 v[32:33], s[14:15], v36, s18, 0
	v_lshl_add_u64 v[32:33], v[32:33], 1, s[12:13]
	s_and_b64 s[22:23], s[4:5], s[10:11]
	s_and_saveexec_b64 s[14:15], s[22:23]
	s_cbranch_execnz .LBB267_126
; %bb.123:
	s_or_b64 exec, exec, s[14:15]
	s_and_b64 s[22:23], s[2:3], s[10:11]
	s_and_saveexec_b64 s[14:15], s[22:23]
	s_cbranch_execnz .LBB267_130
.LBB267_124:
	s_or_b64 exec, exec, s[14:15]
	s_and_b64 s[22:23], s[6:7], s[10:11]
	s_and_saveexec_b64 s[14:15], s[22:23]
	s_cbranch_execnz .LBB267_134
.LBB267_125:
	s_or_b64 exec, exec, s[14:15]
	s_and_b64 s[14:15], s[8:9], s[10:11]
	s_and_saveexec_b64 s[10:11], s[14:15]
	s_cbranch_execnz .LBB267_138
	s_branch .LBB267_142
.LBB267_126:
	s_and_b64 vcc, exec, s[0:1]
	s_cbranch_vccnz .LBB267_128
; %bb.127:
	v_lshl_add_u64 v[36:37], v[40:41], 1, v[34:35]
	flat_load_ushort v36, v[36:37]
	s_waitcnt vmcnt(0) lgkmcnt(0)
	v_mul_f16_e32 v36, v52, v36
	s_branch .LBB267_129
.LBB267_128:
	v_mov_b32_e32 v36, 0
.LBB267_129:
	v_pk_add_f16 v37, v8, v28
	v_pk_max_f16 v38, v106, v106
	s_nop 0
	v_pk_min_f16 v37, v38, v37
	v_pk_add_f16 v38, v9, v29
	s_nop 0
	v_pk_min_f16 v37, v37, v38
	s_nop 0
	v_lshrrev_b32_e32 v38, 16, v37
	v_min3_f16 v38, v36, v37, v38
	v_lshl_add_u64 v[36:37], v[40:41], 1, v[32:33]
	global_store_short v[36:37], v38, off
	s_or_b64 exec, exec, s[14:15]
	s_and_b64 s[22:23], s[2:3], s[10:11]
	s_and_saveexec_b64 s[14:15], s[22:23]
	s_cbranch_execz .LBB267_124
.LBB267_130:
	s_and_b64 vcc, exec, s[0:1]
	s_cbranch_vccnz .LBB267_132
; %bb.131:
	v_lshl_add_u64 v[36:37], v[42:43], 1, v[34:35]
	flat_load_ushort v36, v[36:37]
	s_waitcnt vmcnt(0) lgkmcnt(0)
	v_mul_f16_e32 v36, v52, v36
	s_branch .LBB267_133
.LBB267_132:
	v_mov_b32_e32 v36, 0
.LBB267_133:
	v_pk_add_f16 v37, v10, v28
	v_pk_max_f16 v38, v105, v105
	s_nop 0
	v_pk_min_f16 v37, v38, v37
	v_pk_add_f16 v38, v11, v29
	s_nop 0
	v_pk_min_f16 v37, v37, v38
	s_nop 0
	v_lshrrev_b32_e32 v38, 16, v37
	v_min3_f16 v38, v36, v37, v38
	v_lshl_add_u64 v[36:37], v[42:43], 1, v[32:33]
	global_store_short v[36:37], v38, off
	s_or_b64 exec, exec, s[14:15]
	s_and_b64 s[22:23], s[6:7], s[10:11]
	s_and_saveexec_b64 s[14:15], s[22:23]
	s_cbranch_execz .LBB267_125
.LBB267_134:
	s_and_b64 vcc, exec, s[0:1]
	s_cbranch_vccnz .LBB267_136
; %bb.135:
	v_lshl_add_u64 v[36:37], v[44:45], 1, v[34:35]
	flat_load_ushort v36, v[36:37]
	s_waitcnt vmcnt(0) lgkmcnt(0)
	v_mul_f16_e32 v36, v52, v36
	s_branch .LBB267_137
.LBB267_136:
	v_mov_b32_e32 v36, 0
.LBB267_137:
	v_pk_add_f16 v37, v0, v28
	v_pk_max_f16 v38, v104, v104
	s_nop 0
	v_pk_min_f16 v37, v38, v37
	v_pk_add_f16 v38, v1, v29
	s_nop 0
	v_pk_min_f16 v37, v37, v38
	s_nop 0
	v_lshrrev_b32_e32 v38, 16, v37
	v_min3_f16 v38, v36, v37, v38
	v_lshl_add_u64 v[36:37], v[44:45], 1, v[32:33]
	global_store_short v[36:37], v38, off
	s_or_b64 exec, exec, s[14:15]
	s_and_b64 s[14:15], s[8:9], s[10:11]
	s_and_saveexec_b64 s[10:11], s[14:15]
	s_cbranch_execz .LBB267_142
.LBB267_138:
	s_and_b64 vcc, exec, s[0:1]
	s_cbranch_vccnz .LBB267_140
; %bb.139:
	v_lshl_add_u64 v[34:35], v[46:47], 1, v[34:35]
	flat_load_ushort v34, v[34:35]
	s_waitcnt vmcnt(0) lgkmcnt(0)
	v_mul_f16_e32 v34, v52, v34
	s_branch .LBB267_141
.LBB267_140:
	v_mov_b32_e32 v34, 0
.LBB267_141:
	v_pk_add_f16 v28, v2, v28
	v_pk_max_f16 v35, v103, v103
	v_pk_add_f16 v29, v3, v29
	v_pk_min_f16 v28, v35, v28
	s_nop 0
	v_pk_min_f16 v28, v28, v29
	s_nop 0
	v_lshrrev_b32_e32 v29, 16, v28
	v_min3_f16 v34, v34, v28, v29
	v_lshl_add_u64 v[28:29], v[46:47], 1, v[32:33]
	global_store_short v[28:29], v34, off
.LBB267_142:
	s_or_b64 exec, exec, s[10:11]
	v_add_u32_e32 v34, 40, v86
	v_mad_i64_i32 v[28:29], s[14:15], v34, s19, 0
	v_cmp_gt_i32_e64 s[10:11], s17, v34
	v_lshl_add_u64 v[32:33], v[28:29], 1, s[20:21]
	v_mad_i64_i32 v[28:29], s[14:15], v34, s18, 0
	v_lshl_add_u64 v[28:29], v[28:29], 1, s[12:13]
	s_and_b64 s[22:23], s[4:5], s[10:11]
	s_and_saveexec_b64 s[14:15], s[22:23]
	s_cbranch_execnz .LBB267_146
; %bb.143:
	s_or_b64 exec, exec, s[14:15]
	s_and_b64 s[22:23], s[2:3], s[10:11]
	s_and_saveexec_b64 s[14:15], s[22:23]
	s_cbranch_execnz .LBB267_150
.LBB267_144:
	s_or_b64 exec, exec, s[14:15]
	s_and_b64 s[22:23], s[6:7], s[10:11]
	s_and_saveexec_b64 s[14:15], s[22:23]
	s_cbranch_execnz .LBB267_154
.LBB267_145:
	s_or_b64 exec, exec, s[14:15]
	s_and_b64 s[14:15], s[8:9], s[10:11]
	s_and_saveexec_b64 s[10:11], s[14:15]
	s_cbranch_execnz .LBB267_158
	s_branch .LBB267_162
.LBB267_146:
	s_and_b64 vcc, exec, s[0:1]
	s_cbranch_vccnz .LBB267_148
; %bb.147:
	v_lshl_add_u64 v[34:35], v[40:41], 1, v[32:33]
	flat_load_ushort v34, v[34:35]
	s_waitcnt vmcnt(0) lgkmcnt(0)
	v_mul_f16_e32 v34, v52, v34
	s_branch .LBB267_149
.LBB267_148:
	v_mov_b32_e32 v34, 0
.LBB267_149:
	v_pk_add_f16 v35, v8, v30
	v_pk_max_f16 v36, v102, v102
	s_nop 0
	v_pk_min_f16 v35, v36, v35
	v_pk_add_f16 v36, v9, v31
	s_nop 0
	v_pk_min_f16 v35, v35, v36
	s_nop 0
	v_lshrrev_b32_e32 v36, 16, v35
	v_min3_f16 v36, v34, v35, v36
	v_lshl_add_u64 v[34:35], v[40:41], 1, v[28:29]
	global_store_short v[34:35], v36, off
	s_or_b64 exec, exec, s[14:15]
	s_and_b64 s[22:23], s[2:3], s[10:11]
	s_and_saveexec_b64 s[14:15], s[22:23]
	s_cbranch_execz .LBB267_144
.LBB267_150:
	s_and_b64 vcc, exec, s[0:1]
	s_cbranch_vccnz .LBB267_152
; %bb.151:
	v_lshl_add_u64 v[34:35], v[42:43], 1, v[32:33]
	flat_load_ushort v34, v[34:35]
	s_waitcnt vmcnt(0) lgkmcnt(0)
	v_mul_f16_e32 v34, v52, v34
	s_branch .LBB267_153
.LBB267_152:
	v_mov_b32_e32 v34, 0
.LBB267_153:
	v_pk_add_f16 v35, v10, v30
	v_pk_max_f16 v36, v101, v101
	s_nop 0
	v_pk_min_f16 v35, v36, v35
	v_pk_add_f16 v36, v11, v31
	s_nop 0
	v_pk_min_f16 v35, v35, v36
	s_nop 0
	v_lshrrev_b32_e32 v36, 16, v35
	v_min3_f16 v36, v34, v35, v36
	v_lshl_add_u64 v[34:35], v[42:43], 1, v[28:29]
	global_store_short v[34:35], v36, off
	s_or_b64 exec, exec, s[14:15]
	s_and_b64 s[22:23], s[6:7], s[10:11]
	s_and_saveexec_b64 s[14:15], s[22:23]
	s_cbranch_execz .LBB267_145
.LBB267_154:
	s_and_b64 vcc, exec, s[0:1]
	s_cbranch_vccnz .LBB267_156
; %bb.155:
	v_lshl_add_u64 v[34:35], v[44:45], 1, v[32:33]
	flat_load_ushort v34, v[34:35]
	s_waitcnt vmcnt(0) lgkmcnt(0)
	v_mul_f16_e32 v34, v52, v34
	s_branch .LBB267_157
.LBB267_156:
	v_mov_b32_e32 v34, 0
.LBB267_157:
	v_pk_add_f16 v35, v0, v30
	v_pk_max_f16 v36, v98, v98
	s_nop 0
	v_pk_min_f16 v35, v36, v35
	v_pk_add_f16 v36, v1, v31
	s_nop 0
	v_pk_min_f16 v35, v35, v36
	s_nop 0
	v_lshrrev_b32_e32 v36, 16, v35
	v_min3_f16 v36, v34, v35, v36
	v_lshl_add_u64 v[34:35], v[44:45], 1, v[28:29]
	global_store_short v[34:35], v36, off
	s_or_b64 exec, exec, s[14:15]
	s_and_b64 s[14:15], s[8:9], s[10:11]
	s_and_saveexec_b64 s[10:11], s[14:15]
	s_cbranch_execz .LBB267_162
.LBB267_158:
	s_and_b64 vcc, exec, s[0:1]
	s_cbranch_vccnz .LBB267_160
; %bb.159:
	v_lshl_add_u64 v[32:33], v[46:47], 1, v[32:33]
	flat_load_ushort v32, v[32:33]
	s_waitcnt vmcnt(0) lgkmcnt(0)
	v_mul_f16_e32 v32, v52, v32
	s_branch .LBB267_161
.LBB267_160:
	v_mov_b32_e32 v32, 0
.LBB267_161:
	v_pk_add_f16 v30, v2, v30
	v_pk_max_f16 v33, v96, v96
	v_pk_add_f16 v31, v3, v31
	v_pk_min_f16 v30, v33, v30
	v_lshl_add_u64 v[28:29], v[46:47], 1, v[28:29]
	v_pk_min_f16 v30, v30, v31
	s_nop 0
	v_lshrrev_b32_e32 v31, 16, v30
	v_min3_f16 v30, v32, v30, v31
	global_store_short v[28:29], v30, off
.LBB267_162:
	s_or_b64 exec, exec, s[10:11]
	v_add_u32_e32 v32, 48, v86
	v_mad_i64_i32 v[28:29], s[14:15], v32, s19, 0
	v_cmp_gt_i32_e64 s[10:11], s17, v32
	v_lshl_add_u64 v[30:31], v[28:29], 1, s[20:21]
	v_mad_i64_i32 v[28:29], s[14:15], v32, s18, 0
	v_lshl_add_u64 v[28:29], v[28:29], 1, s[12:13]
	s_and_b64 s[22:23], s[4:5], s[10:11]
	s_and_saveexec_b64 s[14:15], s[22:23]
	s_cbranch_execnz .LBB267_166
; %bb.163:
	s_or_b64 exec, exec, s[14:15]
	s_and_b64 s[22:23], s[2:3], s[10:11]
	s_and_saveexec_b64 s[14:15], s[22:23]
	s_cbranch_execnz .LBB267_170
.LBB267_164:
	s_or_b64 exec, exec, s[14:15]
	s_and_b64 s[22:23], s[6:7], s[10:11]
	s_and_saveexec_b64 s[14:15], s[22:23]
	s_cbranch_execnz .LBB267_174
.LBB267_165:
	s_or_b64 exec, exec, s[14:15]
	s_and_b64 s[14:15], s[8:9], s[10:11]
	s_and_saveexec_b64 s[10:11], s[14:15]
	s_cbranch_execnz .LBB267_178
	s_branch .LBB267_182
.LBB267_166:
	s_and_b64 vcc, exec, s[0:1]
	s_cbranch_vccnz .LBB267_168
; %bb.167:
	v_lshl_add_u64 v[32:33], v[40:41], 1, v[30:31]
	flat_load_ushort v32, v[32:33]
	s_waitcnt vmcnt(0) lgkmcnt(0)
	v_mul_f16_e32 v32, v52, v32
	s_branch .LBB267_169
.LBB267_168:
	v_mov_b32_e32 v32, 0
.LBB267_169:
	v_pk_add_f16 v33, v8, v24
	v_pk_max_f16 v34, v95, v95
	s_nop 0
	v_pk_min_f16 v33, v34, v33
	v_pk_add_f16 v34, v9, v25
	s_nop 0
	v_pk_min_f16 v33, v33, v34
	s_nop 0
	v_lshrrev_b32_e32 v34, 16, v33
	v_min3_f16 v34, v32, v33, v34
	v_lshl_add_u64 v[32:33], v[40:41], 1, v[28:29]
	global_store_short v[32:33], v34, off
	s_or_b64 exec, exec, s[14:15]
	s_and_b64 s[22:23], s[2:3], s[10:11]
	s_and_saveexec_b64 s[14:15], s[22:23]
	s_cbranch_execz .LBB267_164
.LBB267_170:
	s_and_b64 vcc, exec, s[0:1]
	s_cbranch_vccnz .LBB267_172
; %bb.171:
	v_lshl_add_u64 v[32:33], v[42:43], 1, v[30:31]
	flat_load_ushort v32, v[32:33]
	s_waitcnt vmcnt(0) lgkmcnt(0)
	v_mul_f16_e32 v32, v52, v32
	s_branch .LBB267_173
.LBB267_172:
	v_mov_b32_e32 v32, 0
.LBB267_173:
	v_pk_add_f16 v33, v10, v24
	v_pk_max_f16 v34, v94, v94
	s_nop 0
	v_pk_min_f16 v33, v34, v33
	v_pk_add_f16 v34, v11, v25
	s_nop 0
	v_pk_min_f16 v33, v33, v34
	s_nop 0
	v_lshrrev_b32_e32 v34, 16, v33
	v_min3_f16 v34, v32, v33, v34
	v_lshl_add_u64 v[32:33], v[42:43], 1, v[28:29]
	global_store_short v[32:33], v34, off
	s_or_b64 exec, exec, s[14:15]
	s_and_b64 s[22:23], s[6:7], s[10:11]
	s_and_saveexec_b64 s[14:15], s[22:23]
	s_cbranch_execz .LBB267_165
.LBB267_174:
	s_and_b64 vcc, exec, s[0:1]
	s_cbranch_vccnz .LBB267_176
; %bb.175:
	v_lshl_add_u64 v[32:33], v[44:45], 1, v[30:31]
	flat_load_ushort v32, v[32:33]
	s_waitcnt vmcnt(0) lgkmcnt(0)
	v_mul_f16_e32 v32, v52, v32
	s_branch .LBB267_177
.LBB267_176:
	v_mov_b32_e32 v32, 0
.LBB267_177:
	v_pk_add_f16 v33, v0, v24
	v_pk_max_f16 v34, v93, v93
	s_nop 0
	v_pk_min_f16 v33, v34, v33
	v_pk_add_f16 v34, v1, v25
	s_nop 0
	v_pk_min_f16 v33, v33, v34
	s_nop 0
	v_lshrrev_b32_e32 v34, 16, v33
	v_min3_f16 v34, v32, v33, v34
	v_lshl_add_u64 v[32:33], v[44:45], 1, v[28:29]
	global_store_short v[32:33], v34, off
	s_or_b64 exec, exec, s[14:15]
	s_and_b64 s[14:15], s[8:9], s[10:11]
	s_and_saveexec_b64 s[10:11], s[14:15]
	s_cbranch_execz .LBB267_182
.LBB267_178:
	s_and_b64 vcc, exec, s[0:1]
	s_cbranch_vccnz .LBB267_180
; %bb.179:
	v_lshl_add_u64 v[30:31], v[46:47], 1, v[30:31]
	flat_load_ushort v30, v[30:31]
	s_waitcnt vmcnt(0) lgkmcnt(0)
	v_mul_f16_e32 v30, v52, v30
	s_branch .LBB267_181
.LBB267_180:
	v_mov_b32_e32 v30, 0
.LBB267_181:
	v_pk_add_f16 v24, v2, v24
	v_pk_max_f16 v31, v91, v91
	v_pk_add_f16 v25, v3, v25
	v_pk_min_f16 v24, v31, v24
	s_nop 0
	v_pk_min_f16 v24, v24, v25
	s_nop 0
	v_lshrrev_b32_e32 v25, 16, v24
	v_min3_f16 v30, v30, v24, v25
	v_lshl_add_u64 v[24:25], v[46:47], 1, v[28:29]
	global_store_short v[24:25], v30, off
.LBB267_182:
	s_or_b64 exec, exec, s[10:11]
	v_add_u32_e32 v30, 56, v86
	v_mad_i64_i32 v[24:25], s[14:15], v30, s19, 0
	v_cmp_gt_i32_e64 s[10:11], s17, v30
	v_lshl_add_u64 v[28:29], v[24:25], 1, s[20:21]
	v_mad_i64_i32 v[24:25], s[14:15], v30, s18, 0
	v_lshl_add_u64 v[24:25], v[24:25], 1, s[12:13]
	s_and_b64 s[22:23], s[4:5], s[10:11]
	s_and_saveexec_b64 s[14:15], s[22:23]
	s_cbranch_execnz .LBB267_186
; %bb.183:
	s_or_b64 exec, exec, s[14:15]
	s_and_b64 s[22:23], s[2:3], s[10:11]
	s_and_saveexec_b64 s[14:15], s[22:23]
	s_cbranch_execnz .LBB267_190
.LBB267_184:
	s_or_b64 exec, exec, s[14:15]
	s_and_b64 s[22:23], s[6:7], s[10:11]
	s_and_saveexec_b64 s[14:15], s[22:23]
	s_cbranch_execnz .LBB267_194
.LBB267_185:
	s_or_b64 exec, exec, s[14:15]
	s_and_b64 s[14:15], s[8:9], s[10:11]
	s_and_saveexec_b64 s[10:11], s[14:15]
	s_cbranch_execnz .LBB267_198
	s_branch .LBB267_202
.LBB267_186:
	s_and_b64 vcc, exec, s[0:1]
	s_cbranch_vccnz .LBB267_188
; %bb.187:
	v_lshl_add_u64 v[30:31], v[40:41], 1, v[28:29]
	flat_load_ushort v30, v[30:31]
	s_waitcnt vmcnt(0) lgkmcnt(0)
	v_mul_f16_e32 v30, v52, v30
	s_branch .LBB267_189
.LBB267_188:
	v_mov_b32_e32 v30, 0
.LBB267_189:
	v_pk_add_f16 v31, v8, v26
	v_pk_max_f16 v32, v90, v90
	s_nop 0
	v_pk_min_f16 v31, v32, v31
	v_pk_add_f16 v32, v9, v27
	s_nop 0
	v_pk_min_f16 v31, v31, v32
	s_nop 0
	v_lshrrev_b32_e32 v32, 16, v31
	v_min3_f16 v32, v30, v31, v32
	v_lshl_add_u64 v[30:31], v[40:41], 1, v[24:25]
	global_store_short v[30:31], v32, off
	s_or_b64 exec, exec, s[14:15]
	s_and_b64 s[22:23], s[2:3], s[10:11]
	s_and_saveexec_b64 s[14:15], s[22:23]
	s_cbranch_execz .LBB267_184
.LBB267_190:
	s_and_b64 vcc, exec, s[0:1]
	s_cbranch_vccnz .LBB267_192
; %bb.191:
	v_lshl_add_u64 v[30:31], v[42:43], 1, v[28:29]
	flat_load_ushort v30, v[30:31]
	s_waitcnt vmcnt(0) lgkmcnt(0)
	v_mul_f16_e32 v30, v52, v30
	s_branch .LBB267_193
.LBB267_192:
	v_mov_b32_e32 v30, 0
.LBB267_193:
	v_pk_add_f16 v31, v10, v26
	v_pk_max_f16 v32, v89, v89
	s_nop 0
	v_pk_min_f16 v31, v32, v31
	v_pk_add_f16 v32, v11, v27
	s_nop 0
	v_pk_min_f16 v31, v31, v32
	s_nop 0
	v_lshrrev_b32_e32 v32, 16, v31
	v_min3_f16 v32, v30, v31, v32
	v_lshl_add_u64 v[30:31], v[42:43], 1, v[24:25]
	global_store_short v[30:31], v32, off
	s_or_b64 exec, exec, s[14:15]
	s_and_b64 s[22:23], s[6:7], s[10:11]
	s_and_saveexec_b64 s[14:15], s[22:23]
	s_cbranch_execz .LBB267_185
.LBB267_194:
	s_and_b64 vcc, exec, s[0:1]
	s_cbranch_vccnz .LBB267_196
; %bb.195:
	v_lshl_add_u64 v[30:31], v[44:45], 1, v[28:29]
	flat_load_ushort v30, v[30:31]
	s_waitcnt vmcnt(0) lgkmcnt(0)
	v_mul_f16_e32 v30, v52, v30
	s_branch .LBB267_197
.LBB267_196:
	v_mov_b32_e32 v30, 0
.LBB267_197:
	v_pk_add_f16 v31, v0, v26
	v_pk_max_f16 v32, v88, v88
	s_nop 0
	v_pk_min_f16 v31, v32, v31
	v_pk_add_f16 v32, v1, v27
	s_nop 0
	v_pk_min_f16 v31, v31, v32
	s_nop 0
	v_lshrrev_b32_e32 v32, 16, v31
	v_min3_f16 v32, v30, v31, v32
	v_lshl_add_u64 v[30:31], v[44:45], 1, v[24:25]
	global_store_short v[30:31], v32, off
	s_or_b64 exec, exec, s[14:15]
	s_and_b64 s[14:15], s[8:9], s[10:11]
	s_and_saveexec_b64 s[10:11], s[14:15]
	s_cbranch_execz .LBB267_202
.LBB267_198:
	s_and_b64 vcc, exec, s[0:1]
	s_cbranch_vccnz .LBB267_200
; %bb.199:
	v_lshl_add_u64 v[28:29], v[46:47], 1, v[28:29]
	flat_load_ushort v28, v[28:29]
	s_waitcnt vmcnt(0) lgkmcnt(0)
	v_mul_f16_e32 v28, v52, v28
	s_branch .LBB267_201
.LBB267_200:
	v_mov_b32_e32 v28, 0
.LBB267_201:
	v_pk_add_f16 v26, v2, v26
	v_pk_max_f16 v29, v85, v85
	v_pk_add_f16 v27, v3, v27
	v_pk_min_f16 v26, v29, v26
	v_lshl_add_u64 v[24:25], v[46:47], 1, v[24:25]
	v_pk_min_f16 v26, v26, v27
	s_nop 0
	v_lshrrev_b32_e32 v27, 16, v26
	v_min3_f16 v26, v28, v26, v27
	global_store_short v[24:25], v26, off
.LBB267_202:
	s_or_b64 exec, exec, s[10:11]
	v_add_u32_e32 v28, 64, v86
	v_mad_i64_i32 v[24:25], s[14:15], v28, s19, 0
	v_cmp_gt_i32_e64 s[10:11], s17, v28
	v_lshl_add_u64 v[26:27], v[24:25], 1, s[20:21]
	v_mad_i64_i32 v[24:25], s[14:15], v28, s18, 0
	v_lshl_add_u64 v[24:25], v[24:25], 1, s[12:13]
	s_and_b64 s[22:23], s[4:5], s[10:11]
	s_and_saveexec_b64 s[14:15], s[22:23]
	s_cbranch_execnz .LBB267_206
; %bb.203:
	s_or_b64 exec, exec, s[14:15]
	s_and_b64 s[22:23], s[2:3], s[10:11]
	s_and_saveexec_b64 s[14:15], s[22:23]
	s_cbranch_execnz .LBB267_210
.LBB267_204:
	s_or_b64 exec, exec, s[14:15]
	s_and_b64 s[22:23], s[6:7], s[10:11]
	s_and_saveexec_b64 s[14:15], s[22:23]
	s_cbranch_execnz .LBB267_214
.LBB267_205:
	s_or_b64 exec, exec, s[14:15]
	s_and_b64 s[14:15], s[8:9], s[10:11]
	s_and_saveexec_b64 s[10:11], s[14:15]
	s_cbranch_execnz .LBB267_218
	s_branch .LBB267_222
.LBB267_206:
	s_and_b64 vcc, exec, s[0:1]
	s_cbranch_vccnz .LBB267_208
; %bb.207:
	v_lshl_add_u64 v[28:29], v[40:41], 1, v[26:27]
	flat_load_ushort v28, v[28:29]
	s_waitcnt vmcnt(0) lgkmcnt(0)
	v_mul_f16_e32 v28, v52, v28
	s_branch .LBB267_209
.LBB267_208:
	v_mov_b32_e32 v28, 0
.LBB267_209:
	v_pk_add_f16 v29, v8, v20
	v_pk_max_f16 v30, v84, v84
	s_nop 0
	v_pk_min_f16 v29, v30, v29
	v_pk_add_f16 v30, v9, v21
	s_nop 0
	v_pk_min_f16 v29, v29, v30
	s_nop 0
	v_lshrrev_b32_e32 v30, 16, v29
	v_min3_f16 v30, v28, v29, v30
	v_lshl_add_u64 v[28:29], v[40:41], 1, v[24:25]
	global_store_short v[28:29], v30, off
	s_or_b64 exec, exec, s[14:15]
	s_and_b64 s[22:23], s[2:3], s[10:11]
	s_and_saveexec_b64 s[14:15], s[22:23]
	s_cbranch_execz .LBB267_204
.LBB267_210:
	s_and_b64 vcc, exec, s[0:1]
	s_cbranch_vccnz .LBB267_212
; %bb.211:
	v_lshl_add_u64 v[28:29], v[42:43], 1, v[26:27]
	flat_load_ushort v28, v[28:29]
	s_waitcnt vmcnt(0) lgkmcnt(0)
	v_mul_f16_e32 v28, v52, v28
	s_branch .LBB267_213
.LBB267_212:
	v_mov_b32_e32 v28, 0
.LBB267_213:
	v_pk_add_f16 v29, v10, v20
	v_pk_max_f16 v30, v83, v83
	s_nop 0
	v_pk_min_f16 v29, v30, v29
	v_pk_add_f16 v30, v11, v21
	s_nop 0
	v_pk_min_f16 v29, v29, v30
	s_nop 0
	v_lshrrev_b32_e32 v30, 16, v29
	v_min3_f16 v30, v28, v29, v30
	v_lshl_add_u64 v[28:29], v[42:43], 1, v[24:25]
	global_store_short v[28:29], v30, off
	s_or_b64 exec, exec, s[14:15]
	s_and_b64 s[22:23], s[6:7], s[10:11]
	s_and_saveexec_b64 s[14:15], s[22:23]
	s_cbranch_execz .LBB267_205
.LBB267_214:
	s_and_b64 vcc, exec, s[0:1]
	s_cbranch_vccnz .LBB267_216
; %bb.215:
	v_lshl_add_u64 v[28:29], v[44:45], 1, v[26:27]
	flat_load_ushort v28, v[28:29]
	s_waitcnt vmcnt(0) lgkmcnt(0)
	v_mul_f16_e32 v28, v52, v28
	s_branch .LBB267_217
.LBB267_216:
	v_mov_b32_e32 v28, 0
.LBB267_217:
	v_pk_add_f16 v29, v0, v20
	v_pk_max_f16 v30, v82, v82
	s_nop 0
	v_pk_min_f16 v29, v30, v29
	v_pk_add_f16 v30, v1, v21
	s_nop 0
	v_pk_min_f16 v29, v29, v30
	s_nop 0
	v_lshrrev_b32_e32 v30, 16, v29
	v_min3_f16 v30, v28, v29, v30
	v_lshl_add_u64 v[28:29], v[44:45], 1, v[24:25]
	global_store_short v[28:29], v30, off
	s_or_b64 exec, exec, s[14:15]
	s_and_b64 s[14:15], s[8:9], s[10:11]
	s_and_saveexec_b64 s[10:11], s[14:15]
	s_cbranch_execz .LBB267_222
.LBB267_218:
	s_and_b64 vcc, exec, s[0:1]
	s_cbranch_vccnz .LBB267_220
; %bb.219:
	v_lshl_add_u64 v[26:27], v[46:47], 1, v[26:27]
	flat_load_ushort v26, v[26:27]
	s_waitcnt vmcnt(0) lgkmcnt(0)
	v_mul_f16_e32 v26, v52, v26
	s_branch .LBB267_221
.LBB267_220:
	v_mov_b32_e32 v26, 0
.LBB267_221:
	v_pk_add_f16 v20, v2, v20
	v_pk_max_f16 v27, v81, v81
	v_pk_add_f16 v21, v3, v21
	v_pk_min_f16 v20, v27, v20
	s_nop 0
	v_pk_min_f16 v20, v20, v21
	s_nop 0
	v_lshrrev_b32_e32 v21, 16, v20
	v_min3_f16 v26, v26, v20, v21
	v_lshl_add_u64 v[20:21], v[46:47], 1, v[24:25]
	global_store_short v[20:21], v26, off
.LBB267_222:
	s_or_b64 exec, exec, s[10:11]
	v_add_u32_e32 v26, 0x48, v86
	v_mad_i64_i32 v[20:21], s[14:15], v26, s19, 0
	v_cmp_gt_i32_e64 s[10:11], s17, v26
	v_lshl_add_u64 v[24:25], v[20:21], 1, s[20:21]
	v_mad_i64_i32 v[20:21], s[14:15], v26, s18, 0
	v_lshl_add_u64 v[20:21], v[20:21], 1, s[12:13]
	s_and_b64 s[22:23], s[4:5], s[10:11]
	s_and_saveexec_b64 s[14:15], s[22:23]
	s_cbranch_execnz .LBB267_226
; %bb.223:
	s_or_b64 exec, exec, s[14:15]
	s_and_b64 s[22:23], s[2:3], s[10:11]
	s_and_saveexec_b64 s[14:15], s[22:23]
	s_cbranch_execnz .LBB267_230
.LBB267_224:
	s_or_b64 exec, exec, s[14:15]
	s_and_b64 s[22:23], s[6:7], s[10:11]
	s_and_saveexec_b64 s[14:15], s[22:23]
	s_cbranch_execnz .LBB267_234
.LBB267_225:
	s_or_b64 exec, exec, s[14:15]
	s_and_b64 s[14:15], s[8:9], s[10:11]
	s_and_saveexec_b64 s[10:11], s[14:15]
	s_cbranch_execnz .LBB267_238
	s_branch .LBB267_242
.LBB267_226:
	s_and_b64 vcc, exec, s[0:1]
	s_cbranch_vccnz .LBB267_228
; %bb.227:
	v_lshl_add_u64 v[26:27], v[40:41], 1, v[24:25]
	flat_load_ushort v26, v[26:27]
	s_waitcnt vmcnt(0) lgkmcnt(0)
	v_mul_f16_e32 v26, v52, v26
	s_branch .LBB267_229
.LBB267_228:
	v_mov_b32_e32 v26, 0
.LBB267_229:
	v_pk_add_f16 v27, v8, v22
	v_pk_max_f16 v28, v80, v80
	s_nop 0
	v_pk_min_f16 v27, v28, v27
	v_pk_add_f16 v28, v9, v23
	s_nop 0
	v_pk_min_f16 v27, v27, v28
	s_nop 0
	v_lshrrev_b32_e32 v28, 16, v27
	v_min3_f16 v28, v26, v27, v28
	v_lshl_add_u64 v[26:27], v[40:41], 1, v[20:21]
	global_store_short v[26:27], v28, off
	s_or_b64 exec, exec, s[14:15]
	s_and_b64 s[22:23], s[2:3], s[10:11]
	s_and_saveexec_b64 s[14:15], s[22:23]
	s_cbranch_execz .LBB267_224
.LBB267_230:
	s_and_b64 vcc, exec, s[0:1]
	s_cbranch_vccnz .LBB267_232
; %bb.231:
	v_lshl_add_u64 v[26:27], v[42:43], 1, v[24:25]
	flat_load_ushort v26, v[26:27]
	s_waitcnt vmcnt(0) lgkmcnt(0)
	v_mul_f16_e32 v26, v52, v26
	s_branch .LBB267_233
.LBB267_232:
	v_mov_b32_e32 v26, 0
.LBB267_233:
	v_pk_add_f16 v27, v10, v22
	v_pk_max_f16 v28, v79, v79
	s_nop 0
	v_pk_min_f16 v27, v28, v27
	v_pk_add_f16 v28, v11, v23
	s_nop 0
	v_pk_min_f16 v27, v27, v28
	s_nop 0
	v_lshrrev_b32_e32 v28, 16, v27
	v_min3_f16 v28, v26, v27, v28
	v_lshl_add_u64 v[26:27], v[42:43], 1, v[20:21]
	global_store_short v[26:27], v28, off
	s_or_b64 exec, exec, s[14:15]
	s_and_b64 s[22:23], s[6:7], s[10:11]
	s_and_saveexec_b64 s[14:15], s[22:23]
	s_cbranch_execz .LBB267_225
.LBB267_234:
	s_and_b64 vcc, exec, s[0:1]
	s_cbranch_vccnz .LBB267_236
; %bb.235:
	v_lshl_add_u64 v[26:27], v[44:45], 1, v[24:25]
	flat_load_ushort v26, v[26:27]
	s_waitcnt vmcnt(0) lgkmcnt(0)
	v_mul_f16_e32 v26, v52, v26
	s_branch .LBB267_237
.LBB267_236:
	v_mov_b32_e32 v26, 0
.LBB267_237:
	v_pk_add_f16 v27, v0, v22
	v_pk_max_f16 v28, v78, v78
	s_nop 0
	v_pk_min_f16 v27, v28, v27
	v_pk_add_f16 v28, v1, v23
	s_nop 0
	v_pk_min_f16 v27, v27, v28
	s_nop 0
	v_lshrrev_b32_e32 v28, 16, v27
	v_min3_f16 v28, v26, v27, v28
	v_lshl_add_u64 v[26:27], v[44:45], 1, v[20:21]
	global_store_short v[26:27], v28, off
	s_or_b64 exec, exec, s[14:15]
	s_and_b64 s[14:15], s[8:9], s[10:11]
	s_and_saveexec_b64 s[10:11], s[14:15]
	s_cbranch_execz .LBB267_242
.LBB267_238:
	s_and_b64 vcc, exec, s[0:1]
	s_cbranch_vccnz .LBB267_240
; %bb.239:
	v_lshl_add_u64 v[24:25], v[46:47], 1, v[24:25]
	flat_load_ushort v24, v[24:25]
	s_waitcnt vmcnt(0) lgkmcnt(0)
	v_mul_f16_e32 v24, v52, v24
	s_branch .LBB267_241
.LBB267_240:
	v_mov_b32_e32 v24, 0
.LBB267_241:
	v_pk_add_f16 v22, v2, v22
	v_pk_max_f16 v25, v77, v77
	v_pk_add_f16 v23, v3, v23
	v_pk_min_f16 v22, v25, v22
	v_lshl_add_u64 v[20:21], v[46:47], 1, v[20:21]
	v_pk_min_f16 v22, v22, v23
	s_nop 0
	v_lshrrev_b32_e32 v23, 16, v22
	v_min3_f16 v22, v24, v22, v23
	global_store_short v[20:21], v22, off
.LBB267_242:
	s_or_b64 exec, exec, s[10:11]
	v_add_u32_e32 v24, 0x50, v86
	v_mad_i64_i32 v[20:21], s[14:15], v24, s19, 0
	v_cmp_gt_i32_e64 s[10:11], s17, v24
	v_lshl_add_u64 v[22:23], v[20:21], 1, s[20:21]
	v_mad_i64_i32 v[20:21], s[14:15], v24, s18, 0
	v_lshl_add_u64 v[20:21], v[20:21], 1, s[12:13]
	s_and_b64 s[22:23], s[4:5], s[10:11]
	s_and_saveexec_b64 s[14:15], s[22:23]
	s_cbranch_execnz .LBB267_246
; %bb.243:
	s_or_b64 exec, exec, s[14:15]
	s_and_b64 s[22:23], s[2:3], s[10:11]
	s_and_saveexec_b64 s[14:15], s[22:23]
	s_cbranch_execnz .LBB267_250
.LBB267_244:
	s_or_b64 exec, exec, s[14:15]
	s_and_b64 s[22:23], s[6:7], s[10:11]
	s_and_saveexec_b64 s[14:15], s[22:23]
	s_cbranch_execnz .LBB267_254
.LBB267_245:
	s_or_b64 exec, exec, s[14:15]
	s_and_b64 s[14:15], s[8:9], s[10:11]
	s_and_saveexec_b64 s[10:11], s[14:15]
	s_cbranch_execnz .LBB267_258
	s_branch .LBB267_262
.LBB267_246:
	s_and_b64 vcc, exec, s[0:1]
	s_cbranch_vccnz .LBB267_248
; %bb.247:
	v_lshl_add_u64 v[24:25], v[40:41], 1, v[22:23]
	flat_load_ushort v24, v[24:25]
	s_waitcnt vmcnt(0) lgkmcnt(0)
	v_mul_f16_e32 v24, v52, v24
	s_branch .LBB267_249
.LBB267_248:
	v_mov_b32_e32 v24, 0
.LBB267_249:
	v_pk_add_f16 v25, v8, v16
	v_pk_max_f16 v26, v76, v76
	s_nop 0
	v_pk_min_f16 v25, v26, v25
	v_pk_add_f16 v26, v9, v17
	s_nop 0
	v_pk_min_f16 v25, v25, v26
	s_nop 0
	v_lshrrev_b32_e32 v26, 16, v25
	v_min3_f16 v26, v24, v25, v26
	v_lshl_add_u64 v[24:25], v[40:41], 1, v[20:21]
	global_store_short v[24:25], v26, off
	s_or_b64 exec, exec, s[14:15]
	s_and_b64 s[22:23], s[2:3], s[10:11]
	s_and_saveexec_b64 s[14:15], s[22:23]
	s_cbranch_execz .LBB267_244
.LBB267_250:
	s_and_b64 vcc, exec, s[0:1]
	s_cbranch_vccnz .LBB267_252
; %bb.251:
	v_lshl_add_u64 v[24:25], v[42:43], 1, v[22:23]
	flat_load_ushort v24, v[24:25]
	s_waitcnt vmcnt(0) lgkmcnt(0)
	v_mul_f16_e32 v24, v52, v24
	s_branch .LBB267_253
.LBB267_252:
	v_mov_b32_e32 v24, 0
.LBB267_253:
	v_pk_add_f16 v25, v10, v16
	v_pk_max_f16 v26, v75, v75
	s_nop 0
	v_pk_min_f16 v25, v26, v25
	v_pk_add_f16 v26, v11, v17
	s_nop 0
	v_pk_min_f16 v25, v25, v26
	s_nop 0
	v_lshrrev_b32_e32 v26, 16, v25
	v_min3_f16 v26, v24, v25, v26
	v_lshl_add_u64 v[24:25], v[42:43], 1, v[20:21]
	global_store_short v[24:25], v26, off
	s_or_b64 exec, exec, s[14:15]
	s_and_b64 s[22:23], s[6:7], s[10:11]
	s_and_saveexec_b64 s[14:15], s[22:23]
	s_cbranch_execz .LBB267_245
.LBB267_254:
	s_and_b64 vcc, exec, s[0:1]
	s_cbranch_vccnz .LBB267_256
; %bb.255:
	v_lshl_add_u64 v[24:25], v[44:45], 1, v[22:23]
	flat_load_ushort v24, v[24:25]
	s_waitcnt vmcnt(0) lgkmcnt(0)
	v_mul_f16_e32 v24, v52, v24
	s_branch .LBB267_257
.LBB267_256:
	v_mov_b32_e32 v24, 0
.LBB267_257:
	v_pk_add_f16 v25, v0, v16
	v_pk_max_f16 v26, v74, v74
	s_nop 0
	v_pk_min_f16 v25, v26, v25
	v_pk_add_f16 v26, v1, v17
	s_nop 0
	v_pk_min_f16 v25, v25, v26
	s_nop 0
	v_lshrrev_b32_e32 v26, 16, v25
	v_min3_f16 v26, v24, v25, v26
	v_lshl_add_u64 v[24:25], v[44:45], 1, v[20:21]
	global_store_short v[24:25], v26, off
	s_or_b64 exec, exec, s[14:15]
	s_and_b64 s[14:15], s[8:9], s[10:11]
	s_and_saveexec_b64 s[10:11], s[14:15]
	s_cbranch_execz .LBB267_262
.LBB267_258:
	s_and_b64 vcc, exec, s[0:1]
	s_cbranch_vccnz .LBB267_260
; %bb.259:
	v_lshl_add_u64 v[22:23], v[46:47], 1, v[22:23]
	flat_load_ushort v22, v[22:23]
	s_waitcnt vmcnt(0) lgkmcnt(0)
	v_mul_f16_e32 v22, v52, v22
	s_branch .LBB267_261
.LBB267_260:
	v_mov_b32_e32 v22, 0
.LBB267_261:
	v_pk_add_f16 v16, v2, v16
	v_pk_max_f16 v23, v73, v73
	v_pk_add_f16 v17, v3, v17
	v_pk_min_f16 v16, v23, v16
	s_nop 0
	v_pk_min_f16 v16, v16, v17
	s_nop 0
	v_lshrrev_b32_e32 v17, 16, v16
	v_min3_f16 v22, v22, v16, v17
	v_lshl_add_u64 v[16:17], v[46:47], 1, v[20:21]
	global_store_short v[16:17], v22, off
.LBB267_262:
	s_or_b64 exec, exec, s[10:11]
	v_add_u32_e32 v22, 0x58, v86
	v_mad_i64_i32 v[16:17], s[14:15], v22, s19, 0
	v_cmp_gt_i32_e64 s[10:11], s17, v22
	v_lshl_add_u64 v[20:21], v[16:17], 1, s[20:21]
	v_mad_i64_i32 v[16:17], s[14:15], v22, s18, 0
	v_lshl_add_u64 v[16:17], v[16:17], 1, s[12:13]
	s_and_b64 s[22:23], s[4:5], s[10:11]
	s_and_saveexec_b64 s[14:15], s[22:23]
	s_cbranch_execnz .LBB267_266
; %bb.263:
	s_or_b64 exec, exec, s[14:15]
	s_and_b64 s[22:23], s[2:3], s[10:11]
	s_and_saveexec_b64 s[14:15], s[22:23]
	s_cbranch_execnz .LBB267_270
.LBB267_264:
	s_or_b64 exec, exec, s[14:15]
	s_and_b64 s[22:23], s[6:7], s[10:11]
	s_and_saveexec_b64 s[14:15], s[22:23]
	s_cbranch_execnz .LBB267_274
.LBB267_265:
	s_or_b64 exec, exec, s[14:15]
	s_and_b64 s[14:15], s[8:9], s[10:11]
	s_and_saveexec_b64 s[10:11], s[14:15]
	s_cbranch_execnz .LBB267_278
	s_branch .LBB267_282
.LBB267_266:
	s_and_b64 vcc, exec, s[0:1]
	s_cbranch_vccnz .LBB267_268
; %bb.267:
	v_lshl_add_u64 v[22:23], v[40:41], 1, v[20:21]
	flat_load_ushort v22, v[22:23]
	s_waitcnt vmcnt(0) lgkmcnt(0)
	v_mul_f16_e32 v22, v52, v22
	s_branch .LBB267_269
.LBB267_268:
	v_mov_b32_e32 v22, 0
.LBB267_269:
	v_pk_add_f16 v23, v8, v18
	v_pk_max_f16 v24, v72, v72
	s_nop 0
	v_pk_min_f16 v23, v24, v23
	v_pk_add_f16 v24, v9, v19
	s_nop 0
	v_pk_min_f16 v23, v23, v24
	s_nop 0
	v_lshrrev_b32_e32 v24, 16, v23
	v_min3_f16 v24, v22, v23, v24
	v_lshl_add_u64 v[22:23], v[40:41], 1, v[16:17]
	global_store_short v[22:23], v24, off
	s_or_b64 exec, exec, s[14:15]
	s_and_b64 s[22:23], s[2:3], s[10:11]
	s_and_saveexec_b64 s[14:15], s[22:23]
	s_cbranch_execz .LBB267_264
.LBB267_270:
	s_and_b64 vcc, exec, s[0:1]
	s_cbranch_vccnz .LBB267_272
; %bb.271:
	v_lshl_add_u64 v[22:23], v[42:43], 1, v[20:21]
	flat_load_ushort v22, v[22:23]
	s_waitcnt vmcnt(0) lgkmcnt(0)
	v_mul_f16_e32 v22, v52, v22
	s_branch .LBB267_273
.LBB267_272:
	v_mov_b32_e32 v22, 0
.LBB267_273:
	v_pk_add_f16 v23, v10, v18
	v_pk_max_f16 v24, v71, v71
	s_nop 0
	v_pk_min_f16 v23, v24, v23
	v_pk_add_f16 v24, v11, v19
	s_nop 0
	v_pk_min_f16 v23, v23, v24
	s_nop 0
	v_lshrrev_b32_e32 v24, 16, v23
	v_min3_f16 v24, v22, v23, v24
	v_lshl_add_u64 v[22:23], v[42:43], 1, v[16:17]
	global_store_short v[22:23], v24, off
	s_or_b64 exec, exec, s[14:15]
	s_and_b64 s[22:23], s[6:7], s[10:11]
	s_and_saveexec_b64 s[14:15], s[22:23]
	s_cbranch_execz .LBB267_265
.LBB267_274:
	s_and_b64 vcc, exec, s[0:1]
	s_cbranch_vccnz .LBB267_276
; %bb.275:
	v_lshl_add_u64 v[22:23], v[44:45], 1, v[20:21]
	flat_load_ushort v22, v[22:23]
	s_waitcnt vmcnt(0) lgkmcnt(0)
	v_mul_f16_e32 v22, v52, v22
	s_branch .LBB267_277
.LBB267_276:
	v_mov_b32_e32 v22, 0
.LBB267_277:
	v_pk_add_f16 v23, v0, v18
	v_pk_max_f16 v24, v70, v70
	s_nop 0
	v_pk_min_f16 v23, v24, v23
	v_pk_add_f16 v24, v1, v19
	s_nop 0
	v_pk_min_f16 v23, v23, v24
	s_nop 0
	v_lshrrev_b32_e32 v24, 16, v23
	v_min3_f16 v24, v22, v23, v24
	v_lshl_add_u64 v[22:23], v[44:45], 1, v[16:17]
	global_store_short v[22:23], v24, off
	s_or_b64 exec, exec, s[14:15]
	s_and_b64 s[14:15], s[8:9], s[10:11]
	s_and_saveexec_b64 s[10:11], s[14:15]
	s_cbranch_execz .LBB267_282
.LBB267_278:
	s_and_b64 vcc, exec, s[0:1]
	s_cbranch_vccnz .LBB267_280
; %bb.279:
	v_lshl_add_u64 v[20:21], v[46:47], 1, v[20:21]
	flat_load_ushort v20, v[20:21]
	s_waitcnt vmcnt(0) lgkmcnt(0)
	v_mul_f16_e32 v20, v52, v20
	s_branch .LBB267_281
.LBB267_280:
	v_mov_b32_e32 v20, 0
.LBB267_281:
	v_pk_add_f16 v18, v2, v18
	v_pk_max_f16 v21, v69, v69
	v_pk_add_f16 v19, v3, v19
	v_pk_min_f16 v18, v21, v18
	v_lshl_add_u64 v[16:17], v[46:47], 1, v[16:17]
	v_pk_min_f16 v18, v18, v19
	s_nop 0
	v_lshrrev_b32_e32 v19, 16, v18
	v_min3_f16 v18, v20, v18, v19
	global_store_short v[16:17], v18, off
.LBB267_282:
	s_or_b64 exec, exec, s[10:11]
	v_add_u32_e32 v20, 0x60, v86
	v_mad_i64_i32 v[16:17], s[14:15], v20, s19, 0
	v_cmp_gt_i32_e64 s[10:11], s17, v20
	v_lshl_add_u64 v[18:19], v[16:17], 1, s[20:21]
	v_mad_i64_i32 v[16:17], s[14:15], v20, s18, 0
	v_lshl_add_u64 v[16:17], v[16:17], 1, s[12:13]
	s_and_b64 s[22:23], s[4:5], s[10:11]
	s_and_saveexec_b64 s[14:15], s[22:23]
	s_cbranch_execnz .LBB267_286
; %bb.283:
	s_or_b64 exec, exec, s[14:15]
	s_and_b64 s[22:23], s[2:3], s[10:11]
	s_and_saveexec_b64 s[14:15], s[22:23]
	s_cbranch_execnz .LBB267_290
.LBB267_284:
	s_or_b64 exec, exec, s[14:15]
	s_and_b64 s[22:23], s[6:7], s[10:11]
	s_and_saveexec_b64 s[14:15], s[22:23]
	s_cbranch_execnz .LBB267_294
.LBB267_285:
	s_or_b64 exec, exec, s[14:15]
	s_and_b64 s[14:15], s[8:9], s[10:11]
	s_and_saveexec_b64 s[10:11], s[14:15]
	s_cbranch_execnz .LBB267_298
	s_branch .LBB267_302
.LBB267_286:
	s_and_b64 vcc, exec, s[0:1]
	s_cbranch_vccnz .LBB267_288
; %bb.287:
	v_lshl_add_u64 v[20:21], v[40:41], 1, v[18:19]
	flat_load_ushort v20, v[20:21]
	s_waitcnt vmcnt(0) lgkmcnt(0)
	v_mul_f16_e32 v20, v52, v20
	s_branch .LBB267_289
.LBB267_288:
	v_mov_b32_e32 v20, 0
.LBB267_289:
	v_pk_add_f16 v21, v8, v12
	v_pk_max_f16 v22, v68, v68
	s_nop 0
	v_pk_min_f16 v21, v22, v21
	v_pk_add_f16 v22, v9, v13
	s_nop 0
	v_pk_min_f16 v21, v21, v22
	s_nop 0
	v_lshrrev_b32_e32 v22, 16, v21
	v_min3_f16 v22, v20, v21, v22
	v_lshl_add_u64 v[20:21], v[40:41], 1, v[16:17]
	global_store_short v[20:21], v22, off
	s_or_b64 exec, exec, s[14:15]
	s_and_b64 s[22:23], s[2:3], s[10:11]
	s_and_saveexec_b64 s[14:15], s[22:23]
	s_cbranch_execz .LBB267_284
.LBB267_290:
	s_and_b64 vcc, exec, s[0:1]
	s_cbranch_vccnz .LBB267_292
; %bb.291:
	v_lshl_add_u64 v[20:21], v[42:43], 1, v[18:19]
	flat_load_ushort v20, v[20:21]
	s_waitcnt vmcnt(0) lgkmcnt(0)
	v_mul_f16_e32 v20, v52, v20
	s_branch .LBB267_293
.LBB267_292:
	v_mov_b32_e32 v20, 0
.LBB267_293:
	v_pk_add_f16 v21, v10, v12
	v_pk_max_f16 v22, v67, v67
	s_nop 0
	v_pk_min_f16 v21, v22, v21
	v_pk_add_f16 v22, v11, v13
	s_nop 0
	v_pk_min_f16 v21, v21, v22
	s_nop 0
	v_lshrrev_b32_e32 v22, 16, v21
	v_min3_f16 v22, v20, v21, v22
	v_lshl_add_u64 v[20:21], v[42:43], 1, v[16:17]
	global_store_short v[20:21], v22, off
	s_or_b64 exec, exec, s[14:15]
	s_and_b64 s[22:23], s[6:7], s[10:11]
	s_and_saveexec_b64 s[14:15], s[22:23]
	s_cbranch_execz .LBB267_285
.LBB267_294:
	s_and_b64 vcc, exec, s[0:1]
	s_cbranch_vccnz .LBB267_296
; %bb.295:
	v_lshl_add_u64 v[20:21], v[44:45], 1, v[18:19]
	flat_load_ushort v20, v[20:21]
	s_waitcnt vmcnt(0) lgkmcnt(0)
	v_mul_f16_e32 v20, v52, v20
	s_branch .LBB267_297
.LBB267_296:
	v_mov_b32_e32 v20, 0
.LBB267_297:
	v_pk_add_f16 v21, v0, v12
	v_pk_max_f16 v22, v66, v66
	s_nop 0
	v_pk_min_f16 v21, v22, v21
	v_pk_add_f16 v22, v1, v13
	s_nop 0
	v_pk_min_f16 v21, v21, v22
	s_nop 0
	v_lshrrev_b32_e32 v22, 16, v21
	v_min3_f16 v22, v20, v21, v22
	v_lshl_add_u64 v[20:21], v[44:45], 1, v[16:17]
	global_store_short v[20:21], v22, off
	s_or_b64 exec, exec, s[14:15]
	s_and_b64 s[14:15], s[8:9], s[10:11]
	s_and_saveexec_b64 s[10:11], s[14:15]
	s_cbranch_execz .LBB267_302
.LBB267_298:
	s_and_b64 vcc, exec, s[0:1]
	s_cbranch_vccnz .LBB267_300
; %bb.299:
	v_lshl_add_u64 v[18:19], v[46:47], 1, v[18:19]
	flat_load_ushort v18, v[18:19]
	s_waitcnt vmcnt(0) lgkmcnt(0)
	v_mul_f16_e32 v18, v52, v18
	s_branch .LBB267_301
.LBB267_300:
	v_mov_b32_e32 v18, 0
.LBB267_301:
	v_pk_add_f16 v12, v2, v12
	v_pk_max_f16 v19, v65, v65
	v_pk_add_f16 v13, v3, v13
	v_pk_min_f16 v12, v19, v12
	s_nop 0
	v_pk_min_f16 v12, v12, v13
	s_nop 0
	v_lshrrev_b32_e32 v13, 16, v12
	v_min3_f16 v18, v18, v12, v13
	v_lshl_add_u64 v[12:13], v[46:47], 1, v[16:17]
	global_store_short v[12:13], v18, off
.LBB267_302:
	s_or_b64 exec, exec, s[10:11]
	v_add_u32_e32 v18, 0x68, v86
	v_mad_i64_i32 v[12:13], s[14:15], v18, s19, 0
	v_cmp_gt_i32_e64 s[10:11], s17, v18
	v_lshl_add_u64 v[16:17], v[12:13], 1, s[20:21]
	v_mad_i64_i32 v[12:13], s[14:15], v18, s18, 0
	v_lshl_add_u64 v[12:13], v[12:13], 1, s[12:13]
	s_and_b64 s[22:23], s[4:5], s[10:11]
	s_and_saveexec_b64 s[14:15], s[22:23]
	s_cbranch_execnz .LBB267_306
; %bb.303:
	s_or_b64 exec, exec, s[14:15]
	s_and_b64 s[22:23], s[2:3], s[10:11]
	s_and_saveexec_b64 s[14:15], s[22:23]
	s_cbranch_execnz .LBB267_310
.LBB267_304:
	s_or_b64 exec, exec, s[14:15]
	s_and_b64 s[22:23], s[6:7], s[10:11]
	s_and_saveexec_b64 s[14:15], s[22:23]
	s_cbranch_execnz .LBB267_314
.LBB267_305:
	s_or_b64 exec, exec, s[14:15]
	s_and_b64 s[14:15], s[8:9], s[10:11]
	s_and_saveexec_b64 s[10:11], s[14:15]
	s_cbranch_execnz .LBB267_318
	s_branch .LBB267_322
.LBB267_306:
	s_and_b64 vcc, exec, s[0:1]
	s_cbranch_vccnz .LBB267_308
; %bb.307:
	v_lshl_add_u64 v[18:19], v[40:41], 1, v[16:17]
	flat_load_ushort v18, v[18:19]
	s_waitcnt vmcnt(0) lgkmcnt(0)
	v_mul_f16_e32 v18, v52, v18
	s_branch .LBB267_309
.LBB267_308:
	v_mov_b32_e32 v18, 0
.LBB267_309:
	v_pk_add_f16 v19, v8, v14
	v_pk_max_f16 v20, v64, v64
	s_nop 0
	v_pk_min_f16 v19, v20, v19
	v_pk_add_f16 v20, v9, v15
	s_nop 0
	v_pk_min_f16 v19, v19, v20
	s_nop 0
	v_lshrrev_b32_e32 v20, 16, v19
	v_min3_f16 v20, v18, v19, v20
	v_lshl_add_u64 v[18:19], v[40:41], 1, v[12:13]
	global_store_short v[18:19], v20, off
	s_or_b64 exec, exec, s[14:15]
	s_and_b64 s[22:23], s[2:3], s[10:11]
	s_and_saveexec_b64 s[14:15], s[22:23]
	s_cbranch_execz .LBB267_304
.LBB267_310:
	s_and_b64 vcc, exec, s[0:1]
	s_cbranch_vccnz .LBB267_312
; %bb.311:
	v_lshl_add_u64 v[18:19], v[42:43], 1, v[16:17]
	flat_load_ushort v18, v[18:19]
	s_waitcnt vmcnt(0) lgkmcnt(0)
	v_mul_f16_e32 v18, v52, v18
	s_branch .LBB267_313
.LBB267_312:
	v_mov_b32_e32 v18, 0
.LBB267_313:
	v_pk_add_f16 v19, v10, v14
	v_pk_max_f16 v20, v63, v63
	s_nop 0
	v_pk_min_f16 v19, v20, v19
	v_pk_add_f16 v20, v11, v15
	s_nop 0
	v_pk_min_f16 v19, v19, v20
	s_nop 0
	v_lshrrev_b32_e32 v20, 16, v19
	v_min3_f16 v20, v18, v19, v20
	v_lshl_add_u64 v[18:19], v[42:43], 1, v[12:13]
	global_store_short v[18:19], v20, off
	s_or_b64 exec, exec, s[14:15]
	s_and_b64 s[22:23], s[6:7], s[10:11]
	s_and_saveexec_b64 s[14:15], s[22:23]
	s_cbranch_execz .LBB267_305
.LBB267_314:
	s_and_b64 vcc, exec, s[0:1]
	s_cbranch_vccnz .LBB267_316
; %bb.315:
	v_lshl_add_u64 v[18:19], v[44:45], 1, v[16:17]
	flat_load_ushort v18, v[18:19]
	s_waitcnt vmcnt(0) lgkmcnt(0)
	v_mul_f16_e32 v18, v52, v18
	s_branch .LBB267_317
.LBB267_316:
	v_mov_b32_e32 v18, 0
.LBB267_317:
	v_pk_add_f16 v19, v0, v14
	v_pk_max_f16 v20, v62, v62
	s_nop 0
	v_pk_min_f16 v19, v20, v19
	v_pk_add_f16 v20, v1, v15
	s_nop 0
	v_pk_min_f16 v19, v19, v20
	s_nop 0
	v_lshrrev_b32_e32 v20, 16, v19
	v_min3_f16 v20, v18, v19, v20
	v_lshl_add_u64 v[18:19], v[44:45], 1, v[12:13]
	global_store_short v[18:19], v20, off
	s_or_b64 exec, exec, s[14:15]
	s_and_b64 s[14:15], s[8:9], s[10:11]
	s_and_saveexec_b64 s[10:11], s[14:15]
	s_cbranch_execz .LBB267_322
.LBB267_318:
	s_and_b64 vcc, exec, s[0:1]
	s_cbranch_vccnz .LBB267_320
; %bb.319:
	v_lshl_add_u64 v[16:17], v[46:47], 1, v[16:17]
	flat_load_ushort v16, v[16:17]
	s_waitcnt vmcnt(0) lgkmcnt(0)
	v_mul_f16_e32 v16, v52, v16
	s_branch .LBB267_321
.LBB267_320:
	v_mov_b32_e32 v16, 0
.LBB267_321:
	v_pk_add_f16 v14, v2, v14
	v_pk_max_f16 v17, v61, v61
	v_pk_add_f16 v15, v3, v15
	v_pk_min_f16 v14, v17, v14
	v_lshl_add_u64 v[12:13], v[46:47], 1, v[12:13]
	v_pk_min_f16 v14, v14, v15
	s_nop 0
	v_lshrrev_b32_e32 v15, 16, v14
	v_min3_f16 v14, v16, v14, v15
	global_store_short v[12:13], v14, off
.LBB267_322:
	s_or_b64 exec, exec, s[10:11]
	v_add_u32_e32 v16, 0x70, v86
	v_mad_i64_i32 v[12:13], s[14:15], v16, s19, 0
	v_cmp_gt_i32_e64 s[10:11], s17, v16
	v_lshl_add_u64 v[14:15], v[12:13], 1, s[20:21]
	v_mad_i64_i32 v[12:13], s[14:15], v16, s18, 0
	v_lshl_add_u64 v[12:13], v[12:13], 1, s[12:13]
	s_and_b64 s[22:23], s[4:5], s[10:11]
	s_and_saveexec_b64 s[14:15], s[22:23]
	s_cbranch_execnz .LBB267_326
; %bb.323:
	s_or_b64 exec, exec, s[14:15]
	s_and_b64 s[22:23], s[2:3], s[10:11]
	s_and_saveexec_b64 s[14:15], s[22:23]
	s_cbranch_execnz .LBB267_330
.LBB267_324:
	s_or_b64 exec, exec, s[14:15]
	s_and_b64 s[22:23], s[6:7], s[10:11]
	s_and_saveexec_b64 s[14:15], s[22:23]
	s_cbranch_execnz .LBB267_334
.LBB267_325:
	s_or_b64 exec, exec, s[14:15]
	s_and_b64 s[14:15], s[8:9], s[10:11]
	s_and_saveexec_b64 s[10:11], s[14:15]
	s_cbranch_execnz .LBB267_338
	s_branch .LBB267_342
.LBB267_326:
	s_and_b64 vcc, exec, s[0:1]
	s_cbranch_vccnz .LBB267_328
; %bb.327:
	v_lshl_add_u64 v[16:17], v[40:41], 1, v[14:15]
	flat_load_ushort v16, v[16:17]
	s_waitcnt vmcnt(0) lgkmcnt(0)
	v_mul_f16_e32 v16, v52, v16
	s_branch .LBB267_329
.LBB267_328:
	v_mov_b32_e32 v16, 0
.LBB267_329:
	v_pk_add_f16 v17, v8, v4
	v_pk_max_f16 v18, v60, v60
	s_nop 0
	v_pk_min_f16 v17, v18, v17
	v_pk_add_f16 v18, v9, v5
	s_nop 0
	v_pk_min_f16 v17, v17, v18
	s_nop 0
	v_lshrrev_b32_e32 v18, 16, v17
	v_min3_f16 v18, v16, v17, v18
	v_lshl_add_u64 v[16:17], v[40:41], 1, v[12:13]
	global_store_short v[16:17], v18, off
	s_or_b64 exec, exec, s[14:15]
	s_and_b64 s[22:23], s[2:3], s[10:11]
	s_and_saveexec_b64 s[14:15], s[22:23]
	s_cbranch_execz .LBB267_324
.LBB267_330:
	s_and_b64 vcc, exec, s[0:1]
	s_cbranch_vccnz .LBB267_332
; %bb.331:
	v_lshl_add_u64 v[16:17], v[42:43], 1, v[14:15]
	flat_load_ushort v16, v[16:17]
	s_waitcnt vmcnt(0) lgkmcnt(0)
	v_mul_f16_e32 v16, v52, v16
	s_branch .LBB267_333
.LBB267_332:
	v_mov_b32_e32 v16, 0
.LBB267_333:
	v_pk_add_f16 v17, v10, v4
	v_pk_max_f16 v18, v59, v59
	s_nop 0
	v_pk_min_f16 v17, v18, v17
	v_pk_add_f16 v18, v11, v5
	s_nop 0
	v_pk_min_f16 v17, v17, v18
	s_nop 0
	v_lshrrev_b32_e32 v18, 16, v17
	v_min3_f16 v18, v16, v17, v18
	v_lshl_add_u64 v[16:17], v[42:43], 1, v[12:13]
	global_store_short v[16:17], v18, off
	s_or_b64 exec, exec, s[14:15]
	s_and_b64 s[22:23], s[6:7], s[10:11]
	s_and_saveexec_b64 s[14:15], s[22:23]
	s_cbranch_execz .LBB267_325
.LBB267_334:
	s_and_b64 vcc, exec, s[0:1]
	s_cbranch_vccnz .LBB267_336
; %bb.335:
	v_lshl_add_u64 v[16:17], v[44:45], 1, v[14:15]
	flat_load_ushort v16, v[16:17]
	s_waitcnt vmcnt(0) lgkmcnt(0)
	v_mul_f16_e32 v16, v52, v16
	s_branch .LBB267_337
.LBB267_336:
	v_mov_b32_e32 v16, 0
.LBB267_337:
	v_pk_add_f16 v17, v0, v4
	v_pk_max_f16 v18, v58, v58
	s_nop 0
	v_pk_min_f16 v17, v18, v17
	v_pk_add_f16 v18, v1, v5
	s_nop 0
	v_pk_min_f16 v17, v17, v18
	s_nop 0
	v_lshrrev_b32_e32 v18, 16, v17
	v_min3_f16 v18, v16, v17, v18
	v_lshl_add_u64 v[16:17], v[44:45], 1, v[12:13]
	global_store_short v[16:17], v18, off
	s_or_b64 exec, exec, s[14:15]
	s_and_b64 s[14:15], s[8:9], s[10:11]
	s_and_saveexec_b64 s[10:11], s[14:15]
	s_cbranch_execz .LBB267_342
.LBB267_338:
	s_and_b64 vcc, exec, s[0:1]
	s_cbranch_vccnz .LBB267_340
; %bb.339:
	v_lshl_add_u64 v[14:15], v[46:47], 1, v[14:15]
	flat_load_ushort v14, v[14:15]
	s_waitcnt vmcnt(0) lgkmcnt(0)
	v_mul_f16_e32 v14, v52, v14
	s_branch .LBB267_341
.LBB267_340:
	v_mov_b32_e32 v14, 0
.LBB267_341:
	v_pk_add_f16 v4, v2, v4
	v_pk_max_f16 v15, v57, v57
	v_pk_add_f16 v5, v3, v5
	v_pk_min_f16 v4, v15, v4
	s_nop 0
	v_pk_min_f16 v4, v4, v5
	s_nop 0
	v_lshrrev_b32_e32 v5, 16, v4
	v_min3_f16 v14, v14, v4, v5
	v_lshl_add_u64 v[4:5], v[46:47], 1, v[12:13]
	global_store_short v[4:5], v14, off
.LBB267_342:
	s_or_b64 exec, exec, s[10:11]
	v_add_u32_e32 v14, 0x78, v86
	v_mad_i64_i32 v[4:5], s[14:15], v14, s19, 0
	v_cmp_gt_i32_e64 s[10:11], s17, v14
	v_lshl_add_u64 v[12:13], v[4:5], 1, s[20:21]
	v_mad_i64_i32 v[4:5], s[14:15], v14, s18, 0
	v_lshl_add_u64 v[4:5], v[4:5], 1, s[12:13]
	s_and_b64 s[12:13], s[4:5], s[10:11]
	s_and_saveexec_b64 s[4:5], s[12:13]
	s_cbranch_execnz .LBB267_347
; %bb.343:
	s_or_b64 exec, exec, s[4:5]
	s_and_b64 s[4:5], s[2:3], s[10:11]
	s_and_saveexec_b64 s[2:3], s[4:5]
	s_cbranch_execnz .LBB267_351
.LBB267_344:
	s_or_b64 exec, exec, s[2:3]
	s_and_b64 s[4:5], s[6:7], s[10:11]
	s_and_saveexec_b64 s[2:3], s[4:5]
	s_cbranch_execnz .LBB267_355
.LBB267_345:
	s_or_b64 exec, exec, s[2:3]
	s_and_b64 s[2:3], s[8:9], s[10:11]
	s_and_saveexec_b64 s[4:5], s[2:3]
	s_cbranch_execnz .LBB267_359
.LBB267_346:
	s_endpgm
.LBB267_347:
	s_and_b64 vcc, exec, s[0:1]
	s_cbranch_vccnz .LBB267_349
; %bb.348:
	v_lshl_add_u64 v[14:15], v[40:41], 1, v[12:13]
	flat_load_ushort v14, v[14:15]
	s_waitcnt vmcnt(0) lgkmcnt(0)
	v_mul_f16_e32 v14, v52, v14
	s_branch .LBB267_350
.LBB267_349:
	v_mov_b32_e32 v14, 0
.LBB267_350:
	v_pk_add_f16 v8, v8, v6
	v_pk_max_f16 v15, v55, v55
	v_pk_add_f16 v9, v9, v7
	v_pk_min_f16 v8, v15, v8
	s_nop 0
	v_pk_min_f16 v8, v8, v9
	s_nop 0
	v_lshrrev_b32_e32 v9, 16, v8
	v_min3_f16 v14, v14, v8, v9
	v_lshl_add_u64 v[8:9], v[40:41], 1, v[4:5]
	global_store_short v[8:9], v14, off
	s_or_b64 exec, exec, s[4:5]
	s_and_b64 s[4:5], s[2:3], s[10:11]
	s_and_saveexec_b64 s[2:3], s[4:5]
	s_cbranch_execz .LBB267_344
.LBB267_351:
	s_and_b64 vcc, exec, s[0:1]
	s_cbranch_vccnz .LBB267_353
; %bb.352:
	v_lshl_add_u64 v[8:9], v[42:43], 1, v[12:13]
	flat_load_ushort v8, v[8:9]
	s_waitcnt vmcnt(0) lgkmcnt(0)
	v_mul_f16_e32 v8, v52, v8
	s_branch .LBB267_354
.LBB267_353:
	v_mov_b32_e32 v8, 0
.LBB267_354:
	v_pk_add_f16 v9, v10, v6
	v_pk_max_f16 v10, v54, v54
	s_nop 0
	v_pk_min_f16 v9, v10, v9
	v_pk_add_f16 v10, v11, v7
	s_nop 0
	v_pk_min_f16 v9, v9, v10
	s_nop 0
	v_lshrrev_b32_e32 v10, 16, v9
	v_min3_f16 v10, v8, v9, v10
	v_lshl_add_u64 v[8:9], v[42:43], 1, v[4:5]
	global_store_short v[8:9], v10, off
	s_or_b64 exec, exec, s[2:3]
	s_and_b64 s[4:5], s[6:7], s[10:11]
	s_and_saveexec_b64 s[2:3], s[4:5]
	s_cbranch_execz .LBB267_345
.LBB267_355:
	s_and_b64 vcc, exec, s[0:1]
	s_cbranch_vccnz .LBB267_357
; %bb.356:
	v_lshl_add_u64 v[8:9], v[44:45], 1, v[12:13]
	flat_load_ushort v8, v[8:9]
	s_waitcnt vmcnt(0) lgkmcnt(0)
	v_mul_f16_e32 v8, v52, v8
	s_branch .LBB267_358
.LBB267_357:
	v_mov_b32_e32 v8, 0
.LBB267_358:
	v_pk_add_f16 v0, v0, v6
	v_pk_max_f16 v9, v53, v53
	v_pk_add_f16 v1, v1, v7
	v_pk_min_f16 v0, v9, v0
	s_nop 0
	v_pk_min_f16 v0, v0, v1
	s_nop 0
	v_lshrrev_b32_e32 v1, 16, v0
	v_min3_f16 v8, v8, v0, v1
	v_lshl_add_u64 v[0:1], v[44:45], 1, v[4:5]
	global_store_short v[0:1], v8, off
	s_or_b64 exec, exec, s[2:3]
	s_and_b64 s[2:3], s[8:9], s[10:11]
	s_and_saveexec_b64 s[4:5], s[2:3]
	s_cbranch_execz .LBB267_346
.LBB267_359:
	s_and_b64 vcc, exec, s[0:1]
	s_cbranch_vccnz .LBB267_361
; %bb.360:
	v_lshl_add_u64 v[0:1], v[46:47], 1, v[12:13]
	flat_load_ushort v0, v[0:1]
	s_waitcnt vmcnt(0) lgkmcnt(0)
	v_mul_f16_e32 v0, v52, v0
	s_branch .LBB267_362
.LBB267_361:
	v_mov_b32_e32 v0, 0
.LBB267_362:
	v_pk_add_f16 v1, v2, v6
	v_pk_max_f16 v2, v56, v56
	s_nop 0
	v_pk_min_f16 v1, v2, v1
	v_pk_add_f16 v2, v3, v7
	s_nop 0
	v_pk_min_f16 v1, v1, v2
	s_nop 0
	v_lshrrev_b32_e32 v2, 16, v1
	v_min3_f16 v2, v0, v1, v2
	v_lshl_add_u64 v[0:1], v[46:47], 1, v[4:5]
	global_store_short v[0:1], v2, off
	s_endpgm
	.section	.rodata,"a",@progbits
	.p2align	6, 0x0
	.amdhsa_kernel _ZN12_GLOBAL__N_120geam_min_plus_kernelIDF16_Dv2_DF16_S1_Li32ELi8ELi128ELi128ELi4ELi4ELi64ELi4ELi64ELc84ELc78ELb0ELb1ELb1EPKDF16_S2_DF16_EEviiiT16_PT17_ilS6_ilS4_S6_ilPT18_ili26rocblas_geam_ex_operation_
		.amdhsa_group_segment_fixed_size 4096
		.amdhsa_private_segment_fixed_size 0
		.amdhsa_kernarg_size 136
		.amdhsa_user_sgpr_count 2
		.amdhsa_user_sgpr_dispatch_ptr 0
		.amdhsa_user_sgpr_queue_ptr 0
		.amdhsa_user_sgpr_kernarg_segment_ptr 1
		.amdhsa_user_sgpr_dispatch_id 0
		.amdhsa_user_sgpr_kernarg_preload_length 0
		.amdhsa_user_sgpr_kernarg_preload_offset 0
		.amdhsa_user_sgpr_private_segment_size 0
		.amdhsa_uses_dynamic_stack 0
		.amdhsa_enable_private_segment 0
		.amdhsa_system_sgpr_workgroup_id_x 1
		.amdhsa_system_sgpr_workgroup_id_y 0
		.amdhsa_system_sgpr_workgroup_id_z 1
		.amdhsa_system_sgpr_workgroup_info 0
		.amdhsa_system_vgpr_workitem_id 1
		.amdhsa_next_free_vgpr 169
		.amdhsa_next_free_sgpr 38
		.amdhsa_accum_offset 172
		.amdhsa_reserve_vcc 1
		.amdhsa_float_round_mode_32 0
		.amdhsa_float_round_mode_16_64 0
		.amdhsa_float_denorm_mode_32 3
		.amdhsa_float_denorm_mode_16_64 3
		.amdhsa_dx10_clamp 1
		.amdhsa_ieee_mode 1
		.amdhsa_fp16_overflow 0
		.amdhsa_tg_split 0
		.amdhsa_exception_fp_ieee_invalid_op 0
		.amdhsa_exception_fp_denorm_src 0
		.amdhsa_exception_fp_ieee_div_zero 0
		.amdhsa_exception_fp_ieee_overflow 0
		.amdhsa_exception_fp_ieee_underflow 0
		.amdhsa_exception_fp_ieee_inexact 0
		.amdhsa_exception_int_div_zero 0
	.end_amdhsa_kernel
	.section	.text._ZN12_GLOBAL__N_120geam_min_plus_kernelIDF16_Dv2_DF16_S1_Li32ELi8ELi128ELi128ELi4ELi4ELi64ELi4ELi64ELc84ELc78ELb0ELb1ELb1EPKDF16_S2_DF16_EEviiiT16_PT17_ilS6_ilS4_S6_ilPT18_ili26rocblas_geam_ex_operation_,"axG",@progbits,_ZN12_GLOBAL__N_120geam_min_plus_kernelIDF16_Dv2_DF16_S1_Li32ELi8ELi128ELi128ELi4ELi4ELi64ELi4ELi64ELc84ELc78ELb0ELb1ELb1EPKDF16_S2_DF16_EEviiiT16_PT17_ilS6_ilS4_S6_ilPT18_ili26rocblas_geam_ex_operation_,comdat
.Lfunc_end267:
	.size	_ZN12_GLOBAL__N_120geam_min_plus_kernelIDF16_Dv2_DF16_S1_Li32ELi8ELi128ELi128ELi4ELi4ELi64ELi4ELi64ELc84ELc78ELb0ELb1ELb1EPKDF16_S2_DF16_EEviiiT16_PT17_ilS6_ilS4_S6_ilPT18_ili26rocblas_geam_ex_operation_, .Lfunc_end267-_ZN12_GLOBAL__N_120geam_min_plus_kernelIDF16_Dv2_DF16_S1_Li32ELi8ELi128ELi128ELi4ELi4ELi64ELi4ELi64ELc84ELc78ELb0ELb1ELb1EPKDF16_S2_DF16_EEviiiT16_PT17_ilS6_ilS4_S6_ilPT18_ili26rocblas_geam_ex_operation_
                                        ; -- End function
	.section	.AMDGPU.csdata,"",@progbits
; Kernel info:
; codeLenInByte = 19972
; NumSgprs: 44
; NumVgprs: 169
; NumAgprs: 0
; TotalNumVgprs: 169
; ScratchSize: 0
; MemoryBound: 0
; FloatMode: 240
; IeeeMode: 1
; LDSByteSize: 4096 bytes/workgroup (compile time only)
; SGPRBlocks: 5
; VGPRBlocks: 21
; NumSGPRsForWavesPerEU: 44
; NumVGPRsForWavesPerEU: 169
; AccumOffset: 172
; Occupancy: 2
; WaveLimiterHint : 0
; COMPUTE_PGM_RSRC2:SCRATCH_EN: 0
; COMPUTE_PGM_RSRC2:USER_SGPR: 2
; COMPUTE_PGM_RSRC2:TRAP_HANDLER: 0
; COMPUTE_PGM_RSRC2:TGID_X_EN: 1
; COMPUTE_PGM_RSRC2:TGID_Y_EN: 0
; COMPUTE_PGM_RSRC2:TGID_Z_EN: 1
; COMPUTE_PGM_RSRC2:TIDIG_COMP_CNT: 1
; COMPUTE_PGM_RSRC3_GFX90A:ACCUM_OFFSET: 42
; COMPUTE_PGM_RSRC3_GFX90A:TG_SPLIT: 0
	.section	.text._ZN12_GLOBAL__N_120geam_min_plus_kernelIDF16_Dv2_DF16_S1_Li32ELi8ELi128ELi128ELi4ELi4ELi64ELi4ELi64ELc84ELc78ELb1ELb1ELb1EDF16_KDF16_DF16_EEviiiT16_PT17_ilS5_ilS3_S5_ilPT18_ili26rocblas_geam_ex_operation_,"axG",@progbits,_ZN12_GLOBAL__N_120geam_min_plus_kernelIDF16_Dv2_DF16_S1_Li32ELi8ELi128ELi128ELi4ELi4ELi64ELi4ELi64ELc84ELc78ELb1ELb1ELb1EDF16_KDF16_DF16_EEviiiT16_PT17_ilS5_ilS3_S5_ilPT18_ili26rocblas_geam_ex_operation_,comdat
	.globl	_ZN12_GLOBAL__N_120geam_min_plus_kernelIDF16_Dv2_DF16_S1_Li32ELi8ELi128ELi128ELi4ELi4ELi64ELi4ELi64ELc84ELc78ELb1ELb1ELb1EDF16_KDF16_DF16_EEviiiT16_PT17_ilS5_ilS3_S5_ilPT18_ili26rocblas_geam_ex_operation_ ; -- Begin function _ZN12_GLOBAL__N_120geam_min_plus_kernelIDF16_Dv2_DF16_S1_Li32ELi8ELi128ELi128ELi4ELi4ELi64ELi4ELi64ELc84ELc78ELb1ELb1ELb1EDF16_KDF16_DF16_EEviiiT16_PT17_ilS5_ilS3_S5_ilPT18_ili26rocblas_geam_ex_operation_
	.p2align	8
	.type	_ZN12_GLOBAL__N_120geam_min_plus_kernelIDF16_Dv2_DF16_S1_Li32ELi8ELi128ELi128ELi4ELi4ELi64ELi4ELi64ELc84ELc78ELb1ELb1ELb1EDF16_KDF16_DF16_EEviiiT16_PT17_ilS5_ilS3_S5_ilPT18_ili26rocblas_geam_ex_operation_,@function
_ZN12_GLOBAL__N_120geam_min_plus_kernelIDF16_Dv2_DF16_S1_Li32ELi8ELi128ELi128ELi4ELi4ELi64ELi4ELi64ELc84ELc78ELb1ELb1ELb1EDF16_KDF16_DF16_EEviiiT16_PT17_ilS5_ilS3_S5_ilPT18_ili26rocblas_geam_ex_operation_: ; @_ZN12_GLOBAL__N_120geam_min_plus_kernelIDF16_Dv2_DF16_S1_Li32ELi8ELi128ELi128ELi4ELi4ELi64ELi4ELi64ELc84ELc78ELb1ELb1ELb1EDF16_KDF16_DF16_EEviiiT16_PT17_ilS5_ilS3_S5_ilPT18_ili26rocblas_geam_ex_operation_
; %bb.0:
	s_load_dwordx4 s[12:15], s[0:1], 0x0
	s_load_dwordx4 s[4:7], s[0:1], 0x20
	s_waitcnt lgkmcnt(0)
	v_cmp_eq_f16_e64 s[8:9], s15, 0
	s_and_b64 vcc, exec, s[8:9]
	s_cbranch_vccnz .LBB268_3
; %bb.1:
	s_load_dwordx2 s[10:11], s[0:1], 0x10
	s_mul_i32 s5, s3, s5
	s_mul_hi_u32 s15, s3, s4
	s_add_i32 s5, s15, s5
	s_mul_i32 s4, s3, s4
	s_lshl_b64 s[4:5], s[4:5], 1
	s_waitcnt lgkmcnt(0)
	s_add_u32 s24, s10, s4
	s_addc_u32 s25, s11, s5
	s_andn2_b64 vcc, exec, s[8:9]
	s_cbranch_vccnz .LBB268_4
.LBB268_2:
	s_mov_b32 s23, 0
	s_mov_b64 s[26:27], 0
	s_cbranch_execz .LBB268_5
	s_branch .LBB268_6
.LBB268_3:
	s_mov_b64 s[24:25], 0
	s_andn2_b64 vcc, exec, s[8:9]
	s_cbranch_vccz .LBB268_2
.LBB268_4:
                                        ; implicit-def: $sgpr26_sgpr27
                                        ; implicit-def: $sgpr22_sgpr23
.LBB268_5:
	s_load_dwordx2 s[4:5], s[0:1], 0x38
	s_mov_b32 s23, 0
	s_waitcnt lgkmcnt(0)
	s_mul_i32 s5, s3, s5
	s_mul_hi_u32 s8, s3, s4
	s_add_i32 s5, s8, s5
	s_mul_i32 s4, s3, s4
	s_lshl_b64 s[4:5], s[4:5], 1
	s_add_u32 s26, s6, s4
	s_addc_u32 s27, s7, s5
.LBB268_6:
	s_load_dword s22, s[0:1], 0x40
	s_load_dwordx4 s[16:19], s[0:1], 0x58
	s_waitcnt lgkmcnt(0)
	v_cmp_eq_f16_e64 s[4:5], s22, 0
	v_cmp_neq_f16_e64 s[20:21], s22, 0
	s_and_b64 vcc, exec, s[4:5]
	s_cbranch_vccnz .LBB268_8
; %bb.7:
	s_load_dwordx2 s[4:5], s[0:1], 0x48
	s_mul_i32 s6, s3, s17
	s_mul_hi_u32 s7, s3, s16
	s_add_i32 s6, s7, s6
	s_mul_i32 s7, s23, s16
	s_add_i32 s7, s6, s7
	s_mul_i32 s6, s3, s16
	s_lshl_b64 s[6:7], s[6:7], 1
	s_waitcnt lgkmcnt(0)
	s_add_u32 s16, s4, s6
	s_addc_u32 s17, s5, s7
	s_branch .LBB268_9
.LBB268_8:
	s_mov_b64 s[16:17], 0
.LBB268_9:
	s_add_i32 s4, s12, -1
	s_ashr_i32 s5, s4, 31
	s_lshr_b32 s5, s5, 25
	s_add_i32 s4, s4, s5
	s_ashr_i32 s4, s4, 7
	s_add_i32 s5, s4, 1
	v_cvt_f32_u32_e32 v1, s5
	s_not_b32 s4, s4
	v_and_b32_e32 v93, 0x3ff, v0
	v_bfe_u32 v94, v0, 10, 10
	v_rcp_iflag_f32_e32 v1, v1
	v_lshl_add_u32 v0, v94, 5, v93
	s_load_dword s31, s[0:1], 0x18
	v_lshrrev_b32_e32 v4, 2, v0
	v_mul_f32_e32 v1, 0x4f7ffffe, v1
	v_cvt_u32_f32_e32 v1, v1
	v_and_b32_e32 v105, 3, v93
	v_mov_b32_e32 v41, 0
	v_lshlrev_b32_e32 v40, 1, v105
	v_readfirstlane_b32 s6, v1
	s_mul_i32 s4, s4, s6
	s_mul_hi_u32 s4, s6, s4
	s_add_i32 s6, s6, s4
	s_mul_hi_u32 s4, s2, s6
	s_mul_i32 s6, s4, s5
	s_sub_i32 s6, s2, s6
	s_add_i32 s7, s4, 1
	s_sub_i32 s8, s6, s5
	s_cmp_ge_u32 s6, s5
	s_cselect_b32 s4, s7, s4
	s_cselect_b32 s6, s8, s6
	s_add_i32 s7, s4, 1
	s_cmp_ge_u32 s6, s5
	s_cselect_b32 s6, s7, s4
	s_mul_i32 s4, s6, s5
	s_sub_i32 s2, s2, s4
	s_lshl_b32 s2, s2, 7
	v_add_u32_e32 v42, s2, v4
	v_cmp_le_i32_e64 s[8:9], s14, v105
	v_cmp_le_i32_e32 vcc, s12, v42
	s_or_b64 s[4:5], s[8:9], vcc
	v_lshl_add_u64 v[0:1], s[24:25], 0, v[40:41]
	s_xor_b64 s[10:11], s[4:5], -1
	v_mov_b32_e32 v5, 0x7c00
	v_mov_b32_e32 v6, 0x7c00
	s_and_saveexec_b64 s[4:5], s[10:11]
	s_cbranch_execz .LBB268_11
; %bb.10:
	s_waitcnt lgkmcnt(0)
	v_mad_i64_i32 v[2:3], s[10:11], v42, s31, 0
	v_lshl_add_u64 v[2:3], v[2:3], 1, v[0:1]
	flat_load_ushort v6, v[2:3]
.LBB268_11:
	s_or_b64 exec, exec, s[4:5]
	v_add_u32_e32 v43, 64, v42
	v_cmp_le_i32_e64 s[10:11], s12, v43
	s_or_b64 s[4:5], s[8:9], s[10:11]
	s_xor_b64 s[28:29], s[4:5], -1
	s_and_saveexec_b64 s[4:5], s[28:29]
	s_cbranch_execz .LBB268_13
; %bb.12:
	s_waitcnt lgkmcnt(0)
	v_mad_i64_i32 v[2:3], s[28:29], v43, s31, 0
	v_lshl_add_u64 v[2:3], v[2:3], 1, v[0:1]
	flat_load_ushort v5, v[2:3]
.LBB268_13:
	s_or_b64 exec, exec, s[4:5]
	s_load_dword s33, s[0:1], 0x30
	s_lshl_b32 s30, s6, 7
	v_add_u32_e32 v46, s30, v4
	v_cmp_le_i32_e64 s[4:5], s13, v46
	v_mov_b32_e32 v41, 0
	s_or_b64 s[6:7], s[8:9], s[4:5]
	v_lshl_add_u64 v[2:3], s[26:27], 0, v[40:41]
	s_xor_b64 s[28:29], s[6:7], -1
	v_mov_b32_e32 v7, 0x7c00
	v_mov_b32_e32 v8, 0x7c00
	s_and_saveexec_b64 s[6:7], s[28:29]
	s_cbranch_execz .LBB268_15
; %bb.14:
	s_waitcnt lgkmcnt(0)
	v_mad_i64_i32 v[8:9], s[28:29], v46, s33, 0
	v_lshl_add_u64 v[8:9], v[8:9], 1, v[2:3]
	flat_load_ushort v8, v[8:9]
.LBB268_15:
	s_or_b64 exec, exec, s[6:7]
	v_add_u32_e32 v48, 64, v46
	v_cmp_le_i32_e64 s[6:7], s13, v48
	s_or_b64 s[8:9], s[8:9], s[6:7]
	s_xor_b64 s[28:29], s[8:9], -1
	s_and_saveexec_b64 s[8:9], s[28:29]
	s_cbranch_execz .LBB268_17
; %bb.16:
	s_waitcnt lgkmcnt(0)
	v_mad_i64_i32 v[10:11], s[28:29], v48, s33, 0
	v_lshl_add_u64 v[10:11], v[10:11], 1, v[2:3]
	flat_load_ushort v7, v[10:11]
.LBB268_17:
	s_or_b64 exec, exec, s[8:9]
	v_or_b32_e32 v9, 4, v105
	v_cmp_le_i32_e64 s[8:9], s14, v9
	s_or_b64 s[28:29], s[8:9], vcc
	s_xor_b64 s[34:35], s[28:29], -1
	v_mov_b32_e32 v41, 0x7c00
	v_mov_b32_e32 v44, 0x7c00
	s_and_saveexec_b64 s[28:29], s[34:35]
	s_cbranch_execz .LBB268_19
; %bb.18:
	s_waitcnt lgkmcnt(0)
	v_mad_i64_i32 v[10:11], s[34:35], v42, s31, 0
	v_lshl_add_u64 v[10:11], v[10:11], 1, v[0:1]
	flat_load_ushort v44, v[10:11] offset:8
.LBB268_19:
	s_or_b64 exec, exec, s[28:29]
	s_or_b64 s[28:29], s[8:9], s[10:11]
	s_xor_b64 s[34:35], s[28:29], -1
	s_and_saveexec_b64 s[28:29], s[34:35]
	s_cbranch_execz .LBB268_21
; %bb.20:
	s_waitcnt lgkmcnt(0)
	v_mad_i64_i32 v[10:11], s[34:35], v43, s31, 0
	v_lshl_add_u64 v[0:1], v[10:11], 1, v[0:1]
	flat_load_ushort v41, v[0:1] offset:8
.LBB268_21:
	s_or_b64 exec, exec, s[28:29]
	s_or_b64 s[28:29], s[8:9], s[4:5]
	s_xor_b64 s[34:35], s[28:29], -1
	v_mov_b32_e32 v45, 0x7c00
	v_mov_b32_e32 v47, 0x7c00
	s_and_saveexec_b64 s[28:29], s[34:35]
	s_cbranch_execz .LBB268_23
; %bb.22:
	s_waitcnt lgkmcnt(0)
	v_mad_i64_i32 v[0:1], s[34:35], v46, s33, 0
	v_lshl_add_u64 v[0:1], v[0:1], 1, v[2:3]
	flat_load_ushort v47, v[0:1] offset:8
.LBB268_23:
	s_or_b64 exec, exec, s[28:29]
	s_or_b64 s[8:9], s[8:9], s[6:7]
	s_xor_b64 s[28:29], s[8:9], -1
	s_and_saveexec_b64 s[8:9], s[28:29]
	s_cbranch_execz .LBB268_25
; %bb.24:
	s_waitcnt lgkmcnt(0)
	v_mad_i64_i32 v[0:1], s[28:29], v48, s33, 0
	v_lshl_add_u64 v[0:1], v[0:1], 1, v[2:3]
	flat_load_ushort v45, v[0:1] offset:8
.LBB268_25:
	s_or_b64 exec, exec, s[8:9]
	v_lshl_or_b32 v111, v4, 3, v40
	v_lshlrev_b32_e32 v102, 3, v93
	s_waitcnt vmcnt(0) lgkmcnt(0)
	ds_write_b16 v111, v6
	ds_write_b16 v111, v5 offset:512
	ds_write_b16 v111, v8 offset:2048
	;; [unrolled: 1-line block ×3, first 2 shown]
	s_waitcnt lgkmcnt(0)
	s_barrier
	ds_read2_b64 v[4:7], v102 offset1:32
	ds_read2_b64 v[0:3], v102 offset0:64 offset1:96
	v_lshlrev_b32_e32 v103, 3, v94
	v_add_u32_e32 v113, 0x800, v103
	ds_read2_b64 v[36:39], v113 offset1:8
	ds_read2_b64 v[32:35], v113 offset0:16 offset1:24
	ds_read2_b64 v[28:31], v113 offset0:32 offset1:40
	;; [unrolled: 1-line block ×7, first 2 shown]
	s_movk_i32 s8, 0x7c00
	s_waitcnt lgkmcnt(7)
	v_pk_add_f16 v49, v4, v36
	s_waitcnt lgkmcnt(2)
	v_pk_add_f16 v81, v0, v16
	v_pk_min_f16 v49, v49, s8 op_sel_hi:[1,0]
	v_pk_min_f16 v129, v81, s8 op_sel_hi:[1,0]
	v_pk_add_f16 v81, v4, v18
	v_pk_add_f16 v50, v6, v36
	v_pk_min_f16 v130, v81, s8 op_sel_hi:[1,0]
	v_pk_add_f16 v81, v6, v18
	v_pk_add_f16 v51, v0, v36
	;; [unrolled: 3-line block ×3, first 2 shown]
	v_pk_min_f16 v132, v81, s8 op_sel_hi:[1,0]
	s_waitcnt lgkmcnt(1)
	v_pk_add_f16 v81, v4, v12
	v_pk_add_f16 v52, v4, v38
	v_pk_min_f16 v133, v81, s8 op_sel_hi:[1,0]
	v_pk_add_f16 v81, v6, v12
	v_pk_add_f16 v53, v6, v38
	v_pk_min_f16 v134, v81, s8 op_sel_hi:[1,0]
	;; [unrolled: 3-line block ×6, first 2 shown]
	s_waitcnt lgkmcnt(0)
	v_pk_add_f16 v81, v4, v8
	v_pk_add_f16 v57, v0, v32
	v_pk_min_f16 v139, v81, s8 op_sel_hi:[1,0]
	v_pk_add_f16 v81, v6, v8
	v_pk_add_f16 v32, v2, v32
	;; [unrolled: 1-line block ×36, first 2 shown]
	v_pk_min_f16 v140, v81, s8 op_sel_hi:[1,0]
	v_pk_add_f16 v81, v0, v8
	v_pk_add_f16 v8, v2, v8
	;; [unrolled: 1-line block ×7, first 2 shown]
	v_pk_min_f16 v50, v50, s8 op_sel_hi:[1,0]
	v_pk_min_f16 v128, v49, v10
	v_pk_add_f16 v10, v7, v37
	v_pk_min_f16 v51, v51, s8 op_sel_hi:[1,0]
	v_pk_min_f16 v127, v50, v10
	v_pk_add_f16 v10, v1, v37
	;; [unrolled: 3-line block ×40, first 2 shown]
	v_pk_min_f16 v80, v80, s8 op_sel_hi:[1,0]
	v_pk_min_f16 v141, v81, s8 op_sel_hi:[1,0]
	v_pk_min_f16 v81, v79, v10
	v_pk_add_f16 v10, v7, v17
	v_pk_min_f16 v16, v16, s8 op_sel_hi:[1,0]
	v_pk_min_f16 v80, v80, v10
	v_pk_add_f16 v10, v1, v17
	;; [unrolled: 3-line block ×10, first 2 shown]
	s_cmp_lt_i32 s14, 9
	v_pk_min_f16 v71, v135, v10
	v_pk_add_f16 v10, v3, v13
	ds_write_b16 v111, v44 offset:1024
	ds_write_b16 v111, v41 offset:1536
	;; [unrolled: 1-line block ×4, first 2 shown]
	v_pk_min_f16 v70, v12, v10
	v_pk_add_f16 v10, v5, v15
	s_waitcnt lgkmcnt(0)
	v_pk_min_f16 v69, v136, v10
	v_pk_add_f16 v10, v7, v15
	s_barrier
	v_pk_min_f16 v68, v137, v10
	v_pk_add_f16 v10, v1, v15
	s_nop 0
	v_pk_min_f16 v67, v138, v10
	v_pk_add_f16 v10, v3, v15
	s_nop 0
	v_pk_min_f16 v66, v14, v10
	v_pk_add_f16 v10, v5, v9
	v_pk_add_f16 v5, v5, v11
	v_pk_min_f16 v65, v139, v10
	v_pk_add_f16 v10, v7, v9
	v_pk_min_f16 v60, v4, v5
	v_pk_min_f16 v64, v140, v10
	v_pk_add_f16 v10, v1, v9
	v_pk_add_f16 v1, v1, v11
	;; [unrolled: 1-line block ×4, first 2 shown]
	v_pk_min_f16 v58, v0, v1
	v_pk_add_f16 v0, v3, v11
	v_pk_min_f16 v63, v141, v10
	v_pk_min_f16 v62, v8, v9
	;; [unrolled: 1-line block ×4, first 2 shown]
	s_cbranch_scc1 .LBB268_44
; %bb.26:
	v_mad_i64_i32 v[0:1], s[8:9], v42, s31, 0
	v_mad_i64_i32 v[2:3], s[8:9], v43, s31, 0
	v_mov_b32_e32 v4, 0x400
	v_lshl_add_u64 v[42:43], v[0:1], 1, s[24:25]
	v_mad_i64_i32 v[0:1], s[8:9], s33, v46, 0
	v_lshl_add_u32 v132, v93, 3, v4
	v_mov_b32_e32 v4, 0xc00
	v_lshl_add_u64 v[46:47], v[0:1], 1, s[26:27]
	v_mad_i64_i32 v[0:1], s[8:9], s33, v48, 0
	v_add_u32_e32 v129, 0x800, v111
	v_add_u32_e32 v130, 0x400, v111
	;; [unrolled: 1-line block ×3, first 2 shown]
	s_add_i32 s15, s14, -8
	v_lshl_add_u32 v133, v94, 3, v4
	v_lshl_add_u64 v[44:45], v[2:3], 1, s[24:25]
	v_mov_b32_e32 v41, 0
	v_lshl_add_u64 v[48:49], v[0:1], 1, s[26:27]
	s_mov_b32 s26, 0
	s_branch .LBB268_28
.LBB268_27:                             ;   in Loop: Header=BB268_28 Depth=1
	s_or_b64 exec, exec, s[8:9]
	ds_read2_b64 v[4:7], v102 offset1:32
	ds_read2_b64 v[0:3], v102 offset0:64 offset1:96
	ds_read2_b64 v[118:121], v113 offset1:8
	ds_read2_b64 v[136:139], v113 offset0:16 offset1:24
	ds_read2_b64 v[28:31], v113 offset0:32 offset1:40
	;; [unrolled: 1-line block ×7, first 2 shown]
	s_waitcnt lgkmcnt(0)
	v_pk_add_f16 v50, v4, v118
	v_pk_max_f16 v51, v116, v116
	v_pk_max_f16 v115, v115, v115
	v_pk_min_f16 v50, v51, v50
	v_pk_add_f16 v51, v6, v118
	v_pk_max_f16 v114, v114, v114
	v_pk_min_f16 v51, v115, v51
	v_pk_add_f16 v115, v0, v118
	;; [unrolled: 3-line block ×18, first 2 shown]
	v_pk_add_f16 v28, v2, v28
	v_pk_max_f16 v89, v89, v89
	v_pk_min_f16 v28, v90, v28
	v_pk_add_f16 v90, v4, v30
	v_pk_max_f16 v88, v88, v88
	v_pk_min_f16 v89, v89, v90
	v_pk_add_f16 v90, v6, v30
	v_pk_max_f16 v86, v86, v86
	v_pk_min_f16 v88, v88, v90
	v_pk_add_f16 v90, v0, v30
	v_pk_add_f16 v30, v2, v30
	v_pk_max_f16 v85, v85, v85
	v_pk_min_f16 v30, v86, v30
	v_pk_add_f16 v86, v4, v24
	v_pk_max_f16 v84, v84, v84
	v_pk_min_f16 v85, v85, v86
	v_pk_add_f16 v86, v6, v24
	v_pk_max_f16 v82, v82, v82
	v_pk_min_f16 v84, v84, v86
	v_pk_add_f16 v86, v0, v24
	;; [unrolled: 10-line block ×9, first 2 shown]
	v_pk_add_f16 v14, v2, v14
	v_pk_max_f16 v39, v39, v39
	v_pk_min_f16 v14, v54, v14
	v_pk_add_f16 v54, v4, v8
	v_pk_max_f16 v38, v38, v38
	v_pk_min_f16 v39, v39, v54
	v_pk_add_f16 v54, v6, v8
	v_pk_add_f16 v4, v4, v10
	v_pk_min_f16 v38, v38, v54
	v_pk_add_f16 v54, v0, v8
	v_pk_add_f16 v8, v2, v8
	;; [unrolled: 1-line block ×5, first 2 shown]
	v_pk_max_f16 v10, v32, v32
	v_pk_max_f16 v91, v91, v91
	v_pk_min_f16 v2, v10, v2
	v_pk_add_f16 v10, v5, v119
	v_pk_min_f16 v91, v91, v115
	v_pk_min_f16 v128, v50, v10
	v_pk_add_f16 v10, v7, v119
	v_pk_max_f16 v87, v87, v87
	v_pk_min_f16 v127, v51, v10
	v_pk_add_f16 v10, v1, v119
	v_pk_min_f16 v87, v87, v90
	v_pk_min_f16 v126, v114, v10
	v_pk_add_f16 v10, v3, v119
	;; [unrolled: 6-line block ×10, first 2 shown]
	v_pk_max_f16 v35, v35, v35
	v_pk_min_f16 v107, v28, v10
	v_pk_add_f16 v10, v5, v31
	v_pk_max_f16 v33, v33, v33
	v_pk_min_f16 v106, v89, v10
	v_pk_add_f16 v10, v7, v31
	;; [unrolled: 3-line block ×4, first 2 shown]
	v_pk_min_f16 v4, v35, v4
	v_pk_min_f16 v100, v30, v10
	v_pk_add_f16 v10, v5, v25
	v_pk_max_f16 v34, v34, v34
	v_pk_min_f16 v99, v85, v10
	v_pk_add_f16 v10, v7, v25
	v_pk_min_f16 v0, v33, v0
	v_pk_min_f16 v98, v84, v10
	v_pk_add_f16 v10, v1, v25
	v_pk_min_f16 v37, v37, v54
	;; [unrolled: 3-line block ×4, first 2 shown]
	v_pk_min_f16 v95, v81, v10
	v_pk_add_f16 v10, v7, v27
	s_add_i32 s26, s26, 8
	v_pk_min_f16 v92, v80, v10
	v_pk_add_f16 v10, v1, v27
	v_lshl_add_u64 v[44:45], v[44:45], 0, 16
	v_pk_min_f16 v91, v79, v10
	v_pk_add_f16 v10, v3, v27
	v_lshl_add_u64 v[42:43], v[42:43], 0, 16
	;; [unrolled: 3-line block ×3, first 2 shown]
	v_pk_min_f16 v89, v77, v10
	v_pk_add_f16 v10, v7, v21
	s_cmp_ge_i32 s26, s15
	v_pk_min_f16 v88, v76, v10
	v_pk_add_f16 v10, v1, v21
	v_lshl_add_u64 v[48:49], v[48:49], 0, 16
	v_pk_min_f16 v87, v75, v10
	v_pk_add_f16 v10, v3, v21
	s_waitcnt vmcnt(0)
	ds_write_b16 v130, v135
	ds_write_b16 v130, v134 offset:512
	ds_write_b16 v131, v53
	ds_write_b16 v131, v52 offset:512
	v_pk_min_f16 v86, v20, v10
	v_pk_add_f16 v10, v5, v23
	s_waitcnt lgkmcnt(0)
	v_pk_min_f16 v85, v73, v10
	v_pk_add_f16 v10, v7, v23
	s_barrier
	v_pk_min_f16 v84, v72, v10
	v_pk_add_f16 v10, v1, v23
	s_nop 0
	v_pk_min_f16 v83, v71, v10
	v_pk_add_f16 v10, v3, v23
	s_nop 0
	;; [unrolled: 3-line block ×18, first 2 shown]
	v_pk_min_f16 v66, v14, v10
	v_pk_add_f16 v10, v5, v9
	v_pk_add_f16 v5, v5, v11
	v_pk_min_f16 v65, v39, v10
	v_pk_add_f16 v10, v7, v9
	v_pk_min_f16 v60, v4, v5
	v_pk_min_f16 v64, v38, v10
	v_pk_add_f16 v10, v1, v9
	v_pk_add_f16 v1, v1, v11
	;; [unrolled: 1-line block ×4, first 2 shown]
	v_pk_min_f16 v58, v0, v1
	v_pk_add_f16 v0, v3, v11
	v_pk_min_f16 v63, v37, v10
	v_pk_min_f16 v62, v8, v9
	;; [unrolled: 1-line block ×4, first 2 shown]
	s_cbranch_scc1 .LBB268_44
.LBB268_28:                             ; =>This Inner Loop Header: Depth=1
	v_add_u32_e32 v134, s26, v105
	v_add_u32_e32 v0, 8, v134
	v_cmp_le_i32_e64 s[8:9], s14, v0
	s_or_b64 s[24:25], vcc, s[8:9]
	s_xor_b64 s[28:29], s[24:25], -1
	v_mov_b32_e32 v135, 0x7c00
	v_lshl_add_u64 v[52:53], v[42:43], 0, v[40:41]
	v_mov_b32_e32 v136, 0x7c00
	s_and_saveexec_b64 s[24:25], s[28:29]
	s_cbranch_execz .LBB268_30
; %bb.29:                               ;   in Loop: Header=BB268_28 Depth=1
	flat_load_ushort v136, v[52:53] offset:16
.LBB268_30:                             ;   in Loop: Header=BB268_28 Depth=1
	s_or_b64 exec, exec, s[24:25]
	s_or_b64 s[24:25], s[10:11], s[8:9]
	s_xor_b64 s[28:29], s[24:25], -1
	v_lshl_add_u64 v[54:55], v[44:45], 0, v[40:41]
	s_and_saveexec_b64 s[24:25], s[28:29]
	s_cbranch_execz .LBB268_32
; %bb.31:                               ;   in Loop: Header=BB268_28 Depth=1
	flat_load_ushort v135, v[54:55] offset:16
.LBB268_32:                             ;   in Loop: Header=BB268_28 Depth=1
	s_or_b64 exec, exec, s[24:25]
	s_or_b64 s[24:25], s[4:5], s[8:9]
	s_xor_b64 s[28:29], s[24:25], -1
	v_mov_b32_e32 v137, 0x7c00
	v_lshl_add_u64 v[56:57], v[46:47], 0, v[40:41]
	v_mov_b32_e32 v138, 0x7c00
	s_and_saveexec_b64 s[24:25], s[28:29]
	s_cbranch_execz .LBB268_34
; %bb.33:                               ;   in Loop: Header=BB268_28 Depth=1
	flat_load_ushort v138, v[56:57] offset:16
.LBB268_34:                             ;   in Loop: Header=BB268_28 Depth=1
	s_or_b64 exec, exec, s[24:25]
	s_or_b64 s[8:9], s[6:7], s[8:9]
	s_xor_b64 s[24:25], s[8:9], -1
	v_lshl_add_u64 v[50:51], v[48:49], 0, v[40:41]
	s_and_saveexec_b64 s[8:9], s[24:25]
	s_cbranch_execz .LBB268_36
; %bb.35:                               ;   in Loop: Header=BB268_28 Depth=1
	flat_load_ushort v137, v[50:51] offset:16
.LBB268_36:                             ;   in Loop: Header=BB268_28 Depth=1
	s_or_b64 exec, exec, s[8:9]
	ds_read2_b64 v[4:7], v132 offset1:32
	ds_read2_b64 v[0:3], v132 offset0:64 offset1:96
	ds_read2_b64 v[36:39], v133 offset1:8
	ds_read2_b64 v[32:35], v133 offset0:16 offset1:24
	ds_read2_b64 v[28:31], v133 offset0:32 offset1:40
	;; [unrolled: 1-line block ×7, first 2 shown]
	v_add_u32_e32 v134, 12, v134
	v_cmp_le_i32_e64 s[8:9], s14, v134
	s_or_b64 s[24:25], vcc, s[8:9]
	s_waitcnt vmcnt(0) lgkmcnt(0)
	ds_write_b16 v111, v136
	ds_write_b16 v111, v135 offset:512
	ds_write_b16 v129, v138
	ds_write_b16 v129, v137 offset:512
	s_xor_b64 s[24:25], s[24:25], -1
	v_mov_b32_e32 v134, 0x7c00
	v_mov_b32_e32 v135, 0x7c00
	s_waitcnt lgkmcnt(0)
	s_barrier
	s_and_saveexec_b64 s[28:29], s[24:25]
	s_xor_b64 s[24:25], exec, s[28:29]
	s_cbranch_execz .LBB268_38
; %bb.37:                               ;   in Loop: Header=BB268_28 Depth=1
	flat_load_ushort v135, v[52:53] offset:24
.LBB268_38:                             ;   in Loop: Header=BB268_28 Depth=1
	s_or_b64 exec, exec, s[24:25]
	s_or_b64 s[24:25], s[10:11], s[8:9]
	s_xor_b64 s[28:29], s[24:25], -1
	s_and_saveexec_b64 s[24:25], s[28:29]
	s_cbranch_execz .LBB268_40
; %bb.39:                               ;   in Loop: Header=BB268_28 Depth=1
	flat_load_ushort v134, v[54:55] offset:24
.LBB268_40:                             ;   in Loop: Header=BB268_28 Depth=1
	s_or_b64 exec, exec, s[24:25]
	s_or_b64 s[24:25], s[4:5], s[8:9]
	s_xor_b64 s[28:29], s[24:25], -1
	v_mov_b32_e32 v52, 0x7c00
	v_mov_b32_e32 v53, 0x7c00
	s_and_saveexec_b64 s[24:25], s[28:29]
	s_cbranch_execz .LBB268_42
; %bb.41:                               ;   in Loop: Header=BB268_28 Depth=1
	flat_load_ushort v53, v[56:57] offset:24
.LBB268_42:                             ;   in Loop: Header=BB268_28 Depth=1
	s_or_b64 exec, exec, s[24:25]
	v_pk_add_f16 v54, v4, v36
	v_pk_max_f16 v55, v128, v128
	v_pk_max_f16 v56, v127, v127
	v_pk_min_f16 v54, v55, v54
	v_pk_add_f16 v55, v6, v36
	v_pk_max_f16 v57, v126, v126
	v_pk_min_f16 v55, v56, v55
	v_pk_add_f16 v56, v0, v36
	v_pk_add_f16 v36, v2, v36
	v_pk_min_f16 v56, v57, v56
	v_pk_max_f16 v57, v125, v125
	v_pk_max_f16 v124, v124, v124
	v_pk_min_f16 v36, v57, v36
	v_pk_add_f16 v57, v4, v38
	v_pk_max_f16 v123, v123, v123
	v_pk_min_f16 v57, v124, v57
	v_pk_add_f16 v124, v6, v38
	;; [unrolled: 3-line block ×3, first 2 shown]
	v_pk_add_f16 v38, v2, v38
	v_pk_max_f16 v120, v120, v120
	v_pk_min_f16 v38, v121, v38
	v_pk_add_f16 v121, v4, v32
	v_pk_max_f16 v119, v119, v119
	v_pk_min_f16 v120, v120, v121
	;; [unrolled: 3-line block ×3, first 2 shown]
	v_pk_add_f16 v121, v0, v32
	v_pk_add_f16 v32, v2, v32
	v_pk_max_f16 v116, v116, v116
	v_pk_min_f16 v32, v117, v32
	v_pk_add_f16 v117, v4, v34
	v_pk_max_f16 v118, v118, v118
	v_pk_min_f16 v117, v116, v117
	;; [unrolled: 3-line block ×3, first 2 shown]
	v_pk_min_f16 v121, v115, v116
	v_pk_add_f16 v115, v0, v34
	v_pk_add_f16 v34, v2, v34
	v_pk_max_f16 v112, v112, v112
	v_pk_max_f16 v110, v110, v110
	v_pk_min_f16 v34, v112, v34
	v_pk_add_f16 v112, v4, v28
	v_pk_max_f16 v109, v109, v109
	v_pk_min_f16 v125, v110, v112
	v_pk_add_f16 v110, v6, v28
	v_pk_max_f16 v107, v107, v107
	v_pk_min_f16 v126, v109, v110
	v_pk_add_f16 v109, v0, v28
	v_pk_add_f16 v28, v2, v28
	v_pk_max_f16 v106, v106, v106
	v_pk_min_f16 v28, v107, v28
	v_pk_add_f16 v107, v4, v30
	v_pk_max_f16 v104, v104, v104
	v_pk_min_f16 v128, v106, v107
	v_pk_add_f16 v106, v6, v30
	v_pk_max_f16 v100, v100, v100
	v_pk_min_f16 v136, v104, v106
	v_pk_add_f16 v104, v0, v30
	v_pk_add_f16 v30, v2, v30
	;; [unrolled: 10-line block ×10, first 2 shown]
	v_pk_max_f16 v65, v65, v65
	v_pk_min_f16 v14, v66, v14
	v_pk_add_f16 v66, v4, v8
	v_pk_max_f16 v64, v64, v64
	v_pk_min_f16 v162, v65, v66
	v_pk_add_f16 v65, v6, v8
	v_pk_add_f16 v4, v4, v10
	v_pk_min_f16 v163, v64, v65
	v_pk_add_f16 v64, v0, v8
	v_pk_add_f16 v8, v2, v8
	;; [unrolled: 1-line block ×5, first 2 shown]
	v_pk_max_f16 v10, v61, v61
	v_pk_max_f16 v122, v122, v122
	v_pk_min_f16 v2, v10, v2
	v_pk_add_f16 v10, v5, v37
	v_pk_max_f16 v114, v114, v114
	v_pk_min_f16 v116, v54, v10
	v_pk_add_f16 v10, v7, v37
	v_pk_min_f16 v122, v122, v124
	v_pk_min_f16 v124, v114, v115
	;; [unrolled: 1-line block ×3, first 2 shown]
	v_pk_add_f16 v10, v1, v37
	v_pk_max_f16 v108, v108, v108
	v_pk_min_f16 v114, v56, v10
	v_pk_add_f16 v10, v3, v37
	v_pk_min_f16 v127, v108, v109
	v_pk_min_f16 v112, v36, v10
	v_pk_add_f16 v10, v5, v39
	v_pk_max_f16 v101, v101, v101
	v_pk_min_f16 v110, v57, v10
	v_pk_add_f16 v10, v7, v39
	v_pk_min_f16 v137, v101, v104
	v_pk_min_f16 v109, v123, v10
	;; [unrolled: 6-line block ×15, first 2 shown]
	v_pk_add_f16 v10, v5, v21
	s_or_b64 s[8:9], s[6:7], s[8:9]
	v_pk_min_f16 v77, v144, v10
	v_pk_add_f16 v10, v7, v21
	s_xor_b64 s[24:25], s[8:9], -1
	v_pk_min_f16 v76, v145, v10
	v_pk_add_f16 v10, v1, v21
	s_nop 0
	v_pk_min_f16 v75, v146, v10
	v_pk_add_f16 v10, v3, v21
	s_nop 0
	;; [unrolled: 3-line block ×22, first 2 shown]
	v_pk_min_f16 v54, v14, v10
	v_pk_add_f16 v10, v5, v9
	v_pk_add_f16 v5, v5, v11
	v_pk_min_f16 v39, v162, v10
	v_pk_add_f16 v10, v7, v9
	v_pk_min_f16 v35, v4, v5
	v_pk_min_f16 v38, v163, v10
	v_pk_add_f16 v10, v1, v9
	v_pk_add_f16 v1, v1, v11
	;; [unrolled: 1-line block ×4, first 2 shown]
	v_pk_min_f16 v33, v0, v1
	v_pk_add_f16 v0, v3, v11
	v_pk_min_f16 v37, v164, v10
	v_pk_min_f16 v36, v8, v9
	;; [unrolled: 1-line block ×4, first 2 shown]
	s_and_saveexec_b64 s[8:9], s[24:25]
	s_cbranch_execz .LBB268_27
; %bb.43:                               ;   in Loop: Header=BB268_28 Depth=1
	flat_load_ushort v52, v[50:51] offset:24
	s_branch .LBB268_27
.LBB268_44:
	s_load_dwordx2 s[4:5], s[0:1], 0x70
	s_load_dword s25, s[0:1], 0x50
	s_load_dword s24, s[0:1], 0x68
	v_add_u32_e32 v4, 0x800, v103
	ds_read2_b64 v[8:11], v102 offset0:128 offset1:160
	ds_read2_b64 v[0:3], v102 offset0:192 offset1:224
	;; [unrolled: 1-line block ×10, first 2 shown]
	s_waitcnt lgkmcnt(0)
	s_mul_i32 s0, s3, s5
	s_mul_hi_u32 s1, s3, s4
	s_mul_i32 s5, s23, s4
	s_add_i32 s0, s1, s0
	s_add_i32 s1, s0, s5
	s_mul_i32 s0, s3, s4
	s_lshl_b64 s[0:1], s[0:1], 1
	s_add_u32 s14, s18, s0
	v_add_u32_e32 v52, s30, v94
	s_addc_u32 s15, s19, s1
	v_mad_i64_i32 v[42:43], s[0:1], v52, s25, 0
	v_add_u32_e32 v40, s2, v93
	v_lshl_add_u64 v[50:51], v[42:43], 1, s[16:17]
	v_mad_i64_i32 v[42:43], s[0:1], v52, s24, 0
	v_cmp_gt_i32_e64 s[2:3], s12, v40
	v_cmp_gt_i32_e64 s[10:11], s13, v52
	v_lshl_add_u64 v[48:49], v[42:43], 1, s[14:15]
	v_cndmask_b32_e64 v42, 0, 1, s[20:21]
	v_ashrrev_i32_e32 v41, 31, v40
	s_and_b64 s[4:5], s[2:3], s[10:11]
	v_cmp_ne_u32_e64 s[0:1], 1, v42
	s_and_saveexec_b64 s[6:7], s[4:5]
	s_xor_b64 s[4:5], exec, s[6:7]
	s_cbranch_execz .LBB268_49
; %bb.45:
	s_and_b64 vcc, exec, s[0:1]
	s_cbranch_vccnz .LBB268_47
; %bb.46:
	v_lshl_add_u64 v[42:43], v[40:41], 1, v[50:51]
	flat_load_ushort v42, v[42:43]
	s_waitcnt vmcnt(0) lgkmcnt(0)
	v_mul_f16_e32 v42, s22, v42
	s_branch .LBB268_48
.LBB268_47:
	v_mov_b32_e32 v42, 0
.LBB268_48:
	v_pk_add_f16 v43, v8, v36
	v_pk_max_f16 v44, v128, v128
	s_nop 0
	v_pk_min_f16 v43, v44, v43
	v_pk_add_f16 v44, v9, v37
	s_nop 0
	v_pk_min_f16 v43, v43, v44
	s_nop 0
	v_lshrrev_b32_e32 v44, 16, v43
	v_min3_f16 v44, v42, v43, v44
	v_lshl_add_u64 v[42:43], v[40:41], 1, v[48:49]
	global_store_short v[42:43], v44, off
.LBB268_49:
	s_or_b64 exec, exec, s[4:5]
	v_add_u32_e32 v42, 32, v40
	v_cmp_gt_i32_e64 s[4:5], s12, v42
	v_ashrrev_i32_e32 v43, 31, v42
	s_and_b64 s[8:9], s[4:5], s[10:11]
	s_and_saveexec_b64 s[6:7], s[8:9]
	s_cbranch_execz .LBB268_54
; %bb.50:
	s_and_b64 vcc, exec, s[0:1]
	s_cbranch_vccnz .LBB268_52
; %bb.51:
	v_lshl_add_u64 v[44:45], v[42:43], 1, v[50:51]
	flat_load_ushort v44, v[44:45]
	s_waitcnt vmcnt(0) lgkmcnt(0)
	v_mul_f16_e32 v44, s22, v44
	s_branch .LBB268_53
.LBB268_52:
	v_mov_b32_e32 v44, 0
.LBB268_53:
	v_pk_add_f16 v45, v10, v36
	v_pk_max_f16 v46, v127, v127
	s_nop 0
	v_pk_min_f16 v45, v46, v45
	v_pk_add_f16 v46, v11, v37
	s_nop 0
	v_pk_min_f16 v45, v45, v46
	s_nop 0
	v_lshrrev_b32_e32 v46, 16, v45
	v_min3_f16 v46, v44, v45, v46
	v_lshl_add_u64 v[44:45], v[42:43], 1, v[48:49]
	global_store_short v[44:45], v46, off
.LBB268_54:
	s_or_b64 exec, exec, s[6:7]
	v_add_u32_e32 v44, 64, v40
	v_cmp_gt_i32_e64 s[6:7], s12, v44
	v_ashrrev_i32_e32 v45, 31, v44
	s_and_b64 s[18:19], s[6:7], s[10:11]
	s_and_saveexec_b64 s[8:9], s[18:19]
	;; [unrolled: 32-line block ×3, first 2 shown]
	s_cbranch_execz .LBB268_64
; %bb.60:
	s_and_b64 vcc, exec, s[0:1]
	s_cbranch_vccnz .LBB268_62
; %bb.61:
	v_lshl_add_u64 v[50:51], v[46:47], 1, v[50:51]
	flat_load_ushort v50, v[50:51]
	s_waitcnt vmcnt(0) lgkmcnt(0)
	v_mul_f16_e32 v50, s22, v50
	s_branch .LBB268_63
.LBB268_62:
	v_mov_b32_e32 v50, 0
.LBB268_63:
	v_pk_add_f16 v36, v2, v36
	v_pk_max_f16 v51, v125, v125
	v_pk_add_f16 v37, v3, v37
	v_pk_min_f16 v36, v51, v36
	s_nop 0
	v_pk_min_f16 v36, v36, v37
	s_nop 0
	v_lshrrev_b32_e32 v37, 16, v36
	v_min3_f16 v50, v50, v36, v37
	v_lshl_add_u64 v[36:37], v[46:47], 1, v[48:49]
	global_store_short v[36:37], v50, off
.LBB268_64:
	s_or_b64 exec, exec, s[10:11]
	v_add_u32_e32 v50, 8, v52
	v_mad_i64_i32 v[36:37], s[18:19], v50, s25, 0
	v_cmp_gt_i32_e64 s[10:11], s13, v50
	v_lshl_add_u64 v[48:49], v[36:37], 1, s[16:17]
	v_mad_i64_i32 v[36:37], s[18:19], v50, s24, 0
	v_lshl_add_u64 v[36:37], v[36:37], 1, s[14:15]
	s_and_b64 s[20:21], s[2:3], s[10:11]
	s_and_saveexec_b64 s[18:19], s[20:21]
	s_cbranch_execnz .LBB268_68
; %bb.65:
	s_or_b64 exec, exec, s[18:19]
	s_and_b64 s[20:21], s[4:5], s[10:11]
	s_and_saveexec_b64 s[18:19], s[20:21]
	s_cbranch_execnz .LBB268_72
.LBB268_66:
	s_or_b64 exec, exec, s[18:19]
	s_and_b64 s[20:21], s[6:7], s[10:11]
	s_and_saveexec_b64 s[18:19], s[20:21]
	s_cbranch_execnz .LBB268_76
.LBB268_67:
	s_or_b64 exec, exec, s[18:19]
	s_and_b64 s[18:19], s[8:9], s[10:11]
	s_and_saveexec_b64 s[10:11], s[18:19]
	s_cbranch_execnz .LBB268_80
	s_branch .LBB268_84
.LBB268_68:
	s_and_b64 vcc, exec, s[0:1]
	s_cbranch_vccnz .LBB268_70
; %bb.69:
	v_lshl_add_u64 v[50:51], v[40:41], 1, v[48:49]
	flat_load_ushort v50, v[50:51]
	s_waitcnt vmcnt(0) lgkmcnt(0)
	v_mul_f16_e32 v50, s22, v50
	s_branch .LBB268_71
.LBB268_70:
	v_mov_b32_e32 v50, 0
.LBB268_71:
	v_pk_add_f16 v51, v8, v38
	v_pk_max_f16 v53, v124, v124
	s_nop 0
	v_pk_min_f16 v51, v53, v51
	v_pk_add_f16 v53, v9, v39
	s_nop 0
	v_pk_min_f16 v51, v51, v53
	s_nop 0
	v_lshrrev_b32_e32 v53, 16, v51
	v_min3_f16 v53, v50, v51, v53
	v_lshl_add_u64 v[50:51], v[40:41], 1, v[36:37]
	global_store_short v[50:51], v53, off
	s_or_b64 exec, exec, s[18:19]
	s_and_b64 s[20:21], s[4:5], s[10:11]
	s_and_saveexec_b64 s[18:19], s[20:21]
	s_cbranch_execz .LBB268_66
.LBB268_72:
	s_and_b64 vcc, exec, s[0:1]
	s_cbranch_vccnz .LBB268_74
; %bb.73:
	v_lshl_add_u64 v[50:51], v[42:43], 1, v[48:49]
	flat_load_ushort v50, v[50:51]
	s_waitcnt vmcnt(0) lgkmcnt(0)
	v_mul_f16_e32 v50, s22, v50
	s_branch .LBB268_75
.LBB268_74:
	v_mov_b32_e32 v50, 0
.LBB268_75:
	v_pk_add_f16 v51, v10, v38
	v_pk_max_f16 v53, v123, v123
	s_nop 0
	v_pk_min_f16 v51, v53, v51
	v_pk_add_f16 v53, v11, v39
	s_nop 0
	v_pk_min_f16 v51, v51, v53
	s_nop 0
	v_lshrrev_b32_e32 v53, 16, v51
	v_min3_f16 v53, v50, v51, v53
	v_lshl_add_u64 v[50:51], v[42:43], 1, v[36:37]
	global_store_short v[50:51], v53, off
	s_or_b64 exec, exec, s[18:19]
	s_and_b64 s[20:21], s[6:7], s[10:11]
	s_and_saveexec_b64 s[18:19], s[20:21]
	s_cbranch_execz .LBB268_67
.LBB268_76:
	s_and_b64 vcc, exec, s[0:1]
	s_cbranch_vccnz .LBB268_78
; %bb.77:
	v_lshl_add_u64 v[50:51], v[44:45], 1, v[48:49]
	flat_load_ushort v50, v[50:51]
	s_waitcnt vmcnt(0) lgkmcnt(0)
	v_mul_f16_e32 v50, s22, v50
	s_branch .LBB268_79
.LBB268_78:
	v_mov_b32_e32 v50, 0
.LBB268_79:
	v_pk_add_f16 v51, v0, v38
	v_pk_max_f16 v53, v122, v122
	s_nop 0
	v_pk_min_f16 v51, v53, v51
	v_pk_add_f16 v53, v1, v39
	s_nop 0
	v_pk_min_f16 v51, v51, v53
	s_nop 0
	v_lshrrev_b32_e32 v53, 16, v51
	v_min3_f16 v53, v50, v51, v53
	v_lshl_add_u64 v[50:51], v[44:45], 1, v[36:37]
	global_store_short v[50:51], v53, off
	s_or_b64 exec, exec, s[18:19]
	s_and_b64 s[18:19], s[8:9], s[10:11]
	s_and_saveexec_b64 s[10:11], s[18:19]
	s_cbranch_execz .LBB268_84
.LBB268_80:
	s_and_b64 vcc, exec, s[0:1]
	s_cbranch_vccnz .LBB268_82
; %bb.81:
	v_lshl_add_u64 v[48:49], v[46:47], 1, v[48:49]
	flat_load_ushort v48, v[48:49]
	s_waitcnt vmcnt(0) lgkmcnt(0)
	v_mul_f16_e32 v48, s22, v48
	s_branch .LBB268_83
.LBB268_82:
	v_mov_b32_e32 v48, 0
.LBB268_83:
	v_pk_add_f16 v38, v2, v38
	v_pk_max_f16 v49, v121, v121
	v_pk_add_f16 v39, v3, v39
	v_pk_min_f16 v38, v49, v38
	v_lshl_add_u64 v[36:37], v[46:47], 1, v[36:37]
	v_pk_min_f16 v38, v38, v39
	s_nop 0
	v_lshrrev_b32_e32 v39, 16, v38
	v_min3_f16 v38, v48, v38, v39
	global_store_short v[36:37], v38, off
.LBB268_84:
	s_or_b64 exec, exec, s[10:11]
	v_add_u32_e32 v48, 16, v52
	v_mad_i64_i32 v[36:37], s[18:19], v48, s25, 0
	v_cmp_gt_i32_e64 s[10:11], s13, v48
	v_lshl_add_u64 v[38:39], v[36:37], 1, s[16:17]
	v_mad_i64_i32 v[36:37], s[18:19], v48, s24, 0
	v_lshl_add_u64 v[36:37], v[36:37], 1, s[14:15]
	s_and_b64 s[20:21], s[2:3], s[10:11]
	s_and_saveexec_b64 s[18:19], s[20:21]
	s_cbranch_execnz .LBB268_88
; %bb.85:
	s_or_b64 exec, exec, s[18:19]
	s_and_b64 s[20:21], s[4:5], s[10:11]
	s_and_saveexec_b64 s[18:19], s[20:21]
	s_cbranch_execnz .LBB268_92
.LBB268_86:
	s_or_b64 exec, exec, s[18:19]
	s_and_b64 s[20:21], s[6:7], s[10:11]
	s_and_saveexec_b64 s[18:19], s[20:21]
	s_cbranch_execnz .LBB268_96
.LBB268_87:
	s_or_b64 exec, exec, s[18:19]
	s_and_b64 s[18:19], s[8:9], s[10:11]
	s_and_saveexec_b64 s[10:11], s[18:19]
	s_cbranch_execnz .LBB268_100
	s_branch .LBB268_104
.LBB268_88:
	s_and_b64 vcc, exec, s[0:1]
	s_cbranch_vccnz .LBB268_90
; %bb.89:
	v_lshl_add_u64 v[48:49], v[40:41], 1, v[38:39]
	flat_load_ushort v48, v[48:49]
	s_waitcnt vmcnt(0) lgkmcnt(0)
	v_mul_f16_e32 v48, s22, v48
	s_branch .LBB268_91
.LBB268_90:
	v_mov_b32_e32 v48, 0
.LBB268_91:
	v_pk_add_f16 v49, v8, v32
	v_pk_max_f16 v50, v120, v120
	s_nop 0
	v_pk_min_f16 v49, v50, v49
	v_pk_add_f16 v50, v9, v33
	s_nop 0
	v_pk_min_f16 v49, v49, v50
	s_nop 0
	v_lshrrev_b32_e32 v50, 16, v49
	v_min3_f16 v50, v48, v49, v50
	v_lshl_add_u64 v[48:49], v[40:41], 1, v[36:37]
	global_store_short v[48:49], v50, off
	s_or_b64 exec, exec, s[18:19]
	s_and_b64 s[20:21], s[4:5], s[10:11]
	s_and_saveexec_b64 s[18:19], s[20:21]
	s_cbranch_execz .LBB268_86
.LBB268_92:
	s_and_b64 vcc, exec, s[0:1]
	s_cbranch_vccnz .LBB268_94
; %bb.93:
	v_lshl_add_u64 v[48:49], v[42:43], 1, v[38:39]
	flat_load_ushort v48, v[48:49]
	s_waitcnt vmcnt(0) lgkmcnt(0)
	v_mul_f16_e32 v48, s22, v48
	s_branch .LBB268_95
.LBB268_94:
	v_mov_b32_e32 v48, 0
.LBB268_95:
	v_pk_add_f16 v49, v10, v32
	v_pk_max_f16 v50, v119, v119
	s_nop 0
	v_pk_min_f16 v49, v50, v49
	v_pk_add_f16 v50, v11, v33
	s_nop 0
	v_pk_min_f16 v49, v49, v50
	s_nop 0
	v_lshrrev_b32_e32 v50, 16, v49
	v_min3_f16 v50, v48, v49, v50
	v_lshl_add_u64 v[48:49], v[42:43], 1, v[36:37]
	global_store_short v[48:49], v50, off
	s_or_b64 exec, exec, s[18:19]
	s_and_b64 s[20:21], s[6:7], s[10:11]
	s_and_saveexec_b64 s[18:19], s[20:21]
	s_cbranch_execz .LBB268_87
.LBB268_96:
	s_and_b64 vcc, exec, s[0:1]
	s_cbranch_vccnz .LBB268_98
; %bb.97:
	v_lshl_add_u64 v[48:49], v[44:45], 1, v[38:39]
	flat_load_ushort v48, v[48:49]
	s_waitcnt vmcnt(0) lgkmcnt(0)
	v_mul_f16_e32 v48, s22, v48
	s_branch .LBB268_99
.LBB268_98:
	v_mov_b32_e32 v48, 0
.LBB268_99:
	v_pk_add_f16 v49, v0, v32
	v_pk_max_f16 v50, v118, v118
	s_nop 0
	v_pk_min_f16 v49, v50, v49
	v_pk_add_f16 v50, v1, v33
	s_nop 0
	v_pk_min_f16 v49, v49, v50
	s_nop 0
	v_lshrrev_b32_e32 v50, 16, v49
	v_min3_f16 v50, v48, v49, v50
	v_lshl_add_u64 v[48:49], v[44:45], 1, v[36:37]
	global_store_short v[48:49], v50, off
	s_or_b64 exec, exec, s[18:19]
	s_and_b64 s[18:19], s[8:9], s[10:11]
	s_and_saveexec_b64 s[10:11], s[18:19]
	s_cbranch_execz .LBB268_104
.LBB268_100:
	s_and_b64 vcc, exec, s[0:1]
	s_cbranch_vccnz .LBB268_102
; %bb.101:
	v_lshl_add_u64 v[38:39], v[46:47], 1, v[38:39]
	flat_load_ushort v38, v[38:39]
	s_waitcnt vmcnt(0) lgkmcnt(0)
	v_mul_f16_e32 v38, s22, v38
	s_branch .LBB268_103
.LBB268_102:
	v_mov_b32_e32 v38, 0
.LBB268_103:
	v_pk_add_f16 v32, v2, v32
	v_pk_max_f16 v39, v117, v117
	v_pk_add_f16 v33, v3, v33
	v_pk_min_f16 v32, v39, v32
	s_nop 0
	v_pk_min_f16 v32, v32, v33
	s_nop 0
	v_lshrrev_b32_e32 v33, 16, v32
	v_min3_f16 v38, v38, v32, v33
	v_lshl_add_u64 v[32:33], v[46:47], 1, v[36:37]
	global_store_short v[32:33], v38, off
.LBB268_104:
	s_or_b64 exec, exec, s[10:11]
	v_add_u32_e32 v38, 24, v52
	v_mad_i64_i32 v[32:33], s[18:19], v38, s25, 0
	v_cmp_gt_i32_e64 s[10:11], s13, v38
	v_lshl_add_u64 v[36:37], v[32:33], 1, s[16:17]
	v_mad_i64_i32 v[32:33], s[18:19], v38, s24, 0
	v_lshl_add_u64 v[32:33], v[32:33], 1, s[14:15]
	s_and_b64 s[20:21], s[2:3], s[10:11]
	s_and_saveexec_b64 s[18:19], s[20:21]
	s_cbranch_execnz .LBB268_108
; %bb.105:
	s_or_b64 exec, exec, s[18:19]
	s_and_b64 s[20:21], s[4:5], s[10:11]
	s_and_saveexec_b64 s[18:19], s[20:21]
	s_cbranch_execnz .LBB268_112
.LBB268_106:
	s_or_b64 exec, exec, s[18:19]
	s_and_b64 s[20:21], s[6:7], s[10:11]
	s_and_saveexec_b64 s[18:19], s[20:21]
	s_cbranch_execnz .LBB268_116
.LBB268_107:
	s_or_b64 exec, exec, s[18:19]
	s_and_b64 s[18:19], s[8:9], s[10:11]
	s_and_saveexec_b64 s[10:11], s[18:19]
	s_cbranch_execnz .LBB268_120
	s_branch .LBB268_124
.LBB268_108:
	s_and_b64 vcc, exec, s[0:1]
	s_cbranch_vccnz .LBB268_110
; %bb.109:
	v_lshl_add_u64 v[38:39], v[40:41], 1, v[36:37]
	flat_load_ushort v38, v[38:39]
	s_waitcnt vmcnt(0) lgkmcnt(0)
	v_mul_f16_e32 v38, s22, v38
	s_branch .LBB268_111
.LBB268_110:
	v_mov_b32_e32 v38, 0
.LBB268_111:
	v_pk_add_f16 v39, v8, v34
	v_pk_max_f16 v48, v116, v116
	s_nop 0
	v_pk_min_f16 v39, v48, v39
	v_pk_add_f16 v48, v9, v35
	s_nop 0
	v_pk_min_f16 v39, v39, v48
	s_nop 0
	v_lshrrev_b32_e32 v48, 16, v39
	v_min3_f16 v48, v38, v39, v48
	v_lshl_add_u64 v[38:39], v[40:41], 1, v[32:33]
	global_store_short v[38:39], v48, off
	s_or_b64 exec, exec, s[18:19]
	s_and_b64 s[20:21], s[4:5], s[10:11]
	s_and_saveexec_b64 s[18:19], s[20:21]
	s_cbranch_execz .LBB268_106
.LBB268_112:
	s_and_b64 vcc, exec, s[0:1]
	s_cbranch_vccnz .LBB268_114
; %bb.113:
	v_lshl_add_u64 v[38:39], v[42:43], 1, v[36:37]
	flat_load_ushort v38, v[38:39]
	s_waitcnt vmcnt(0) lgkmcnt(0)
	v_mul_f16_e32 v38, s22, v38
	s_branch .LBB268_115
.LBB268_114:
	v_mov_b32_e32 v38, 0
.LBB268_115:
	v_pk_add_f16 v39, v10, v34
	v_pk_max_f16 v48, v115, v115
	s_nop 0
	v_pk_min_f16 v39, v48, v39
	v_pk_add_f16 v48, v11, v35
	s_nop 0
	v_pk_min_f16 v39, v39, v48
	s_nop 0
	v_lshrrev_b32_e32 v48, 16, v39
	v_min3_f16 v48, v38, v39, v48
	v_lshl_add_u64 v[38:39], v[42:43], 1, v[32:33]
	global_store_short v[38:39], v48, off
	s_or_b64 exec, exec, s[18:19]
	s_and_b64 s[20:21], s[6:7], s[10:11]
	s_and_saveexec_b64 s[18:19], s[20:21]
	s_cbranch_execz .LBB268_107
.LBB268_116:
	s_and_b64 vcc, exec, s[0:1]
	s_cbranch_vccnz .LBB268_118
; %bb.117:
	v_lshl_add_u64 v[38:39], v[44:45], 1, v[36:37]
	flat_load_ushort v38, v[38:39]
	s_waitcnt vmcnt(0) lgkmcnt(0)
	v_mul_f16_e32 v38, s22, v38
	s_branch .LBB268_119
.LBB268_118:
	v_mov_b32_e32 v38, 0
.LBB268_119:
	v_pk_add_f16 v39, v0, v34
	v_pk_max_f16 v48, v114, v114
	s_nop 0
	v_pk_min_f16 v39, v48, v39
	v_pk_add_f16 v48, v1, v35
	s_nop 0
	v_pk_min_f16 v39, v39, v48
	s_nop 0
	v_lshrrev_b32_e32 v48, 16, v39
	v_min3_f16 v48, v38, v39, v48
	v_lshl_add_u64 v[38:39], v[44:45], 1, v[32:33]
	global_store_short v[38:39], v48, off
	s_or_b64 exec, exec, s[18:19]
	s_and_b64 s[18:19], s[8:9], s[10:11]
	s_and_saveexec_b64 s[10:11], s[18:19]
	s_cbranch_execz .LBB268_124
.LBB268_120:
	s_and_b64 vcc, exec, s[0:1]
	s_cbranch_vccnz .LBB268_122
; %bb.121:
	v_lshl_add_u64 v[36:37], v[46:47], 1, v[36:37]
	flat_load_ushort v36, v[36:37]
	s_waitcnt vmcnt(0) lgkmcnt(0)
	v_mul_f16_e32 v36, s22, v36
	s_branch .LBB268_123
.LBB268_122:
	v_mov_b32_e32 v36, 0
.LBB268_123:
	v_pk_add_f16 v34, v2, v34
	v_pk_max_f16 v37, v112, v112
	v_pk_add_f16 v35, v3, v35
	v_pk_min_f16 v34, v37, v34
	v_lshl_add_u64 v[32:33], v[46:47], 1, v[32:33]
	v_pk_min_f16 v34, v34, v35
	s_nop 0
	v_lshrrev_b32_e32 v35, 16, v34
	v_min3_f16 v34, v36, v34, v35
	global_store_short v[32:33], v34, off
.LBB268_124:
	s_or_b64 exec, exec, s[10:11]
	v_add_u32_e32 v36, 32, v52
	v_mad_i64_i32 v[32:33], s[18:19], v36, s25, 0
	v_cmp_gt_i32_e64 s[10:11], s13, v36
	v_lshl_add_u64 v[34:35], v[32:33], 1, s[16:17]
	v_mad_i64_i32 v[32:33], s[18:19], v36, s24, 0
	v_lshl_add_u64 v[32:33], v[32:33], 1, s[14:15]
	s_and_b64 s[20:21], s[2:3], s[10:11]
	s_and_saveexec_b64 s[18:19], s[20:21]
	s_cbranch_execnz .LBB268_128
; %bb.125:
	s_or_b64 exec, exec, s[18:19]
	s_and_b64 s[20:21], s[4:5], s[10:11]
	s_and_saveexec_b64 s[18:19], s[20:21]
	s_cbranch_execnz .LBB268_132
.LBB268_126:
	s_or_b64 exec, exec, s[18:19]
	s_and_b64 s[20:21], s[6:7], s[10:11]
	s_and_saveexec_b64 s[18:19], s[20:21]
	s_cbranch_execnz .LBB268_136
.LBB268_127:
	s_or_b64 exec, exec, s[18:19]
	s_and_b64 s[18:19], s[8:9], s[10:11]
	s_and_saveexec_b64 s[10:11], s[18:19]
	s_cbranch_execnz .LBB268_140
	s_branch .LBB268_144
.LBB268_128:
	s_and_b64 vcc, exec, s[0:1]
	s_cbranch_vccnz .LBB268_130
; %bb.129:
	v_lshl_add_u64 v[36:37], v[40:41], 1, v[34:35]
	flat_load_ushort v36, v[36:37]
	s_waitcnt vmcnt(0) lgkmcnt(0)
	v_mul_f16_e32 v36, s22, v36
	s_branch .LBB268_131
.LBB268_130:
	v_mov_b32_e32 v36, 0
.LBB268_131:
	v_pk_add_f16 v37, v8, v28
	v_pk_max_f16 v38, v110, v110
	s_nop 0
	v_pk_min_f16 v37, v38, v37
	v_pk_add_f16 v38, v9, v29
	s_nop 0
	v_pk_min_f16 v37, v37, v38
	s_nop 0
	v_lshrrev_b32_e32 v38, 16, v37
	v_min3_f16 v38, v36, v37, v38
	v_lshl_add_u64 v[36:37], v[40:41], 1, v[32:33]
	global_store_short v[36:37], v38, off
	s_or_b64 exec, exec, s[18:19]
	s_and_b64 s[20:21], s[4:5], s[10:11]
	s_and_saveexec_b64 s[18:19], s[20:21]
	s_cbranch_execz .LBB268_126
.LBB268_132:
	s_and_b64 vcc, exec, s[0:1]
	s_cbranch_vccnz .LBB268_134
; %bb.133:
	v_lshl_add_u64 v[36:37], v[42:43], 1, v[34:35]
	flat_load_ushort v36, v[36:37]
	s_waitcnt vmcnt(0) lgkmcnt(0)
	v_mul_f16_e32 v36, s22, v36
	s_branch .LBB268_135
.LBB268_134:
	v_mov_b32_e32 v36, 0
.LBB268_135:
	v_pk_add_f16 v37, v10, v28
	v_pk_max_f16 v38, v109, v109
	s_nop 0
	v_pk_min_f16 v37, v38, v37
	v_pk_add_f16 v38, v11, v29
	s_nop 0
	v_pk_min_f16 v37, v37, v38
	s_nop 0
	v_lshrrev_b32_e32 v38, 16, v37
	v_min3_f16 v38, v36, v37, v38
	v_lshl_add_u64 v[36:37], v[42:43], 1, v[32:33]
	global_store_short v[36:37], v38, off
	s_or_b64 exec, exec, s[18:19]
	s_and_b64 s[20:21], s[6:7], s[10:11]
	s_and_saveexec_b64 s[18:19], s[20:21]
	s_cbranch_execz .LBB268_127
.LBB268_136:
	s_and_b64 vcc, exec, s[0:1]
	s_cbranch_vccnz .LBB268_138
; %bb.137:
	v_lshl_add_u64 v[36:37], v[44:45], 1, v[34:35]
	flat_load_ushort v36, v[36:37]
	s_waitcnt vmcnt(0) lgkmcnt(0)
	v_mul_f16_e32 v36, s22, v36
	s_branch .LBB268_139
.LBB268_138:
	v_mov_b32_e32 v36, 0
.LBB268_139:
	v_pk_add_f16 v37, v0, v28
	v_pk_max_f16 v38, v108, v108
	s_nop 0
	v_pk_min_f16 v37, v38, v37
	v_pk_add_f16 v38, v1, v29
	s_nop 0
	v_pk_min_f16 v37, v37, v38
	s_nop 0
	v_lshrrev_b32_e32 v38, 16, v37
	v_min3_f16 v38, v36, v37, v38
	v_lshl_add_u64 v[36:37], v[44:45], 1, v[32:33]
	global_store_short v[36:37], v38, off
	s_or_b64 exec, exec, s[18:19]
	s_and_b64 s[18:19], s[8:9], s[10:11]
	s_and_saveexec_b64 s[10:11], s[18:19]
	s_cbranch_execz .LBB268_144
.LBB268_140:
	s_and_b64 vcc, exec, s[0:1]
	s_cbranch_vccnz .LBB268_142
; %bb.141:
	v_lshl_add_u64 v[34:35], v[46:47], 1, v[34:35]
	flat_load_ushort v34, v[34:35]
	s_waitcnt vmcnt(0) lgkmcnt(0)
	v_mul_f16_e32 v34, s22, v34
	s_branch .LBB268_143
.LBB268_142:
	v_mov_b32_e32 v34, 0
.LBB268_143:
	v_pk_add_f16 v28, v2, v28
	v_pk_max_f16 v35, v107, v107
	v_pk_add_f16 v29, v3, v29
	v_pk_min_f16 v28, v35, v28
	s_nop 0
	v_pk_min_f16 v28, v28, v29
	s_nop 0
	v_lshrrev_b32_e32 v29, 16, v28
	v_min3_f16 v34, v34, v28, v29
	v_lshl_add_u64 v[28:29], v[46:47], 1, v[32:33]
	global_store_short v[28:29], v34, off
.LBB268_144:
	s_or_b64 exec, exec, s[10:11]
	v_add_u32_e32 v34, 40, v52
	v_mad_i64_i32 v[28:29], s[18:19], v34, s25, 0
	v_cmp_gt_i32_e64 s[10:11], s13, v34
	v_lshl_add_u64 v[32:33], v[28:29], 1, s[16:17]
	v_mad_i64_i32 v[28:29], s[18:19], v34, s24, 0
	v_lshl_add_u64 v[28:29], v[28:29], 1, s[14:15]
	s_and_b64 s[20:21], s[2:3], s[10:11]
	s_and_saveexec_b64 s[18:19], s[20:21]
	s_cbranch_execnz .LBB268_148
; %bb.145:
	s_or_b64 exec, exec, s[18:19]
	s_and_b64 s[20:21], s[4:5], s[10:11]
	s_and_saveexec_b64 s[18:19], s[20:21]
	s_cbranch_execnz .LBB268_152
.LBB268_146:
	s_or_b64 exec, exec, s[18:19]
	s_and_b64 s[20:21], s[6:7], s[10:11]
	s_and_saveexec_b64 s[18:19], s[20:21]
	s_cbranch_execnz .LBB268_156
.LBB268_147:
	s_or_b64 exec, exec, s[18:19]
	s_and_b64 s[18:19], s[8:9], s[10:11]
	s_and_saveexec_b64 s[10:11], s[18:19]
	s_cbranch_execnz .LBB268_160
	s_branch .LBB268_164
.LBB268_148:
	s_and_b64 vcc, exec, s[0:1]
	s_cbranch_vccnz .LBB268_150
; %bb.149:
	v_lshl_add_u64 v[34:35], v[40:41], 1, v[32:33]
	flat_load_ushort v34, v[34:35]
	s_waitcnt vmcnt(0) lgkmcnt(0)
	v_mul_f16_e32 v34, s22, v34
	s_branch .LBB268_151
.LBB268_150:
	v_mov_b32_e32 v34, 0
.LBB268_151:
	v_pk_add_f16 v35, v8, v30
	v_pk_max_f16 v36, v106, v106
	s_nop 0
	v_pk_min_f16 v35, v36, v35
	v_pk_add_f16 v36, v9, v31
	s_nop 0
	v_pk_min_f16 v35, v35, v36
	s_nop 0
	v_lshrrev_b32_e32 v36, 16, v35
	v_min3_f16 v36, v34, v35, v36
	v_lshl_add_u64 v[34:35], v[40:41], 1, v[28:29]
	global_store_short v[34:35], v36, off
	s_or_b64 exec, exec, s[18:19]
	s_and_b64 s[20:21], s[4:5], s[10:11]
	s_and_saveexec_b64 s[18:19], s[20:21]
	s_cbranch_execz .LBB268_146
.LBB268_152:
	s_and_b64 vcc, exec, s[0:1]
	s_cbranch_vccnz .LBB268_154
; %bb.153:
	v_lshl_add_u64 v[34:35], v[42:43], 1, v[32:33]
	flat_load_ushort v34, v[34:35]
	s_waitcnt vmcnt(0) lgkmcnt(0)
	v_mul_f16_e32 v34, s22, v34
	s_branch .LBB268_155
.LBB268_154:
	v_mov_b32_e32 v34, 0
.LBB268_155:
	v_pk_add_f16 v35, v10, v30
	v_pk_max_f16 v36, v104, v104
	s_nop 0
	v_pk_min_f16 v35, v36, v35
	v_pk_add_f16 v36, v11, v31
	s_nop 0
	v_pk_min_f16 v35, v35, v36
	s_nop 0
	v_lshrrev_b32_e32 v36, 16, v35
	v_min3_f16 v36, v34, v35, v36
	v_lshl_add_u64 v[34:35], v[42:43], 1, v[28:29]
	global_store_short v[34:35], v36, off
	s_or_b64 exec, exec, s[18:19]
	s_and_b64 s[20:21], s[6:7], s[10:11]
	s_and_saveexec_b64 s[18:19], s[20:21]
	s_cbranch_execz .LBB268_147
.LBB268_156:
	s_and_b64 vcc, exec, s[0:1]
	s_cbranch_vccnz .LBB268_158
; %bb.157:
	v_lshl_add_u64 v[34:35], v[44:45], 1, v[32:33]
	flat_load_ushort v34, v[34:35]
	s_waitcnt vmcnt(0) lgkmcnt(0)
	v_mul_f16_e32 v34, s22, v34
	s_branch .LBB268_159
.LBB268_158:
	v_mov_b32_e32 v34, 0
.LBB268_159:
	v_pk_add_f16 v35, v0, v30
	v_pk_max_f16 v36, v101, v101
	s_nop 0
	v_pk_min_f16 v35, v36, v35
	v_pk_add_f16 v36, v1, v31
	s_nop 0
	v_pk_min_f16 v35, v35, v36
	s_nop 0
	v_lshrrev_b32_e32 v36, 16, v35
	v_min3_f16 v36, v34, v35, v36
	v_lshl_add_u64 v[34:35], v[44:45], 1, v[28:29]
	global_store_short v[34:35], v36, off
	s_or_b64 exec, exec, s[18:19]
	s_and_b64 s[18:19], s[8:9], s[10:11]
	s_and_saveexec_b64 s[10:11], s[18:19]
	s_cbranch_execz .LBB268_164
.LBB268_160:
	s_and_b64 vcc, exec, s[0:1]
	s_cbranch_vccnz .LBB268_162
; %bb.161:
	v_lshl_add_u64 v[32:33], v[46:47], 1, v[32:33]
	flat_load_ushort v32, v[32:33]
	s_waitcnt vmcnt(0) lgkmcnt(0)
	v_mul_f16_e32 v32, s22, v32
	s_branch .LBB268_163
.LBB268_162:
	v_mov_b32_e32 v32, 0
.LBB268_163:
	v_pk_add_f16 v30, v2, v30
	v_pk_max_f16 v33, v100, v100
	v_pk_add_f16 v31, v3, v31
	v_pk_min_f16 v30, v33, v30
	v_lshl_add_u64 v[28:29], v[46:47], 1, v[28:29]
	v_pk_min_f16 v30, v30, v31
	s_nop 0
	v_lshrrev_b32_e32 v31, 16, v30
	v_min3_f16 v30, v32, v30, v31
	global_store_short v[28:29], v30, off
.LBB268_164:
	s_or_b64 exec, exec, s[10:11]
	v_add_u32_e32 v32, 48, v52
	v_mad_i64_i32 v[28:29], s[18:19], v32, s25, 0
	v_cmp_gt_i32_e64 s[10:11], s13, v32
	v_lshl_add_u64 v[30:31], v[28:29], 1, s[16:17]
	v_mad_i64_i32 v[28:29], s[18:19], v32, s24, 0
	v_lshl_add_u64 v[28:29], v[28:29], 1, s[14:15]
	s_and_b64 s[20:21], s[2:3], s[10:11]
	s_and_saveexec_b64 s[18:19], s[20:21]
	s_cbranch_execnz .LBB268_168
; %bb.165:
	s_or_b64 exec, exec, s[18:19]
	s_and_b64 s[20:21], s[4:5], s[10:11]
	s_and_saveexec_b64 s[18:19], s[20:21]
	s_cbranch_execnz .LBB268_172
.LBB268_166:
	s_or_b64 exec, exec, s[18:19]
	s_and_b64 s[20:21], s[6:7], s[10:11]
	s_and_saveexec_b64 s[18:19], s[20:21]
	s_cbranch_execnz .LBB268_176
.LBB268_167:
	s_or_b64 exec, exec, s[18:19]
	s_and_b64 s[18:19], s[8:9], s[10:11]
	s_and_saveexec_b64 s[10:11], s[18:19]
	s_cbranch_execnz .LBB268_180
	s_branch .LBB268_184
.LBB268_168:
	s_and_b64 vcc, exec, s[0:1]
	s_cbranch_vccnz .LBB268_170
; %bb.169:
	v_lshl_add_u64 v[32:33], v[40:41], 1, v[30:31]
	flat_load_ushort v32, v[32:33]
	s_waitcnt vmcnt(0) lgkmcnt(0)
	v_mul_f16_e32 v32, s22, v32
	s_branch .LBB268_171
.LBB268_170:
	v_mov_b32_e32 v32, 0
.LBB268_171:
	v_pk_add_f16 v33, v8, v24
	v_pk_max_f16 v34, v99, v99
	s_nop 0
	v_pk_min_f16 v33, v34, v33
	v_pk_add_f16 v34, v9, v25
	s_nop 0
	v_pk_min_f16 v33, v33, v34
	s_nop 0
	v_lshrrev_b32_e32 v34, 16, v33
	v_min3_f16 v34, v32, v33, v34
	v_lshl_add_u64 v[32:33], v[40:41], 1, v[28:29]
	global_store_short v[32:33], v34, off
	s_or_b64 exec, exec, s[18:19]
	s_and_b64 s[20:21], s[4:5], s[10:11]
	s_and_saveexec_b64 s[18:19], s[20:21]
	s_cbranch_execz .LBB268_166
.LBB268_172:
	s_and_b64 vcc, exec, s[0:1]
	s_cbranch_vccnz .LBB268_174
; %bb.173:
	v_lshl_add_u64 v[32:33], v[42:43], 1, v[30:31]
	flat_load_ushort v32, v[32:33]
	s_waitcnt vmcnt(0) lgkmcnt(0)
	v_mul_f16_e32 v32, s22, v32
	s_branch .LBB268_175
.LBB268_174:
	v_mov_b32_e32 v32, 0
.LBB268_175:
	v_pk_add_f16 v33, v10, v24
	v_pk_max_f16 v34, v98, v98
	s_nop 0
	v_pk_min_f16 v33, v34, v33
	v_pk_add_f16 v34, v11, v25
	s_nop 0
	v_pk_min_f16 v33, v33, v34
	s_nop 0
	v_lshrrev_b32_e32 v34, 16, v33
	v_min3_f16 v34, v32, v33, v34
	v_lshl_add_u64 v[32:33], v[42:43], 1, v[28:29]
	global_store_short v[32:33], v34, off
	s_or_b64 exec, exec, s[18:19]
	s_and_b64 s[20:21], s[6:7], s[10:11]
	s_and_saveexec_b64 s[18:19], s[20:21]
	s_cbranch_execz .LBB268_167
.LBB268_176:
	s_and_b64 vcc, exec, s[0:1]
	s_cbranch_vccnz .LBB268_178
; %bb.177:
	v_lshl_add_u64 v[32:33], v[44:45], 1, v[30:31]
	flat_load_ushort v32, v[32:33]
	s_waitcnt vmcnt(0) lgkmcnt(0)
	v_mul_f16_e32 v32, s22, v32
	s_branch .LBB268_179
.LBB268_178:
	v_mov_b32_e32 v32, 0
.LBB268_179:
	v_pk_add_f16 v33, v0, v24
	v_pk_max_f16 v34, v97, v97
	s_nop 0
	v_pk_min_f16 v33, v34, v33
	v_pk_add_f16 v34, v1, v25
	s_nop 0
	v_pk_min_f16 v33, v33, v34
	s_nop 0
	v_lshrrev_b32_e32 v34, 16, v33
	v_min3_f16 v34, v32, v33, v34
	v_lshl_add_u64 v[32:33], v[44:45], 1, v[28:29]
	global_store_short v[32:33], v34, off
	s_or_b64 exec, exec, s[18:19]
	s_and_b64 s[18:19], s[8:9], s[10:11]
	s_and_saveexec_b64 s[10:11], s[18:19]
	s_cbranch_execz .LBB268_184
.LBB268_180:
	s_and_b64 vcc, exec, s[0:1]
	s_cbranch_vccnz .LBB268_182
; %bb.181:
	v_lshl_add_u64 v[30:31], v[46:47], 1, v[30:31]
	flat_load_ushort v30, v[30:31]
	s_waitcnt vmcnt(0) lgkmcnt(0)
	v_mul_f16_e32 v30, s22, v30
	s_branch .LBB268_183
.LBB268_182:
	v_mov_b32_e32 v30, 0
.LBB268_183:
	v_pk_add_f16 v24, v2, v24
	v_pk_max_f16 v31, v96, v96
	v_pk_add_f16 v25, v3, v25
	v_pk_min_f16 v24, v31, v24
	s_nop 0
	v_pk_min_f16 v24, v24, v25
	s_nop 0
	v_lshrrev_b32_e32 v25, 16, v24
	v_min3_f16 v30, v30, v24, v25
	v_lshl_add_u64 v[24:25], v[46:47], 1, v[28:29]
	global_store_short v[24:25], v30, off
.LBB268_184:
	s_or_b64 exec, exec, s[10:11]
	v_add_u32_e32 v30, 56, v52
	v_mad_i64_i32 v[24:25], s[18:19], v30, s25, 0
	v_cmp_gt_i32_e64 s[10:11], s13, v30
	v_lshl_add_u64 v[28:29], v[24:25], 1, s[16:17]
	v_mad_i64_i32 v[24:25], s[18:19], v30, s24, 0
	v_lshl_add_u64 v[24:25], v[24:25], 1, s[14:15]
	s_and_b64 s[20:21], s[2:3], s[10:11]
	s_and_saveexec_b64 s[18:19], s[20:21]
	s_cbranch_execnz .LBB268_188
; %bb.185:
	s_or_b64 exec, exec, s[18:19]
	s_and_b64 s[20:21], s[4:5], s[10:11]
	s_and_saveexec_b64 s[18:19], s[20:21]
	s_cbranch_execnz .LBB268_192
.LBB268_186:
	s_or_b64 exec, exec, s[18:19]
	s_and_b64 s[20:21], s[6:7], s[10:11]
	s_and_saveexec_b64 s[18:19], s[20:21]
	s_cbranch_execnz .LBB268_196
.LBB268_187:
	s_or_b64 exec, exec, s[18:19]
	s_and_b64 s[18:19], s[8:9], s[10:11]
	s_and_saveexec_b64 s[10:11], s[18:19]
	s_cbranch_execnz .LBB268_200
	s_branch .LBB268_204
.LBB268_188:
	s_and_b64 vcc, exec, s[0:1]
	s_cbranch_vccnz .LBB268_190
; %bb.189:
	v_lshl_add_u64 v[30:31], v[40:41], 1, v[28:29]
	flat_load_ushort v30, v[30:31]
	s_waitcnt vmcnt(0) lgkmcnt(0)
	v_mul_f16_e32 v30, s22, v30
	s_branch .LBB268_191
.LBB268_190:
	v_mov_b32_e32 v30, 0
.LBB268_191:
	v_pk_add_f16 v31, v8, v26
	v_pk_max_f16 v32, v95, v95
	s_nop 0
	v_pk_min_f16 v31, v32, v31
	v_pk_add_f16 v32, v9, v27
	s_nop 0
	v_pk_min_f16 v31, v31, v32
	s_nop 0
	v_lshrrev_b32_e32 v32, 16, v31
	v_min3_f16 v32, v30, v31, v32
	v_lshl_add_u64 v[30:31], v[40:41], 1, v[24:25]
	global_store_short v[30:31], v32, off
	s_or_b64 exec, exec, s[18:19]
	s_and_b64 s[20:21], s[4:5], s[10:11]
	s_and_saveexec_b64 s[18:19], s[20:21]
	s_cbranch_execz .LBB268_186
.LBB268_192:
	s_and_b64 vcc, exec, s[0:1]
	s_cbranch_vccnz .LBB268_194
; %bb.193:
	v_lshl_add_u64 v[30:31], v[42:43], 1, v[28:29]
	flat_load_ushort v30, v[30:31]
	s_waitcnt vmcnt(0) lgkmcnt(0)
	v_mul_f16_e32 v30, s22, v30
	s_branch .LBB268_195
.LBB268_194:
	v_mov_b32_e32 v30, 0
.LBB268_195:
	v_pk_add_f16 v31, v10, v26
	v_pk_max_f16 v32, v92, v92
	s_nop 0
	v_pk_min_f16 v31, v32, v31
	v_pk_add_f16 v32, v11, v27
	s_nop 0
	v_pk_min_f16 v31, v31, v32
	s_nop 0
	v_lshrrev_b32_e32 v32, 16, v31
	v_min3_f16 v32, v30, v31, v32
	v_lshl_add_u64 v[30:31], v[42:43], 1, v[24:25]
	global_store_short v[30:31], v32, off
	s_or_b64 exec, exec, s[18:19]
	s_and_b64 s[20:21], s[6:7], s[10:11]
	s_and_saveexec_b64 s[18:19], s[20:21]
	s_cbranch_execz .LBB268_187
.LBB268_196:
	s_and_b64 vcc, exec, s[0:1]
	s_cbranch_vccnz .LBB268_198
; %bb.197:
	v_lshl_add_u64 v[30:31], v[44:45], 1, v[28:29]
	flat_load_ushort v30, v[30:31]
	s_waitcnt vmcnt(0) lgkmcnt(0)
	v_mul_f16_e32 v30, s22, v30
	s_branch .LBB268_199
.LBB268_198:
	v_mov_b32_e32 v30, 0
.LBB268_199:
	v_pk_add_f16 v31, v0, v26
	v_pk_max_f16 v32, v91, v91
	s_nop 0
	v_pk_min_f16 v31, v32, v31
	v_pk_add_f16 v32, v1, v27
	s_nop 0
	v_pk_min_f16 v31, v31, v32
	s_nop 0
	v_lshrrev_b32_e32 v32, 16, v31
	v_min3_f16 v32, v30, v31, v32
	v_lshl_add_u64 v[30:31], v[44:45], 1, v[24:25]
	global_store_short v[30:31], v32, off
	s_or_b64 exec, exec, s[18:19]
	s_and_b64 s[18:19], s[8:9], s[10:11]
	s_and_saveexec_b64 s[10:11], s[18:19]
	s_cbranch_execz .LBB268_204
.LBB268_200:
	s_and_b64 vcc, exec, s[0:1]
	s_cbranch_vccnz .LBB268_202
; %bb.201:
	v_lshl_add_u64 v[28:29], v[46:47], 1, v[28:29]
	flat_load_ushort v28, v[28:29]
	s_waitcnt vmcnt(0) lgkmcnt(0)
	v_mul_f16_e32 v28, s22, v28
	s_branch .LBB268_203
.LBB268_202:
	v_mov_b32_e32 v28, 0
.LBB268_203:
	v_pk_add_f16 v26, v2, v26
	v_pk_max_f16 v29, v90, v90
	v_pk_add_f16 v27, v3, v27
	v_pk_min_f16 v26, v29, v26
	v_lshl_add_u64 v[24:25], v[46:47], 1, v[24:25]
	v_pk_min_f16 v26, v26, v27
	s_nop 0
	v_lshrrev_b32_e32 v27, 16, v26
	v_min3_f16 v26, v28, v26, v27
	global_store_short v[24:25], v26, off
.LBB268_204:
	s_or_b64 exec, exec, s[10:11]
	v_add_u32_e32 v28, 64, v52
	v_mad_i64_i32 v[24:25], s[18:19], v28, s25, 0
	v_cmp_gt_i32_e64 s[10:11], s13, v28
	v_lshl_add_u64 v[26:27], v[24:25], 1, s[16:17]
	v_mad_i64_i32 v[24:25], s[18:19], v28, s24, 0
	v_lshl_add_u64 v[24:25], v[24:25], 1, s[14:15]
	s_and_b64 s[20:21], s[2:3], s[10:11]
	s_and_saveexec_b64 s[18:19], s[20:21]
	s_cbranch_execnz .LBB268_208
; %bb.205:
	s_or_b64 exec, exec, s[18:19]
	s_and_b64 s[20:21], s[4:5], s[10:11]
	s_and_saveexec_b64 s[18:19], s[20:21]
	s_cbranch_execnz .LBB268_212
.LBB268_206:
	s_or_b64 exec, exec, s[18:19]
	s_and_b64 s[20:21], s[6:7], s[10:11]
	s_and_saveexec_b64 s[18:19], s[20:21]
	s_cbranch_execnz .LBB268_216
.LBB268_207:
	s_or_b64 exec, exec, s[18:19]
	s_and_b64 s[18:19], s[8:9], s[10:11]
	s_and_saveexec_b64 s[10:11], s[18:19]
	s_cbranch_execnz .LBB268_220
	s_branch .LBB268_224
.LBB268_208:
	s_and_b64 vcc, exec, s[0:1]
	s_cbranch_vccnz .LBB268_210
; %bb.209:
	v_lshl_add_u64 v[28:29], v[40:41], 1, v[26:27]
	flat_load_ushort v28, v[28:29]
	s_waitcnt vmcnt(0) lgkmcnt(0)
	v_mul_f16_e32 v28, s22, v28
	s_branch .LBB268_211
.LBB268_210:
	v_mov_b32_e32 v28, 0
.LBB268_211:
	v_pk_add_f16 v29, v8, v20
	v_pk_max_f16 v30, v89, v89
	s_nop 0
	v_pk_min_f16 v29, v30, v29
	v_pk_add_f16 v30, v9, v21
	s_nop 0
	v_pk_min_f16 v29, v29, v30
	s_nop 0
	v_lshrrev_b32_e32 v30, 16, v29
	v_min3_f16 v30, v28, v29, v30
	v_lshl_add_u64 v[28:29], v[40:41], 1, v[24:25]
	global_store_short v[28:29], v30, off
	s_or_b64 exec, exec, s[18:19]
	s_and_b64 s[20:21], s[4:5], s[10:11]
	s_and_saveexec_b64 s[18:19], s[20:21]
	s_cbranch_execz .LBB268_206
.LBB268_212:
	s_and_b64 vcc, exec, s[0:1]
	s_cbranch_vccnz .LBB268_214
; %bb.213:
	v_lshl_add_u64 v[28:29], v[42:43], 1, v[26:27]
	flat_load_ushort v28, v[28:29]
	s_waitcnt vmcnt(0) lgkmcnt(0)
	v_mul_f16_e32 v28, s22, v28
	s_branch .LBB268_215
.LBB268_214:
	v_mov_b32_e32 v28, 0
.LBB268_215:
	v_pk_add_f16 v29, v10, v20
	v_pk_max_f16 v30, v88, v88
	s_nop 0
	v_pk_min_f16 v29, v30, v29
	v_pk_add_f16 v30, v11, v21
	s_nop 0
	v_pk_min_f16 v29, v29, v30
	s_nop 0
	v_lshrrev_b32_e32 v30, 16, v29
	v_min3_f16 v30, v28, v29, v30
	v_lshl_add_u64 v[28:29], v[42:43], 1, v[24:25]
	global_store_short v[28:29], v30, off
	s_or_b64 exec, exec, s[18:19]
	s_and_b64 s[20:21], s[6:7], s[10:11]
	s_and_saveexec_b64 s[18:19], s[20:21]
	s_cbranch_execz .LBB268_207
.LBB268_216:
	s_and_b64 vcc, exec, s[0:1]
	s_cbranch_vccnz .LBB268_218
; %bb.217:
	v_lshl_add_u64 v[28:29], v[44:45], 1, v[26:27]
	flat_load_ushort v28, v[28:29]
	s_waitcnt vmcnt(0) lgkmcnt(0)
	v_mul_f16_e32 v28, s22, v28
	s_branch .LBB268_219
.LBB268_218:
	v_mov_b32_e32 v28, 0
.LBB268_219:
	v_pk_add_f16 v29, v0, v20
	v_pk_max_f16 v30, v87, v87
	s_nop 0
	v_pk_min_f16 v29, v30, v29
	v_pk_add_f16 v30, v1, v21
	s_nop 0
	v_pk_min_f16 v29, v29, v30
	s_nop 0
	v_lshrrev_b32_e32 v30, 16, v29
	v_min3_f16 v30, v28, v29, v30
	v_lshl_add_u64 v[28:29], v[44:45], 1, v[24:25]
	global_store_short v[28:29], v30, off
	s_or_b64 exec, exec, s[18:19]
	s_and_b64 s[18:19], s[8:9], s[10:11]
	s_and_saveexec_b64 s[10:11], s[18:19]
	s_cbranch_execz .LBB268_224
.LBB268_220:
	s_and_b64 vcc, exec, s[0:1]
	s_cbranch_vccnz .LBB268_222
; %bb.221:
	v_lshl_add_u64 v[26:27], v[46:47], 1, v[26:27]
	flat_load_ushort v26, v[26:27]
	s_waitcnt vmcnt(0) lgkmcnt(0)
	v_mul_f16_e32 v26, s22, v26
	s_branch .LBB268_223
.LBB268_222:
	v_mov_b32_e32 v26, 0
.LBB268_223:
	v_pk_add_f16 v20, v2, v20
	v_pk_max_f16 v27, v86, v86
	v_pk_add_f16 v21, v3, v21
	v_pk_min_f16 v20, v27, v20
	s_nop 0
	v_pk_min_f16 v20, v20, v21
	s_nop 0
	v_lshrrev_b32_e32 v21, 16, v20
	v_min3_f16 v26, v26, v20, v21
	v_lshl_add_u64 v[20:21], v[46:47], 1, v[24:25]
	global_store_short v[20:21], v26, off
.LBB268_224:
	s_or_b64 exec, exec, s[10:11]
	v_add_u32_e32 v26, 0x48, v52
	v_mad_i64_i32 v[20:21], s[18:19], v26, s25, 0
	v_cmp_gt_i32_e64 s[10:11], s13, v26
	v_lshl_add_u64 v[24:25], v[20:21], 1, s[16:17]
	v_mad_i64_i32 v[20:21], s[18:19], v26, s24, 0
	v_lshl_add_u64 v[20:21], v[20:21], 1, s[14:15]
	s_and_b64 s[20:21], s[2:3], s[10:11]
	s_and_saveexec_b64 s[18:19], s[20:21]
	s_cbranch_execnz .LBB268_228
; %bb.225:
	s_or_b64 exec, exec, s[18:19]
	s_and_b64 s[20:21], s[4:5], s[10:11]
	s_and_saveexec_b64 s[18:19], s[20:21]
	s_cbranch_execnz .LBB268_232
.LBB268_226:
	s_or_b64 exec, exec, s[18:19]
	s_and_b64 s[20:21], s[6:7], s[10:11]
	s_and_saveexec_b64 s[18:19], s[20:21]
	s_cbranch_execnz .LBB268_236
.LBB268_227:
	s_or_b64 exec, exec, s[18:19]
	s_and_b64 s[18:19], s[8:9], s[10:11]
	s_and_saveexec_b64 s[10:11], s[18:19]
	s_cbranch_execnz .LBB268_240
	s_branch .LBB268_244
.LBB268_228:
	s_and_b64 vcc, exec, s[0:1]
	s_cbranch_vccnz .LBB268_230
; %bb.229:
	v_lshl_add_u64 v[26:27], v[40:41], 1, v[24:25]
	flat_load_ushort v26, v[26:27]
	s_waitcnt vmcnt(0) lgkmcnt(0)
	v_mul_f16_e32 v26, s22, v26
	s_branch .LBB268_231
.LBB268_230:
	v_mov_b32_e32 v26, 0
.LBB268_231:
	v_pk_add_f16 v27, v8, v22
	v_pk_max_f16 v28, v85, v85
	s_nop 0
	v_pk_min_f16 v27, v28, v27
	v_pk_add_f16 v28, v9, v23
	s_nop 0
	v_pk_min_f16 v27, v27, v28
	s_nop 0
	v_lshrrev_b32_e32 v28, 16, v27
	v_min3_f16 v28, v26, v27, v28
	v_lshl_add_u64 v[26:27], v[40:41], 1, v[20:21]
	global_store_short v[26:27], v28, off
	s_or_b64 exec, exec, s[18:19]
	s_and_b64 s[20:21], s[4:5], s[10:11]
	s_and_saveexec_b64 s[18:19], s[20:21]
	s_cbranch_execz .LBB268_226
.LBB268_232:
	s_and_b64 vcc, exec, s[0:1]
	s_cbranch_vccnz .LBB268_234
; %bb.233:
	v_lshl_add_u64 v[26:27], v[42:43], 1, v[24:25]
	flat_load_ushort v26, v[26:27]
	s_waitcnt vmcnt(0) lgkmcnt(0)
	v_mul_f16_e32 v26, s22, v26
	s_branch .LBB268_235
.LBB268_234:
	v_mov_b32_e32 v26, 0
.LBB268_235:
	v_pk_add_f16 v27, v10, v22
	v_pk_max_f16 v28, v84, v84
	s_nop 0
	v_pk_min_f16 v27, v28, v27
	v_pk_add_f16 v28, v11, v23
	s_nop 0
	v_pk_min_f16 v27, v27, v28
	s_nop 0
	v_lshrrev_b32_e32 v28, 16, v27
	v_min3_f16 v28, v26, v27, v28
	v_lshl_add_u64 v[26:27], v[42:43], 1, v[20:21]
	global_store_short v[26:27], v28, off
	s_or_b64 exec, exec, s[18:19]
	s_and_b64 s[20:21], s[6:7], s[10:11]
	s_and_saveexec_b64 s[18:19], s[20:21]
	s_cbranch_execz .LBB268_227
.LBB268_236:
	s_and_b64 vcc, exec, s[0:1]
	s_cbranch_vccnz .LBB268_238
; %bb.237:
	v_lshl_add_u64 v[26:27], v[44:45], 1, v[24:25]
	flat_load_ushort v26, v[26:27]
	s_waitcnt vmcnt(0) lgkmcnt(0)
	v_mul_f16_e32 v26, s22, v26
	s_branch .LBB268_239
.LBB268_238:
	v_mov_b32_e32 v26, 0
.LBB268_239:
	v_pk_add_f16 v27, v0, v22
	v_pk_max_f16 v28, v83, v83
	s_nop 0
	v_pk_min_f16 v27, v28, v27
	v_pk_add_f16 v28, v1, v23
	s_nop 0
	v_pk_min_f16 v27, v27, v28
	s_nop 0
	v_lshrrev_b32_e32 v28, 16, v27
	v_min3_f16 v28, v26, v27, v28
	v_lshl_add_u64 v[26:27], v[44:45], 1, v[20:21]
	global_store_short v[26:27], v28, off
	s_or_b64 exec, exec, s[18:19]
	s_and_b64 s[18:19], s[8:9], s[10:11]
	s_and_saveexec_b64 s[10:11], s[18:19]
	s_cbranch_execz .LBB268_244
.LBB268_240:
	s_and_b64 vcc, exec, s[0:1]
	s_cbranch_vccnz .LBB268_242
; %bb.241:
	v_lshl_add_u64 v[24:25], v[46:47], 1, v[24:25]
	flat_load_ushort v24, v[24:25]
	s_waitcnt vmcnt(0) lgkmcnt(0)
	v_mul_f16_e32 v24, s22, v24
	s_branch .LBB268_243
.LBB268_242:
	v_mov_b32_e32 v24, 0
.LBB268_243:
	v_pk_add_f16 v22, v2, v22
	v_pk_max_f16 v25, v82, v82
	v_pk_add_f16 v23, v3, v23
	v_pk_min_f16 v22, v25, v22
	v_lshl_add_u64 v[20:21], v[46:47], 1, v[20:21]
	v_pk_min_f16 v22, v22, v23
	s_nop 0
	v_lshrrev_b32_e32 v23, 16, v22
	v_min3_f16 v22, v24, v22, v23
	global_store_short v[20:21], v22, off
.LBB268_244:
	s_or_b64 exec, exec, s[10:11]
	v_add_u32_e32 v24, 0x50, v52
	v_mad_i64_i32 v[20:21], s[18:19], v24, s25, 0
	v_cmp_gt_i32_e64 s[10:11], s13, v24
	v_lshl_add_u64 v[22:23], v[20:21], 1, s[16:17]
	v_mad_i64_i32 v[20:21], s[18:19], v24, s24, 0
	v_lshl_add_u64 v[20:21], v[20:21], 1, s[14:15]
	s_and_b64 s[20:21], s[2:3], s[10:11]
	s_and_saveexec_b64 s[18:19], s[20:21]
	s_cbranch_execnz .LBB268_248
; %bb.245:
	s_or_b64 exec, exec, s[18:19]
	s_and_b64 s[20:21], s[4:5], s[10:11]
	s_and_saveexec_b64 s[18:19], s[20:21]
	s_cbranch_execnz .LBB268_252
.LBB268_246:
	s_or_b64 exec, exec, s[18:19]
	s_and_b64 s[20:21], s[6:7], s[10:11]
	s_and_saveexec_b64 s[18:19], s[20:21]
	s_cbranch_execnz .LBB268_256
.LBB268_247:
	s_or_b64 exec, exec, s[18:19]
	s_and_b64 s[18:19], s[8:9], s[10:11]
	s_and_saveexec_b64 s[10:11], s[18:19]
	s_cbranch_execnz .LBB268_260
	s_branch .LBB268_264
.LBB268_248:
	s_and_b64 vcc, exec, s[0:1]
	s_cbranch_vccnz .LBB268_250
; %bb.249:
	v_lshl_add_u64 v[24:25], v[40:41], 1, v[22:23]
	flat_load_ushort v24, v[24:25]
	s_waitcnt vmcnt(0) lgkmcnt(0)
	v_mul_f16_e32 v24, s22, v24
	s_branch .LBB268_251
.LBB268_250:
	v_mov_b32_e32 v24, 0
.LBB268_251:
	v_pk_add_f16 v25, v8, v16
	v_pk_max_f16 v26, v81, v81
	s_nop 0
	v_pk_min_f16 v25, v26, v25
	v_pk_add_f16 v26, v9, v17
	s_nop 0
	v_pk_min_f16 v25, v25, v26
	s_nop 0
	v_lshrrev_b32_e32 v26, 16, v25
	v_min3_f16 v26, v24, v25, v26
	v_lshl_add_u64 v[24:25], v[40:41], 1, v[20:21]
	global_store_short v[24:25], v26, off
	s_or_b64 exec, exec, s[18:19]
	s_and_b64 s[20:21], s[4:5], s[10:11]
	s_and_saveexec_b64 s[18:19], s[20:21]
	s_cbranch_execz .LBB268_246
.LBB268_252:
	s_and_b64 vcc, exec, s[0:1]
	s_cbranch_vccnz .LBB268_254
; %bb.253:
	v_lshl_add_u64 v[24:25], v[42:43], 1, v[22:23]
	flat_load_ushort v24, v[24:25]
	s_waitcnt vmcnt(0) lgkmcnt(0)
	v_mul_f16_e32 v24, s22, v24
	s_branch .LBB268_255
.LBB268_254:
	v_mov_b32_e32 v24, 0
.LBB268_255:
	v_pk_add_f16 v25, v10, v16
	v_pk_max_f16 v26, v80, v80
	s_nop 0
	v_pk_min_f16 v25, v26, v25
	v_pk_add_f16 v26, v11, v17
	s_nop 0
	v_pk_min_f16 v25, v25, v26
	s_nop 0
	v_lshrrev_b32_e32 v26, 16, v25
	v_min3_f16 v26, v24, v25, v26
	v_lshl_add_u64 v[24:25], v[42:43], 1, v[20:21]
	global_store_short v[24:25], v26, off
	s_or_b64 exec, exec, s[18:19]
	s_and_b64 s[20:21], s[6:7], s[10:11]
	s_and_saveexec_b64 s[18:19], s[20:21]
	s_cbranch_execz .LBB268_247
.LBB268_256:
	s_and_b64 vcc, exec, s[0:1]
	s_cbranch_vccnz .LBB268_258
; %bb.257:
	v_lshl_add_u64 v[24:25], v[44:45], 1, v[22:23]
	flat_load_ushort v24, v[24:25]
	s_waitcnt vmcnt(0) lgkmcnt(0)
	v_mul_f16_e32 v24, s22, v24
	s_branch .LBB268_259
.LBB268_258:
	v_mov_b32_e32 v24, 0
.LBB268_259:
	v_pk_add_f16 v25, v0, v16
	v_pk_max_f16 v26, v79, v79
	s_nop 0
	v_pk_min_f16 v25, v26, v25
	v_pk_add_f16 v26, v1, v17
	s_nop 0
	v_pk_min_f16 v25, v25, v26
	s_nop 0
	v_lshrrev_b32_e32 v26, 16, v25
	v_min3_f16 v26, v24, v25, v26
	v_lshl_add_u64 v[24:25], v[44:45], 1, v[20:21]
	global_store_short v[24:25], v26, off
	s_or_b64 exec, exec, s[18:19]
	s_and_b64 s[18:19], s[8:9], s[10:11]
	s_and_saveexec_b64 s[10:11], s[18:19]
	s_cbranch_execz .LBB268_264
.LBB268_260:
	s_and_b64 vcc, exec, s[0:1]
	s_cbranch_vccnz .LBB268_262
; %bb.261:
	v_lshl_add_u64 v[22:23], v[46:47], 1, v[22:23]
	flat_load_ushort v22, v[22:23]
	s_waitcnt vmcnt(0) lgkmcnt(0)
	v_mul_f16_e32 v22, s22, v22
	s_branch .LBB268_263
.LBB268_262:
	v_mov_b32_e32 v22, 0
.LBB268_263:
	v_pk_add_f16 v16, v2, v16
	v_pk_max_f16 v23, v78, v78
	v_pk_add_f16 v17, v3, v17
	v_pk_min_f16 v16, v23, v16
	s_nop 0
	v_pk_min_f16 v16, v16, v17
	s_nop 0
	v_lshrrev_b32_e32 v17, 16, v16
	v_min3_f16 v22, v22, v16, v17
	v_lshl_add_u64 v[16:17], v[46:47], 1, v[20:21]
	global_store_short v[16:17], v22, off
.LBB268_264:
	s_or_b64 exec, exec, s[10:11]
	v_add_u32_e32 v22, 0x58, v52
	v_mad_i64_i32 v[16:17], s[18:19], v22, s25, 0
	v_cmp_gt_i32_e64 s[10:11], s13, v22
	v_lshl_add_u64 v[20:21], v[16:17], 1, s[16:17]
	v_mad_i64_i32 v[16:17], s[18:19], v22, s24, 0
	v_lshl_add_u64 v[16:17], v[16:17], 1, s[14:15]
	s_and_b64 s[20:21], s[2:3], s[10:11]
	s_and_saveexec_b64 s[18:19], s[20:21]
	s_cbranch_execnz .LBB268_268
; %bb.265:
	s_or_b64 exec, exec, s[18:19]
	s_and_b64 s[20:21], s[4:5], s[10:11]
	s_and_saveexec_b64 s[18:19], s[20:21]
	s_cbranch_execnz .LBB268_272
.LBB268_266:
	s_or_b64 exec, exec, s[18:19]
	s_and_b64 s[20:21], s[6:7], s[10:11]
	s_and_saveexec_b64 s[18:19], s[20:21]
	s_cbranch_execnz .LBB268_276
.LBB268_267:
	s_or_b64 exec, exec, s[18:19]
	s_and_b64 s[18:19], s[8:9], s[10:11]
	s_and_saveexec_b64 s[10:11], s[18:19]
	s_cbranch_execnz .LBB268_280
	s_branch .LBB268_284
.LBB268_268:
	s_and_b64 vcc, exec, s[0:1]
	s_cbranch_vccnz .LBB268_270
; %bb.269:
	v_lshl_add_u64 v[22:23], v[40:41], 1, v[20:21]
	flat_load_ushort v22, v[22:23]
	s_waitcnt vmcnt(0) lgkmcnt(0)
	v_mul_f16_e32 v22, s22, v22
	s_branch .LBB268_271
.LBB268_270:
	v_mov_b32_e32 v22, 0
.LBB268_271:
	v_pk_add_f16 v23, v8, v18
	v_pk_max_f16 v24, v77, v77
	s_nop 0
	v_pk_min_f16 v23, v24, v23
	v_pk_add_f16 v24, v9, v19
	s_nop 0
	v_pk_min_f16 v23, v23, v24
	s_nop 0
	v_lshrrev_b32_e32 v24, 16, v23
	v_min3_f16 v24, v22, v23, v24
	v_lshl_add_u64 v[22:23], v[40:41], 1, v[16:17]
	global_store_short v[22:23], v24, off
	s_or_b64 exec, exec, s[18:19]
	s_and_b64 s[20:21], s[4:5], s[10:11]
	s_and_saveexec_b64 s[18:19], s[20:21]
	s_cbranch_execz .LBB268_266
.LBB268_272:
	s_and_b64 vcc, exec, s[0:1]
	s_cbranch_vccnz .LBB268_274
; %bb.273:
	v_lshl_add_u64 v[22:23], v[42:43], 1, v[20:21]
	flat_load_ushort v22, v[22:23]
	s_waitcnt vmcnt(0) lgkmcnt(0)
	v_mul_f16_e32 v22, s22, v22
	s_branch .LBB268_275
.LBB268_274:
	v_mov_b32_e32 v22, 0
.LBB268_275:
	v_pk_add_f16 v23, v10, v18
	v_pk_max_f16 v24, v76, v76
	s_nop 0
	v_pk_min_f16 v23, v24, v23
	v_pk_add_f16 v24, v11, v19
	s_nop 0
	v_pk_min_f16 v23, v23, v24
	s_nop 0
	v_lshrrev_b32_e32 v24, 16, v23
	v_min3_f16 v24, v22, v23, v24
	v_lshl_add_u64 v[22:23], v[42:43], 1, v[16:17]
	global_store_short v[22:23], v24, off
	s_or_b64 exec, exec, s[18:19]
	s_and_b64 s[20:21], s[6:7], s[10:11]
	s_and_saveexec_b64 s[18:19], s[20:21]
	s_cbranch_execz .LBB268_267
.LBB268_276:
	s_and_b64 vcc, exec, s[0:1]
	s_cbranch_vccnz .LBB268_278
; %bb.277:
	v_lshl_add_u64 v[22:23], v[44:45], 1, v[20:21]
	flat_load_ushort v22, v[22:23]
	s_waitcnt vmcnt(0) lgkmcnt(0)
	v_mul_f16_e32 v22, s22, v22
	s_branch .LBB268_279
.LBB268_278:
	v_mov_b32_e32 v22, 0
.LBB268_279:
	v_pk_add_f16 v23, v0, v18
	v_pk_max_f16 v24, v75, v75
	s_nop 0
	v_pk_min_f16 v23, v24, v23
	v_pk_add_f16 v24, v1, v19
	s_nop 0
	v_pk_min_f16 v23, v23, v24
	s_nop 0
	v_lshrrev_b32_e32 v24, 16, v23
	v_min3_f16 v24, v22, v23, v24
	v_lshl_add_u64 v[22:23], v[44:45], 1, v[16:17]
	global_store_short v[22:23], v24, off
	s_or_b64 exec, exec, s[18:19]
	s_and_b64 s[18:19], s[8:9], s[10:11]
	s_and_saveexec_b64 s[10:11], s[18:19]
	s_cbranch_execz .LBB268_284
.LBB268_280:
	s_and_b64 vcc, exec, s[0:1]
	s_cbranch_vccnz .LBB268_282
; %bb.281:
	v_lshl_add_u64 v[20:21], v[46:47], 1, v[20:21]
	flat_load_ushort v20, v[20:21]
	s_waitcnt vmcnt(0) lgkmcnt(0)
	v_mul_f16_e32 v20, s22, v20
	s_branch .LBB268_283
.LBB268_282:
	v_mov_b32_e32 v20, 0
.LBB268_283:
	v_pk_add_f16 v18, v2, v18
	v_pk_max_f16 v21, v74, v74
	v_pk_add_f16 v19, v3, v19
	v_pk_min_f16 v18, v21, v18
	v_lshl_add_u64 v[16:17], v[46:47], 1, v[16:17]
	v_pk_min_f16 v18, v18, v19
	s_nop 0
	v_lshrrev_b32_e32 v19, 16, v18
	v_min3_f16 v18, v20, v18, v19
	global_store_short v[16:17], v18, off
.LBB268_284:
	s_or_b64 exec, exec, s[10:11]
	v_add_u32_e32 v20, 0x60, v52
	v_mad_i64_i32 v[16:17], s[18:19], v20, s25, 0
	v_cmp_gt_i32_e64 s[10:11], s13, v20
	v_lshl_add_u64 v[18:19], v[16:17], 1, s[16:17]
	v_mad_i64_i32 v[16:17], s[18:19], v20, s24, 0
	v_lshl_add_u64 v[16:17], v[16:17], 1, s[14:15]
	s_and_b64 s[20:21], s[2:3], s[10:11]
	s_and_saveexec_b64 s[18:19], s[20:21]
	s_cbranch_execnz .LBB268_288
; %bb.285:
	s_or_b64 exec, exec, s[18:19]
	s_and_b64 s[20:21], s[4:5], s[10:11]
	s_and_saveexec_b64 s[18:19], s[20:21]
	s_cbranch_execnz .LBB268_292
.LBB268_286:
	s_or_b64 exec, exec, s[18:19]
	s_and_b64 s[20:21], s[6:7], s[10:11]
	s_and_saveexec_b64 s[18:19], s[20:21]
	s_cbranch_execnz .LBB268_296
.LBB268_287:
	s_or_b64 exec, exec, s[18:19]
	s_and_b64 s[18:19], s[8:9], s[10:11]
	s_and_saveexec_b64 s[10:11], s[18:19]
	s_cbranch_execnz .LBB268_300
	s_branch .LBB268_304
.LBB268_288:
	s_and_b64 vcc, exec, s[0:1]
	s_cbranch_vccnz .LBB268_290
; %bb.289:
	v_lshl_add_u64 v[20:21], v[40:41], 1, v[18:19]
	flat_load_ushort v20, v[20:21]
	s_waitcnt vmcnt(0) lgkmcnt(0)
	v_mul_f16_e32 v20, s22, v20
	s_branch .LBB268_291
.LBB268_290:
	v_mov_b32_e32 v20, 0
.LBB268_291:
	v_pk_add_f16 v21, v8, v12
	v_pk_max_f16 v22, v73, v73
	s_nop 0
	v_pk_min_f16 v21, v22, v21
	v_pk_add_f16 v22, v9, v13
	s_nop 0
	v_pk_min_f16 v21, v21, v22
	s_nop 0
	v_lshrrev_b32_e32 v22, 16, v21
	v_min3_f16 v22, v20, v21, v22
	v_lshl_add_u64 v[20:21], v[40:41], 1, v[16:17]
	global_store_short v[20:21], v22, off
	s_or_b64 exec, exec, s[18:19]
	s_and_b64 s[20:21], s[4:5], s[10:11]
	s_and_saveexec_b64 s[18:19], s[20:21]
	s_cbranch_execz .LBB268_286
.LBB268_292:
	s_and_b64 vcc, exec, s[0:1]
	s_cbranch_vccnz .LBB268_294
; %bb.293:
	v_lshl_add_u64 v[20:21], v[42:43], 1, v[18:19]
	flat_load_ushort v20, v[20:21]
	s_waitcnt vmcnt(0) lgkmcnt(0)
	v_mul_f16_e32 v20, s22, v20
	s_branch .LBB268_295
.LBB268_294:
	v_mov_b32_e32 v20, 0
.LBB268_295:
	v_pk_add_f16 v21, v10, v12
	v_pk_max_f16 v22, v72, v72
	s_nop 0
	v_pk_min_f16 v21, v22, v21
	v_pk_add_f16 v22, v11, v13
	s_nop 0
	v_pk_min_f16 v21, v21, v22
	s_nop 0
	v_lshrrev_b32_e32 v22, 16, v21
	v_min3_f16 v22, v20, v21, v22
	v_lshl_add_u64 v[20:21], v[42:43], 1, v[16:17]
	global_store_short v[20:21], v22, off
	s_or_b64 exec, exec, s[18:19]
	s_and_b64 s[20:21], s[6:7], s[10:11]
	s_and_saveexec_b64 s[18:19], s[20:21]
	s_cbranch_execz .LBB268_287
.LBB268_296:
	s_and_b64 vcc, exec, s[0:1]
	s_cbranch_vccnz .LBB268_298
; %bb.297:
	v_lshl_add_u64 v[20:21], v[44:45], 1, v[18:19]
	flat_load_ushort v20, v[20:21]
	s_waitcnt vmcnt(0) lgkmcnt(0)
	v_mul_f16_e32 v20, s22, v20
	s_branch .LBB268_299
.LBB268_298:
	v_mov_b32_e32 v20, 0
.LBB268_299:
	v_pk_add_f16 v21, v0, v12
	v_pk_max_f16 v22, v71, v71
	s_nop 0
	v_pk_min_f16 v21, v22, v21
	v_pk_add_f16 v22, v1, v13
	s_nop 0
	v_pk_min_f16 v21, v21, v22
	s_nop 0
	v_lshrrev_b32_e32 v22, 16, v21
	v_min3_f16 v22, v20, v21, v22
	v_lshl_add_u64 v[20:21], v[44:45], 1, v[16:17]
	global_store_short v[20:21], v22, off
	s_or_b64 exec, exec, s[18:19]
	s_and_b64 s[18:19], s[8:9], s[10:11]
	s_and_saveexec_b64 s[10:11], s[18:19]
	s_cbranch_execz .LBB268_304
.LBB268_300:
	s_and_b64 vcc, exec, s[0:1]
	s_cbranch_vccnz .LBB268_302
; %bb.301:
	v_lshl_add_u64 v[18:19], v[46:47], 1, v[18:19]
	flat_load_ushort v18, v[18:19]
	s_waitcnt vmcnt(0) lgkmcnt(0)
	v_mul_f16_e32 v18, s22, v18
	s_branch .LBB268_303
.LBB268_302:
	v_mov_b32_e32 v18, 0
.LBB268_303:
	v_pk_add_f16 v12, v2, v12
	v_pk_max_f16 v19, v70, v70
	v_pk_add_f16 v13, v3, v13
	v_pk_min_f16 v12, v19, v12
	s_nop 0
	v_pk_min_f16 v12, v12, v13
	s_nop 0
	v_lshrrev_b32_e32 v13, 16, v12
	v_min3_f16 v18, v18, v12, v13
	v_lshl_add_u64 v[12:13], v[46:47], 1, v[16:17]
	global_store_short v[12:13], v18, off
.LBB268_304:
	s_or_b64 exec, exec, s[10:11]
	v_add_u32_e32 v18, 0x68, v52
	v_mad_i64_i32 v[12:13], s[18:19], v18, s25, 0
	v_cmp_gt_i32_e64 s[10:11], s13, v18
	v_lshl_add_u64 v[16:17], v[12:13], 1, s[16:17]
	v_mad_i64_i32 v[12:13], s[18:19], v18, s24, 0
	v_lshl_add_u64 v[12:13], v[12:13], 1, s[14:15]
	s_and_b64 s[20:21], s[2:3], s[10:11]
	s_and_saveexec_b64 s[18:19], s[20:21]
	s_cbranch_execnz .LBB268_308
; %bb.305:
	s_or_b64 exec, exec, s[18:19]
	s_and_b64 s[20:21], s[4:5], s[10:11]
	s_and_saveexec_b64 s[18:19], s[20:21]
	s_cbranch_execnz .LBB268_312
.LBB268_306:
	s_or_b64 exec, exec, s[18:19]
	s_and_b64 s[20:21], s[6:7], s[10:11]
	s_and_saveexec_b64 s[18:19], s[20:21]
	s_cbranch_execnz .LBB268_316
.LBB268_307:
	s_or_b64 exec, exec, s[18:19]
	s_and_b64 s[18:19], s[8:9], s[10:11]
	s_and_saveexec_b64 s[10:11], s[18:19]
	s_cbranch_execnz .LBB268_320
	s_branch .LBB268_324
.LBB268_308:
	s_and_b64 vcc, exec, s[0:1]
	s_cbranch_vccnz .LBB268_310
; %bb.309:
	v_lshl_add_u64 v[18:19], v[40:41], 1, v[16:17]
	flat_load_ushort v18, v[18:19]
	s_waitcnt vmcnt(0) lgkmcnt(0)
	v_mul_f16_e32 v18, s22, v18
	s_branch .LBB268_311
.LBB268_310:
	v_mov_b32_e32 v18, 0
.LBB268_311:
	v_pk_add_f16 v19, v8, v14
	v_pk_max_f16 v20, v69, v69
	s_nop 0
	v_pk_min_f16 v19, v20, v19
	v_pk_add_f16 v20, v9, v15
	s_nop 0
	v_pk_min_f16 v19, v19, v20
	s_nop 0
	v_lshrrev_b32_e32 v20, 16, v19
	v_min3_f16 v20, v18, v19, v20
	v_lshl_add_u64 v[18:19], v[40:41], 1, v[12:13]
	global_store_short v[18:19], v20, off
	s_or_b64 exec, exec, s[18:19]
	s_and_b64 s[20:21], s[4:5], s[10:11]
	s_and_saveexec_b64 s[18:19], s[20:21]
	s_cbranch_execz .LBB268_306
.LBB268_312:
	s_and_b64 vcc, exec, s[0:1]
	s_cbranch_vccnz .LBB268_314
; %bb.313:
	v_lshl_add_u64 v[18:19], v[42:43], 1, v[16:17]
	flat_load_ushort v18, v[18:19]
	s_waitcnt vmcnt(0) lgkmcnt(0)
	v_mul_f16_e32 v18, s22, v18
	s_branch .LBB268_315
.LBB268_314:
	v_mov_b32_e32 v18, 0
.LBB268_315:
	v_pk_add_f16 v19, v10, v14
	v_pk_max_f16 v20, v68, v68
	s_nop 0
	v_pk_min_f16 v19, v20, v19
	v_pk_add_f16 v20, v11, v15
	s_nop 0
	v_pk_min_f16 v19, v19, v20
	s_nop 0
	v_lshrrev_b32_e32 v20, 16, v19
	v_min3_f16 v20, v18, v19, v20
	v_lshl_add_u64 v[18:19], v[42:43], 1, v[12:13]
	global_store_short v[18:19], v20, off
	s_or_b64 exec, exec, s[18:19]
	s_and_b64 s[20:21], s[6:7], s[10:11]
	s_and_saveexec_b64 s[18:19], s[20:21]
	s_cbranch_execz .LBB268_307
.LBB268_316:
	s_and_b64 vcc, exec, s[0:1]
	s_cbranch_vccnz .LBB268_318
; %bb.317:
	v_lshl_add_u64 v[18:19], v[44:45], 1, v[16:17]
	flat_load_ushort v18, v[18:19]
	s_waitcnt vmcnt(0) lgkmcnt(0)
	v_mul_f16_e32 v18, s22, v18
	s_branch .LBB268_319
.LBB268_318:
	v_mov_b32_e32 v18, 0
.LBB268_319:
	v_pk_add_f16 v19, v0, v14
	v_pk_max_f16 v20, v67, v67
	s_nop 0
	v_pk_min_f16 v19, v20, v19
	v_pk_add_f16 v20, v1, v15
	s_nop 0
	v_pk_min_f16 v19, v19, v20
	s_nop 0
	v_lshrrev_b32_e32 v20, 16, v19
	v_min3_f16 v20, v18, v19, v20
	v_lshl_add_u64 v[18:19], v[44:45], 1, v[12:13]
	global_store_short v[18:19], v20, off
	s_or_b64 exec, exec, s[18:19]
	s_and_b64 s[18:19], s[8:9], s[10:11]
	s_and_saveexec_b64 s[10:11], s[18:19]
	s_cbranch_execz .LBB268_324
.LBB268_320:
	s_and_b64 vcc, exec, s[0:1]
	s_cbranch_vccnz .LBB268_322
; %bb.321:
	v_lshl_add_u64 v[16:17], v[46:47], 1, v[16:17]
	flat_load_ushort v16, v[16:17]
	s_waitcnt vmcnt(0) lgkmcnt(0)
	v_mul_f16_e32 v16, s22, v16
	s_branch .LBB268_323
.LBB268_322:
	v_mov_b32_e32 v16, 0
.LBB268_323:
	v_pk_add_f16 v14, v2, v14
	v_pk_max_f16 v17, v66, v66
	v_pk_add_f16 v15, v3, v15
	v_pk_min_f16 v14, v17, v14
	v_lshl_add_u64 v[12:13], v[46:47], 1, v[12:13]
	v_pk_min_f16 v14, v14, v15
	s_nop 0
	v_lshrrev_b32_e32 v15, 16, v14
	v_min3_f16 v14, v16, v14, v15
	global_store_short v[12:13], v14, off
.LBB268_324:
	s_or_b64 exec, exec, s[10:11]
	v_add_u32_e32 v16, 0x70, v52
	v_mad_i64_i32 v[12:13], s[18:19], v16, s25, 0
	v_cmp_gt_i32_e64 s[10:11], s13, v16
	v_lshl_add_u64 v[14:15], v[12:13], 1, s[16:17]
	v_mad_i64_i32 v[12:13], s[18:19], v16, s24, 0
	v_lshl_add_u64 v[12:13], v[12:13], 1, s[14:15]
	s_and_b64 s[20:21], s[2:3], s[10:11]
	s_and_saveexec_b64 s[18:19], s[20:21]
	s_cbranch_execnz .LBB268_328
; %bb.325:
	s_or_b64 exec, exec, s[18:19]
	s_and_b64 s[20:21], s[4:5], s[10:11]
	s_and_saveexec_b64 s[18:19], s[20:21]
	s_cbranch_execnz .LBB268_332
.LBB268_326:
	s_or_b64 exec, exec, s[18:19]
	s_and_b64 s[20:21], s[6:7], s[10:11]
	s_and_saveexec_b64 s[18:19], s[20:21]
	s_cbranch_execnz .LBB268_336
.LBB268_327:
	s_or_b64 exec, exec, s[18:19]
	s_and_b64 s[18:19], s[8:9], s[10:11]
	s_and_saveexec_b64 s[10:11], s[18:19]
	s_cbranch_execnz .LBB268_340
	s_branch .LBB268_344
.LBB268_328:
	s_and_b64 vcc, exec, s[0:1]
	s_cbranch_vccnz .LBB268_330
; %bb.329:
	v_lshl_add_u64 v[16:17], v[40:41], 1, v[14:15]
	flat_load_ushort v16, v[16:17]
	s_waitcnt vmcnt(0) lgkmcnt(0)
	v_mul_f16_e32 v16, s22, v16
	s_branch .LBB268_331
.LBB268_330:
	v_mov_b32_e32 v16, 0
.LBB268_331:
	v_pk_add_f16 v17, v8, v4
	v_pk_max_f16 v18, v65, v65
	s_nop 0
	v_pk_min_f16 v17, v18, v17
	v_pk_add_f16 v18, v9, v5
	s_nop 0
	v_pk_min_f16 v17, v17, v18
	s_nop 0
	v_lshrrev_b32_e32 v18, 16, v17
	v_min3_f16 v18, v16, v17, v18
	v_lshl_add_u64 v[16:17], v[40:41], 1, v[12:13]
	global_store_short v[16:17], v18, off
	s_or_b64 exec, exec, s[18:19]
	s_and_b64 s[20:21], s[4:5], s[10:11]
	s_and_saveexec_b64 s[18:19], s[20:21]
	s_cbranch_execz .LBB268_326
.LBB268_332:
	s_and_b64 vcc, exec, s[0:1]
	s_cbranch_vccnz .LBB268_334
; %bb.333:
	v_lshl_add_u64 v[16:17], v[42:43], 1, v[14:15]
	flat_load_ushort v16, v[16:17]
	s_waitcnt vmcnt(0) lgkmcnt(0)
	v_mul_f16_e32 v16, s22, v16
	s_branch .LBB268_335
.LBB268_334:
	v_mov_b32_e32 v16, 0
.LBB268_335:
	v_pk_add_f16 v17, v10, v4
	v_pk_max_f16 v18, v64, v64
	s_nop 0
	v_pk_min_f16 v17, v18, v17
	v_pk_add_f16 v18, v11, v5
	s_nop 0
	v_pk_min_f16 v17, v17, v18
	s_nop 0
	v_lshrrev_b32_e32 v18, 16, v17
	v_min3_f16 v18, v16, v17, v18
	v_lshl_add_u64 v[16:17], v[42:43], 1, v[12:13]
	global_store_short v[16:17], v18, off
	s_or_b64 exec, exec, s[18:19]
	s_and_b64 s[20:21], s[6:7], s[10:11]
	s_and_saveexec_b64 s[18:19], s[20:21]
	s_cbranch_execz .LBB268_327
.LBB268_336:
	s_and_b64 vcc, exec, s[0:1]
	s_cbranch_vccnz .LBB268_338
; %bb.337:
	v_lshl_add_u64 v[16:17], v[44:45], 1, v[14:15]
	flat_load_ushort v16, v[16:17]
	s_waitcnt vmcnt(0) lgkmcnt(0)
	v_mul_f16_e32 v16, s22, v16
	s_branch .LBB268_339
.LBB268_338:
	v_mov_b32_e32 v16, 0
.LBB268_339:
	v_pk_add_f16 v17, v0, v4
	v_pk_max_f16 v18, v63, v63
	s_nop 0
	v_pk_min_f16 v17, v18, v17
	v_pk_add_f16 v18, v1, v5
	s_nop 0
	v_pk_min_f16 v17, v17, v18
	s_nop 0
	v_lshrrev_b32_e32 v18, 16, v17
	v_min3_f16 v18, v16, v17, v18
	v_lshl_add_u64 v[16:17], v[44:45], 1, v[12:13]
	global_store_short v[16:17], v18, off
	s_or_b64 exec, exec, s[18:19]
	s_and_b64 s[18:19], s[8:9], s[10:11]
	s_and_saveexec_b64 s[10:11], s[18:19]
	s_cbranch_execz .LBB268_344
.LBB268_340:
	s_and_b64 vcc, exec, s[0:1]
	s_cbranch_vccnz .LBB268_342
; %bb.341:
	v_lshl_add_u64 v[14:15], v[46:47], 1, v[14:15]
	flat_load_ushort v14, v[14:15]
	s_waitcnt vmcnt(0) lgkmcnt(0)
	v_mul_f16_e32 v14, s22, v14
	s_branch .LBB268_343
.LBB268_342:
	v_mov_b32_e32 v14, 0
.LBB268_343:
	v_pk_add_f16 v4, v2, v4
	v_pk_max_f16 v15, v62, v62
	v_pk_add_f16 v5, v3, v5
	v_pk_min_f16 v4, v15, v4
	s_nop 0
	v_pk_min_f16 v4, v4, v5
	s_nop 0
	v_lshrrev_b32_e32 v5, 16, v4
	v_min3_f16 v14, v14, v4, v5
	v_lshl_add_u64 v[4:5], v[46:47], 1, v[12:13]
	global_store_short v[4:5], v14, off
.LBB268_344:
	s_or_b64 exec, exec, s[10:11]
	v_add_u32_e32 v14, 0x78, v52
	v_cmp_gt_i32_e64 s[10:11], s13, v14
	v_mad_i64_i32 v[4:5], s[12:13], v14, s25, 0
	v_lshl_add_u64 v[12:13], v[4:5], 1, s[16:17]
	v_mad_i64_i32 v[4:5], s[12:13], v14, s24, 0
	v_lshl_add_u64 v[4:5], v[4:5], 1, s[14:15]
	s_and_b64 s[12:13], s[2:3], s[10:11]
	s_and_saveexec_b64 s[2:3], s[12:13]
	s_cbranch_execnz .LBB268_349
; %bb.345:
	s_or_b64 exec, exec, s[2:3]
	s_and_b64 s[4:5], s[4:5], s[10:11]
	s_and_saveexec_b64 s[2:3], s[4:5]
	s_cbranch_execnz .LBB268_353
.LBB268_346:
	s_or_b64 exec, exec, s[2:3]
	s_and_b64 s[4:5], s[6:7], s[10:11]
	s_and_saveexec_b64 s[2:3], s[4:5]
	s_cbranch_execnz .LBB268_357
.LBB268_347:
	s_or_b64 exec, exec, s[2:3]
	s_and_b64 s[2:3], s[8:9], s[10:11]
	s_and_saveexec_b64 s[4:5], s[2:3]
	s_cbranch_execnz .LBB268_361
.LBB268_348:
	s_endpgm
.LBB268_349:
	s_and_b64 vcc, exec, s[0:1]
	s_cbranch_vccnz .LBB268_351
; %bb.350:
	v_lshl_add_u64 v[14:15], v[40:41], 1, v[12:13]
	flat_load_ushort v14, v[14:15]
	s_waitcnt vmcnt(0) lgkmcnt(0)
	v_mul_f16_e32 v14, s22, v14
	s_branch .LBB268_352
.LBB268_351:
	v_mov_b32_e32 v14, 0
.LBB268_352:
	v_pk_add_f16 v8, v8, v6
	v_pk_max_f16 v15, v60, v60
	v_pk_add_f16 v9, v9, v7
	v_pk_min_f16 v8, v15, v8
	s_nop 0
	v_pk_min_f16 v8, v8, v9
	s_nop 0
	v_lshrrev_b32_e32 v9, 16, v8
	v_min3_f16 v14, v14, v8, v9
	v_lshl_add_u64 v[8:9], v[40:41], 1, v[4:5]
	global_store_short v[8:9], v14, off
	s_or_b64 exec, exec, s[2:3]
	s_and_b64 s[4:5], s[4:5], s[10:11]
	s_and_saveexec_b64 s[2:3], s[4:5]
	s_cbranch_execz .LBB268_346
.LBB268_353:
	s_and_b64 vcc, exec, s[0:1]
	s_cbranch_vccnz .LBB268_355
; %bb.354:
	v_lshl_add_u64 v[8:9], v[42:43], 1, v[12:13]
	flat_load_ushort v8, v[8:9]
	s_waitcnt vmcnt(0) lgkmcnt(0)
	v_mul_f16_e32 v8, s22, v8
	s_branch .LBB268_356
.LBB268_355:
	v_mov_b32_e32 v8, 0
.LBB268_356:
	v_pk_add_f16 v9, v10, v6
	v_pk_max_f16 v10, v59, v59
	s_nop 0
	v_pk_min_f16 v9, v10, v9
	v_pk_add_f16 v10, v11, v7
	s_nop 0
	v_pk_min_f16 v9, v9, v10
	s_nop 0
	v_lshrrev_b32_e32 v10, 16, v9
	v_min3_f16 v10, v8, v9, v10
	v_lshl_add_u64 v[8:9], v[42:43], 1, v[4:5]
	global_store_short v[8:9], v10, off
	s_or_b64 exec, exec, s[2:3]
	s_and_b64 s[4:5], s[6:7], s[10:11]
	s_and_saveexec_b64 s[2:3], s[4:5]
	s_cbranch_execz .LBB268_347
.LBB268_357:
	s_and_b64 vcc, exec, s[0:1]
	s_cbranch_vccnz .LBB268_359
; %bb.358:
	v_lshl_add_u64 v[8:9], v[44:45], 1, v[12:13]
	flat_load_ushort v8, v[8:9]
	s_waitcnt vmcnt(0) lgkmcnt(0)
	v_mul_f16_e32 v8, s22, v8
	s_branch .LBB268_360
.LBB268_359:
	v_mov_b32_e32 v8, 0
.LBB268_360:
	v_pk_add_f16 v0, v0, v6
	v_pk_max_f16 v9, v58, v58
	v_pk_add_f16 v1, v1, v7
	v_pk_min_f16 v0, v9, v0
	s_nop 0
	v_pk_min_f16 v0, v0, v1
	s_nop 0
	v_lshrrev_b32_e32 v1, 16, v0
	v_min3_f16 v8, v8, v0, v1
	v_lshl_add_u64 v[0:1], v[44:45], 1, v[4:5]
	global_store_short v[0:1], v8, off
	s_or_b64 exec, exec, s[2:3]
	s_and_b64 s[2:3], s[8:9], s[10:11]
	s_and_saveexec_b64 s[4:5], s[2:3]
	s_cbranch_execz .LBB268_348
.LBB268_361:
	s_and_b64 vcc, exec, s[0:1]
	s_cbranch_vccnz .LBB268_363
; %bb.362:
	v_lshl_add_u64 v[0:1], v[46:47], 1, v[12:13]
	flat_load_ushort v0, v[0:1]
	s_waitcnt vmcnt(0) lgkmcnt(0)
	v_mul_f16_e32 v0, s22, v0
	s_branch .LBB268_364
.LBB268_363:
	v_mov_b32_e32 v0, 0
.LBB268_364:
	v_pk_add_f16 v1, v2, v6
	v_pk_max_f16 v2, v61, v61
	s_nop 0
	v_pk_min_f16 v1, v2, v1
	v_pk_add_f16 v2, v3, v7
	s_nop 0
	v_pk_min_f16 v1, v1, v2
	s_nop 0
	v_lshrrev_b32_e32 v2, 16, v1
	v_min3_f16 v2, v0, v1, v2
	v_lshl_add_u64 v[0:1], v[46:47], 1, v[4:5]
	global_store_short v[0:1], v2, off
	s_endpgm
	.section	.rodata,"a",@progbits
	.p2align	6, 0x0
	.amdhsa_kernel _ZN12_GLOBAL__N_120geam_min_plus_kernelIDF16_Dv2_DF16_S1_Li32ELi8ELi128ELi128ELi4ELi4ELi64ELi4ELi64ELc84ELc78ELb1ELb1ELb1EDF16_KDF16_DF16_EEviiiT16_PT17_ilS5_ilS3_S5_ilPT18_ili26rocblas_geam_ex_operation_
		.amdhsa_group_segment_fixed_size 4096
		.amdhsa_private_segment_fixed_size 0
		.amdhsa_kernarg_size 128
		.amdhsa_user_sgpr_count 2
		.amdhsa_user_sgpr_dispatch_ptr 0
		.amdhsa_user_sgpr_queue_ptr 0
		.amdhsa_user_sgpr_kernarg_segment_ptr 1
		.amdhsa_user_sgpr_dispatch_id 0
		.amdhsa_user_sgpr_kernarg_preload_length 0
		.amdhsa_user_sgpr_kernarg_preload_offset 0
		.amdhsa_user_sgpr_private_segment_size 0
		.amdhsa_uses_dynamic_stack 0
		.amdhsa_enable_private_segment 0
		.amdhsa_system_sgpr_workgroup_id_x 1
		.amdhsa_system_sgpr_workgroup_id_y 0
		.amdhsa_system_sgpr_workgroup_id_z 1
		.amdhsa_system_sgpr_workgroup_info 0
		.amdhsa_system_vgpr_workitem_id 1
		.amdhsa_next_free_vgpr 165
		.amdhsa_next_free_sgpr 36
		.amdhsa_accum_offset 168
		.amdhsa_reserve_vcc 1
		.amdhsa_float_round_mode_32 0
		.amdhsa_float_round_mode_16_64 0
		.amdhsa_float_denorm_mode_32 3
		.amdhsa_float_denorm_mode_16_64 3
		.amdhsa_dx10_clamp 1
		.amdhsa_ieee_mode 1
		.amdhsa_fp16_overflow 0
		.amdhsa_tg_split 0
		.amdhsa_exception_fp_ieee_invalid_op 0
		.amdhsa_exception_fp_denorm_src 0
		.amdhsa_exception_fp_ieee_div_zero 0
		.amdhsa_exception_fp_ieee_overflow 0
		.amdhsa_exception_fp_ieee_underflow 0
		.amdhsa_exception_fp_ieee_inexact 0
		.amdhsa_exception_int_div_zero 0
	.end_amdhsa_kernel
	.section	.text._ZN12_GLOBAL__N_120geam_min_plus_kernelIDF16_Dv2_DF16_S1_Li32ELi8ELi128ELi128ELi4ELi4ELi64ELi4ELi64ELc84ELc78ELb1ELb1ELb1EDF16_KDF16_DF16_EEviiiT16_PT17_ilS5_ilS3_S5_ilPT18_ili26rocblas_geam_ex_operation_,"axG",@progbits,_ZN12_GLOBAL__N_120geam_min_plus_kernelIDF16_Dv2_DF16_S1_Li32ELi8ELi128ELi128ELi4ELi4ELi64ELi4ELi64ELc84ELc78ELb1ELb1ELb1EDF16_KDF16_DF16_EEviiiT16_PT17_ilS5_ilS3_S5_ilPT18_ili26rocblas_geam_ex_operation_,comdat
.Lfunc_end268:
	.size	_ZN12_GLOBAL__N_120geam_min_plus_kernelIDF16_Dv2_DF16_S1_Li32ELi8ELi128ELi128ELi4ELi4ELi64ELi4ELi64ELc84ELc78ELb1ELb1ELb1EDF16_KDF16_DF16_EEviiiT16_PT17_ilS5_ilS3_S5_ilPT18_ili26rocblas_geam_ex_operation_, .Lfunc_end268-_ZN12_GLOBAL__N_120geam_min_plus_kernelIDF16_Dv2_DF16_S1_Li32ELi8ELi128ELi128ELi4ELi4ELi64ELi4ELi64ELc84ELc78ELb1ELb1ELb1EDF16_KDF16_DF16_EEviiiT16_PT17_ilS5_ilS3_S5_ilPT18_ili26rocblas_geam_ex_operation_
                                        ; -- End function
	.section	.AMDGPU.csdata,"",@progbits
; Kernel info:
; codeLenInByte = 19668
; NumSgprs: 42
; NumVgprs: 165
; NumAgprs: 0
; TotalNumVgprs: 165
; ScratchSize: 0
; MemoryBound: 0
; FloatMode: 240
; IeeeMode: 1
; LDSByteSize: 4096 bytes/workgroup (compile time only)
; SGPRBlocks: 5
; VGPRBlocks: 20
; NumSGPRsForWavesPerEU: 42
; NumVGPRsForWavesPerEU: 165
; AccumOffset: 168
; Occupancy: 3
; WaveLimiterHint : 0
; COMPUTE_PGM_RSRC2:SCRATCH_EN: 0
; COMPUTE_PGM_RSRC2:USER_SGPR: 2
; COMPUTE_PGM_RSRC2:TRAP_HANDLER: 0
; COMPUTE_PGM_RSRC2:TGID_X_EN: 1
; COMPUTE_PGM_RSRC2:TGID_Y_EN: 0
; COMPUTE_PGM_RSRC2:TGID_Z_EN: 1
; COMPUTE_PGM_RSRC2:TIDIG_COMP_CNT: 1
; COMPUTE_PGM_RSRC3_GFX90A:ACCUM_OFFSET: 41
; COMPUTE_PGM_RSRC3_GFX90A:TG_SPLIT: 0
	.section	.text._ZN12_GLOBAL__N_120geam_min_plus_kernelIDF16_Dv2_DF16_S1_Li32ELi8ELi128ELi128ELi4ELi4ELi64ELi4ELi64ELc84ELc78ELb0ELb1ELb1EDF16_KDF16_DF16_EEviiiT16_PT17_ilS5_ilS3_S5_ilPT18_ili26rocblas_geam_ex_operation_,"axG",@progbits,_ZN12_GLOBAL__N_120geam_min_plus_kernelIDF16_Dv2_DF16_S1_Li32ELi8ELi128ELi128ELi4ELi4ELi64ELi4ELi64ELc84ELc78ELb0ELb1ELb1EDF16_KDF16_DF16_EEviiiT16_PT17_ilS5_ilS3_S5_ilPT18_ili26rocblas_geam_ex_operation_,comdat
	.globl	_ZN12_GLOBAL__N_120geam_min_plus_kernelIDF16_Dv2_DF16_S1_Li32ELi8ELi128ELi128ELi4ELi4ELi64ELi4ELi64ELc84ELc78ELb0ELb1ELb1EDF16_KDF16_DF16_EEviiiT16_PT17_ilS5_ilS3_S5_ilPT18_ili26rocblas_geam_ex_operation_ ; -- Begin function _ZN12_GLOBAL__N_120geam_min_plus_kernelIDF16_Dv2_DF16_S1_Li32ELi8ELi128ELi128ELi4ELi4ELi64ELi4ELi64ELc84ELc78ELb0ELb1ELb1EDF16_KDF16_DF16_EEviiiT16_PT17_ilS5_ilS3_S5_ilPT18_ili26rocblas_geam_ex_operation_
	.p2align	8
	.type	_ZN12_GLOBAL__N_120geam_min_plus_kernelIDF16_Dv2_DF16_S1_Li32ELi8ELi128ELi128ELi4ELi4ELi64ELi4ELi64ELc84ELc78ELb0ELb1ELb1EDF16_KDF16_DF16_EEviiiT16_PT17_ilS5_ilS3_S5_ilPT18_ili26rocblas_geam_ex_operation_,@function
_ZN12_GLOBAL__N_120geam_min_plus_kernelIDF16_Dv2_DF16_S1_Li32ELi8ELi128ELi128ELi4ELi4ELi64ELi4ELi64ELc84ELc78ELb0ELb1ELb1EDF16_KDF16_DF16_EEviiiT16_PT17_ilS5_ilS3_S5_ilPT18_ili26rocblas_geam_ex_operation_: ; @_ZN12_GLOBAL__N_120geam_min_plus_kernelIDF16_Dv2_DF16_S1_Li32ELi8ELi128ELi128ELi4ELi4ELi64ELi4ELi64ELc84ELc78ELb0ELb1ELb1EDF16_KDF16_DF16_EEviiiT16_PT17_ilS5_ilS3_S5_ilPT18_ili26rocblas_geam_ex_operation_
; %bb.0:
	s_load_dwordx4 s[16:19], s[0:1], 0x0
	s_load_dwordx4 s[4:7], s[0:1], 0x20
	s_waitcnt lgkmcnt(0)
	v_cmp_eq_f16_e64 s[8:9], s19, 0
	s_and_b64 vcc, exec, s[8:9]
	s_cbranch_vccnz .LBB269_3
; %bb.1:
	s_load_dwordx2 s[10:11], s[0:1], 0x10
	s_mul_i32 s5, s3, s5
	s_mul_hi_u32 s12, s3, s4
	s_add_i32 s5, s12, s5
	s_mul_i32 s4, s3, s4
	s_lshl_b64 s[4:5], s[4:5], 1
	s_waitcnt lgkmcnt(0)
	s_add_u32 s26, s10, s4
	s_addc_u32 s27, s11, s5
	s_andn2_b64 vcc, exec, s[8:9]
	s_cbranch_vccnz .LBB269_4
.LBB269_2:
	s_mov_b32 s25, 0
	s_mov_b64 s[28:29], 0
	s_cbranch_execz .LBB269_5
	s_branch .LBB269_6
.LBB269_3:
	s_mov_b64 s[26:27], 0
	s_andn2_b64 vcc, exec, s[8:9]
	s_cbranch_vccz .LBB269_2
.LBB269_4:
                                        ; implicit-def: $sgpr28_sgpr29
                                        ; implicit-def: $sgpr24_sgpr25
.LBB269_5:
	s_load_dwordx2 s[4:5], s[0:1], 0x38
	s_mov_b32 s25, 0
	s_waitcnt lgkmcnt(0)
	s_mul_i32 s5, s3, s5
	s_mul_hi_u32 s8, s3, s4
	s_add_i32 s5, s8, s5
	s_mul_i32 s4, s3, s4
	s_lshl_b64 s[4:5], s[4:5], 1
	s_add_u32 s28, s6, s4
	s_addc_u32 s29, s7, s5
.LBB269_6:
	s_load_dword s24, s[0:1], 0x40
	s_load_dwordx4 s[12:15], s[0:1], 0x58
	s_waitcnt lgkmcnt(0)
	v_cmp_eq_f16_e64 s[4:5], s24, 0
	v_cmp_neq_f16_e64 s[22:23], s24, 0
	s_and_b64 vcc, exec, s[4:5]
	s_cbranch_vccnz .LBB269_8
; %bb.7:
	s_load_dwordx2 s[4:5], s[0:1], 0x48
	s_mul_i32 s6, s3, s13
	s_mul_hi_u32 s7, s3, s12
	s_add_i32 s6, s7, s6
	s_mul_i32 s7, s25, s12
	s_add_i32 s7, s6, s7
	s_mul_i32 s6, s3, s12
	s_lshl_b64 s[6:7], s[6:7], 1
	s_waitcnt lgkmcnt(0)
	s_add_u32 s20, s4, s6
	s_addc_u32 s21, s5, s7
	s_branch .LBB269_9
.LBB269_8:
	s_mov_b64 s[20:21], 0
.LBB269_9:
	s_add_i32 s6, s16, -1
	s_ashr_i32 s4, s6, 31
	s_lshr_b32 s4, s4, 25
	s_add_i32 s4, s6, s4
	s_ashr_i32 s4, s4, 7
	s_add_i32 s5, s4, 1
	v_cvt_f32_u32_e32 v1, s5
	s_not_b32 s4, s4
	v_and_b32_e32 v85, 0x3ff, v0
	v_bfe_u32 v86, v0, 10, 10
	v_rcp_iflag_f32_e32 v1, v1
	v_lshl_add_u32 v0, v86, 5, v85
	v_lshrrev_b32_e32 v4, 2, v0
	s_load_dword s36, s[0:1], 0x18
	v_mul_f32_e32 v1, 0x4f7ffffe, v1
	v_cvt_u32_f32_e32 v1, v1
	v_and_b32_e32 v95, 3, v85
	v_cmp_eq_f16_e64 s[30:31], s19, 0
	v_mov_b32_e32 v6, 0x7c00
	v_readfirstlane_b32 s7, v1
	s_mul_i32 s4, s4, s7
	s_mul_hi_u32 s4, s7, s4
	s_add_i32 s7, s7, s4
	s_mul_hi_u32 s4, s2, s7
	s_mul_i32 s7, s4, s5
	s_sub_i32 s7, s2, s7
	s_add_i32 s8, s4, 1
	s_sub_i32 s9, s7, s5
	s_cmp_ge_u32 s7, s5
	s_cselect_b32 s4, s8, s4
	s_cselect_b32 s7, s9, s7
	s_add_i32 s8, s4, 1
	s_cmp_ge_u32 s7, s5
	s_cselect_b32 s7, s8, s4
	s_mul_i32 s4, s7, s5
	s_sub_i32 s2, s2, s4
	s_lshl_b32 s2, s2, 7
	v_add_u32_e32 v40, s2, v4
	v_cmp_le_i32_e64 s[8:9], s18, v95
	s_add_i32 s34, s18, -1
	v_cmp_le_i32_e32 vcc, s16, v40
	v_min_i32_e32 v0, s34, v95
	s_or_b64 s[4:5], s[8:9], vcc
	v_ashrrev_i32_e32 v1, 31, v0
	v_cndmask_b32_e64 v5, 0, v6, s[4:5]
	s_or_b64 s[4:5], s[30:31], s[4:5]
	v_lshl_add_u64 v[2:3], v[0:1], 1, s[26:27]
	s_xor_b64 s[10:11], s[4:5], -1
	s_and_saveexec_b64 s[4:5], s[10:11]
	s_cbranch_execz .LBB269_11
; %bb.10:
	s_waitcnt lgkmcnt(0)
	v_mad_i64_i32 v[8:9], s[10:11], v40, s36, 0
	v_lshl_add_u64 v[8:9], v[8:9], 1, v[2:3]
	flat_load_ushort v5, v[8:9]
	s_waitcnt vmcnt(0) lgkmcnt(0)
	v_mul_f16_e32 v5, s19, v5
.LBB269_11:
	s_or_b64 exec, exec, s[4:5]
	v_add_u32_e32 v7, 64, v40
	v_cmp_le_i32_e64 s[10:11], s16, v7
	s_or_b64 s[4:5], s[8:9], s[10:11]
	v_cndmask_b32_e64 v6, 0, v6, s[4:5]
	s_or_b64 s[4:5], s[30:31], s[4:5]
	v_min_i32_e32 v42, s6, v7
	s_xor_b64 s[12:13], s[4:5], -1
	s_and_saveexec_b64 s[4:5], s[12:13]
	s_cbranch_execz .LBB269_13
; %bb.12:
	s_waitcnt lgkmcnt(0)
	v_mad_i64_i32 v[6:7], s[12:13], v42, s36, 0
	v_lshl_add_u64 v[2:3], v[6:7], 1, v[2:3]
	flat_load_ushort v2, v[2:3]
	s_waitcnt vmcnt(0) lgkmcnt(0)
	v_mul_f16_e32 v6, s19, v2
.LBB269_13:
	s_or_b64 exec, exec, s[4:5]
	s_lshl_b32 s33, s7, 7
	s_load_dword s37, s[0:1], 0x30
	v_add_u32_e32 v44, s33, v4
	v_cmp_le_i32_e64 s[4:5], s17, v44
	v_mov_b32_e32 v2, 0x7c00
	s_or_b64 s[6:7], s[8:9], s[4:5]
	v_cndmask_b32_e64 v7, 0, v2, s[6:7]
	s_or_b64 s[6:7], s[30:31], s[6:7]
	v_lshl_add_u64 v[0:1], v[0:1], 1, s[28:29]
	s_xor_b64 s[12:13], s[6:7], -1
	s_and_saveexec_b64 s[6:7], s[12:13]
	s_cbranch_execz .LBB269_15
; %bb.14:
	s_waitcnt lgkmcnt(0)
	v_mad_i64_i32 v[8:9], s[12:13], v44, s37, 0
	v_lshl_add_u64 v[8:9], v[8:9], 1, v[0:1]
	flat_load_ushort v3, v[8:9]
	s_waitcnt vmcnt(0) lgkmcnt(0)
	v_mul_f16_e32 v7, s19, v3
.LBB269_15:
	s_or_b64 exec, exec, s[6:7]
	v_add_u32_e32 v3, 64, v44
	v_cmp_le_i32_e64 s[6:7], s17, v3
	s_or_b64 s[8:9], s[8:9], s[6:7]
	s_add_i32 s12, s17, -1
	v_cndmask_b32_e64 v8, 0, v2, s[8:9]
	s_or_b64 s[8:9], s[30:31], s[8:9]
	v_min_i32_e32 v46, s12, v3
	s_xor_b64 s[12:13], s[8:9], -1
	s_and_saveexec_b64 s[8:9], s[12:13]
	s_cbranch_execz .LBB269_17
; %bb.16:
	s_waitcnt lgkmcnt(0)
	v_mad_i64_i32 v[2:3], s[12:13], v46, s37, 0
	v_lshl_add_u64 v[0:1], v[2:3], 1, v[0:1]
	flat_load_ushort v0, v[0:1]
	s_waitcnt vmcnt(0) lgkmcnt(0)
	v_mul_f16_e32 v8, s19, v0
.LBB269_17:
	s_or_b64 exec, exec, s[8:9]
	v_or_b32_e32 v0, 4, v95
	v_cmp_le_i32_e64 s[8:9], s18, v0
	v_min_i32_e32 v0, s34, v0
	v_mov_b32_e32 v9, 0x7c00
	s_or_b64 s[12:13], s[8:9], vcc
	v_ashrrev_i32_e32 v1, 31, v0
	v_cndmask_b32_e64 v41, 0, v9, s[12:13]
	s_or_b64 s[12:13], s[30:31], s[12:13]
	v_lshl_add_u64 v[2:3], v[0:1], 1, s[26:27]
	s_xor_b64 s[38:39], s[12:13], -1
	s_and_saveexec_b64 s[12:13], s[38:39]
	s_cbranch_execz .LBB269_19
; %bb.18:
	s_waitcnt lgkmcnt(0)
	v_mad_i64_i32 v[10:11], s[38:39], v40, s36, 0
	v_lshl_add_u64 v[10:11], v[10:11], 1, v[2:3]
	flat_load_ushort v10, v[10:11]
	s_waitcnt vmcnt(0) lgkmcnt(0)
	v_mul_f16_e32 v41, s19, v10
.LBB269_19:
	s_or_b64 exec, exec, s[12:13]
	s_or_b64 s[12:13], s[8:9], s[10:11]
	v_cndmask_b32_e64 v43, 0, v9, s[12:13]
	s_or_b64 s[12:13], s[30:31], s[12:13]
	s_xor_b64 s[38:39], s[12:13], -1
	s_and_saveexec_b64 s[12:13], s[38:39]
	s_cbranch_execz .LBB269_21
; %bb.20:
	s_waitcnt lgkmcnt(0)
	v_mad_i64_i32 v[10:11], s[38:39], v42, s36, 0
	v_lshl_add_u64 v[2:3], v[10:11], 1, v[2:3]
	flat_load_ushort v2, v[2:3]
	s_waitcnt vmcnt(0) lgkmcnt(0)
	v_mul_f16_e32 v43, s19, v2
.LBB269_21:
	s_or_b64 exec, exec, s[12:13]
	v_mov_b32_e32 v2, 0x7c00
	s_or_b64 s[12:13], s[8:9], s[4:5]
	v_cndmask_b32_e64 v45, 0, v2, s[12:13]
	s_or_b64 s[12:13], s[30:31], s[12:13]
	v_lshl_add_u64 v[0:1], v[0:1], 1, s[28:29]
	s_xor_b64 s[38:39], s[12:13], -1
	s_and_saveexec_b64 s[12:13], s[38:39]
	s_cbranch_execz .LBB269_23
; %bb.22:
	s_waitcnt lgkmcnt(0)
	v_mad_i64_i32 v[10:11], s[38:39], v44, s37, 0
	v_lshl_add_u64 v[10:11], v[10:11], 1, v[0:1]
	flat_load_ushort v3, v[10:11]
	s_waitcnt vmcnt(0) lgkmcnt(0)
	v_mul_f16_e32 v45, s19, v3
.LBB269_23:
	s_or_b64 exec, exec, s[12:13]
	s_or_b64 s[8:9], s[8:9], s[6:7]
	v_cndmask_b32_e64 v47, 0, v2, s[8:9]
	s_or_b64 s[8:9], s[30:31], s[8:9]
	s_xor_b64 s[38:39], s[8:9], -1
	s_movk_i32 s12, 0x7c00
	s_and_saveexec_b64 s[8:9], s[38:39]
	s_cbranch_execz .LBB269_25
; %bb.24:
	s_waitcnt lgkmcnt(0)
	v_mad_i64_i32 v[2:3], s[38:39], v46, s37, 0
	v_lshl_add_u64 v[0:1], v[2:3], 1, v[0:1]
	flat_load_ushort v0, v[0:1]
	s_waitcnt vmcnt(0) lgkmcnt(0)
	v_mul_f16_e32 v47, s19, v0
.LBB269_25:
	s_or_b64 exec, exec, s[8:9]
	v_lshlrev_b32_e32 v0, 1, v95
	v_lshl_or_b32 v105, v4, 3, v0
	v_lshlrev_b32_e32 v97, 3, v85
	v_lshlrev_b32_e32 v98, 3, v86
	ds_write_b16 v105, v5
	ds_write_b16 v105, v6 offset:512
	ds_write_b16 v105, v7 offset:2048
	ds_write_b16 v105, v8 offset:2560
	s_waitcnt lgkmcnt(0)
	s_barrier
	ds_read2_b64 v[4:7], v97 offset1:32
	ds_read2_b64 v[0:3], v97 offset0:64 offset1:96
	v_add_u32_e32 v106, 0x800, v98
	ds_read2_b64 v[36:39], v106 offset1:8
	ds_read2_b64 v[32:35], v106 offset0:16 offset1:24
	ds_read2_b64 v[28:31], v106 offset0:32 offset1:40
	;; [unrolled: 1-line block ×7, first 2 shown]
	s_cmp_lt_i32 s18, 9
	s_waitcnt lgkmcnt(7)
	v_pk_add_f16 v48, v4, v36
	s_waitcnt lgkmcnt(2)
	v_pk_add_f16 v78, v4, v16
	v_pk_min_f16 v48, v48, s12 op_sel_hi:[1,0]
	v_pk_min_f16 v123, v78, s12 op_sel_hi:[1,0]
	v_pk_add_f16 v78, v6, v16
	v_pk_add_f16 v49, v6, v36
	v_pk_min_f16 v124, v78, s12 op_sel_hi:[1,0]
	v_pk_add_f16 v78, v0, v16
	v_pk_add_f16 v50, v0, v36
	;; [unrolled: 3-line block ×5, first 2 shown]
	v_pk_min_f16 v128, v78, s12 op_sel_hi:[1,0]
	s_waitcnt lgkmcnt(1)
	v_pk_add_f16 v78, v4, v12
	v_pk_add_f16 v53, v0, v38
	v_pk_min_f16 v129, v78, s12 op_sel_hi:[1,0]
	v_pk_add_f16 v78, v6, v12
	v_pk_add_f16 v38, v2, v38
	v_pk_min_f16 v130, v78, s12 op_sel_hi:[1,0]
	;; [unrolled: 3-line block ×6, first 2 shown]
	s_waitcnt lgkmcnt(0)
	v_pk_add_f16 v78, v4, v8
	v_pk_add_f16 v57, v4, v34
	v_pk_min_f16 v135, v78, s12 op_sel_hi:[1,0]
	v_pk_add_f16 v78, v6, v8
	v_pk_add_f16 v58, v6, v34
	;; [unrolled: 1-line block ×32, first 2 shown]
	v_pk_min_f16 v136, v78, s12 op_sel_hi:[1,0]
	v_pk_add_f16 v78, v0, v8
	v_pk_add_f16 v8, v2, v8
	;; [unrolled: 1-line block ×7, first 2 shown]
	v_pk_min_f16 v49, v49, s12 op_sel_hi:[1,0]
	v_pk_min_f16 v122, v48, v10
	v_pk_add_f16 v10, v7, v37
	v_pk_min_f16 v50, v50, s12 op_sel_hi:[1,0]
	v_pk_min_f16 v121, v49, v10
	v_pk_add_f16 v10, v1, v37
	;; [unrolled: 3-line block ×37, first 2 shown]
	v_pk_min_f16 v77, v77, s12 op_sel_hi:[1,0]
	v_pk_min_f16 v137, v78, s12 op_sel_hi:[1,0]
	v_pk_min_f16 v78, v76, v10
	v_pk_add_f16 v10, v1, v23
	v_pk_min_f16 v22, v22, s12 op_sel_hi:[1,0]
	v_pk_min_f16 v77, v77, v10
	v_pk_add_f16 v10, v3, v23
	;; [unrolled: 3-line block ×11, first 2 shown]
	ds_write_b16 v105, v41 offset:1024
	ds_write_b16 v105, v43 offset:1536
	;; [unrolled: 1-line block ×4, first 2 shown]
	v_pk_min_f16 v67, v129, v10
	v_pk_add_f16 v10, v7, v13
	s_waitcnt lgkmcnt(0)
	v_pk_min_f16 v66, v130, v10
	v_pk_add_f16 v10, v1, v13
	s_barrier
	v_pk_min_f16 v65, v131, v10
	v_pk_add_f16 v10, v3, v13
	s_nop 0
	v_pk_min_f16 v64, v12, v10
	v_pk_add_f16 v10, v5, v15
	s_nop 0
	;; [unrolled: 3-line block ×5, first 2 shown]
	v_pk_min_f16 v60, v14, v10
	v_pk_add_f16 v10, v5, v9
	v_pk_add_f16 v5, v5, v11
	v_pk_min_f16 v59, v135, v10
	v_pk_add_f16 v10, v7, v9
	v_pk_min_f16 v54, v4, v5
	v_pk_min_f16 v58, v136, v10
	v_pk_add_f16 v10, v1, v9
	v_pk_add_f16 v1, v1, v11
	;; [unrolled: 1-line block ×4, first 2 shown]
	v_pk_min_f16 v52, v0, v1
	v_pk_add_f16 v0, v3, v11
	v_pk_min_f16 v57, v137, v10
	v_pk_min_f16 v56, v8, v9
	;; [unrolled: 1-line block ×4, first 2 shown]
	s_cbranch_scc1 .LBB269_44
; %bb.26:
	v_mov_b32_e32 v0, 0x400
	v_lshl_add_u32 v126, v85, 3, v0
	v_mov_b32_e32 v0, 0xc00
	v_add_u32_e32 v123, 0x800, v105
	v_add_u32_e32 v124, 0x400, v105
	;; [unrolled: 1-line block ×3, first 2 shown]
	s_add_i32 s35, s18, -8
	v_mad_i64_i32 v[40:41], s[8:9], v40, s36, 0
	v_mad_i64_i32 v[42:43], s[8:9], v42, s36, 0
	;; [unrolled: 1-line block ×4, first 2 shown]
	v_lshl_add_u32 v127, v86, 3, v0
	s_mov_b32 s36, 0
	v_mov_b32_e32 v128, 0x7c00
	s_branch .LBB269_28
.LBB269_27:                             ;   in Loop: Header=BB269_28 Depth=1
	s_or_b64 exec, exec, s[8:9]
	ds_read2_b64 v[4:7], v97 offset1:32
	ds_read2_b64 v[0:3], v97 offset0:64 offset1:96
	ds_read2_b64 v[132:135], v106 offset1:8
	ds_read2_b64 v[136:139], v106 offset0:16 offset1:24
	ds_read2_b64 v[28:31], v106 offset0:32 offset1:40
	ds_read2_b64 v[24:27], v106 offset0:48 offset1:56
	ds_read2_b64 v[20:23], v106 offset0:64 offset1:72
	ds_read2_b64 v[16:19], v106 offset0:80 offset1:88
	ds_read2_b64 v[12:15], v106 offset0:96 offset1:104
	ds_read2_b64 v[8:11], v106 offset0:112 offset1:120
	s_waitcnt lgkmcnt(7)
	v_pk_add_f16 v48, v4, v132
	v_pk_max_f16 v49, v114, v114
	v_pk_max_f16 v113, v113, v113
	v_pk_min_f16 v48, v49, v48
	v_pk_add_f16 v49, v6, v132
	v_pk_max_f16 v112, v112, v112
	v_pk_min_f16 v49, v113, v49
	v_pk_add_f16 v113, v0, v132
	;; [unrolled: 3-line block ×7, first 2 shown]
	v_pk_max_f16 v104, v104, v104
	v_pk_min_f16 v107, v107, v113
	s_waitcnt lgkmcnt(6)
	v_pk_add_f16 v113, v4, v136
	v_pk_max_f16 v103, v103, v103
	v_pk_min_f16 v104, v104, v113
	v_pk_add_f16 v113, v6, v136
	v_pk_max_f16 v102, v102, v102
	v_pk_min_f16 v103, v103, v113
	;; [unrolled: 3-line block ×8, first 2 shown]
	s_waitcnt lgkmcnt(5)
	v_pk_add_f16 v113, v4, v28
	v_pk_max_f16 v92, v92, v92
	v_pk_min_f16 v93, v93, v113
	v_pk_add_f16 v113, v6, v28
	v_pk_max_f16 v90, v90, v90
	v_pk_min_f16 v92, v92, v113
	v_pk_add_f16 v113, v0, v28
	v_pk_add_f16 v28, v2, v28
	v_pk_max_f16 v89, v89, v89
	v_pk_min_f16 v28, v90, v28
	v_pk_add_f16 v90, v4, v30
	v_pk_max_f16 v88, v88, v88
	v_pk_min_f16 v89, v89, v90
	v_pk_add_f16 v90, v6, v30
	v_pk_max_f16 v84, v84, v84
	v_pk_min_f16 v88, v88, v90
	v_pk_add_f16 v90, v0, v30
	v_pk_add_f16 v30, v2, v30
	v_pk_max_f16 v83, v83, v83
	v_pk_min_f16 v30, v84, v30
	s_waitcnt lgkmcnt(4)
	v_pk_add_f16 v84, v4, v24
	v_pk_max_f16 v82, v82, v82
	v_pk_min_f16 v83, v83, v84
	v_pk_add_f16 v84, v6, v24
	v_pk_max_f16 v80, v80, v80
	v_pk_min_f16 v82, v82, v84
	v_pk_add_f16 v84, v0, v24
	v_pk_add_f16 v24, v2, v24
	v_pk_max_f16 v79, v79, v79
	v_pk_min_f16 v24, v80, v24
	v_pk_add_f16 v80, v4, v26
	v_pk_max_f16 v78, v78, v78
	v_pk_min_f16 v79, v79, v80
	v_pk_add_f16 v80, v6, v26
	v_pk_max_f16 v76, v76, v76
	v_pk_min_f16 v78, v78, v80
	v_pk_add_f16 v80, v0, v26
	v_pk_add_f16 v26, v2, v26
	v_pk_max_f16 v75, v75, v75
	v_pk_min_f16 v26, v76, v26
	;; [unrolled: 21-line block ×5, first 2 shown]
	s_waitcnt lgkmcnt(0)
	v_pk_add_f16 v52, v4, v8
	v_pk_max_f16 v39, v39, v39
	v_pk_min_f16 v51, v51, v52
	v_pk_add_f16 v52, v6, v8
	v_pk_add_f16 v4, v4, v10
	v_pk_min_f16 v39, v39, v52
	v_pk_add_f16 v52, v0, v8
	v_pk_add_f16 v8, v2, v8
	;; [unrolled: 1-line block ×5, first 2 shown]
	v_pk_max_f16 v10, v33, v33
	v_pk_max_f16 v91, v91, v91
	v_pk_min_f16 v2, v10, v2
	v_pk_add_f16 v10, v5, v133
	v_pk_min_f16 v91, v91, v113
	v_pk_min_f16 v122, v48, v10
	v_pk_add_f16 v10, v7, v133
	v_pk_max_f16 v87, v87, v87
	v_pk_min_f16 v121, v49, v10
	v_pk_add_f16 v10, v1, v133
	v_pk_min_f16 v87, v87, v90
	v_pk_min_f16 v120, v112, v10
	v_pk_add_f16 v10, v3, v133
	;; [unrolled: 6-line block ×10, first 2 shown]
	v_pk_max_f16 v36, v36, v36
	v_pk_min_f16 v101, v28, v10
	v_pk_add_f16 v10, v5, v31
	v_pk_max_f16 v34, v34, v34
	v_pk_min_f16 v100, v89, v10
	v_pk_add_f16 v10, v7, v31
	;; [unrolled: 3-line block ×4, first 2 shown]
	v_pk_min_f16 v4, v36, v4
	v_pk_min_f16 v94, v30, v10
	v_pk_add_f16 v10, v5, v25
	v_pk_max_f16 v35, v35, v35
	v_pk_min_f16 v93, v83, v10
	v_pk_add_f16 v10, v7, v25
	v_pk_min_f16 v0, v34, v0
	v_pk_min_f16 v92, v82, v10
	v_pk_add_f16 v10, v1, v25
	v_pk_min_f16 v38, v38, v52
	v_pk_min_f16 v91, v81, v10
	v_pk_add_f16 v10, v3, v25
	v_pk_min_f16 v8, v37, v8
	v_pk_min_f16 v90, v24, v10
	v_pk_add_f16 v10, v5, v27
	v_pk_min_f16 v6, v35, v6
	v_pk_min_f16 v89, v79, v10
	v_pk_add_f16 v10, v7, v27
	s_add_i32 s36, s36, 8
	v_pk_min_f16 v88, v78, v10
	v_pk_add_f16 v10, v1, v27
	s_cmp_ge_i32 s36, s35
	v_pk_min_f16 v87, v77, v10
	v_pk_add_f16 v10, v3, v27
	ds_write_b16 v124, v129
	ds_write_b16 v124, v130 offset:512
	ds_write_b16 v125, v50
	ds_write_b16 v125, v32 offset:512
	v_pk_min_f16 v84, v26, v10
	v_pk_add_f16 v10, v5, v21
	s_waitcnt lgkmcnt(0)
	v_pk_min_f16 v83, v75, v10
	v_pk_add_f16 v10, v7, v21
	s_barrier
	v_pk_min_f16 v82, v74, v10
	v_pk_add_f16 v10, v1, v21
	s_nop 0
	v_pk_min_f16 v81, v73, v10
	v_pk_add_f16 v10, v3, v21
	s_nop 0
	;; [unrolled: 3-line block ×22, first 2 shown]
	v_pk_min_f16 v60, v14, v10
	v_pk_add_f16 v10, v5, v9
	v_pk_add_f16 v5, v5, v11
	v_pk_min_f16 v59, v51, v10
	v_pk_add_f16 v10, v7, v9
	v_pk_min_f16 v54, v4, v5
	v_pk_min_f16 v58, v39, v10
	v_pk_add_f16 v10, v1, v9
	v_pk_add_f16 v1, v1, v11
	;; [unrolled: 1-line block ×4, first 2 shown]
	v_pk_min_f16 v52, v0, v1
	v_pk_add_f16 v0, v3, v11
	v_pk_min_f16 v57, v38, v10
	v_pk_min_f16 v56, v8, v9
	;; [unrolled: 1-line block ×4, first 2 shown]
	s_cbranch_scc1 .LBB269_44
.LBB269_28:                             ; =>This Inner Loop Header: Depth=1
	v_add_u32_e32 v48, s36, v95
	v_add_u32_e32 v0, 8, v48
	v_cmp_le_i32_e64 s[8:9], s18, v0
	v_min_i32_e32 v0, s34, v0
	s_or_b64 s[12:13], vcc, s[8:9]
	v_ashrrev_i32_e32 v1, 31, v0
	v_cndmask_b32_e64 v49, 0, v128, s[12:13]
	s_or_b64 s[12:13], s[30:31], s[12:13]
	v_lshl_add_u64 v[2:3], v[0:1], 1, s[26:27]
	s_xor_b64 s[38:39], s[12:13], -1
	s_and_saveexec_b64 s[12:13], s[38:39]
	s_cbranch_execz .LBB269_30
; %bb.29:                               ;   in Loop: Header=BB269_28 Depth=1
	v_lshl_add_u64 v[4:5], v[40:41], 1, v[2:3]
	flat_load_ushort v4, v[4:5]
	s_waitcnt vmcnt(0) lgkmcnt(0)
	v_mul_f16_e32 v49, s19, v4
.LBB269_30:                             ;   in Loop: Header=BB269_28 Depth=1
	s_or_b64 exec, exec, s[12:13]
	s_or_b64 s[12:13], s[10:11], s[8:9]
	v_cndmask_b32_e64 v50, 0, v128, s[12:13]
	s_or_b64 s[12:13], s[30:31], s[12:13]
	s_xor_b64 s[38:39], s[12:13], -1
	s_and_saveexec_b64 s[12:13], s[38:39]
	s_cbranch_execz .LBB269_32
; %bb.31:                               ;   in Loop: Header=BB269_28 Depth=1
	v_lshl_add_u64 v[2:3], v[42:43], 1, v[2:3]
	flat_load_ushort v2, v[2:3]
	s_waitcnt vmcnt(0) lgkmcnt(0)
	v_mul_f16_e32 v50, s19, v2
.LBB269_32:                             ;   in Loop: Header=BB269_28 Depth=1
	s_or_b64 exec, exec, s[12:13]
	s_or_b64 s[12:13], s[4:5], s[8:9]
	v_cndmask_b32_e64 v51, 0, v128, s[12:13]
	s_or_b64 s[12:13], s[30:31], s[12:13]
	v_lshl_add_u64 v[0:1], v[0:1], 1, s[28:29]
	s_xor_b64 s[38:39], s[12:13], -1
	s_and_saveexec_b64 s[12:13], s[38:39]
	s_cbranch_execz .LBB269_34
; %bb.33:                               ;   in Loop: Header=BB269_28 Depth=1
	v_lshl_add_u64 v[2:3], v[44:45], 1, v[0:1]
	flat_load_ushort v2, v[2:3]
	s_waitcnt vmcnt(0) lgkmcnt(0)
	v_mul_f16_e32 v51, s19, v2
.LBB269_34:                             ;   in Loop: Header=BB269_28 Depth=1
	s_or_b64 exec, exec, s[12:13]
	s_or_b64 s[8:9], s[6:7], s[8:9]
	v_cndmask_b32_e64 v129, 0, v128, s[8:9]
	s_or_b64 s[8:9], s[30:31], s[8:9]
	s_xor_b64 s[12:13], s[8:9], -1
	s_and_saveexec_b64 s[8:9], s[12:13]
	s_cbranch_execz .LBB269_36
; %bb.35:                               ;   in Loop: Header=BB269_28 Depth=1
	v_lshl_add_u64 v[0:1], v[46:47], 1, v[0:1]
	flat_load_ushort v0, v[0:1]
	s_waitcnt vmcnt(0) lgkmcnt(0)
	v_mul_f16_e32 v129, s19, v0
.LBB269_36:                             ;   in Loop: Header=BB269_28 Depth=1
	s_or_b64 exec, exec, s[8:9]
	ds_read2_b64 v[4:7], v126 offset1:32
	ds_read2_b64 v[0:3], v126 offset0:64 offset1:96
	ds_read2_b64 v[36:39], v127 offset1:8
	ds_read2_b64 v[32:35], v127 offset0:16 offset1:24
	ds_read2_b64 v[28:31], v127 offset0:32 offset1:40
	;; [unrolled: 1-line block ×7, first 2 shown]
	v_add_u32_e32 v48, 12, v48
	v_cmp_le_i32_e64 s[8:9], s18, v48
	v_min_i32_e32 v48, s34, v48
	s_or_b64 s[12:13], vcc, s[8:9]
	ds_write_b16 v105, v49
	ds_write_b16 v105, v50 offset:512
	ds_write_b16 v123, v51
	ds_write_b16 v123, v129 offset:512
	v_ashrrev_i32_e32 v49, 31, v48
	v_cndmask_b32_e64 v129, 0, v128, s[12:13]
	s_or_b64 s[12:13], s[30:31], s[12:13]
	v_lshl_add_u64 v[50:51], v[48:49], 1, s[26:27]
	s_xor_b64 s[12:13], s[12:13], -1
	s_waitcnt lgkmcnt(0)
	s_barrier
	s_and_saveexec_b64 s[38:39], s[12:13]
	s_xor_b64 s[12:13], exec, s[38:39]
	s_cbranch_execz .LBB269_38
; %bb.37:                               ;   in Loop: Header=BB269_28 Depth=1
	v_lshl_add_u64 v[130:131], v[40:41], 1, v[50:51]
	flat_load_ushort v129, v[130:131]
	s_waitcnt vmcnt(0) lgkmcnt(0)
	v_mul_f16_e32 v129, s19, v129
.LBB269_38:                             ;   in Loop: Header=BB269_28 Depth=1
	s_or_b64 exec, exec, s[12:13]
	s_or_b64 s[12:13], s[10:11], s[8:9]
	v_cndmask_b32_e64 v130, 0, v128, s[12:13]
	s_or_b64 s[12:13], s[30:31], s[12:13]
	s_xor_b64 s[38:39], s[12:13], -1
	s_and_saveexec_b64 s[12:13], s[38:39]
	s_cbranch_execz .LBB269_40
; %bb.39:                               ;   in Loop: Header=BB269_28 Depth=1
	v_lshl_add_u64 v[50:51], v[42:43], 1, v[50:51]
	flat_load_ushort v50, v[50:51]
	s_waitcnt vmcnt(0) lgkmcnt(0)
	v_mul_f16_e32 v130, s19, v50
.LBB269_40:                             ;   in Loop: Header=BB269_28 Depth=1
	s_or_b64 exec, exec, s[12:13]
	s_or_b64 s[12:13], s[4:5], s[8:9]
	v_cndmask_b32_e64 v50, 0, v128, s[12:13]
	s_or_b64 s[12:13], s[30:31], s[12:13]
	v_lshl_add_u64 v[48:49], v[48:49], 1, s[28:29]
	s_xor_b64 s[38:39], s[12:13], -1
	s_and_saveexec_b64 s[12:13], s[38:39]
	s_cbranch_execz .LBB269_42
; %bb.41:                               ;   in Loop: Header=BB269_28 Depth=1
	v_lshl_add_u64 v[50:51], v[44:45], 1, v[48:49]
	flat_load_ushort v50, v[50:51]
	s_waitcnt vmcnt(0) lgkmcnt(0)
	v_mul_f16_e32 v50, s19, v50
.LBB269_42:                             ;   in Loop: Header=BB269_28 Depth=1
	s_or_b64 exec, exec, s[12:13]
	v_pk_add_f16 v51, v4, v36
	v_pk_max_f16 v122, v122, v122
	v_pk_max_f16 v121, v121, v121
	v_pk_min_f16 v51, v122, v51
	v_pk_add_f16 v122, v6, v36
	v_pk_max_f16 v119, v119, v119
	v_pk_min_f16 v121, v121, v122
	v_pk_add_f16 v122, v0, v36
	v_pk_add_f16 v36, v2, v36
	v_pk_max_f16 v118, v118, v118
	v_pk_min_f16 v36, v119, v36
	v_pk_add_f16 v119, v4, v38
	v_pk_max_f16 v117, v117, v117
	v_pk_min_f16 v118, v118, v119
	;; [unrolled: 3-line block ×3, first 2 shown]
	v_pk_add_f16 v119, v0, v38
	v_pk_add_f16 v38, v2, v38
	v_pk_max_f16 v114, v114, v114
	v_pk_min_f16 v38, v115, v38
	v_pk_add_f16 v115, v4, v32
	v_pk_max_f16 v116, v116, v116
	v_pk_min_f16 v115, v114, v115
	;; [unrolled: 3-line block ×3, first 2 shown]
	v_pk_min_f16 v119, v113, v114
	v_pk_add_f16 v113, v0, v32
	v_pk_add_f16 v32, v2, v32
	v_pk_max_f16 v111, v111, v111
	v_pk_max_f16 v110, v110, v110
	v_pk_min_f16 v32, v111, v32
	v_pk_add_f16 v111, v4, v34
	v_pk_max_f16 v109, v109, v109
	v_pk_min_f16 v131, v110, v111
	v_pk_add_f16 v110, v6, v34
	v_pk_max_f16 v107, v107, v107
	v_pk_min_f16 v132, v109, v110
	v_pk_add_f16 v109, v0, v34
	v_pk_add_f16 v34, v2, v34
	v_pk_max_f16 v104, v104, v104
	v_pk_min_f16 v34, v107, v34
	v_pk_add_f16 v107, v4, v28
	v_pk_max_f16 v103, v103, v103
	v_pk_min_f16 v134, v104, v107
	v_pk_add_f16 v104, v6, v28
	v_pk_max_f16 v101, v101, v101
	v_pk_min_f16 v135, v103, v104
	v_pk_add_f16 v103, v0, v28
	v_pk_add_f16 v28, v2, v28
	;; [unrolled: 10-line block ×11, first 2 shown]
	v_pk_max_f16 v59, v59, v59
	v_pk_min_f16 v14, v60, v14
	v_pk_add_f16 v60, v4, v8
	v_pk_max_f16 v58, v58, v58
	v_pk_min_f16 v164, v59, v60
	v_pk_add_f16 v59, v6, v8
	v_pk_add_f16 v4, v4, v10
	v_pk_min_f16 v165, v58, v59
	v_pk_add_f16 v58, v0, v8
	v_pk_add_f16 v8, v2, v8
	;; [unrolled: 1-line block ×5, first 2 shown]
	v_pk_max_f16 v10, v55, v55
	v_pk_max_f16 v120, v120, v120
	v_pk_min_f16 v2, v10, v2
	v_pk_add_f16 v10, v5, v37
	v_pk_max_f16 v112, v112, v112
	v_pk_min_f16 v114, v51, v10
	v_pk_add_f16 v10, v7, v37
	v_pk_min_f16 v120, v120, v122
	v_pk_min_f16 v122, v112, v113
	;; [unrolled: 1-line block ×3, first 2 shown]
	v_pk_add_f16 v10, v1, v37
	v_pk_max_f16 v108, v108, v108
	v_pk_min_f16 v112, v120, v10
	v_pk_add_f16 v10, v3, v37
	v_pk_min_f16 v133, v108, v109
	v_pk_min_f16 v111, v36, v10
	v_pk_add_f16 v10, v5, v39
	v_pk_max_f16 v102, v102, v102
	v_pk_min_f16 v110, v118, v10
	v_pk_add_f16 v10, v7, v39
	v_pk_min_f16 v136, v102, v103
	v_pk_min_f16 v109, v117, v10
	;; [unrolled: 6-line block ×16, first 2 shown]
	v_pk_add_f16 v10, v1, v21
	s_or_b64 s[8:9], s[6:7], s[8:9]
	v_pk_min_f16 v73, v148, v10
	v_pk_add_f16 v10, v3, v21
	v_cndmask_b32_e64 v32, 0, v128, s[8:9]
	v_pk_min_f16 v72, v20, v10
	v_pk_add_f16 v10, v5, v23
	s_or_b64 s[8:9], s[30:31], s[8:9]
	v_pk_min_f16 v71, v149, v10
	v_pk_add_f16 v10, v7, v23
	s_xor_b64 s[12:13], s[8:9], -1
	v_pk_min_f16 v70, v150, v10
	v_pk_add_f16 v10, v1, v23
	s_nop 0
	v_pk_min_f16 v69, v151, v10
	v_pk_add_f16 v10, v3, v23
	s_nop 0
	;; [unrolled: 3-line block ×18, first 2 shown]
	v_pk_min_f16 v52, v14, v10
	v_pk_add_f16 v10, v5, v9
	v_pk_add_f16 v5, v5, v11
	v_pk_min_f16 v51, v164, v10
	v_pk_add_f16 v10, v7, v9
	v_pk_min_f16 v36, v4, v5
	v_pk_min_f16 v39, v165, v10
	v_pk_add_f16 v10, v1, v9
	v_pk_add_f16 v1, v1, v11
	;; [unrolled: 1-line block ×4, first 2 shown]
	v_pk_min_f16 v34, v0, v1
	v_pk_add_f16 v0, v3, v11
	v_pk_min_f16 v38, v166, v10
	v_pk_min_f16 v37, v8, v9
	;; [unrolled: 1-line block ×4, first 2 shown]
	s_and_saveexec_b64 s[8:9], s[12:13]
	s_cbranch_execz .LBB269_27
; %bb.43:                               ;   in Loop: Header=BB269_28 Depth=1
	v_lshl_add_u64 v[0:1], v[46:47], 1, v[48:49]
	flat_load_ushort v0, v[0:1]
	s_waitcnt vmcnt(0) lgkmcnt(0)
	v_mul_f16_e32 v32, s19, v0
	s_branch .LBB269_27
.LBB269_44:
	s_load_dwordx2 s[4:5], s[0:1], 0x70
	s_load_dword s19, s[0:1], 0x50
	s_load_dword s18, s[0:1], 0x68
	v_add_u32_e32 v4, 0x800, v98
	ds_read2_b64 v[8:11], v97 offset0:128 offset1:160
	ds_read2_b64 v[0:3], v97 offset0:192 offset1:224
	;; [unrolled: 1-line block ×10, first 2 shown]
	s_waitcnt lgkmcnt(0)
	s_mul_i32 s0, s3, s5
	s_mul_hi_u32 s1, s3, s4
	s_mul_i32 s5, s25, s4
	s_add_i32 s0, s1, s0
	s_add_i32 s1, s0, s5
	s_mul_i32 s0, s3, s4
	s_lshl_b64 s[0:1], s[0:1], 1
	s_add_u32 s12, s14, s0
	v_add_u32_e32 v40, s2, v85
	v_add_u32_e32 v85, s33, v86
	s_addc_u32 s13, s15, s1
	v_mad_i64_i32 v[42:43], s[0:1], v85, s19, 0
	v_lshl_add_u64 v[50:51], v[42:43], 1, s[20:21]
	v_mad_i64_i32 v[42:43], s[0:1], v85, s18, 0
	v_cmp_gt_i32_e64 s[2:3], s16, v40
	v_cmp_gt_i32_e64 s[10:11], s17, v85
	v_lshl_add_u64 v[48:49], v[42:43], 1, s[12:13]
	v_cndmask_b32_e64 v42, 0, 1, s[22:23]
	v_ashrrev_i32_e32 v41, 31, v40
	s_and_b64 s[4:5], s[2:3], s[10:11]
	v_cmp_ne_u32_e64 s[0:1], 1, v42
	s_and_saveexec_b64 s[6:7], s[4:5]
	s_xor_b64 s[4:5], exec, s[6:7]
	s_cbranch_execz .LBB269_49
; %bb.45:
	s_and_b64 vcc, exec, s[0:1]
	s_cbranch_vccnz .LBB269_47
; %bb.46:
	v_lshl_add_u64 v[42:43], v[40:41], 1, v[50:51]
	flat_load_ushort v42, v[42:43]
	s_waitcnt vmcnt(0) lgkmcnt(0)
	v_mul_f16_e32 v42, s24, v42
	s_branch .LBB269_48
.LBB269_47:
	v_mov_b32_e32 v42, 0
.LBB269_48:
	v_pk_add_f16 v43, v8, v36
	v_pk_max_f16 v44, v122, v122
	s_nop 0
	v_pk_min_f16 v43, v44, v43
	v_pk_add_f16 v44, v9, v37
	s_nop 0
	v_pk_min_f16 v43, v43, v44
	s_nop 0
	v_lshrrev_b32_e32 v44, 16, v43
	v_min3_f16 v44, v42, v43, v44
	v_lshl_add_u64 v[42:43], v[40:41], 1, v[48:49]
	global_store_short v[42:43], v44, off
.LBB269_49:
	s_or_b64 exec, exec, s[4:5]
	v_add_u32_e32 v42, 32, v40
	v_cmp_gt_i32_e64 s[4:5], s16, v42
	v_ashrrev_i32_e32 v43, 31, v42
	s_and_b64 s[8:9], s[4:5], s[10:11]
	s_and_saveexec_b64 s[6:7], s[8:9]
	s_cbranch_execz .LBB269_54
; %bb.50:
	s_and_b64 vcc, exec, s[0:1]
	s_cbranch_vccnz .LBB269_52
; %bb.51:
	v_lshl_add_u64 v[44:45], v[42:43], 1, v[50:51]
	flat_load_ushort v44, v[44:45]
	s_waitcnt vmcnt(0) lgkmcnt(0)
	v_mul_f16_e32 v44, s24, v44
	s_branch .LBB269_53
.LBB269_52:
	v_mov_b32_e32 v44, 0
.LBB269_53:
	v_pk_add_f16 v45, v10, v36
	v_pk_max_f16 v46, v121, v121
	s_nop 0
	v_pk_min_f16 v45, v46, v45
	v_pk_add_f16 v46, v11, v37
	s_nop 0
	v_pk_min_f16 v45, v45, v46
	s_nop 0
	v_lshrrev_b32_e32 v46, 16, v45
	v_min3_f16 v46, v44, v45, v46
	v_lshl_add_u64 v[44:45], v[42:43], 1, v[48:49]
	global_store_short v[44:45], v46, off
.LBB269_54:
	s_or_b64 exec, exec, s[6:7]
	v_add_u32_e32 v44, 64, v40
	v_cmp_gt_i32_e64 s[6:7], s16, v44
	v_ashrrev_i32_e32 v45, 31, v44
	s_and_b64 s[14:15], s[6:7], s[10:11]
	s_and_saveexec_b64 s[8:9], s[14:15]
	;; [unrolled: 32-line block ×3, first 2 shown]
	s_cbranch_execz .LBB269_64
; %bb.60:
	s_and_b64 vcc, exec, s[0:1]
	s_cbranch_vccnz .LBB269_62
; %bb.61:
	v_lshl_add_u64 v[50:51], v[46:47], 1, v[50:51]
	flat_load_ushort v50, v[50:51]
	s_waitcnt vmcnt(0) lgkmcnt(0)
	v_mul_f16_e32 v50, s24, v50
	s_branch .LBB269_63
.LBB269_62:
	v_mov_b32_e32 v50, 0
.LBB269_63:
	v_pk_add_f16 v36, v2, v36
	v_pk_max_f16 v51, v119, v119
	v_pk_add_f16 v37, v3, v37
	v_pk_min_f16 v36, v51, v36
	s_nop 0
	v_pk_min_f16 v36, v36, v37
	s_nop 0
	v_lshrrev_b32_e32 v37, 16, v36
	v_min3_f16 v50, v50, v36, v37
	v_lshl_add_u64 v[36:37], v[46:47], 1, v[48:49]
	global_store_short v[36:37], v50, off
.LBB269_64:
	s_or_b64 exec, exec, s[10:11]
	v_add_u32_e32 v50, 8, v85
	v_mad_i64_i32 v[36:37], s[14:15], v50, s19, 0
	v_cmp_gt_i32_e64 s[10:11], s17, v50
	v_lshl_add_u64 v[48:49], v[36:37], 1, s[20:21]
	v_mad_i64_i32 v[36:37], s[14:15], v50, s18, 0
	v_lshl_add_u64 v[36:37], v[36:37], 1, s[12:13]
	s_and_b64 s[22:23], s[2:3], s[10:11]
	s_and_saveexec_b64 s[14:15], s[22:23]
	s_cbranch_execnz .LBB269_68
; %bb.65:
	s_or_b64 exec, exec, s[14:15]
	s_and_b64 s[22:23], s[4:5], s[10:11]
	s_and_saveexec_b64 s[14:15], s[22:23]
	s_cbranch_execnz .LBB269_72
.LBB269_66:
	s_or_b64 exec, exec, s[14:15]
	s_and_b64 s[22:23], s[6:7], s[10:11]
	s_and_saveexec_b64 s[14:15], s[22:23]
	s_cbranch_execnz .LBB269_76
.LBB269_67:
	s_or_b64 exec, exec, s[14:15]
	s_and_b64 s[14:15], s[8:9], s[10:11]
	s_and_saveexec_b64 s[10:11], s[14:15]
	s_cbranch_execnz .LBB269_80
	s_branch .LBB269_84
.LBB269_68:
	s_and_b64 vcc, exec, s[0:1]
	s_cbranch_vccnz .LBB269_70
; %bb.69:
	v_lshl_add_u64 v[50:51], v[40:41], 1, v[48:49]
	flat_load_ushort v50, v[50:51]
	s_waitcnt vmcnt(0) lgkmcnt(0)
	v_mul_f16_e32 v50, s24, v50
	s_branch .LBB269_71
.LBB269_70:
	v_mov_b32_e32 v50, 0
.LBB269_71:
	v_pk_add_f16 v51, v8, v38
	v_pk_max_f16 v86, v118, v118
	s_nop 0
	v_pk_min_f16 v51, v86, v51
	v_pk_add_f16 v86, v9, v39
	s_nop 0
	v_pk_min_f16 v51, v51, v86
	s_nop 0
	v_lshrrev_b32_e32 v86, 16, v51
	v_min3_f16 v86, v50, v51, v86
	v_lshl_add_u64 v[50:51], v[40:41], 1, v[36:37]
	global_store_short v[50:51], v86, off
	s_or_b64 exec, exec, s[14:15]
	s_and_b64 s[22:23], s[4:5], s[10:11]
	s_and_saveexec_b64 s[14:15], s[22:23]
	s_cbranch_execz .LBB269_66
.LBB269_72:
	s_and_b64 vcc, exec, s[0:1]
	s_cbranch_vccnz .LBB269_74
; %bb.73:
	v_lshl_add_u64 v[50:51], v[42:43], 1, v[48:49]
	flat_load_ushort v50, v[50:51]
	s_waitcnt vmcnt(0) lgkmcnt(0)
	v_mul_f16_e32 v50, s24, v50
	s_branch .LBB269_75
.LBB269_74:
	v_mov_b32_e32 v50, 0
.LBB269_75:
	v_pk_add_f16 v51, v10, v38
	v_pk_max_f16 v86, v117, v117
	s_nop 0
	v_pk_min_f16 v51, v86, v51
	v_pk_add_f16 v86, v11, v39
	s_nop 0
	v_pk_min_f16 v51, v51, v86
	s_nop 0
	v_lshrrev_b32_e32 v86, 16, v51
	v_min3_f16 v86, v50, v51, v86
	v_lshl_add_u64 v[50:51], v[42:43], 1, v[36:37]
	global_store_short v[50:51], v86, off
	s_or_b64 exec, exec, s[14:15]
	s_and_b64 s[22:23], s[6:7], s[10:11]
	s_and_saveexec_b64 s[14:15], s[22:23]
	s_cbranch_execz .LBB269_67
.LBB269_76:
	s_and_b64 vcc, exec, s[0:1]
	s_cbranch_vccnz .LBB269_78
; %bb.77:
	v_lshl_add_u64 v[50:51], v[44:45], 1, v[48:49]
	flat_load_ushort v50, v[50:51]
	s_waitcnt vmcnt(0) lgkmcnt(0)
	v_mul_f16_e32 v50, s24, v50
	s_branch .LBB269_79
.LBB269_78:
	v_mov_b32_e32 v50, 0
.LBB269_79:
	v_pk_add_f16 v51, v0, v38
	v_pk_max_f16 v86, v116, v116
	s_nop 0
	v_pk_min_f16 v51, v86, v51
	v_pk_add_f16 v86, v1, v39
	s_nop 0
	v_pk_min_f16 v51, v51, v86
	s_nop 0
	v_lshrrev_b32_e32 v86, 16, v51
	v_min3_f16 v86, v50, v51, v86
	v_lshl_add_u64 v[50:51], v[44:45], 1, v[36:37]
	global_store_short v[50:51], v86, off
	s_or_b64 exec, exec, s[14:15]
	s_and_b64 s[14:15], s[8:9], s[10:11]
	s_and_saveexec_b64 s[10:11], s[14:15]
	s_cbranch_execz .LBB269_84
.LBB269_80:
	s_and_b64 vcc, exec, s[0:1]
	s_cbranch_vccnz .LBB269_82
; %bb.81:
	v_lshl_add_u64 v[48:49], v[46:47], 1, v[48:49]
	flat_load_ushort v48, v[48:49]
	s_waitcnt vmcnt(0) lgkmcnt(0)
	v_mul_f16_e32 v48, s24, v48
	s_branch .LBB269_83
.LBB269_82:
	v_mov_b32_e32 v48, 0
.LBB269_83:
	v_pk_add_f16 v38, v2, v38
	v_pk_max_f16 v49, v115, v115
	v_pk_add_f16 v39, v3, v39
	v_pk_min_f16 v38, v49, v38
	v_lshl_add_u64 v[36:37], v[46:47], 1, v[36:37]
	v_pk_min_f16 v38, v38, v39
	s_nop 0
	v_lshrrev_b32_e32 v39, 16, v38
	v_min3_f16 v38, v48, v38, v39
	global_store_short v[36:37], v38, off
.LBB269_84:
	s_or_b64 exec, exec, s[10:11]
	v_add_u32_e32 v48, 16, v85
	v_mad_i64_i32 v[36:37], s[14:15], v48, s19, 0
	v_cmp_gt_i32_e64 s[10:11], s17, v48
	v_lshl_add_u64 v[38:39], v[36:37], 1, s[20:21]
	v_mad_i64_i32 v[36:37], s[14:15], v48, s18, 0
	v_lshl_add_u64 v[36:37], v[36:37], 1, s[12:13]
	s_and_b64 s[22:23], s[2:3], s[10:11]
	s_and_saveexec_b64 s[14:15], s[22:23]
	s_cbranch_execnz .LBB269_88
; %bb.85:
	s_or_b64 exec, exec, s[14:15]
	s_and_b64 s[22:23], s[4:5], s[10:11]
	s_and_saveexec_b64 s[14:15], s[22:23]
	s_cbranch_execnz .LBB269_92
.LBB269_86:
	s_or_b64 exec, exec, s[14:15]
	s_and_b64 s[22:23], s[6:7], s[10:11]
	s_and_saveexec_b64 s[14:15], s[22:23]
	s_cbranch_execnz .LBB269_96
.LBB269_87:
	s_or_b64 exec, exec, s[14:15]
	s_and_b64 s[14:15], s[8:9], s[10:11]
	s_and_saveexec_b64 s[10:11], s[14:15]
	s_cbranch_execnz .LBB269_100
	s_branch .LBB269_104
.LBB269_88:
	s_and_b64 vcc, exec, s[0:1]
	s_cbranch_vccnz .LBB269_90
; %bb.89:
	v_lshl_add_u64 v[48:49], v[40:41], 1, v[38:39]
	flat_load_ushort v48, v[48:49]
	s_waitcnt vmcnt(0) lgkmcnt(0)
	v_mul_f16_e32 v48, s24, v48
	s_branch .LBB269_91
.LBB269_90:
	v_mov_b32_e32 v48, 0
.LBB269_91:
	v_pk_add_f16 v49, v8, v32
	v_pk_max_f16 v50, v114, v114
	s_nop 0
	v_pk_min_f16 v49, v50, v49
	v_pk_add_f16 v50, v9, v33
	s_nop 0
	v_pk_min_f16 v49, v49, v50
	s_nop 0
	v_lshrrev_b32_e32 v50, 16, v49
	v_min3_f16 v50, v48, v49, v50
	v_lshl_add_u64 v[48:49], v[40:41], 1, v[36:37]
	global_store_short v[48:49], v50, off
	s_or_b64 exec, exec, s[14:15]
	s_and_b64 s[22:23], s[4:5], s[10:11]
	s_and_saveexec_b64 s[14:15], s[22:23]
	s_cbranch_execz .LBB269_86
.LBB269_92:
	s_and_b64 vcc, exec, s[0:1]
	s_cbranch_vccnz .LBB269_94
; %bb.93:
	v_lshl_add_u64 v[48:49], v[42:43], 1, v[38:39]
	flat_load_ushort v48, v[48:49]
	s_waitcnt vmcnt(0) lgkmcnt(0)
	v_mul_f16_e32 v48, s24, v48
	s_branch .LBB269_95
.LBB269_94:
	v_mov_b32_e32 v48, 0
.LBB269_95:
	v_pk_add_f16 v49, v10, v32
	v_pk_max_f16 v50, v113, v113
	s_nop 0
	v_pk_min_f16 v49, v50, v49
	v_pk_add_f16 v50, v11, v33
	s_nop 0
	v_pk_min_f16 v49, v49, v50
	s_nop 0
	v_lshrrev_b32_e32 v50, 16, v49
	v_min3_f16 v50, v48, v49, v50
	v_lshl_add_u64 v[48:49], v[42:43], 1, v[36:37]
	global_store_short v[48:49], v50, off
	s_or_b64 exec, exec, s[14:15]
	s_and_b64 s[22:23], s[6:7], s[10:11]
	s_and_saveexec_b64 s[14:15], s[22:23]
	s_cbranch_execz .LBB269_87
.LBB269_96:
	s_and_b64 vcc, exec, s[0:1]
	s_cbranch_vccnz .LBB269_98
; %bb.97:
	v_lshl_add_u64 v[48:49], v[44:45], 1, v[38:39]
	flat_load_ushort v48, v[48:49]
	s_waitcnt vmcnt(0) lgkmcnt(0)
	v_mul_f16_e32 v48, s24, v48
	s_branch .LBB269_99
.LBB269_98:
	v_mov_b32_e32 v48, 0
.LBB269_99:
	v_pk_add_f16 v49, v0, v32
	v_pk_max_f16 v50, v112, v112
	s_nop 0
	v_pk_min_f16 v49, v50, v49
	v_pk_add_f16 v50, v1, v33
	s_nop 0
	v_pk_min_f16 v49, v49, v50
	s_nop 0
	v_lshrrev_b32_e32 v50, 16, v49
	v_min3_f16 v50, v48, v49, v50
	v_lshl_add_u64 v[48:49], v[44:45], 1, v[36:37]
	global_store_short v[48:49], v50, off
	s_or_b64 exec, exec, s[14:15]
	s_and_b64 s[14:15], s[8:9], s[10:11]
	s_and_saveexec_b64 s[10:11], s[14:15]
	s_cbranch_execz .LBB269_104
.LBB269_100:
	s_and_b64 vcc, exec, s[0:1]
	s_cbranch_vccnz .LBB269_102
; %bb.101:
	v_lshl_add_u64 v[38:39], v[46:47], 1, v[38:39]
	flat_load_ushort v38, v[38:39]
	s_waitcnt vmcnt(0) lgkmcnt(0)
	v_mul_f16_e32 v38, s24, v38
	s_branch .LBB269_103
.LBB269_102:
	v_mov_b32_e32 v38, 0
.LBB269_103:
	v_pk_add_f16 v32, v2, v32
	v_pk_max_f16 v39, v111, v111
	v_pk_add_f16 v33, v3, v33
	v_pk_min_f16 v32, v39, v32
	s_nop 0
	v_pk_min_f16 v32, v32, v33
	s_nop 0
	v_lshrrev_b32_e32 v33, 16, v32
	v_min3_f16 v38, v38, v32, v33
	v_lshl_add_u64 v[32:33], v[46:47], 1, v[36:37]
	global_store_short v[32:33], v38, off
.LBB269_104:
	s_or_b64 exec, exec, s[10:11]
	v_add_u32_e32 v38, 24, v85
	v_mad_i64_i32 v[32:33], s[14:15], v38, s19, 0
	v_cmp_gt_i32_e64 s[10:11], s17, v38
	v_lshl_add_u64 v[36:37], v[32:33], 1, s[20:21]
	v_mad_i64_i32 v[32:33], s[14:15], v38, s18, 0
	v_lshl_add_u64 v[32:33], v[32:33], 1, s[12:13]
	s_and_b64 s[22:23], s[2:3], s[10:11]
	s_and_saveexec_b64 s[14:15], s[22:23]
	s_cbranch_execnz .LBB269_108
; %bb.105:
	s_or_b64 exec, exec, s[14:15]
	s_and_b64 s[22:23], s[4:5], s[10:11]
	s_and_saveexec_b64 s[14:15], s[22:23]
	s_cbranch_execnz .LBB269_112
.LBB269_106:
	s_or_b64 exec, exec, s[14:15]
	s_and_b64 s[22:23], s[6:7], s[10:11]
	s_and_saveexec_b64 s[14:15], s[22:23]
	s_cbranch_execnz .LBB269_116
.LBB269_107:
	s_or_b64 exec, exec, s[14:15]
	s_and_b64 s[14:15], s[8:9], s[10:11]
	s_and_saveexec_b64 s[10:11], s[14:15]
	s_cbranch_execnz .LBB269_120
	s_branch .LBB269_124
.LBB269_108:
	s_and_b64 vcc, exec, s[0:1]
	s_cbranch_vccnz .LBB269_110
; %bb.109:
	v_lshl_add_u64 v[38:39], v[40:41], 1, v[36:37]
	flat_load_ushort v38, v[38:39]
	s_waitcnt vmcnt(0) lgkmcnt(0)
	v_mul_f16_e32 v38, s24, v38
	s_branch .LBB269_111
.LBB269_110:
	v_mov_b32_e32 v38, 0
.LBB269_111:
	v_pk_add_f16 v39, v8, v34
	v_pk_max_f16 v48, v110, v110
	s_nop 0
	v_pk_min_f16 v39, v48, v39
	v_pk_add_f16 v48, v9, v35
	s_nop 0
	v_pk_min_f16 v39, v39, v48
	s_nop 0
	v_lshrrev_b32_e32 v48, 16, v39
	v_min3_f16 v48, v38, v39, v48
	v_lshl_add_u64 v[38:39], v[40:41], 1, v[32:33]
	global_store_short v[38:39], v48, off
	s_or_b64 exec, exec, s[14:15]
	s_and_b64 s[22:23], s[4:5], s[10:11]
	s_and_saveexec_b64 s[14:15], s[22:23]
	s_cbranch_execz .LBB269_106
.LBB269_112:
	s_and_b64 vcc, exec, s[0:1]
	s_cbranch_vccnz .LBB269_114
; %bb.113:
	v_lshl_add_u64 v[38:39], v[42:43], 1, v[36:37]
	flat_load_ushort v38, v[38:39]
	s_waitcnt vmcnt(0) lgkmcnt(0)
	v_mul_f16_e32 v38, s24, v38
	s_branch .LBB269_115
.LBB269_114:
	v_mov_b32_e32 v38, 0
.LBB269_115:
	v_pk_add_f16 v39, v10, v34
	v_pk_max_f16 v48, v109, v109
	s_nop 0
	v_pk_min_f16 v39, v48, v39
	v_pk_add_f16 v48, v11, v35
	s_nop 0
	v_pk_min_f16 v39, v39, v48
	s_nop 0
	v_lshrrev_b32_e32 v48, 16, v39
	v_min3_f16 v48, v38, v39, v48
	v_lshl_add_u64 v[38:39], v[42:43], 1, v[32:33]
	global_store_short v[38:39], v48, off
	s_or_b64 exec, exec, s[14:15]
	s_and_b64 s[22:23], s[6:7], s[10:11]
	s_and_saveexec_b64 s[14:15], s[22:23]
	s_cbranch_execz .LBB269_107
.LBB269_116:
	s_and_b64 vcc, exec, s[0:1]
	s_cbranch_vccnz .LBB269_118
; %bb.117:
	v_lshl_add_u64 v[38:39], v[44:45], 1, v[36:37]
	flat_load_ushort v38, v[38:39]
	s_waitcnt vmcnt(0) lgkmcnt(0)
	v_mul_f16_e32 v38, s24, v38
	s_branch .LBB269_119
.LBB269_118:
	v_mov_b32_e32 v38, 0
.LBB269_119:
	v_pk_add_f16 v39, v0, v34
	v_pk_max_f16 v48, v108, v108
	s_nop 0
	v_pk_min_f16 v39, v48, v39
	v_pk_add_f16 v48, v1, v35
	s_nop 0
	v_pk_min_f16 v39, v39, v48
	s_nop 0
	v_lshrrev_b32_e32 v48, 16, v39
	v_min3_f16 v48, v38, v39, v48
	v_lshl_add_u64 v[38:39], v[44:45], 1, v[32:33]
	global_store_short v[38:39], v48, off
	s_or_b64 exec, exec, s[14:15]
	s_and_b64 s[14:15], s[8:9], s[10:11]
	s_and_saveexec_b64 s[10:11], s[14:15]
	s_cbranch_execz .LBB269_124
.LBB269_120:
	s_and_b64 vcc, exec, s[0:1]
	s_cbranch_vccnz .LBB269_122
; %bb.121:
	v_lshl_add_u64 v[36:37], v[46:47], 1, v[36:37]
	flat_load_ushort v36, v[36:37]
	s_waitcnt vmcnt(0) lgkmcnt(0)
	v_mul_f16_e32 v36, s24, v36
	s_branch .LBB269_123
.LBB269_122:
	v_mov_b32_e32 v36, 0
.LBB269_123:
	v_pk_add_f16 v34, v2, v34
	v_pk_max_f16 v37, v107, v107
	v_pk_add_f16 v35, v3, v35
	v_pk_min_f16 v34, v37, v34
	v_lshl_add_u64 v[32:33], v[46:47], 1, v[32:33]
	v_pk_min_f16 v34, v34, v35
	s_nop 0
	v_lshrrev_b32_e32 v35, 16, v34
	v_min3_f16 v34, v36, v34, v35
	global_store_short v[32:33], v34, off
.LBB269_124:
	s_or_b64 exec, exec, s[10:11]
	v_add_u32_e32 v36, 32, v85
	v_mad_i64_i32 v[32:33], s[14:15], v36, s19, 0
	v_cmp_gt_i32_e64 s[10:11], s17, v36
	v_lshl_add_u64 v[34:35], v[32:33], 1, s[20:21]
	v_mad_i64_i32 v[32:33], s[14:15], v36, s18, 0
	v_lshl_add_u64 v[32:33], v[32:33], 1, s[12:13]
	s_and_b64 s[22:23], s[2:3], s[10:11]
	s_and_saveexec_b64 s[14:15], s[22:23]
	s_cbranch_execnz .LBB269_128
; %bb.125:
	s_or_b64 exec, exec, s[14:15]
	s_and_b64 s[22:23], s[4:5], s[10:11]
	s_and_saveexec_b64 s[14:15], s[22:23]
	s_cbranch_execnz .LBB269_132
.LBB269_126:
	s_or_b64 exec, exec, s[14:15]
	s_and_b64 s[22:23], s[6:7], s[10:11]
	s_and_saveexec_b64 s[14:15], s[22:23]
	s_cbranch_execnz .LBB269_136
.LBB269_127:
	s_or_b64 exec, exec, s[14:15]
	s_and_b64 s[14:15], s[8:9], s[10:11]
	s_and_saveexec_b64 s[10:11], s[14:15]
	s_cbranch_execnz .LBB269_140
	s_branch .LBB269_144
.LBB269_128:
	s_and_b64 vcc, exec, s[0:1]
	s_cbranch_vccnz .LBB269_130
; %bb.129:
	v_lshl_add_u64 v[36:37], v[40:41], 1, v[34:35]
	flat_load_ushort v36, v[36:37]
	s_waitcnt vmcnt(0) lgkmcnt(0)
	v_mul_f16_e32 v36, s24, v36
	s_branch .LBB269_131
.LBB269_130:
	v_mov_b32_e32 v36, 0
.LBB269_131:
	v_pk_add_f16 v37, v8, v28
	v_pk_max_f16 v38, v104, v104
	s_nop 0
	v_pk_min_f16 v37, v38, v37
	v_pk_add_f16 v38, v9, v29
	s_nop 0
	v_pk_min_f16 v37, v37, v38
	s_nop 0
	v_lshrrev_b32_e32 v38, 16, v37
	v_min3_f16 v38, v36, v37, v38
	v_lshl_add_u64 v[36:37], v[40:41], 1, v[32:33]
	global_store_short v[36:37], v38, off
	s_or_b64 exec, exec, s[14:15]
	s_and_b64 s[22:23], s[4:5], s[10:11]
	s_and_saveexec_b64 s[14:15], s[22:23]
	s_cbranch_execz .LBB269_126
.LBB269_132:
	s_and_b64 vcc, exec, s[0:1]
	s_cbranch_vccnz .LBB269_134
; %bb.133:
	v_lshl_add_u64 v[36:37], v[42:43], 1, v[34:35]
	flat_load_ushort v36, v[36:37]
	s_waitcnt vmcnt(0) lgkmcnt(0)
	v_mul_f16_e32 v36, s24, v36
	s_branch .LBB269_135
.LBB269_134:
	v_mov_b32_e32 v36, 0
.LBB269_135:
	v_pk_add_f16 v37, v10, v28
	v_pk_max_f16 v38, v103, v103
	s_nop 0
	v_pk_min_f16 v37, v38, v37
	v_pk_add_f16 v38, v11, v29
	s_nop 0
	v_pk_min_f16 v37, v37, v38
	s_nop 0
	v_lshrrev_b32_e32 v38, 16, v37
	v_min3_f16 v38, v36, v37, v38
	v_lshl_add_u64 v[36:37], v[42:43], 1, v[32:33]
	global_store_short v[36:37], v38, off
	s_or_b64 exec, exec, s[14:15]
	s_and_b64 s[22:23], s[6:7], s[10:11]
	s_and_saveexec_b64 s[14:15], s[22:23]
	s_cbranch_execz .LBB269_127
.LBB269_136:
	s_and_b64 vcc, exec, s[0:1]
	s_cbranch_vccnz .LBB269_138
; %bb.137:
	v_lshl_add_u64 v[36:37], v[44:45], 1, v[34:35]
	flat_load_ushort v36, v[36:37]
	s_waitcnt vmcnt(0) lgkmcnt(0)
	v_mul_f16_e32 v36, s24, v36
	s_branch .LBB269_139
.LBB269_138:
	v_mov_b32_e32 v36, 0
.LBB269_139:
	v_pk_add_f16 v37, v0, v28
	v_pk_max_f16 v38, v102, v102
	s_nop 0
	v_pk_min_f16 v37, v38, v37
	v_pk_add_f16 v38, v1, v29
	s_nop 0
	v_pk_min_f16 v37, v37, v38
	s_nop 0
	v_lshrrev_b32_e32 v38, 16, v37
	v_min3_f16 v38, v36, v37, v38
	v_lshl_add_u64 v[36:37], v[44:45], 1, v[32:33]
	global_store_short v[36:37], v38, off
	s_or_b64 exec, exec, s[14:15]
	s_and_b64 s[14:15], s[8:9], s[10:11]
	s_and_saveexec_b64 s[10:11], s[14:15]
	s_cbranch_execz .LBB269_144
.LBB269_140:
	s_and_b64 vcc, exec, s[0:1]
	s_cbranch_vccnz .LBB269_142
; %bb.141:
	v_lshl_add_u64 v[34:35], v[46:47], 1, v[34:35]
	flat_load_ushort v34, v[34:35]
	s_waitcnt vmcnt(0) lgkmcnt(0)
	v_mul_f16_e32 v34, s24, v34
	s_branch .LBB269_143
.LBB269_142:
	v_mov_b32_e32 v34, 0
.LBB269_143:
	v_pk_add_f16 v28, v2, v28
	v_pk_max_f16 v35, v101, v101
	v_pk_add_f16 v29, v3, v29
	v_pk_min_f16 v28, v35, v28
	s_nop 0
	v_pk_min_f16 v28, v28, v29
	s_nop 0
	v_lshrrev_b32_e32 v29, 16, v28
	v_min3_f16 v34, v34, v28, v29
	v_lshl_add_u64 v[28:29], v[46:47], 1, v[32:33]
	global_store_short v[28:29], v34, off
.LBB269_144:
	s_or_b64 exec, exec, s[10:11]
	v_add_u32_e32 v34, 40, v85
	v_mad_i64_i32 v[28:29], s[14:15], v34, s19, 0
	v_cmp_gt_i32_e64 s[10:11], s17, v34
	v_lshl_add_u64 v[32:33], v[28:29], 1, s[20:21]
	v_mad_i64_i32 v[28:29], s[14:15], v34, s18, 0
	v_lshl_add_u64 v[28:29], v[28:29], 1, s[12:13]
	s_and_b64 s[22:23], s[2:3], s[10:11]
	s_and_saveexec_b64 s[14:15], s[22:23]
	s_cbranch_execnz .LBB269_148
; %bb.145:
	s_or_b64 exec, exec, s[14:15]
	s_and_b64 s[22:23], s[4:5], s[10:11]
	s_and_saveexec_b64 s[14:15], s[22:23]
	s_cbranch_execnz .LBB269_152
.LBB269_146:
	s_or_b64 exec, exec, s[14:15]
	s_and_b64 s[22:23], s[6:7], s[10:11]
	s_and_saveexec_b64 s[14:15], s[22:23]
	s_cbranch_execnz .LBB269_156
.LBB269_147:
	s_or_b64 exec, exec, s[14:15]
	s_and_b64 s[14:15], s[8:9], s[10:11]
	s_and_saveexec_b64 s[10:11], s[14:15]
	s_cbranch_execnz .LBB269_160
	s_branch .LBB269_164
.LBB269_148:
	s_and_b64 vcc, exec, s[0:1]
	s_cbranch_vccnz .LBB269_150
; %bb.149:
	v_lshl_add_u64 v[34:35], v[40:41], 1, v[32:33]
	flat_load_ushort v34, v[34:35]
	s_waitcnt vmcnt(0) lgkmcnt(0)
	v_mul_f16_e32 v34, s24, v34
	s_branch .LBB269_151
.LBB269_150:
	v_mov_b32_e32 v34, 0
.LBB269_151:
	v_pk_add_f16 v35, v8, v30
	v_pk_max_f16 v36, v100, v100
	s_nop 0
	v_pk_min_f16 v35, v36, v35
	v_pk_add_f16 v36, v9, v31
	s_nop 0
	v_pk_min_f16 v35, v35, v36
	s_nop 0
	v_lshrrev_b32_e32 v36, 16, v35
	v_min3_f16 v36, v34, v35, v36
	v_lshl_add_u64 v[34:35], v[40:41], 1, v[28:29]
	global_store_short v[34:35], v36, off
	s_or_b64 exec, exec, s[14:15]
	s_and_b64 s[22:23], s[4:5], s[10:11]
	s_and_saveexec_b64 s[14:15], s[22:23]
	s_cbranch_execz .LBB269_146
.LBB269_152:
	s_and_b64 vcc, exec, s[0:1]
	s_cbranch_vccnz .LBB269_154
; %bb.153:
	v_lshl_add_u64 v[34:35], v[42:43], 1, v[32:33]
	flat_load_ushort v34, v[34:35]
	s_waitcnt vmcnt(0) lgkmcnt(0)
	v_mul_f16_e32 v34, s24, v34
	s_branch .LBB269_155
.LBB269_154:
	v_mov_b32_e32 v34, 0
.LBB269_155:
	v_pk_add_f16 v35, v10, v30
	v_pk_max_f16 v36, v99, v99
	s_nop 0
	v_pk_min_f16 v35, v36, v35
	v_pk_add_f16 v36, v11, v31
	s_nop 0
	v_pk_min_f16 v35, v35, v36
	s_nop 0
	v_lshrrev_b32_e32 v36, 16, v35
	v_min3_f16 v36, v34, v35, v36
	v_lshl_add_u64 v[34:35], v[42:43], 1, v[28:29]
	global_store_short v[34:35], v36, off
	s_or_b64 exec, exec, s[14:15]
	s_and_b64 s[22:23], s[6:7], s[10:11]
	s_and_saveexec_b64 s[14:15], s[22:23]
	s_cbranch_execz .LBB269_147
.LBB269_156:
	s_and_b64 vcc, exec, s[0:1]
	s_cbranch_vccnz .LBB269_158
; %bb.157:
	v_lshl_add_u64 v[34:35], v[44:45], 1, v[32:33]
	flat_load_ushort v34, v[34:35]
	s_waitcnt vmcnt(0) lgkmcnt(0)
	v_mul_f16_e32 v34, s24, v34
	s_branch .LBB269_159
.LBB269_158:
	v_mov_b32_e32 v34, 0
.LBB269_159:
	v_pk_add_f16 v35, v0, v30
	v_pk_max_f16 v36, v96, v96
	s_nop 0
	v_pk_min_f16 v35, v36, v35
	v_pk_add_f16 v36, v1, v31
	s_nop 0
	v_pk_min_f16 v35, v35, v36
	s_nop 0
	v_lshrrev_b32_e32 v36, 16, v35
	v_min3_f16 v36, v34, v35, v36
	v_lshl_add_u64 v[34:35], v[44:45], 1, v[28:29]
	global_store_short v[34:35], v36, off
	s_or_b64 exec, exec, s[14:15]
	s_and_b64 s[14:15], s[8:9], s[10:11]
	s_and_saveexec_b64 s[10:11], s[14:15]
	s_cbranch_execz .LBB269_164
.LBB269_160:
	s_and_b64 vcc, exec, s[0:1]
	s_cbranch_vccnz .LBB269_162
; %bb.161:
	v_lshl_add_u64 v[32:33], v[46:47], 1, v[32:33]
	flat_load_ushort v32, v[32:33]
	s_waitcnt vmcnt(0) lgkmcnt(0)
	v_mul_f16_e32 v32, s24, v32
	s_branch .LBB269_163
.LBB269_162:
	v_mov_b32_e32 v32, 0
.LBB269_163:
	v_pk_add_f16 v30, v2, v30
	v_pk_max_f16 v33, v94, v94
	v_pk_add_f16 v31, v3, v31
	v_pk_min_f16 v30, v33, v30
	v_lshl_add_u64 v[28:29], v[46:47], 1, v[28:29]
	v_pk_min_f16 v30, v30, v31
	s_nop 0
	v_lshrrev_b32_e32 v31, 16, v30
	v_min3_f16 v30, v32, v30, v31
	global_store_short v[28:29], v30, off
.LBB269_164:
	s_or_b64 exec, exec, s[10:11]
	v_add_u32_e32 v32, 48, v85
	v_mad_i64_i32 v[28:29], s[14:15], v32, s19, 0
	v_cmp_gt_i32_e64 s[10:11], s17, v32
	v_lshl_add_u64 v[30:31], v[28:29], 1, s[20:21]
	v_mad_i64_i32 v[28:29], s[14:15], v32, s18, 0
	v_lshl_add_u64 v[28:29], v[28:29], 1, s[12:13]
	s_and_b64 s[22:23], s[2:3], s[10:11]
	s_and_saveexec_b64 s[14:15], s[22:23]
	s_cbranch_execnz .LBB269_168
; %bb.165:
	s_or_b64 exec, exec, s[14:15]
	s_and_b64 s[22:23], s[4:5], s[10:11]
	s_and_saveexec_b64 s[14:15], s[22:23]
	s_cbranch_execnz .LBB269_172
.LBB269_166:
	s_or_b64 exec, exec, s[14:15]
	s_and_b64 s[22:23], s[6:7], s[10:11]
	s_and_saveexec_b64 s[14:15], s[22:23]
	s_cbranch_execnz .LBB269_176
.LBB269_167:
	s_or_b64 exec, exec, s[14:15]
	s_and_b64 s[14:15], s[8:9], s[10:11]
	s_and_saveexec_b64 s[10:11], s[14:15]
	s_cbranch_execnz .LBB269_180
	s_branch .LBB269_184
.LBB269_168:
	s_and_b64 vcc, exec, s[0:1]
	s_cbranch_vccnz .LBB269_170
; %bb.169:
	v_lshl_add_u64 v[32:33], v[40:41], 1, v[30:31]
	flat_load_ushort v32, v[32:33]
	s_waitcnt vmcnt(0) lgkmcnt(0)
	v_mul_f16_e32 v32, s24, v32
	s_branch .LBB269_171
.LBB269_170:
	v_mov_b32_e32 v32, 0
.LBB269_171:
	v_pk_add_f16 v33, v8, v24
	v_pk_max_f16 v34, v93, v93
	s_nop 0
	v_pk_min_f16 v33, v34, v33
	v_pk_add_f16 v34, v9, v25
	s_nop 0
	v_pk_min_f16 v33, v33, v34
	s_nop 0
	v_lshrrev_b32_e32 v34, 16, v33
	v_min3_f16 v34, v32, v33, v34
	v_lshl_add_u64 v[32:33], v[40:41], 1, v[28:29]
	global_store_short v[32:33], v34, off
	s_or_b64 exec, exec, s[14:15]
	s_and_b64 s[22:23], s[4:5], s[10:11]
	s_and_saveexec_b64 s[14:15], s[22:23]
	s_cbranch_execz .LBB269_166
.LBB269_172:
	s_and_b64 vcc, exec, s[0:1]
	s_cbranch_vccnz .LBB269_174
; %bb.173:
	v_lshl_add_u64 v[32:33], v[42:43], 1, v[30:31]
	flat_load_ushort v32, v[32:33]
	s_waitcnt vmcnt(0) lgkmcnt(0)
	v_mul_f16_e32 v32, s24, v32
	s_branch .LBB269_175
.LBB269_174:
	v_mov_b32_e32 v32, 0
.LBB269_175:
	v_pk_add_f16 v33, v10, v24
	v_pk_max_f16 v34, v92, v92
	s_nop 0
	v_pk_min_f16 v33, v34, v33
	v_pk_add_f16 v34, v11, v25
	s_nop 0
	v_pk_min_f16 v33, v33, v34
	s_nop 0
	v_lshrrev_b32_e32 v34, 16, v33
	v_min3_f16 v34, v32, v33, v34
	v_lshl_add_u64 v[32:33], v[42:43], 1, v[28:29]
	global_store_short v[32:33], v34, off
	s_or_b64 exec, exec, s[14:15]
	s_and_b64 s[22:23], s[6:7], s[10:11]
	s_and_saveexec_b64 s[14:15], s[22:23]
	s_cbranch_execz .LBB269_167
.LBB269_176:
	s_and_b64 vcc, exec, s[0:1]
	s_cbranch_vccnz .LBB269_178
; %bb.177:
	v_lshl_add_u64 v[32:33], v[44:45], 1, v[30:31]
	flat_load_ushort v32, v[32:33]
	s_waitcnt vmcnt(0) lgkmcnt(0)
	v_mul_f16_e32 v32, s24, v32
	s_branch .LBB269_179
.LBB269_178:
	v_mov_b32_e32 v32, 0
.LBB269_179:
	v_pk_add_f16 v33, v0, v24
	v_pk_max_f16 v34, v91, v91
	s_nop 0
	v_pk_min_f16 v33, v34, v33
	v_pk_add_f16 v34, v1, v25
	s_nop 0
	v_pk_min_f16 v33, v33, v34
	s_nop 0
	v_lshrrev_b32_e32 v34, 16, v33
	v_min3_f16 v34, v32, v33, v34
	v_lshl_add_u64 v[32:33], v[44:45], 1, v[28:29]
	global_store_short v[32:33], v34, off
	s_or_b64 exec, exec, s[14:15]
	s_and_b64 s[14:15], s[8:9], s[10:11]
	s_and_saveexec_b64 s[10:11], s[14:15]
	s_cbranch_execz .LBB269_184
.LBB269_180:
	s_and_b64 vcc, exec, s[0:1]
	s_cbranch_vccnz .LBB269_182
; %bb.181:
	v_lshl_add_u64 v[30:31], v[46:47], 1, v[30:31]
	flat_load_ushort v30, v[30:31]
	s_waitcnt vmcnt(0) lgkmcnt(0)
	v_mul_f16_e32 v30, s24, v30
	s_branch .LBB269_183
.LBB269_182:
	v_mov_b32_e32 v30, 0
.LBB269_183:
	v_pk_add_f16 v24, v2, v24
	v_pk_max_f16 v31, v90, v90
	v_pk_add_f16 v25, v3, v25
	v_pk_min_f16 v24, v31, v24
	s_nop 0
	v_pk_min_f16 v24, v24, v25
	s_nop 0
	v_lshrrev_b32_e32 v25, 16, v24
	v_min3_f16 v30, v30, v24, v25
	v_lshl_add_u64 v[24:25], v[46:47], 1, v[28:29]
	global_store_short v[24:25], v30, off
.LBB269_184:
	s_or_b64 exec, exec, s[10:11]
	v_add_u32_e32 v30, 56, v85
	v_mad_i64_i32 v[24:25], s[14:15], v30, s19, 0
	v_cmp_gt_i32_e64 s[10:11], s17, v30
	v_lshl_add_u64 v[28:29], v[24:25], 1, s[20:21]
	v_mad_i64_i32 v[24:25], s[14:15], v30, s18, 0
	v_lshl_add_u64 v[24:25], v[24:25], 1, s[12:13]
	s_and_b64 s[22:23], s[2:3], s[10:11]
	s_and_saveexec_b64 s[14:15], s[22:23]
	s_cbranch_execnz .LBB269_188
; %bb.185:
	s_or_b64 exec, exec, s[14:15]
	s_and_b64 s[22:23], s[4:5], s[10:11]
	s_and_saveexec_b64 s[14:15], s[22:23]
	s_cbranch_execnz .LBB269_192
.LBB269_186:
	s_or_b64 exec, exec, s[14:15]
	s_and_b64 s[22:23], s[6:7], s[10:11]
	s_and_saveexec_b64 s[14:15], s[22:23]
	s_cbranch_execnz .LBB269_196
.LBB269_187:
	s_or_b64 exec, exec, s[14:15]
	s_and_b64 s[14:15], s[8:9], s[10:11]
	s_and_saveexec_b64 s[10:11], s[14:15]
	s_cbranch_execnz .LBB269_200
	s_branch .LBB269_204
.LBB269_188:
	s_and_b64 vcc, exec, s[0:1]
	s_cbranch_vccnz .LBB269_190
; %bb.189:
	v_lshl_add_u64 v[30:31], v[40:41], 1, v[28:29]
	flat_load_ushort v30, v[30:31]
	s_waitcnt vmcnt(0) lgkmcnt(0)
	v_mul_f16_e32 v30, s24, v30
	s_branch .LBB269_191
.LBB269_190:
	v_mov_b32_e32 v30, 0
.LBB269_191:
	v_pk_add_f16 v31, v8, v26
	v_pk_max_f16 v32, v89, v89
	s_nop 0
	v_pk_min_f16 v31, v32, v31
	v_pk_add_f16 v32, v9, v27
	s_nop 0
	v_pk_min_f16 v31, v31, v32
	s_nop 0
	v_lshrrev_b32_e32 v32, 16, v31
	v_min3_f16 v32, v30, v31, v32
	v_lshl_add_u64 v[30:31], v[40:41], 1, v[24:25]
	global_store_short v[30:31], v32, off
	s_or_b64 exec, exec, s[14:15]
	s_and_b64 s[22:23], s[4:5], s[10:11]
	s_and_saveexec_b64 s[14:15], s[22:23]
	s_cbranch_execz .LBB269_186
.LBB269_192:
	s_and_b64 vcc, exec, s[0:1]
	s_cbranch_vccnz .LBB269_194
; %bb.193:
	v_lshl_add_u64 v[30:31], v[42:43], 1, v[28:29]
	flat_load_ushort v30, v[30:31]
	s_waitcnt vmcnt(0) lgkmcnt(0)
	v_mul_f16_e32 v30, s24, v30
	s_branch .LBB269_195
.LBB269_194:
	v_mov_b32_e32 v30, 0
.LBB269_195:
	v_pk_add_f16 v31, v10, v26
	v_pk_max_f16 v32, v88, v88
	s_nop 0
	v_pk_min_f16 v31, v32, v31
	v_pk_add_f16 v32, v11, v27
	s_nop 0
	v_pk_min_f16 v31, v31, v32
	s_nop 0
	v_lshrrev_b32_e32 v32, 16, v31
	v_min3_f16 v32, v30, v31, v32
	v_lshl_add_u64 v[30:31], v[42:43], 1, v[24:25]
	global_store_short v[30:31], v32, off
	s_or_b64 exec, exec, s[14:15]
	s_and_b64 s[22:23], s[6:7], s[10:11]
	s_and_saveexec_b64 s[14:15], s[22:23]
	s_cbranch_execz .LBB269_187
.LBB269_196:
	s_and_b64 vcc, exec, s[0:1]
	s_cbranch_vccnz .LBB269_198
; %bb.197:
	v_lshl_add_u64 v[30:31], v[44:45], 1, v[28:29]
	flat_load_ushort v30, v[30:31]
	s_waitcnt vmcnt(0) lgkmcnt(0)
	v_mul_f16_e32 v30, s24, v30
	s_branch .LBB269_199
.LBB269_198:
	v_mov_b32_e32 v30, 0
.LBB269_199:
	v_pk_add_f16 v31, v0, v26
	v_pk_max_f16 v32, v87, v87
	s_nop 0
	v_pk_min_f16 v31, v32, v31
	v_pk_add_f16 v32, v1, v27
	s_nop 0
	v_pk_min_f16 v31, v31, v32
	s_nop 0
	v_lshrrev_b32_e32 v32, 16, v31
	v_min3_f16 v32, v30, v31, v32
	v_lshl_add_u64 v[30:31], v[44:45], 1, v[24:25]
	global_store_short v[30:31], v32, off
	s_or_b64 exec, exec, s[14:15]
	s_and_b64 s[14:15], s[8:9], s[10:11]
	s_and_saveexec_b64 s[10:11], s[14:15]
	s_cbranch_execz .LBB269_204
.LBB269_200:
	s_and_b64 vcc, exec, s[0:1]
	s_cbranch_vccnz .LBB269_202
; %bb.201:
	v_lshl_add_u64 v[28:29], v[46:47], 1, v[28:29]
	flat_load_ushort v28, v[28:29]
	s_waitcnt vmcnt(0) lgkmcnt(0)
	v_mul_f16_e32 v28, s24, v28
	s_branch .LBB269_203
.LBB269_202:
	v_mov_b32_e32 v28, 0
.LBB269_203:
	v_pk_add_f16 v26, v2, v26
	v_pk_max_f16 v29, v84, v84
	v_pk_add_f16 v27, v3, v27
	v_pk_min_f16 v26, v29, v26
	v_lshl_add_u64 v[24:25], v[46:47], 1, v[24:25]
	v_pk_min_f16 v26, v26, v27
	s_nop 0
	v_lshrrev_b32_e32 v27, 16, v26
	v_min3_f16 v26, v28, v26, v27
	global_store_short v[24:25], v26, off
.LBB269_204:
	s_or_b64 exec, exec, s[10:11]
	v_add_u32_e32 v28, 64, v85
	v_mad_i64_i32 v[24:25], s[14:15], v28, s19, 0
	v_cmp_gt_i32_e64 s[10:11], s17, v28
	v_lshl_add_u64 v[26:27], v[24:25], 1, s[20:21]
	v_mad_i64_i32 v[24:25], s[14:15], v28, s18, 0
	v_lshl_add_u64 v[24:25], v[24:25], 1, s[12:13]
	s_and_b64 s[22:23], s[2:3], s[10:11]
	s_and_saveexec_b64 s[14:15], s[22:23]
	s_cbranch_execnz .LBB269_208
; %bb.205:
	s_or_b64 exec, exec, s[14:15]
	s_and_b64 s[22:23], s[4:5], s[10:11]
	s_and_saveexec_b64 s[14:15], s[22:23]
	s_cbranch_execnz .LBB269_212
.LBB269_206:
	s_or_b64 exec, exec, s[14:15]
	s_and_b64 s[22:23], s[6:7], s[10:11]
	s_and_saveexec_b64 s[14:15], s[22:23]
	s_cbranch_execnz .LBB269_216
.LBB269_207:
	s_or_b64 exec, exec, s[14:15]
	s_and_b64 s[14:15], s[8:9], s[10:11]
	s_and_saveexec_b64 s[10:11], s[14:15]
	s_cbranch_execnz .LBB269_220
	s_branch .LBB269_224
.LBB269_208:
	s_and_b64 vcc, exec, s[0:1]
	s_cbranch_vccnz .LBB269_210
; %bb.209:
	v_lshl_add_u64 v[28:29], v[40:41], 1, v[26:27]
	flat_load_ushort v28, v[28:29]
	s_waitcnt vmcnt(0) lgkmcnt(0)
	v_mul_f16_e32 v28, s24, v28
	s_branch .LBB269_211
.LBB269_210:
	v_mov_b32_e32 v28, 0
.LBB269_211:
	v_pk_add_f16 v29, v8, v20
	v_pk_max_f16 v30, v83, v83
	s_nop 0
	v_pk_min_f16 v29, v30, v29
	v_pk_add_f16 v30, v9, v21
	s_nop 0
	v_pk_min_f16 v29, v29, v30
	s_nop 0
	v_lshrrev_b32_e32 v30, 16, v29
	v_min3_f16 v30, v28, v29, v30
	v_lshl_add_u64 v[28:29], v[40:41], 1, v[24:25]
	global_store_short v[28:29], v30, off
	s_or_b64 exec, exec, s[14:15]
	s_and_b64 s[22:23], s[4:5], s[10:11]
	s_and_saveexec_b64 s[14:15], s[22:23]
	s_cbranch_execz .LBB269_206
.LBB269_212:
	s_and_b64 vcc, exec, s[0:1]
	s_cbranch_vccnz .LBB269_214
; %bb.213:
	v_lshl_add_u64 v[28:29], v[42:43], 1, v[26:27]
	flat_load_ushort v28, v[28:29]
	s_waitcnt vmcnt(0) lgkmcnt(0)
	v_mul_f16_e32 v28, s24, v28
	s_branch .LBB269_215
.LBB269_214:
	v_mov_b32_e32 v28, 0
.LBB269_215:
	v_pk_add_f16 v29, v10, v20
	v_pk_max_f16 v30, v82, v82
	s_nop 0
	v_pk_min_f16 v29, v30, v29
	v_pk_add_f16 v30, v11, v21
	s_nop 0
	v_pk_min_f16 v29, v29, v30
	s_nop 0
	v_lshrrev_b32_e32 v30, 16, v29
	v_min3_f16 v30, v28, v29, v30
	v_lshl_add_u64 v[28:29], v[42:43], 1, v[24:25]
	global_store_short v[28:29], v30, off
	s_or_b64 exec, exec, s[14:15]
	s_and_b64 s[22:23], s[6:7], s[10:11]
	s_and_saveexec_b64 s[14:15], s[22:23]
	s_cbranch_execz .LBB269_207
.LBB269_216:
	s_and_b64 vcc, exec, s[0:1]
	s_cbranch_vccnz .LBB269_218
; %bb.217:
	v_lshl_add_u64 v[28:29], v[44:45], 1, v[26:27]
	flat_load_ushort v28, v[28:29]
	s_waitcnt vmcnt(0) lgkmcnt(0)
	v_mul_f16_e32 v28, s24, v28
	s_branch .LBB269_219
.LBB269_218:
	v_mov_b32_e32 v28, 0
.LBB269_219:
	v_pk_add_f16 v29, v0, v20
	v_pk_max_f16 v30, v81, v81
	s_nop 0
	v_pk_min_f16 v29, v30, v29
	v_pk_add_f16 v30, v1, v21
	s_nop 0
	v_pk_min_f16 v29, v29, v30
	s_nop 0
	v_lshrrev_b32_e32 v30, 16, v29
	v_min3_f16 v30, v28, v29, v30
	v_lshl_add_u64 v[28:29], v[44:45], 1, v[24:25]
	global_store_short v[28:29], v30, off
	s_or_b64 exec, exec, s[14:15]
	s_and_b64 s[14:15], s[8:9], s[10:11]
	s_and_saveexec_b64 s[10:11], s[14:15]
	s_cbranch_execz .LBB269_224
.LBB269_220:
	s_and_b64 vcc, exec, s[0:1]
	s_cbranch_vccnz .LBB269_222
; %bb.221:
	v_lshl_add_u64 v[26:27], v[46:47], 1, v[26:27]
	flat_load_ushort v26, v[26:27]
	s_waitcnt vmcnt(0) lgkmcnt(0)
	v_mul_f16_e32 v26, s24, v26
	s_branch .LBB269_223
.LBB269_222:
	v_mov_b32_e32 v26, 0
.LBB269_223:
	v_pk_add_f16 v20, v2, v20
	v_pk_max_f16 v27, v80, v80
	v_pk_add_f16 v21, v3, v21
	v_pk_min_f16 v20, v27, v20
	s_nop 0
	v_pk_min_f16 v20, v20, v21
	s_nop 0
	v_lshrrev_b32_e32 v21, 16, v20
	v_min3_f16 v26, v26, v20, v21
	v_lshl_add_u64 v[20:21], v[46:47], 1, v[24:25]
	global_store_short v[20:21], v26, off
.LBB269_224:
	s_or_b64 exec, exec, s[10:11]
	v_add_u32_e32 v26, 0x48, v85
	v_mad_i64_i32 v[20:21], s[14:15], v26, s19, 0
	v_cmp_gt_i32_e64 s[10:11], s17, v26
	v_lshl_add_u64 v[24:25], v[20:21], 1, s[20:21]
	v_mad_i64_i32 v[20:21], s[14:15], v26, s18, 0
	v_lshl_add_u64 v[20:21], v[20:21], 1, s[12:13]
	s_and_b64 s[22:23], s[2:3], s[10:11]
	s_and_saveexec_b64 s[14:15], s[22:23]
	s_cbranch_execnz .LBB269_228
; %bb.225:
	s_or_b64 exec, exec, s[14:15]
	s_and_b64 s[22:23], s[4:5], s[10:11]
	s_and_saveexec_b64 s[14:15], s[22:23]
	s_cbranch_execnz .LBB269_232
.LBB269_226:
	s_or_b64 exec, exec, s[14:15]
	s_and_b64 s[22:23], s[6:7], s[10:11]
	s_and_saveexec_b64 s[14:15], s[22:23]
	s_cbranch_execnz .LBB269_236
.LBB269_227:
	s_or_b64 exec, exec, s[14:15]
	s_and_b64 s[14:15], s[8:9], s[10:11]
	s_and_saveexec_b64 s[10:11], s[14:15]
	s_cbranch_execnz .LBB269_240
	s_branch .LBB269_244
.LBB269_228:
	s_and_b64 vcc, exec, s[0:1]
	s_cbranch_vccnz .LBB269_230
; %bb.229:
	v_lshl_add_u64 v[26:27], v[40:41], 1, v[24:25]
	flat_load_ushort v26, v[26:27]
	s_waitcnt vmcnt(0) lgkmcnt(0)
	v_mul_f16_e32 v26, s24, v26
	s_branch .LBB269_231
.LBB269_230:
	v_mov_b32_e32 v26, 0
.LBB269_231:
	v_pk_add_f16 v27, v8, v22
	v_pk_max_f16 v28, v79, v79
	s_nop 0
	v_pk_min_f16 v27, v28, v27
	v_pk_add_f16 v28, v9, v23
	s_nop 0
	v_pk_min_f16 v27, v27, v28
	s_nop 0
	v_lshrrev_b32_e32 v28, 16, v27
	v_min3_f16 v28, v26, v27, v28
	v_lshl_add_u64 v[26:27], v[40:41], 1, v[20:21]
	global_store_short v[26:27], v28, off
	s_or_b64 exec, exec, s[14:15]
	s_and_b64 s[22:23], s[4:5], s[10:11]
	s_and_saveexec_b64 s[14:15], s[22:23]
	s_cbranch_execz .LBB269_226
.LBB269_232:
	s_and_b64 vcc, exec, s[0:1]
	s_cbranch_vccnz .LBB269_234
; %bb.233:
	v_lshl_add_u64 v[26:27], v[42:43], 1, v[24:25]
	flat_load_ushort v26, v[26:27]
	s_waitcnt vmcnt(0) lgkmcnt(0)
	v_mul_f16_e32 v26, s24, v26
	s_branch .LBB269_235
.LBB269_234:
	v_mov_b32_e32 v26, 0
.LBB269_235:
	v_pk_add_f16 v27, v10, v22
	v_pk_max_f16 v28, v78, v78
	s_nop 0
	v_pk_min_f16 v27, v28, v27
	v_pk_add_f16 v28, v11, v23
	s_nop 0
	v_pk_min_f16 v27, v27, v28
	s_nop 0
	v_lshrrev_b32_e32 v28, 16, v27
	v_min3_f16 v28, v26, v27, v28
	v_lshl_add_u64 v[26:27], v[42:43], 1, v[20:21]
	global_store_short v[26:27], v28, off
	s_or_b64 exec, exec, s[14:15]
	s_and_b64 s[22:23], s[6:7], s[10:11]
	s_and_saveexec_b64 s[14:15], s[22:23]
	s_cbranch_execz .LBB269_227
.LBB269_236:
	s_and_b64 vcc, exec, s[0:1]
	s_cbranch_vccnz .LBB269_238
; %bb.237:
	v_lshl_add_u64 v[26:27], v[44:45], 1, v[24:25]
	flat_load_ushort v26, v[26:27]
	s_waitcnt vmcnt(0) lgkmcnt(0)
	v_mul_f16_e32 v26, s24, v26
	s_branch .LBB269_239
.LBB269_238:
	v_mov_b32_e32 v26, 0
.LBB269_239:
	v_pk_add_f16 v27, v0, v22
	v_pk_max_f16 v28, v77, v77
	s_nop 0
	v_pk_min_f16 v27, v28, v27
	v_pk_add_f16 v28, v1, v23
	s_nop 0
	v_pk_min_f16 v27, v27, v28
	s_nop 0
	v_lshrrev_b32_e32 v28, 16, v27
	v_min3_f16 v28, v26, v27, v28
	v_lshl_add_u64 v[26:27], v[44:45], 1, v[20:21]
	global_store_short v[26:27], v28, off
	s_or_b64 exec, exec, s[14:15]
	s_and_b64 s[14:15], s[8:9], s[10:11]
	s_and_saveexec_b64 s[10:11], s[14:15]
	s_cbranch_execz .LBB269_244
.LBB269_240:
	s_and_b64 vcc, exec, s[0:1]
	s_cbranch_vccnz .LBB269_242
; %bb.241:
	v_lshl_add_u64 v[24:25], v[46:47], 1, v[24:25]
	flat_load_ushort v24, v[24:25]
	s_waitcnt vmcnt(0) lgkmcnt(0)
	v_mul_f16_e32 v24, s24, v24
	s_branch .LBB269_243
.LBB269_242:
	v_mov_b32_e32 v24, 0
.LBB269_243:
	v_pk_add_f16 v22, v2, v22
	v_pk_max_f16 v25, v76, v76
	v_pk_add_f16 v23, v3, v23
	v_pk_min_f16 v22, v25, v22
	v_lshl_add_u64 v[20:21], v[46:47], 1, v[20:21]
	v_pk_min_f16 v22, v22, v23
	s_nop 0
	v_lshrrev_b32_e32 v23, 16, v22
	v_min3_f16 v22, v24, v22, v23
	global_store_short v[20:21], v22, off
.LBB269_244:
	s_or_b64 exec, exec, s[10:11]
	v_add_u32_e32 v24, 0x50, v85
	v_mad_i64_i32 v[20:21], s[14:15], v24, s19, 0
	v_cmp_gt_i32_e64 s[10:11], s17, v24
	v_lshl_add_u64 v[22:23], v[20:21], 1, s[20:21]
	v_mad_i64_i32 v[20:21], s[14:15], v24, s18, 0
	v_lshl_add_u64 v[20:21], v[20:21], 1, s[12:13]
	s_and_b64 s[22:23], s[2:3], s[10:11]
	s_and_saveexec_b64 s[14:15], s[22:23]
	s_cbranch_execnz .LBB269_248
; %bb.245:
	s_or_b64 exec, exec, s[14:15]
	s_and_b64 s[22:23], s[4:5], s[10:11]
	s_and_saveexec_b64 s[14:15], s[22:23]
	s_cbranch_execnz .LBB269_252
.LBB269_246:
	s_or_b64 exec, exec, s[14:15]
	s_and_b64 s[22:23], s[6:7], s[10:11]
	s_and_saveexec_b64 s[14:15], s[22:23]
	s_cbranch_execnz .LBB269_256
.LBB269_247:
	s_or_b64 exec, exec, s[14:15]
	s_and_b64 s[14:15], s[8:9], s[10:11]
	s_and_saveexec_b64 s[10:11], s[14:15]
	s_cbranch_execnz .LBB269_260
	s_branch .LBB269_264
.LBB269_248:
	s_and_b64 vcc, exec, s[0:1]
	s_cbranch_vccnz .LBB269_250
; %bb.249:
	v_lshl_add_u64 v[24:25], v[40:41], 1, v[22:23]
	flat_load_ushort v24, v[24:25]
	s_waitcnt vmcnt(0) lgkmcnt(0)
	v_mul_f16_e32 v24, s24, v24
	s_branch .LBB269_251
.LBB269_250:
	v_mov_b32_e32 v24, 0
.LBB269_251:
	v_pk_add_f16 v25, v8, v16
	v_pk_max_f16 v26, v75, v75
	s_nop 0
	v_pk_min_f16 v25, v26, v25
	v_pk_add_f16 v26, v9, v17
	s_nop 0
	v_pk_min_f16 v25, v25, v26
	s_nop 0
	v_lshrrev_b32_e32 v26, 16, v25
	v_min3_f16 v26, v24, v25, v26
	v_lshl_add_u64 v[24:25], v[40:41], 1, v[20:21]
	global_store_short v[24:25], v26, off
	s_or_b64 exec, exec, s[14:15]
	s_and_b64 s[22:23], s[4:5], s[10:11]
	s_and_saveexec_b64 s[14:15], s[22:23]
	s_cbranch_execz .LBB269_246
.LBB269_252:
	s_and_b64 vcc, exec, s[0:1]
	s_cbranch_vccnz .LBB269_254
; %bb.253:
	v_lshl_add_u64 v[24:25], v[42:43], 1, v[22:23]
	flat_load_ushort v24, v[24:25]
	s_waitcnt vmcnt(0) lgkmcnt(0)
	v_mul_f16_e32 v24, s24, v24
	s_branch .LBB269_255
.LBB269_254:
	v_mov_b32_e32 v24, 0
.LBB269_255:
	v_pk_add_f16 v25, v10, v16
	v_pk_max_f16 v26, v74, v74
	s_nop 0
	v_pk_min_f16 v25, v26, v25
	v_pk_add_f16 v26, v11, v17
	s_nop 0
	v_pk_min_f16 v25, v25, v26
	s_nop 0
	v_lshrrev_b32_e32 v26, 16, v25
	v_min3_f16 v26, v24, v25, v26
	v_lshl_add_u64 v[24:25], v[42:43], 1, v[20:21]
	global_store_short v[24:25], v26, off
	s_or_b64 exec, exec, s[14:15]
	s_and_b64 s[22:23], s[6:7], s[10:11]
	s_and_saveexec_b64 s[14:15], s[22:23]
	s_cbranch_execz .LBB269_247
.LBB269_256:
	s_and_b64 vcc, exec, s[0:1]
	s_cbranch_vccnz .LBB269_258
; %bb.257:
	v_lshl_add_u64 v[24:25], v[44:45], 1, v[22:23]
	flat_load_ushort v24, v[24:25]
	s_waitcnt vmcnt(0) lgkmcnt(0)
	v_mul_f16_e32 v24, s24, v24
	s_branch .LBB269_259
.LBB269_258:
	v_mov_b32_e32 v24, 0
.LBB269_259:
	v_pk_add_f16 v25, v0, v16
	v_pk_max_f16 v26, v73, v73
	s_nop 0
	v_pk_min_f16 v25, v26, v25
	v_pk_add_f16 v26, v1, v17
	s_nop 0
	v_pk_min_f16 v25, v25, v26
	s_nop 0
	v_lshrrev_b32_e32 v26, 16, v25
	v_min3_f16 v26, v24, v25, v26
	v_lshl_add_u64 v[24:25], v[44:45], 1, v[20:21]
	global_store_short v[24:25], v26, off
	s_or_b64 exec, exec, s[14:15]
	s_and_b64 s[14:15], s[8:9], s[10:11]
	s_and_saveexec_b64 s[10:11], s[14:15]
	s_cbranch_execz .LBB269_264
.LBB269_260:
	s_and_b64 vcc, exec, s[0:1]
	s_cbranch_vccnz .LBB269_262
; %bb.261:
	v_lshl_add_u64 v[22:23], v[46:47], 1, v[22:23]
	flat_load_ushort v22, v[22:23]
	s_waitcnt vmcnt(0) lgkmcnt(0)
	v_mul_f16_e32 v22, s24, v22
	s_branch .LBB269_263
.LBB269_262:
	v_mov_b32_e32 v22, 0
.LBB269_263:
	v_pk_add_f16 v16, v2, v16
	v_pk_max_f16 v23, v72, v72
	v_pk_add_f16 v17, v3, v17
	v_pk_min_f16 v16, v23, v16
	s_nop 0
	v_pk_min_f16 v16, v16, v17
	s_nop 0
	v_lshrrev_b32_e32 v17, 16, v16
	v_min3_f16 v22, v22, v16, v17
	v_lshl_add_u64 v[16:17], v[46:47], 1, v[20:21]
	global_store_short v[16:17], v22, off
.LBB269_264:
	s_or_b64 exec, exec, s[10:11]
	v_add_u32_e32 v22, 0x58, v85
	v_mad_i64_i32 v[16:17], s[14:15], v22, s19, 0
	v_cmp_gt_i32_e64 s[10:11], s17, v22
	v_lshl_add_u64 v[20:21], v[16:17], 1, s[20:21]
	v_mad_i64_i32 v[16:17], s[14:15], v22, s18, 0
	v_lshl_add_u64 v[16:17], v[16:17], 1, s[12:13]
	s_and_b64 s[22:23], s[2:3], s[10:11]
	s_and_saveexec_b64 s[14:15], s[22:23]
	s_cbranch_execnz .LBB269_268
; %bb.265:
	s_or_b64 exec, exec, s[14:15]
	s_and_b64 s[22:23], s[4:5], s[10:11]
	s_and_saveexec_b64 s[14:15], s[22:23]
	s_cbranch_execnz .LBB269_272
.LBB269_266:
	s_or_b64 exec, exec, s[14:15]
	s_and_b64 s[22:23], s[6:7], s[10:11]
	s_and_saveexec_b64 s[14:15], s[22:23]
	s_cbranch_execnz .LBB269_276
.LBB269_267:
	s_or_b64 exec, exec, s[14:15]
	s_and_b64 s[14:15], s[8:9], s[10:11]
	s_and_saveexec_b64 s[10:11], s[14:15]
	s_cbranch_execnz .LBB269_280
	s_branch .LBB269_284
.LBB269_268:
	s_and_b64 vcc, exec, s[0:1]
	s_cbranch_vccnz .LBB269_270
; %bb.269:
	v_lshl_add_u64 v[22:23], v[40:41], 1, v[20:21]
	flat_load_ushort v22, v[22:23]
	s_waitcnt vmcnt(0) lgkmcnt(0)
	v_mul_f16_e32 v22, s24, v22
	s_branch .LBB269_271
.LBB269_270:
	v_mov_b32_e32 v22, 0
.LBB269_271:
	v_pk_add_f16 v23, v8, v18
	v_pk_max_f16 v24, v71, v71
	s_nop 0
	v_pk_min_f16 v23, v24, v23
	v_pk_add_f16 v24, v9, v19
	s_nop 0
	v_pk_min_f16 v23, v23, v24
	s_nop 0
	v_lshrrev_b32_e32 v24, 16, v23
	v_min3_f16 v24, v22, v23, v24
	v_lshl_add_u64 v[22:23], v[40:41], 1, v[16:17]
	global_store_short v[22:23], v24, off
	s_or_b64 exec, exec, s[14:15]
	s_and_b64 s[22:23], s[4:5], s[10:11]
	s_and_saveexec_b64 s[14:15], s[22:23]
	s_cbranch_execz .LBB269_266
.LBB269_272:
	s_and_b64 vcc, exec, s[0:1]
	s_cbranch_vccnz .LBB269_274
; %bb.273:
	v_lshl_add_u64 v[22:23], v[42:43], 1, v[20:21]
	flat_load_ushort v22, v[22:23]
	s_waitcnt vmcnt(0) lgkmcnt(0)
	v_mul_f16_e32 v22, s24, v22
	s_branch .LBB269_275
.LBB269_274:
	v_mov_b32_e32 v22, 0
.LBB269_275:
	v_pk_add_f16 v23, v10, v18
	v_pk_max_f16 v24, v70, v70
	s_nop 0
	v_pk_min_f16 v23, v24, v23
	v_pk_add_f16 v24, v11, v19
	s_nop 0
	v_pk_min_f16 v23, v23, v24
	s_nop 0
	v_lshrrev_b32_e32 v24, 16, v23
	v_min3_f16 v24, v22, v23, v24
	v_lshl_add_u64 v[22:23], v[42:43], 1, v[16:17]
	global_store_short v[22:23], v24, off
	s_or_b64 exec, exec, s[14:15]
	s_and_b64 s[22:23], s[6:7], s[10:11]
	s_and_saveexec_b64 s[14:15], s[22:23]
	s_cbranch_execz .LBB269_267
.LBB269_276:
	s_and_b64 vcc, exec, s[0:1]
	s_cbranch_vccnz .LBB269_278
; %bb.277:
	v_lshl_add_u64 v[22:23], v[44:45], 1, v[20:21]
	flat_load_ushort v22, v[22:23]
	s_waitcnt vmcnt(0) lgkmcnt(0)
	v_mul_f16_e32 v22, s24, v22
	s_branch .LBB269_279
.LBB269_278:
	v_mov_b32_e32 v22, 0
.LBB269_279:
	v_pk_add_f16 v23, v0, v18
	v_pk_max_f16 v24, v69, v69
	s_nop 0
	v_pk_min_f16 v23, v24, v23
	v_pk_add_f16 v24, v1, v19
	s_nop 0
	v_pk_min_f16 v23, v23, v24
	s_nop 0
	v_lshrrev_b32_e32 v24, 16, v23
	v_min3_f16 v24, v22, v23, v24
	v_lshl_add_u64 v[22:23], v[44:45], 1, v[16:17]
	global_store_short v[22:23], v24, off
	s_or_b64 exec, exec, s[14:15]
	s_and_b64 s[14:15], s[8:9], s[10:11]
	s_and_saveexec_b64 s[10:11], s[14:15]
	s_cbranch_execz .LBB269_284
.LBB269_280:
	s_and_b64 vcc, exec, s[0:1]
	s_cbranch_vccnz .LBB269_282
; %bb.281:
	v_lshl_add_u64 v[20:21], v[46:47], 1, v[20:21]
	flat_load_ushort v20, v[20:21]
	s_waitcnt vmcnt(0) lgkmcnt(0)
	v_mul_f16_e32 v20, s24, v20
	s_branch .LBB269_283
.LBB269_282:
	v_mov_b32_e32 v20, 0
.LBB269_283:
	v_pk_add_f16 v18, v2, v18
	v_pk_max_f16 v21, v68, v68
	v_pk_add_f16 v19, v3, v19
	v_pk_min_f16 v18, v21, v18
	v_lshl_add_u64 v[16:17], v[46:47], 1, v[16:17]
	v_pk_min_f16 v18, v18, v19
	s_nop 0
	v_lshrrev_b32_e32 v19, 16, v18
	v_min3_f16 v18, v20, v18, v19
	global_store_short v[16:17], v18, off
.LBB269_284:
	s_or_b64 exec, exec, s[10:11]
	v_add_u32_e32 v20, 0x60, v85
	v_mad_i64_i32 v[16:17], s[14:15], v20, s19, 0
	v_cmp_gt_i32_e64 s[10:11], s17, v20
	v_lshl_add_u64 v[18:19], v[16:17], 1, s[20:21]
	v_mad_i64_i32 v[16:17], s[14:15], v20, s18, 0
	v_lshl_add_u64 v[16:17], v[16:17], 1, s[12:13]
	s_and_b64 s[22:23], s[2:3], s[10:11]
	s_and_saveexec_b64 s[14:15], s[22:23]
	s_cbranch_execnz .LBB269_288
; %bb.285:
	s_or_b64 exec, exec, s[14:15]
	s_and_b64 s[22:23], s[4:5], s[10:11]
	s_and_saveexec_b64 s[14:15], s[22:23]
	s_cbranch_execnz .LBB269_292
.LBB269_286:
	s_or_b64 exec, exec, s[14:15]
	s_and_b64 s[22:23], s[6:7], s[10:11]
	s_and_saveexec_b64 s[14:15], s[22:23]
	s_cbranch_execnz .LBB269_296
.LBB269_287:
	s_or_b64 exec, exec, s[14:15]
	s_and_b64 s[14:15], s[8:9], s[10:11]
	s_and_saveexec_b64 s[10:11], s[14:15]
	s_cbranch_execnz .LBB269_300
	s_branch .LBB269_304
.LBB269_288:
	s_and_b64 vcc, exec, s[0:1]
	s_cbranch_vccnz .LBB269_290
; %bb.289:
	v_lshl_add_u64 v[20:21], v[40:41], 1, v[18:19]
	flat_load_ushort v20, v[20:21]
	s_waitcnt vmcnt(0) lgkmcnt(0)
	v_mul_f16_e32 v20, s24, v20
	s_branch .LBB269_291
.LBB269_290:
	v_mov_b32_e32 v20, 0
.LBB269_291:
	v_pk_add_f16 v21, v8, v12
	v_pk_max_f16 v22, v67, v67
	s_nop 0
	v_pk_min_f16 v21, v22, v21
	v_pk_add_f16 v22, v9, v13
	s_nop 0
	v_pk_min_f16 v21, v21, v22
	s_nop 0
	v_lshrrev_b32_e32 v22, 16, v21
	v_min3_f16 v22, v20, v21, v22
	v_lshl_add_u64 v[20:21], v[40:41], 1, v[16:17]
	global_store_short v[20:21], v22, off
	s_or_b64 exec, exec, s[14:15]
	s_and_b64 s[22:23], s[4:5], s[10:11]
	s_and_saveexec_b64 s[14:15], s[22:23]
	s_cbranch_execz .LBB269_286
.LBB269_292:
	s_and_b64 vcc, exec, s[0:1]
	s_cbranch_vccnz .LBB269_294
; %bb.293:
	v_lshl_add_u64 v[20:21], v[42:43], 1, v[18:19]
	flat_load_ushort v20, v[20:21]
	s_waitcnt vmcnt(0) lgkmcnt(0)
	v_mul_f16_e32 v20, s24, v20
	s_branch .LBB269_295
.LBB269_294:
	v_mov_b32_e32 v20, 0
.LBB269_295:
	v_pk_add_f16 v21, v10, v12
	v_pk_max_f16 v22, v66, v66
	s_nop 0
	v_pk_min_f16 v21, v22, v21
	v_pk_add_f16 v22, v11, v13
	s_nop 0
	v_pk_min_f16 v21, v21, v22
	s_nop 0
	v_lshrrev_b32_e32 v22, 16, v21
	v_min3_f16 v22, v20, v21, v22
	v_lshl_add_u64 v[20:21], v[42:43], 1, v[16:17]
	global_store_short v[20:21], v22, off
	s_or_b64 exec, exec, s[14:15]
	s_and_b64 s[22:23], s[6:7], s[10:11]
	s_and_saveexec_b64 s[14:15], s[22:23]
	s_cbranch_execz .LBB269_287
.LBB269_296:
	s_and_b64 vcc, exec, s[0:1]
	s_cbranch_vccnz .LBB269_298
; %bb.297:
	v_lshl_add_u64 v[20:21], v[44:45], 1, v[18:19]
	flat_load_ushort v20, v[20:21]
	s_waitcnt vmcnt(0) lgkmcnt(0)
	v_mul_f16_e32 v20, s24, v20
	s_branch .LBB269_299
.LBB269_298:
	v_mov_b32_e32 v20, 0
.LBB269_299:
	v_pk_add_f16 v21, v0, v12
	v_pk_max_f16 v22, v65, v65
	s_nop 0
	v_pk_min_f16 v21, v22, v21
	v_pk_add_f16 v22, v1, v13
	s_nop 0
	v_pk_min_f16 v21, v21, v22
	s_nop 0
	v_lshrrev_b32_e32 v22, 16, v21
	v_min3_f16 v22, v20, v21, v22
	v_lshl_add_u64 v[20:21], v[44:45], 1, v[16:17]
	global_store_short v[20:21], v22, off
	s_or_b64 exec, exec, s[14:15]
	s_and_b64 s[14:15], s[8:9], s[10:11]
	s_and_saveexec_b64 s[10:11], s[14:15]
	s_cbranch_execz .LBB269_304
.LBB269_300:
	s_and_b64 vcc, exec, s[0:1]
	s_cbranch_vccnz .LBB269_302
; %bb.301:
	v_lshl_add_u64 v[18:19], v[46:47], 1, v[18:19]
	flat_load_ushort v18, v[18:19]
	s_waitcnt vmcnt(0) lgkmcnt(0)
	v_mul_f16_e32 v18, s24, v18
	s_branch .LBB269_303
.LBB269_302:
	v_mov_b32_e32 v18, 0
.LBB269_303:
	v_pk_add_f16 v12, v2, v12
	v_pk_max_f16 v19, v64, v64
	v_pk_add_f16 v13, v3, v13
	v_pk_min_f16 v12, v19, v12
	s_nop 0
	v_pk_min_f16 v12, v12, v13
	s_nop 0
	v_lshrrev_b32_e32 v13, 16, v12
	v_min3_f16 v18, v18, v12, v13
	v_lshl_add_u64 v[12:13], v[46:47], 1, v[16:17]
	global_store_short v[12:13], v18, off
.LBB269_304:
	s_or_b64 exec, exec, s[10:11]
	v_add_u32_e32 v18, 0x68, v85
	v_mad_i64_i32 v[12:13], s[14:15], v18, s19, 0
	v_cmp_gt_i32_e64 s[10:11], s17, v18
	v_lshl_add_u64 v[16:17], v[12:13], 1, s[20:21]
	v_mad_i64_i32 v[12:13], s[14:15], v18, s18, 0
	v_lshl_add_u64 v[12:13], v[12:13], 1, s[12:13]
	s_and_b64 s[22:23], s[2:3], s[10:11]
	s_and_saveexec_b64 s[14:15], s[22:23]
	s_cbranch_execnz .LBB269_308
; %bb.305:
	s_or_b64 exec, exec, s[14:15]
	s_and_b64 s[22:23], s[4:5], s[10:11]
	s_and_saveexec_b64 s[14:15], s[22:23]
	s_cbranch_execnz .LBB269_312
.LBB269_306:
	s_or_b64 exec, exec, s[14:15]
	s_and_b64 s[22:23], s[6:7], s[10:11]
	s_and_saveexec_b64 s[14:15], s[22:23]
	s_cbranch_execnz .LBB269_316
.LBB269_307:
	s_or_b64 exec, exec, s[14:15]
	s_and_b64 s[14:15], s[8:9], s[10:11]
	s_and_saveexec_b64 s[10:11], s[14:15]
	s_cbranch_execnz .LBB269_320
	s_branch .LBB269_324
.LBB269_308:
	s_and_b64 vcc, exec, s[0:1]
	s_cbranch_vccnz .LBB269_310
; %bb.309:
	v_lshl_add_u64 v[18:19], v[40:41], 1, v[16:17]
	flat_load_ushort v18, v[18:19]
	s_waitcnt vmcnt(0) lgkmcnt(0)
	v_mul_f16_e32 v18, s24, v18
	s_branch .LBB269_311
.LBB269_310:
	v_mov_b32_e32 v18, 0
.LBB269_311:
	v_pk_add_f16 v19, v8, v14
	v_pk_max_f16 v20, v63, v63
	s_nop 0
	v_pk_min_f16 v19, v20, v19
	v_pk_add_f16 v20, v9, v15
	s_nop 0
	v_pk_min_f16 v19, v19, v20
	s_nop 0
	v_lshrrev_b32_e32 v20, 16, v19
	v_min3_f16 v20, v18, v19, v20
	v_lshl_add_u64 v[18:19], v[40:41], 1, v[12:13]
	global_store_short v[18:19], v20, off
	s_or_b64 exec, exec, s[14:15]
	s_and_b64 s[22:23], s[4:5], s[10:11]
	s_and_saveexec_b64 s[14:15], s[22:23]
	s_cbranch_execz .LBB269_306
.LBB269_312:
	s_and_b64 vcc, exec, s[0:1]
	s_cbranch_vccnz .LBB269_314
; %bb.313:
	v_lshl_add_u64 v[18:19], v[42:43], 1, v[16:17]
	flat_load_ushort v18, v[18:19]
	s_waitcnt vmcnt(0) lgkmcnt(0)
	v_mul_f16_e32 v18, s24, v18
	s_branch .LBB269_315
.LBB269_314:
	v_mov_b32_e32 v18, 0
.LBB269_315:
	v_pk_add_f16 v19, v10, v14
	v_pk_max_f16 v20, v62, v62
	s_nop 0
	v_pk_min_f16 v19, v20, v19
	v_pk_add_f16 v20, v11, v15
	s_nop 0
	v_pk_min_f16 v19, v19, v20
	s_nop 0
	v_lshrrev_b32_e32 v20, 16, v19
	v_min3_f16 v20, v18, v19, v20
	v_lshl_add_u64 v[18:19], v[42:43], 1, v[12:13]
	global_store_short v[18:19], v20, off
	s_or_b64 exec, exec, s[14:15]
	s_and_b64 s[22:23], s[6:7], s[10:11]
	s_and_saveexec_b64 s[14:15], s[22:23]
	s_cbranch_execz .LBB269_307
.LBB269_316:
	s_and_b64 vcc, exec, s[0:1]
	s_cbranch_vccnz .LBB269_318
; %bb.317:
	v_lshl_add_u64 v[18:19], v[44:45], 1, v[16:17]
	flat_load_ushort v18, v[18:19]
	s_waitcnt vmcnt(0) lgkmcnt(0)
	v_mul_f16_e32 v18, s24, v18
	s_branch .LBB269_319
.LBB269_318:
	v_mov_b32_e32 v18, 0
.LBB269_319:
	v_pk_add_f16 v19, v0, v14
	v_pk_max_f16 v20, v61, v61
	s_nop 0
	v_pk_min_f16 v19, v20, v19
	v_pk_add_f16 v20, v1, v15
	s_nop 0
	v_pk_min_f16 v19, v19, v20
	s_nop 0
	v_lshrrev_b32_e32 v20, 16, v19
	v_min3_f16 v20, v18, v19, v20
	v_lshl_add_u64 v[18:19], v[44:45], 1, v[12:13]
	global_store_short v[18:19], v20, off
	s_or_b64 exec, exec, s[14:15]
	s_and_b64 s[14:15], s[8:9], s[10:11]
	s_and_saveexec_b64 s[10:11], s[14:15]
	s_cbranch_execz .LBB269_324
.LBB269_320:
	s_and_b64 vcc, exec, s[0:1]
	s_cbranch_vccnz .LBB269_322
; %bb.321:
	v_lshl_add_u64 v[16:17], v[46:47], 1, v[16:17]
	flat_load_ushort v16, v[16:17]
	s_waitcnt vmcnt(0) lgkmcnt(0)
	v_mul_f16_e32 v16, s24, v16
	s_branch .LBB269_323
.LBB269_322:
	v_mov_b32_e32 v16, 0
.LBB269_323:
	v_pk_add_f16 v14, v2, v14
	v_pk_max_f16 v17, v60, v60
	v_pk_add_f16 v15, v3, v15
	v_pk_min_f16 v14, v17, v14
	v_lshl_add_u64 v[12:13], v[46:47], 1, v[12:13]
	v_pk_min_f16 v14, v14, v15
	s_nop 0
	v_lshrrev_b32_e32 v15, 16, v14
	v_min3_f16 v14, v16, v14, v15
	global_store_short v[12:13], v14, off
.LBB269_324:
	s_or_b64 exec, exec, s[10:11]
	v_add_u32_e32 v16, 0x70, v85
	v_mad_i64_i32 v[12:13], s[14:15], v16, s19, 0
	v_cmp_gt_i32_e64 s[10:11], s17, v16
	v_lshl_add_u64 v[14:15], v[12:13], 1, s[20:21]
	v_mad_i64_i32 v[12:13], s[14:15], v16, s18, 0
	v_lshl_add_u64 v[12:13], v[12:13], 1, s[12:13]
	s_and_b64 s[22:23], s[2:3], s[10:11]
	s_and_saveexec_b64 s[14:15], s[22:23]
	s_cbranch_execnz .LBB269_328
; %bb.325:
	s_or_b64 exec, exec, s[14:15]
	s_and_b64 s[22:23], s[4:5], s[10:11]
	s_and_saveexec_b64 s[14:15], s[22:23]
	s_cbranch_execnz .LBB269_332
.LBB269_326:
	s_or_b64 exec, exec, s[14:15]
	s_and_b64 s[22:23], s[6:7], s[10:11]
	s_and_saveexec_b64 s[14:15], s[22:23]
	s_cbranch_execnz .LBB269_336
.LBB269_327:
	s_or_b64 exec, exec, s[14:15]
	s_and_b64 s[14:15], s[8:9], s[10:11]
	s_and_saveexec_b64 s[10:11], s[14:15]
	s_cbranch_execnz .LBB269_340
	s_branch .LBB269_344
.LBB269_328:
	s_and_b64 vcc, exec, s[0:1]
	s_cbranch_vccnz .LBB269_330
; %bb.329:
	v_lshl_add_u64 v[16:17], v[40:41], 1, v[14:15]
	flat_load_ushort v16, v[16:17]
	s_waitcnt vmcnt(0) lgkmcnt(0)
	v_mul_f16_e32 v16, s24, v16
	s_branch .LBB269_331
.LBB269_330:
	v_mov_b32_e32 v16, 0
.LBB269_331:
	v_pk_add_f16 v17, v8, v4
	v_pk_max_f16 v18, v59, v59
	s_nop 0
	v_pk_min_f16 v17, v18, v17
	v_pk_add_f16 v18, v9, v5
	s_nop 0
	v_pk_min_f16 v17, v17, v18
	s_nop 0
	v_lshrrev_b32_e32 v18, 16, v17
	v_min3_f16 v18, v16, v17, v18
	v_lshl_add_u64 v[16:17], v[40:41], 1, v[12:13]
	global_store_short v[16:17], v18, off
	s_or_b64 exec, exec, s[14:15]
	s_and_b64 s[22:23], s[4:5], s[10:11]
	s_and_saveexec_b64 s[14:15], s[22:23]
	s_cbranch_execz .LBB269_326
.LBB269_332:
	s_and_b64 vcc, exec, s[0:1]
	s_cbranch_vccnz .LBB269_334
; %bb.333:
	v_lshl_add_u64 v[16:17], v[42:43], 1, v[14:15]
	flat_load_ushort v16, v[16:17]
	s_waitcnt vmcnt(0) lgkmcnt(0)
	v_mul_f16_e32 v16, s24, v16
	s_branch .LBB269_335
.LBB269_334:
	v_mov_b32_e32 v16, 0
.LBB269_335:
	v_pk_add_f16 v17, v10, v4
	v_pk_max_f16 v18, v58, v58
	s_nop 0
	v_pk_min_f16 v17, v18, v17
	v_pk_add_f16 v18, v11, v5
	s_nop 0
	v_pk_min_f16 v17, v17, v18
	s_nop 0
	v_lshrrev_b32_e32 v18, 16, v17
	v_min3_f16 v18, v16, v17, v18
	v_lshl_add_u64 v[16:17], v[42:43], 1, v[12:13]
	global_store_short v[16:17], v18, off
	s_or_b64 exec, exec, s[14:15]
	s_and_b64 s[22:23], s[6:7], s[10:11]
	s_and_saveexec_b64 s[14:15], s[22:23]
	s_cbranch_execz .LBB269_327
.LBB269_336:
	s_and_b64 vcc, exec, s[0:1]
	s_cbranch_vccnz .LBB269_338
; %bb.337:
	v_lshl_add_u64 v[16:17], v[44:45], 1, v[14:15]
	flat_load_ushort v16, v[16:17]
	s_waitcnt vmcnt(0) lgkmcnt(0)
	v_mul_f16_e32 v16, s24, v16
	s_branch .LBB269_339
.LBB269_338:
	v_mov_b32_e32 v16, 0
.LBB269_339:
	v_pk_add_f16 v17, v0, v4
	v_pk_max_f16 v18, v57, v57
	s_nop 0
	v_pk_min_f16 v17, v18, v17
	v_pk_add_f16 v18, v1, v5
	s_nop 0
	v_pk_min_f16 v17, v17, v18
	s_nop 0
	v_lshrrev_b32_e32 v18, 16, v17
	v_min3_f16 v18, v16, v17, v18
	v_lshl_add_u64 v[16:17], v[44:45], 1, v[12:13]
	global_store_short v[16:17], v18, off
	s_or_b64 exec, exec, s[14:15]
	s_and_b64 s[14:15], s[8:9], s[10:11]
	s_and_saveexec_b64 s[10:11], s[14:15]
	s_cbranch_execz .LBB269_344
.LBB269_340:
	s_and_b64 vcc, exec, s[0:1]
	s_cbranch_vccnz .LBB269_342
; %bb.341:
	v_lshl_add_u64 v[14:15], v[46:47], 1, v[14:15]
	flat_load_ushort v14, v[14:15]
	s_waitcnt vmcnt(0) lgkmcnt(0)
	v_mul_f16_e32 v14, s24, v14
	s_branch .LBB269_343
.LBB269_342:
	v_mov_b32_e32 v14, 0
.LBB269_343:
	v_pk_add_f16 v4, v2, v4
	v_pk_max_f16 v15, v56, v56
	v_pk_add_f16 v5, v3, v5
	v_pk_min_f16 v4, v15, v4
	s_nop 0
	v_pk_min_f16 v4, v4, v5
	s_nop 0
	v_lshrrev_b32_e32 v5, 16, v4
	v_min3_f16 v14, v14, v4, v5
	v_lshl_add_u64 v[4:5], v[46:47], 1, v[12:13]
	global_store_short v[4:5], v14, off
.LBB269_344:
	s_or_b64 exec, exec, s[10:11]
	v_add_u32_e32 v14, 0x78, v85
	v_mad_i64_i32 v[4:5], s[14:15], v14, s19, 0
	v_cmp_gt_i32_e64 s[10:11], s17, v14
	v_lshl_add_u64 v[12:13], v[4:5], 1, s[20:21]
	v_mad_i64_i32 v[4:5], s[14:15], v14, s18, 0
	v_lshl_add_u64 v[4:5], v[4:5], 1, s[12:13]
	s_and_b64 s[12:13], s[2:3], s[10:11]
	s_and_saveexec_b64 s[2:3], s[12:13]
	s_cbranch_execnz .LBB269_349
; %bb.345:
	s_or_b64 exec, exec, s[2:3]
	s_and_b64 s[4:5], s[4:5], s[10:11]
	s_and_saveexec_b64 s[2:3], s[4:5]
	s_cbranch_execnz .LBB269_353
.LBB269_346:
	s_or_b64 exec, exec, s[2:3]
	s_and_b64 s[4:5], s[6:7], s[10:11]
	s_and_saveexec_b64 s[2:3], s[4:5]
	s_cbranch_execnz .LBB269_357
.LBB269_347:
	s_or_b64 exec, exec, s[2:3]
	s_and_b64 s[2:3], s[8:9], s[10:11]
	s_and_saveexec_b64 s[4:5], s[2:3]
	s_cbranch_execnz .LBB269_361
.LBB269_348:
	s_endpgm
.LBB269_349:
	s_and_b64 vcc, exec, s[0:1]
	s_cbranch_vccnz .LBB269_351
; %bb.350:
	v_lshl_add_u64 v[14:15], v[40:41], 1, v[12:13]
	flat_load_ushort v14, v[14:15]
	s_waitcnt vmcnt(0) lgkmcnt(0)
	v_mul_f16_e32 v14, s24, v14
	s_branch .LBB269_352
.LBB269_351:
	v_mov_b32_e32 v14, 0
.LBB269_352:
	v_pk_add_f16 v8, v8, v6
	v_pk_max_f16 v15, v54, v54
	v_pk_add_f16 v9, v9, v7
	v_pk_min_f16 v8, v15, v8
	s_nop 0
	v_pk_min_f16 v8, v8, v9
	s_nop 0
	v_lshrrev_b32_e32 v9, 16, v8
	v_min3_f16 v14, v14, v8, v9
	v_lshl_add_u64 v[8:9], v[40:41], 1, v[4:5]
	global_store_short v[8:9], v14, off
	s_or_b64 exec, exec, s[2:3]
	s_and_b64 s[4:5], s[4:5], s[10:11]
	s_and_saveexec_b64 s[2:3], s[4:5]
	s_cbranch_execz .LBB269_346
.LBB269_353:
	s_and_b64 vcc, exec, s[0:1]
	s_cbranch_vccnz .LBB269_355
; %bb.354:
	v_lshl_add_u64 v[8:9], v[42:43], 1, v[12:13]
	flat_load_ushort v8, v[8:9]
	s_waitcnt vmcnt(0) lgkmcnt(0)
	v_mul_f16_e32 v8, s24, v8
	s_branch .LBB269_356
.LBB269_355:
	v_mov_b32_e32 v8, 0
.LBB269_356:
	v_pk_add_f16 v9, v10, v6
	v_pk_max_f16 v10, v53, v53
	s_nop 0
	v_pk_min_f16 v9, v10, v9
	v_pk_add_f16 v10, v11, v7
	s_nop 0
	v_pk_min_f16 v9, v9, v10
	s_nop 0
	v_lshrrev_b32_e32 v10, 16, v9
	v_min3_f16 v10, v8, v9, v10
	v_lshl_add_u64 v[8:9], v[42:43], 1, v[4:5]
	global_store_short v[8:9], v10, off
	s_or_b64 exec, exec, s[2:3]
	s_and_b64 s[4:5], s[6:7], s[10:11]
	s_and_saveexec_b64 s[2:3], s[4:5]
	s_cbranch_execz .LBB269_347
.LBB269_357:
	s_and_b64 vcc, exec, s[0:1]
	s_cbranch_vccnz .LBB269_359
; %bb.358:
	v_lshl_add_u64 v[8:9], v[44:45], 1, v[12:13]
	flat_load_ushort v8, v[8:9]
	s_waitcnt vmcnt(0) lgkmcnt(0)
	v_mul_f16_e32 v8, s24, v8
	s_branch .LBB269_360
.LBB269_359:
	v_mov_b32_e32 v8, 0
.LBB269_360:
	v_pk_add_f16 v0, v0, v6
	v_pk_max_f16 v9, v52, v52
	v_pk_add_f16 v1, v1, v7
	v_pk_min_f16 v0, v9, v0
	s_nop 0
	v_pk_min_f16 v0, v0, v1
	s_nop 0
	v_lshrrev_b32_e32 v1, 16, v0
	v_min3_f16 v8, v8, v0, v1
	v_lshl_add_u64 v[0:1], v[44:45], 1, v[4:5]
	global_store_short v[0:1], v8, off
	s_or_b64 exec, exec, s[2:3]
	s_and_b64 s[2:3], s[8:9], s[10:11]
	s_and_saveexec_b64 s[4:5], s[2:3]
	s_cbranch_execz .LBB269_348
.LBB269_361:
	s_and_b64 vcc, exec, s[0:1]
	s_cbranch_vccnz .LBB269_363
; %bb.362:
	v_lshl_add_u64 v[0:1], v[46:47], 1, v[12:13]
	flat_load_ushort v0, v[0:1]
	s_waitcnt vmcnt(0) lgkmcnt(0)
	v_mul_f16_e32 v0, s24, v0
	s_branch .LBB269_364
.LBB269_363:
	v_mov_b32_e32 v0, 0
.LBB269_364:
	v_pk_add_f16 v1, v2, v6
	v_pk_max_f16 v2, v55, v55
	s_nop 0
	v_pk_min_f16 v1, v2, v1
	v_pk_add_f16 v2, v3, v7
	s_nop 0
	v_pk_min_f16 v1, v1, v2
	s_nop 0
	v_lshrrev_b32_e32 v2, 16, v1
	v_min3_f16 v2, v0, v1, v2
	v_lshl_add_u64 v[0:1], v[46:47], 1, v[4:5]
	global_store_short v[0:1], v2, off
	s_endpgm
	.section	.rodata,"a",@progbits
	.p2align	6, 0x0
	.amdhsa_kernel _ZN12_GLOBAL__N_120geam_min_plus_kernelIDF16_Dv2_DF16_S1_Li32ELi8ELi128ELi128ELi4ELi4ELi64ELi4ELi64ELc84ELc78ELb0ELb1ELb1EDF16_KDF16_DF16_EEviiiT16_PT17_ilS5_ilS3_S5_ilPT18_ili26rocblas_geam_ex_operation_
		.amdhsa_group_segment_fixed_size 4096
		.amdhsa_private_segment_fixed_size 0
		.amdhsa_kernarg_size 128
		.amdhsa_user_sgpr_count 2
		.amdhsa_user_sgpr_dispatch_ptr 0
		.amdhsa_user_sgpr_queue_ptr 0
		.amdhsa_user_sgpr_kernarg_segment_ptr 1
		.amdhsa_user_sgpr_dispatch_id 0
		.amdhsa_user_sgpr_kernarg_preload_length 0
		.amdhsa_user_sgpr_kernarg_preload_offset 0
		.amdhsa_user_sgpr_private_segment_size 0
		.amdhsa_uses_dynamic_stack 0
		.amdhsa_enable_private_segment 0
		.amdhsa_system_sgpr_workgroup_id_x 1
		.amdhsa_system_sgpr_workgroup_id_y 0
		.amdhsa_system_sgpr_workgroup_id_z 1
		.amdhsa_system_sgpr_workgroup_info 0
		.amdhsa_system_vgpr_workitem_id 1
		.amdhsa_next_free_vgpr 167
		.amdhsa_next_free_sgpr 40
		.amdhsa_accum_offset 168
		.amdhsa_reserve_vcc 1
		.amdhsa_float_round_mode_32 0
		.amdhsa_float_round_mode_16_64 0
		.amdhsa_float_denorm_mode_32 3
		.amdhsa_float_denorm_mode_16_64 3
		.amdhsa_dx10_clamp 1
		.amdhsa_ieee_mode 1
		.amdhsa_fp16_overflow 0
		.amdhsa_tg_split 0
		.amdhsa_exception_fp_ieee_invalid_op 0
		.amdhsa_exception_fp_denorm_src 0
		.amdhsa_exception_fp_ieee_div_zero 0
		.amdhsa_exception_fp_ieee_overflow 0
		.amdhsa_exception_fp_ieee_underflow 0
		.amdhsa_exception_fp_ieee_inexact 0
		.amdhsa_exception_int_div_zero 0
	.end_amdhsa_kernel
	.section	.text._ZN12_GLOBAL__N_120geam_min_plus_kernelIDF16_Dv2_DF16_S1_Li32ELi8ELi128ELi128ELi4ELi4ELi64ELi4ELi64ELc84ELc78ELb0ELb1ELb1EDF16_KDF16_DF16_EEviiiT16_PT17_ilS5_ilS3_S5_ilPT18_ili26rocblas_geam_ex_operation_,"axG",@progbits,_ZN12_GLOBAL__N_120geam_min_plus_kernelIDF16_Dv2_DF16_S1_Li32ELi8ELi128ELi128ELi4ELi4ELi64ELi4ELi64ELc84ELc78ELb0ELb1ELb1EDF16_KDF16_DF16_EEviiiT16_PT17_ilS5_ilS3_S5_ilPT18_ili26rocblas_geam_ex_operation_,comdat
.Lfunc_end269:
	.size	_ZN12_GLOBAL__N_120geam_min_plus_kernelIDF16_Dv2_DF16_S1_Li32ELi8ELi128ELi128ELi4ELi4ELi64ELi4ELi64ELc84ELc78ELb0ELb1ELb1EDF16_KDF16_DF16_EEviiiT16_PT17_ilS5_ilS3_S5_ilPT18_ili26rocblas_geam_ex_operation_, .Lfunc_end269-_ZN12_GLOBAL__N_120geam_min_plus_kernelIDF16_Dv2_DF16_S1_Li32ELi8ELi128ELi128ELi4ELi4ELi64ELi4ELi64ELc84ELc78ELb0ELb1ELb1EDF16_KDF16_DF16_EEviiiT16_PT17_ilS5_ilS3_S5_ilPT18_ili26rocblas_geam_ex_operation_
                                        ; -- End function
	.section	.AMDGPU.csdata,"",@progbits
; Kernel info:
; codeLenInByte = 19988
; NumSgprs: 46
; NumVgprs: 167
; NumAgprs: 0
; TotalNumVgprs: 167
; ScratchSize: 0
; MemoryBound: 0
; FloatMode: 240
; IeeeMode: 1
; LDSByteSize: 4096 bytes/workgroup (compile time only)
; SGPRBlocks: 5
; VGPRBlocks: 20
; NumSGPRsForWavesPerEU: 46
; NumVGPRsForWavesPerEU: 167
; AccumOffset: 168
; Occupancy: 3
; WaveLimiterHint : 0
; COMPUTE_PGM_RSRC2:SCRATCH_EN: 0
; COMPUTE_PGM_RSRC2:USER_SGPR: 2
; COMPUTE_PGM_RSRC2:TRAP_HANDLER: 0
; COMPUTE_PGM_RSRC2:TGID_X_EN: 1
; COMPUTE_PGM_RSRC2:TGID_Y_EN: 0
; COMPUTE_PGM_RSRC2:TGID_Z_EN: 1
; COMPUTE_PGM_RSRC2:TIDIG_COMP_CNT: 1
; COMPUTE_PGM_RSRC3_GFX90A:ACCUM_OFFSET: 41
; COMPUTE_PGM_RSRC3_GFX90A:TG_SPLIT: 0
	.section	.text._ZN12_GLOBAL__N_120geam_min_plus_kernelIDF16_Dv2_DF16_S1_Li8ELi32ELi64ELi256ELi4ELi64ELi4ELi64ELi4ELc78ELc84ELb0ELb0ELb1EPKDF16_S2_DF16_EEviiiT16_PT17_ilS6_ilS4_S6_ilPT18_ili26rocblas_geam_ex_operation_,"axG",@progbits,_ZN12_GLOBAL__N_120geam_min_plus_kernelIDF16_Dv2_DF16_S1_Li8ELi32ELi64ELi256ELi4ELi64ELi4ELi64ELi4ELc78ELc84ELb0ELb0ELb1EPKDF16_S2_DF16_EEviiiT16_PT17_ilS6_ilS4_S6_ilPT18_ili26rocblas_geam_ex_operation_,comdat
	.globl	_ZN12_GLOBAL__N_120geam_min_plus_kernelIDF16_Dv2_DF16_S1_Li8ELi32ELi64ELi256ELi4ELi64ELi4ELi64ELi4ELc78ELc84ELb0ELb0ELb1EPKDF16_S2_DF16_EEviiiT16_PT17_ilS6_ilS4_S6_ilPT18_ili26rocblas_geam_ex_operation_ ; -- Begin function _ZN12_GLOBAL__N_120geam_min_plus_kernelIDF16_Dv2_DF16_S1_Li8ELi32ELi64ELi256ELi4ELi64ELi4ELi64ELi4ELc78ELc84ELb0ELb0ELb1EPKDF16_S2_DF16_EEviiiT16_PT17_ilS6_ilS4_S6_ilPT18_ili26rocblas_geam_ex_operation_
	.p2align	8
	.type	_ZN12_GLOBAL__N_120geam_min_plus_kernelIDF16_Dv2_DF16_S1_Li8ELi32ELi64ELi256ELi4ELi64ELi4ELi64ELi4ELc78ELc84ELb0ELb0ELb1EPKDF16_S2_DF16_EEviiiT16_PT17_ilS6_ilS4_S6_ilPT18_ili26rocblas_geam_ex_operation_,@function
_ZN12_GLOBAL__N_120geam_min_plus_kernelIDF16_Dv2_DF16_S1_Li8ELi32ELi64ELi256ELi4ELi64ELi4ELi64ELi4ELc78ELc84ELb0ELb0ELb1EPKDF16_S2_DF16_EEviiiT16_PT17_ilS6_ilS4_S6_ilPT18_ili26rocblas_geam_ex_operation_: ; @_ZN12_GLOBAL__N_120geam_min_plus_kernelIDF16_Dv2_DF16_S1_Li8ELi32ELi64ELi256ELi4ELi64ELi4ELi64ELi4ELc78ELc84ELb0ELb0ELb1EPKDF16_S2_DF16_EEviiiT16_PT17_ilS6_ilS4_S6_ilPT18_ili26rocblas_geam_ex_operation_
; %bb.0:
	s_load_dwordx4 s[16:19], s[0:1], 0x10
	s_load_dwordx4 s[12:15], s[0:1], 0x28
	s_mov_b32 s20, s3
	s_mov_b32 s21, 0
	s_lshl_b64 s[4:5], s[20:21], 1
	s_waitcnt lgkmcnt(0)
	s_add_u32 s6, s16, s4
	s_addc_u32 s7, s17, s5
	v_mov_b32_e32 v1, 0
	global_load_ushort v46, v1, s[6:7]
	s_load_dwordx4 s[8:11], s[0:1], 0x40
	s_load_dwordx2 s[26:27], s[0:1], 0x50
	s_mov_b64 s[22:23], 0
	s_mov_b64 s[24:25], 0
	s_waitcnt lgkmcnt(0)
	s_add_u32 s4, s10, s4
	s_addc_u32 s5, s11, s5
	s_waitcnt vmcnt(0)
	v_cmp_eq_f16_e64 s[10:11], 0, v46
	v_cmp_neq_f16_e64 s[6:7], 0, v46
	s_and_b64 vcc, exec, s[10:11]
	s_cbranch_vccnz .LBB270_2
; %bb.1:
	s_mul_i32 s3, s20, s13
	s_mul_hi_u32 s13, s20, s12
	s_add_i32 s13, s13, s3
	s_mul_i32 s12, s20, s12
	s_lshl_b64 s[12:13], s[12:13], 1
	s_add_u32 s24, s18, s12
	s_addc_u32 s25, s19, s13
.LBB270_2:
	global_load_ushort v52, v1, s[4:5]
	v_cndmask_b32_e64 v1, 0, 1, s[6:7]
	v_cmp_ne_u32_e64 s[4:5], 1, v1
	s_andn2_b64 vcc, exec, s[6:7]
	s_cbranch_vccnz .LBB270_4
; %bb.3:
	s_mul_i32 s3, s20, s9
	s_mul_hi_u32 s9, s20, s8
	s_add_i32 s9, s9, s3
	s_mul_i32 s8, s20, s8
	s_lshl_b64 s[8:9], s[8:9], 1
	s_add_u32 s22, s14, s8
	s_addc_u32 s23, s15, s9
.LBB270_4:
	s_load_dwordx4 s[16:19], s[0:1], 0x60
	s_waitcnt vmcnt(0)
	v_cmp_eq_f16_e32 vcc, 0, v52
	s_and_b64 s[12:13], exec, vcc
	s_mov_b64 vcc, s[12:13]
	s_cbranch_vccnz .LBB270_6
; %bb.5:
	s_waitcnt lgkmcnt(0)
	s_mul_i32 s3, s20, s17
	s_mul_hi_u32 s8, s20, s16
	s_add_i32 s9, s8, s3
	s_mul_i32 s8, s20, s16
	s_lshl_b64 s[8:9], s[8:9], 1
	s_add_u32 s14, s26, s8
	s_addc_u32 s15, s27, s9
	s_branch .LBB270_7
.LBB270_6:
	s_mov_b64 s[14:15], 0
.LBB270_7:
	s_load_dword s3, s[0:1], 0x0
	s_waitcnt lgkmcnt(0)
	s_load_dword s16, s[0:1], 0x20
	v_and_b32_e32 v48, 0x3ff, v0
	v_bfe_u32 v49, v0, 10, 10
	v_cndmask_b32_e64 v0, 0, 1, s[10:11]
	s_add_i32 s3, s3, -1
	s_ashr_i32 s8, s3, 31
	s_lshr_b32 s8, s8, 26
	s_add_i32 s3, s3, s8
	s_ashr_i32 s3, s3, 6
	s_add_i32 s21, s3, 1
	v_cvt_f32_u32_e32 v1, s21
	v_cmp_ne_u32_e64 s[8:9], 1, v0
	s_not_b32 s3, s3
	s_waitcnt lgkmcnt(0)
	s_ashr_i32 s17, s16, 31
	v_rcp_iflag_f32_e32 v1, v1
	v_lshl_add_u32 v2, v49, 3, v48
	v_and_b32_e32 v33, 63, v2
	v_lshrrev_b32_e32 v32, 6, v2
	v_mul_f32_e32 v0, 0x4f7ffffe, v1
	v_cvt_u32_f32_e32 v0, v0
	s_nop 0
	v_readfirstlane_b32 s26, v0
	s_mul_i32 s3, s3, s26
	s_mul_hi_u32 s3, s26, s3
	s_add_i32 s26, s26, s3
	s_mul_hi_u32 s3, s2, s26
	s_mul_i32 s26, s3, s21
	s_sub_i32 s26, s2, s26
	s_add_i32 s27, s3, 1
	s_sub_i32 s28, s26, s21
	s_cmp_ge_u32 s26, s21
	s_cselect_b32 s3, s27, s3
	s_cselect_b32 s26, s28, s26
	s_add_i32 s27, s3, 1
	s_cmp_ge_u32 s26, s21
	s_cselect_b32 s26, s27, s3
	s_mul_i32 s3, s26, s21
	s_sub_i32 s21, s2, s3
	s_andn2_b64 vcc, exec, s[10:11]
	s_lshl_b32 s21, s21, 6
	s_cbranch_vccnz .LBB270_10
; %bb.8:
	v_mov_b32_e32 v1, 0
	s_mov_b32 s27, 0
	v_or_b32_e32 v2, s21, v33
	v_ashrrev_i32_e32 v3, 31, v2
	s_cbranch_execz .LBB270_11
; %bb.9:
	v_mov_b32_e32 v8, s27
	s_branch .LBB270_12
.LBB270_10:
                                        ; implicit-def: $sgpr27
                                        ; implicit-def: $vgpr0_vgpr1
	v_or_b32_e32 v2, s21, v33
	v_ashrrev_i32_e32 v3, 31, v2
.LBB270_11:
	v_mad_i64_i32 v[0:1], s[10:11], s16, v32, 0
	v_lshl_add_u64 v[0:1], v[0:1], 1, s[24:25]
	v_lshl_add_u64 v[0:1], v[2:3], 1, v[0:1]
	flat_load_ushort v0, v[0:1]
	v_mov_b32_e32 v1, 0
	s_waitcnt vmcnt(0) lgkmcnt(0)
	v_mul_f16_e32 v8, v46, v0
.LBB270_12:
	s_load_dword s10, s[0:1], 0x38
	s_lshl_b32 s26, s26, 8
	v_or_b32_e32 v0, s26, v33
	s_and_b64 vcc, exec, s[4:5]
	s_waitcnt lgkmcnt(0)
	s_ashr_i32 s11, s10, 31
	v_mul_lo_u32 v1, v1, s10
	v_mul_lo_u32 v6, v32, s11
	v_mad_u64_u32 v[4:5], s[28:29], v32, s10, 0
	v_add3_u32 v5, v5, v6, v1
	v_lshl_add_u64 v[4:5], v[4:5], 1, s[22:23]
	v_ashrrev_i32_e32 v1, 31, v0
	s_cbranch_vccnz .LBB270_17
; %bb.13:
	v_lshl_add_u64 v[6:7], v[0:1], 1, v[4:5]
	flat_load_ushort v9, v[6:7]
	flat_load_ushort v10, v[6:7] offset:128
	s_waitcnt vmcnt(0) lgkmcnt(0)
	v_mul_f16_e32 v9, v46, v9
	v_mul_f16_e32 v10, v46, v10
	s_and_b64 vcc, exec, s[4:5]
	s_cbranch_vccnz .LBB270_18
.LBB270_14:
	v_lshl_add_u64 v[4:5], v[0:1], 1, v[4:5]
	flat_load_ushort v6, v[4:5] offset:256
	flat_load_ushort v7, v[4:5] offset:384
	s_waitcnt vmcnt(0) lgkmcnt(0)
	v_mul_f16_e32 v5, v46, v6
	v_mul_f16_e32 v11, v46, v7
	s_and_b64 vcc, exec, s[8:9]
	v_add_u32_e32 v4, 4, v32
	s_cbranch_vccnz .LBB270_19
.LBB270_15:
	v_mov_b32_e32 v7, 0
	s_mov_b32 s27, 0
	s_cbranch_execz .LBB270_20
; %bb.16:
	v_mov_b32_e32 v34, s27
	s_branch .LBB270_21
.LBB270_17:
	v_mov_b32_e32 v9, 0
	v_mov_b32_e32 v10, 0
	s_and_b64 vcc, exec, s[4:5]
	s_cbranch_vccz .LBB270_14
.LBB270_18:
	v_mov_b32_e32 v5, 0
	v_mov_b32_e32 v11, 0
	s_and_b64 vcc, exec, s[8:9]
	v_add_u32_e32 v4, 4, v32
	s_cbranch_vccz .LBB270_15
.LBB270_19:
                                        ; implicit-def: $sgpr27
                                        ; implicit-def: $vgpr6_vgpr7
.LBB270_20:
	v_mad_i64_i32 v[6:7], s[8:9], s16, v4, 0
	v_lshl_add_u64 v[6:7], v[6:7], 1, s[24:25]
	v_lshl_add_u64 v[2:3], v[2:3], 1, v[6:7]
	flat_load_ushort v2, v[2:3]
	v_mov_b32_e32 v7, 0
	s_waitcnt vmcnt(0) lgkmcnt(0)
	v_mul_f16_e32 v34, v46, v2
.LBB270_21:
	v_mul_lo_u32 v6, v7, s10
	v_mul_lo_u32 v7, v4, s11
	v_mad_u64_u32 v[2:3], s[8:9], v4, s10, 0
	v_add3_u32 v3, v3, v7, v6
	s_and_b64 vcc, exec, s[4:5]
	v_lshl_add_u64 v[2:3], v[2:3], 1, s[22:23]
	s_cbranch_vccnz .LBB270_24
; %bb.22:
	v_lshl_add_u64 v[6:7], v[0:1], 1, v[2:3]
	flat_load_ushort v4, v[6:7]
	flat_load_ushort v12, v[6:7] offset:128
	s_waitcnt vmcnt(0) lgkmcnt(0)
	v_mul_f16_e32 v35, v46, v4
	v_mul_f16_e32 v36, v46, v12
	s_and_b64 vcc, exec, s[4:5]
	s_cbranch_vccnz .LBB270_25
.LBB270_23:
	v_lshl_add_u64 v[0:1], v[0:1], 1, v[2:3]
	flat_load_ushort v2, v[0:1] offset:256
	flat_load_ushort v3, v[0:1] offset:384
	s_waitcnt vmcnt(0) lgkmcnt(0)
	v_mul_f16_e32 v37, v46, v2
	v_mul_f16_e32 v38, v46, v3
	s_branch .LBB270_26
.LBB270_24:
	v_mov_b32_e32 v35, 0
	v_mov_b32_e32 v36, 0
	s_and_b64 vcc, exec, s[4:5]
	s_cbranch_vccz .LBB270_23
.LBB270_25:
	v_mov_b32_e32 v37, 0
	v_mov_b32_e32 v38, 0
.LBB270_26:
	v_lshlrev_b32_e32 v0, 1, v32
	v_lshlrev_b32_e32 v50, 3, v48
	v_lshl_add_u32 v47, v33, 3, v0
	v_add_u32_e32 v80, 0x1000, v50
	v_lshlrev_b32_e32 v51, 3, v49
	ds_write_b16 v47, v8 offset:4096
	ds_write_b16 v47, v9
	ds_write_b16 v47, v10 offset:512
	ds_write_b16 v47, v5 offset:1024
	;; [unrolled: 1-line block ×3, first 2 shown]
	s_waitcnt lgkmcnt(0)
	s_barrier
	ds_read2_b64 v[16:19], v80 offset1:8
	ds_read2_b64 v[12:15], v80 offset0:16 offset1:24
	ds_read2_b64 v[4:7], v80 offset0:32 offset1:40
	ds_read2_b64 v[28:31], v51 offset1:32
	ds_read2_b64 v[0:3], v80 offset0:48 offset1:56
	ds_read2_b64 v[24:27], v51 offset0:64 offset1:96
	;; [unrolled: 1-line block ×4, first 2 shown]
	s_movk_i32 s8, 0x7c00
	s_waitcnt lgkmcnt(4)
	v_pk_add_f16 v39, v16, v28
	s_waitcnt lgkmcnt(3)
	v_pk_add_f16 v45, v0, v28
	;; [unrolled: 2-line block ×3, first 2 shown]
	v_pk_add_f16 v43, v4, v28
	v_pk_min_f16 v118, v81, s8 op_sel_hi:[1,0]
	v_pk_add_f16 v81, v16, v22
	v_pk_add_f16 v57, v4, v30
	v_pk_min_f16 v119, v81, s8 op_sel_hi:[1,0]
	v_pk_add_f16 v81, v18, v22
	;; [unrolled: 3-line block ×7, first 2 shown]
	v_pk_add_f16 v73, v0, v26
	v_pk_min_f16 v125, v81, s8 op_sel_hi:[1,0]
	s_waitcnt lgkmcnt(0)
	v_pk_add_f16 v81, v16, v8
	v_pk_min_f16 v39, v39, s8 op_sel_hi:[1,0]
	v_pk_min_f16 v126, v81, s8 op_sel_hi:[1,0]
	v_pk_add_f16 v81, v18, v8
	v_pk_add_f16 v40, v18, v28
	v_pk_min_f16 v127, v81, s8 op_sel_hi:[1,0]
	v_pk_add_f16 v81, v12, v8
	v_pk_add_f16 v41, v12, v28
	;; [unrolled: 3-line block ×4, first 2 shown]
	v_pk_min_f16 v130, v81, s8 op_sel_hi:[1,0]
	v_pk_add_f16 v81, v6, v8
	v_pk_min_f16 v133, v4, s8 op_sel_hi:[1,0]
	v_pk_min_f16 v131, v81, s8 op_sel_hi:[1,0]
	v_pk_add_f16 v81, v0, v8
	v_pk_add_f16 v4, v6, v10
	;; [unrolled: 1-line block ×31, first 2 shown]
	v_pk_min_f16 v6, v4, s8 op_sel_hi:[1,0]
	v_pk_min_f16 v4, v0, s8 op_sel_hi:[1,0]
	v_pk_add_f16 v0, v2, v10
	v_pk_add_f16 v2, v17, v29
	v_pk_min_f16 v40, v40, s8 op_sel_hi:[1,0]
	v_pk_min_f16 v117, v39, v2
	v_pk_add_f16 v2, v19, v29
	v_pk_min_f16 v41, v41, s8 op_sel_hi:[1,0]
	v_pk_min_f16 v116, v40, v2
	;; [unrolled: 3-line block ×36, first 2 shown]
	v_pk_add_f16 v2, v5, v21
	v_pk_min_f16 v79, v79, s8 op_sel_hi:[1,0]
	v_pk_min_f16 v132, v81, s8 op_sel_hi:[1,0]
	v_pk_min_f16 v81, v78, v2
	v_pk_add_f16 v2, v7, v21
	v_pk_min_f16 v20, v20, s8 op_sel_hi:[1,0]
	v_pk_min_f16 v79, v79, v2
	v_pk_add_f16 v2, v1, v21
	;; [unrolled: 3-line block ×4, first 2 shown]
	v_pk_add_f16 v16, v16, v10
	v_pk_min_f16 v76, v119, v2
	v_pk_add_f16 v2, v19, v23
	v_pk_min_f16 v16, v16, s8 op_sel_hi:[1,0]
	v_pk_min_f16 v75, v120, v2
	v_pk_add_f16 v2, v13, v23
	v_pk_add_f16 v18, v18, v10
	v_pk_min_f16 v74, v121, v2
	v_pk_add_f16 v2, v15, v23
	s_load_dword s27, s[0:1], 0x8
	v_pk_min_f16 v73, v122, v2
	v_pk_add_f16 v2, v5, v23
	v_pk_min_f16 v18, v18, s8 op_sel_hi:[1,0]
	v_pk_min_f16 v72, v123, v2
	v_pk_add_f16 v2, v7, v23
	v_pk_add_f16 v12, v12, v10
	v_pk_min_f16 v71, v124, v2
	v_pk_add_f16 v2, v1, v23
	v_pk_min_f16 v12, v12, s8 op_sel_hi:[1,0]
	v_pk_min_f16 v70, v125, v2
	v_pk_add_f16 v2, v3, v23
	v_pk_add_f16 v14, v14, v10
	v_pk_min_f16 v69, v22, v2
	v_pk_add_f16 v2, v17, v9
	v_pk_min_f16 v14, v14, s8 op_sel_hi:[1,0]
	v_pk_min_f16 v67, v126, v2
	v_pk_add_f16 v2, v19, v9
	v_pk_min_f16 v0, v0, s8 op_sel_hi:[1,0]
	v_pk_min_f16 v66, v127, v2
	v_pk_add_f16 v2, v13, v9
	s_waitcnt lgkmcnt(0)
	s_cmp_lt_i32 s27, 9
	v_pk_min_f16 v65, v128, v2
	v_pk_add_f16 v2, v15, v9
	ds_write_b16 v47, v34 offset:4608
	ds_write_b16 v47, v35 offset:2048
	;; [unrolled: 1-line block ×5, first 2 shown]
	v_pk_min_f16 v64, v129, v2
	v_pk_add_f16 v2, v5, v9
	s_waitcnt lgkmcnt(0)
	v_pk_min_f16 v63, v130, v2
	v_pk_add_f16 v2, v7, v9
	s_barrier
	v_pk_min_f16 v62, v131, v2
	v_pk_add_f16 v2, v1, v9
	v_pk_add_f16 v1, v1, v11
	v_pk_min_f16 v61, v132, v2
	v_pk_add_f16 v2, v3, v9
	v_pk_min_f16 v54, v4, v1
	v_pk_min_f16 v59, v8, v2
	v_pk_add_f16 v2, v17, v11
	v_pk_add_f16 v1, v3, v11
	v_pk_min_f16 v60, v16, v2
	v_pk_add_f16 v2, v19, v11
	v_pk_min_f16 v68, v0, v1
	v_pk_min_f16 v58, v18, v2
	v_pk_add_f16 v2, v13, v11
	s_nop 0
	v_pk_min_f16 v57, v12, v2
	v_pk_add_f16 v2, v15, v11
	s_nop 0
	;; [unrolled: 3-line block ×4, first 2 shown]
	v_pk_min_f16 v53, v6, v2
	s_cbranch_scc1 .LBB270_44
; %bb.27:
	v_mov_b32_e32 v0, 0x1200
	v_lshl_add_u32 v121, v48, 3, v0
	v_mov_b32_e32 v0, 0x800
	v_add_u32_e32 v2, 12, v32
	v_lshl_add_u32 v122, v49, 3, v0
	v_mad_i64_i32 v[0:1], s[8:9], v2, s16, 0
	v_lshlrev_b64 v[34:35], 1, v[0:1]
	v_lshl_or_b32 v0, s2, 6, v33
	s_lshl_b32 s2, s3, 6
	v_subrev_u32_e32 v0, s2, v0
	v_ashrrev_i32_e32 v1, 31, v0
	v_lshl_add_u64 v[36:37], v[0:1], 1, s[24:25]
	v_mad_i64_i32 v[0:1], s[8:9], v2, s10, 0
	v_lshlrev_b64 v[38:39], 1, v[0:1]
	v_add_u32_e32 v0, s26, v33
	v_ashrrev_i32_e32 v1, 31, v0
	v_add_u32_e32 v2, 8, v32
	v_lshl_add_u64 v[40:41], v[0:1], 1, s[22:23]
	s_lshl_b64 s[8:9], s[10:11], 4
	v_mad_i64_i32 v[0:1], s[10:11], v2, s10, 0
	v_lshlrev_b64 v[32:33], 1, v[0:1]
	v_mad_i64_i32 v[0:1], s[10:11], v2, s16, 0
	v_or_b32_e32 v118, 0x1000, v47
	v_add_u32_e32 v119, 0x1200, v47
	v_or_b32_e32 v120, 0x800, v47
	s_add_i32 s27, s27, -8
	s_lshl_b64 s[2:3], s[16:17], 4
	v_lshlrev_b64 v[42:43], 1, v[0:1]
	s_mov_b32 s10, 0
	s_and_b64 s[6:7], exec, s[6:7]
	s_branch .LBB270_30
.LBB270_28:                             ;   in Loop: Header=BB270_30 Depth=1
	flat_load_ushort v0, v[44:45] offset:256
	flat_load_ushort v1, v[44:45] offset:384
	s_waitcnt vmcnt(0) lgkmcnt(0)
	v_mul_f16_e32 v28, v46, v0
	v_mul_f16_e32 v29, v46, v1
.LBB270_29:                             ;   in Loop: Header=BB270_30 Depth=1
	ds_read2_b64 v[8:11], v80 offset1:8
	ds_read2_b64 v[4:7], v80 offset0:16 offset1:24
	ds_read2_b64 v[0:3], v80 offset0:32 offset1:40
	ds_read2_b64 v[126:129], v51 offset1:32
	ds_read2_b64 v[12:15], v80 offset0:48 offset1:56
	ds_read2_b64 v[24:27], v51 offset0:64 offset1:96
	;; [unrolled: 1-line block ×4, first 2 shown]
	s_waitcnt lgkmcnt(4)
	v_pk_add_f16 v44, v8, v126
	v_pk_max_f16 v45, v115, v115
	v_pk_max_f16 v114, v114, v114
	v_pk_min_f16 v44, v45, v44
	v_pk_add_f16 v45, v10, v126
	v_pk_max_f16 v113, v113, v113
	v_pk_min_f16 v45, v114, v45
	v_pk_add_f16 v114, v4, v126
	;; [unrolled: 3-line block ×5, first 2 shown]
	v_pk_max_f16 v109, v109, v109
	v_pk_min_f16 v110, v110, v114
	s_waitcnt lgkmcnt(3)
	v_pk_add_f16 v114, v12, v126
	v_pk_max_f16 v108, v108, v108
	v_pk_min_f16 v109, v109, v114
	v_pk_add_f16 v114, v14, v126
	v_pk_max_f16 v107, v107, v107
	v_pk_min_f16 v108, v108, v114
	;; [unrolled: 3-line block ×10, first 2 shown]
	s_waitcnt lgkmcnt(2)
	v_pk_add_f16 v114, v8, v24
	v_pk_max_f16 v98, v98, v98
	v_pk_min_f16 v99, v99, v114
	v_pk_add_f16 v114, v10, v24
	v_pk_max_f16 v97, v97, v97
	v_pk_min_f16 v98, v98, v114
	v_pk_add_f16 v114, v4, v24
	v_pk_max_f16 v96, v96, v96
	v_pk_min_f16 v97, v97, v114
	v_pk_add_f16 v114, v6, v24
	v_pk_max_f16 v95, v95, v95
	v_pk_min_f16 v96, v96, v114
	v_pk_add_f16 v114, v0, v24
	v_pk_max_f16 v94, v94, v94
	v_pk_min_f16 v95, v95, v114
	v_pk_add_f16 v114, v2, v24
	v_pk_max_f16 v92, v92, v92
	v_pk_min_f16 v94, v94, v114
	v_pk_add_f16 v114, v12, v24
	v_pk_add_f16 v24, v14, v24
	v_pk_max_f16 v91, v91, v91
	v_pk_min_f16 v24, v92, v24
	v_pk_add_f16 v92, v8, v26
	v_pk_max_f16 v90, v90, v90
	v_pk_min_f16 v91, v91, v92
	;; [unrolled: 3-line block ×7, first 2 shown]
	v_pk_add_f16 v92, v12, v26
	v_pk_add_f16 v26, v14, v26
	v_pk_max_f16 v83, v83, v83
	v_pk_min_f16 v26, v84, v26
	s_waitcnt lgkmcnt(1)
	v_pk_add_f16 v84, v8, v20
	v_pk_max_f16 v82, v82, v82
	v_pk_min_f16 v83, v83, v84
	v_pk_add_f16 v84, v10, v20
	v_pk_max_f16 v81, v81, v81
	v_pk_min_f16 v82, v82, v84
	;; [unrolled: 3-line block ×6, first 2 shown]
	v_pk_add_f16 v84, v12, v20
	v_pk_add_f16 v20, v14, v20
	v_pk_max_f16 v74, v74, v74
	v_pk_min_f16 v20, v75, v20
	v_pk_add_f16 v75, v8, v22
	v_pk_max_f16 v73, v73, v73
	v_pk_min_f16 v74, v74, v75
	;; [unrolled: 3-line block ×7, first 2 shown]
	v_pk_add_f16 v75, v12, v22
	v_pk_add_f16 v22, v14, v22
	v_pk_max_f16 v66, v66, v66
	v_pk_min_f16 v22, v67, v22
	s_waitcnt lgkmcnt(0)
	v_pk_add_f16 v67, v8, v16
	v_pk_max_f16 v65, v65, v65
	v_pk_min_f16 v66, v66, v67
	v_pk_add_f16 v67, v10, v16
	v_pk_max_f16 v64, v64, v64
	v_pk_min_f16 v65, v65, v67
	v_pk_add_f16 v67, v4, v16
	v_pk_max_f16 v63, v63, v63
	v_pk_min_f16 v64, v64, v67
	v_pk_add_f16 v67, v6, v16
	v_pk_max_f16 v62, v62, v62
	v_pk_min_f16 v63, v63, v67
	v_pk_add_f16 v67, v0, v16
	v_pk_max_f16 v61, v61, v61
	v_pk_min_f16 v62, v62, v67
	v_pk_add_f16 v67, v2, v16
	v_pk_add_f16 v8, v8, v18
	v_pk_min_f16 v61, v61, v67
	v_pk_add_f16 v67, v12, v16
	v_pk_add_f16 v16, v14, v16
	;; [unrolled: 1-line block ×9, first 2 shown]
	v_pk_max_f16 v18, v53, v53
	v_pk_max_f16 v93, v93, v93
	v_pk_min_f16 v14, v18, v14
	v_pk_add_f16 v18, v9, v127
	v_pk_min_f16 v93, v93, v114
	v_pk_min_f16 v117, v44, v18
	v_pk_add_f16 v18, v11, v127
	v_pk_max_f16 v85, v85, v85
	v_pk_min_f16 v116, v45, v18
	v_pk_add_f16 v18, v5, v127
	v_pk_min_f16 v85, v85, v92
	v_pk_min_f16 v115, v113, v18
	v_pk_add_f16 v18, v7, v127
	;; [unrolled: 6-line block ×5, first 2 shown]
	v_pk_max_f16 v54, v54, v54
	v_pk_min_f16 v108, v106, v18
	v_pk_add_f16 v18, v5, v129
	v_pk_max_f16 v55, v55, v55
	v_pk_min_f16 v107, v105, v18
	v_pk_add_f16 v18, v7, v129
	v_pk_min_f16 v0, v54, v0
	v_pk_min_f16 v106, v104, v18
	v_pk_add_f16 v18, v1, v129
	v_pk_max_f16 v31, v31, v31
	v_pk_min_f16 v105, v103, v18
	v_pk_add_f16 v18, v3, v129
	v_pk_max_f16 v58, v58, v58
	;; [unrolled: 3-line block ×3, first 2 shown]
	v_pk_min_f16 v103, v101, v18
	v_pk_add_f16 v18, v15, v129
	v_pk_min_f16 v6, v55, v6
	v_pk_min_f16 v102, v100, v18
	v_pk_add_f16 v18, v9, v25
	v_pk_min_f16 v2, v31, v2
	v_pk_min_f16 v101, v99, v18
	v_pk_add_f16 v18, v11, v25
	v_pk_max_f16 v30, v30, v30
	v_pk_min_f16 v100, v98, v18
	v_pk_add_f16 v18, v5, v25
	v_pk_max_f16 v59, v59, v59
	v_pk_min_f16 v99, v97, v18
	v_pk_add_f16 v18, v7, v25
	v_pk_min_f16 v8, v58, v8
	v_pk_min_f16 v98, v96, v18
	v_pk_add_f16 v18, v1, v25
	v_pk_max_f16 v57, v57, v57
	v_pk_min_f16 v97, v95, v18
	v_pk_add_f16 v18, v3, v25
	v_pk_min_f16 v4, v56, v4
	v_pk_min_f16 v96, v94, v18
	v_pk_add_f16 v18, v13, v25
	v_pk_min_f16 v12, v30, v12
	;; [unrolled: 3-line block ×4, first 2 shown]
	v_pk_min_f16 v93, v91, v18
	v_pk_add_f16 v18, v11, v27
	s_add_i32 s10, s10, 8
	v_pk_min_f16 v92, v90, v18
	v_pk_add_f16 v18, v5, v27
	v_lshl_add_u64 v[36:37], v[36:37], 0, s[2:3]
	v_pk_min_f16 v91, v89, v18
	v_pk_add_f16 v18, v7, v27
	s_cmp_ge_i32 s10, s27
	v_pk_min_f16 v90, v88, v18
	v_pk_add_f16 v18, v1, v27
	v_lshl_add_u64 v[40:41], v[40:41], 0, s[8:9]
	v_pk_min_f16 v89, v87, v18
	v_pk_add_f16 v18, v3, v27
	ds_write_b16 v119, v123
	ds_write_b16 v120, v124
	ds_write_b16 v120, v125 offset:512
	ds_write_b16 v120, v28 offset:1024
	;; [unrolled: 1-line block ×3, first 2 shown]
	v_pk_min_f16 v88, v86, v18
	v_pk_add_f16 v18, v13, v27
	s_waitcnt lgkmcnt(0)
	v_pk_min_f16 v87, v85, v18
	v_pk_add_f16 v18, v15, v27
	s_barrier
	v_pk_min_f16 v85, v26, v18
	v_pk_add_f16 v18, v9, v21
	s_nop 0
	v_pk_min_f16 v86, v83, v18
	v_pk_add_f16 v18, v11, v21
	s_nop 0
	;; [unrolled: 3-line block ×16, first 2 shown]
	v_pk_min_f16 v69, v22, v18
	v_pk_add_f16 v18, v9, v17
	v_pk_add_f16 v9, v9, v19
	v_pk_min_f16 v67, v66, v18
	v_pk_add_f16 v18, v11, v17
	s_nop 0
	v_pk_min_f16 v66, v65, v18
	v_pk_add_f16 v18, v5, v17
	v_pk_add_f16 v5, v5, v19
	v_pk_min_f16 v65, v64, v18
	v_pk_add_f16 v18, v7, v17
	v_pk_min_f16 v57, v4, v5
	v_pk_min_f16 v64, v63, v18
	v_pk_add_f16 v18, v1, v17
	v_pk_add_f16 v1, v1, v19
	v_pk_min_f16 v63, v62, v18
	v_pk_add_f16 v18, v3, v17
	v_pk_min_f16 v55, v0, v1
	;; [unrolled: 2-line block ×6, first 2 shown]
	v_pk_add_f16 v8, v11, v19
	v_pk_add_f16 v4, v7, v19
	v_pk_min_f16 v54, v12, v0
	v_pk_add_f16 v0, v15, v19
	v_pk_min_f16 v59, v16, v17
	v_pk_min_f16 v58, v10, v8
	;; [unrolled: 1-line block ×4, first 2 shown]
	s_cbranch_scc1 .LBB270_44
.LBB270_30:                             ; =>This Inner Loop Header: Depth=1
	s_and_b64 vcc, exec, s[4:5]
	s_cbranch_vccnz .LBB270_34
; %bb.31:                               ;   in Loop: Header=BB270_30 Depth=1
	v_lshl_add_u64 v[0:1], v[36:37], 0, v[42:43]
	flat_load_ushort v0, v[0:1]
	s_waitcnt vmcnt(0) lgkmcnt(0)
	v_mul_f16_e32 v44, v46, v0
	s_and_b64 vcc, exec, s[4:5]
	v_lshl_add_u64 v[0:1], v[40:41], 0, v[32:33]
	s_cbranch_vccnz .LBB270_35
.LBB270_32:                             ;   in Loop: Header=BB270_30 Depth=1
	flat_load_ushort v2, v[0:1]
	flat_load_ushort v3, v[0:1] offset:128
	s_waitcnt vmcnt(0) lgkmcnt(0)
	v_mul_f16_e32 v45, v46, v2
	v_mul_f16_e32 v123, v46, v3
	s_and_b64 vcc, exec, s[4:5]
	s_cbranch_vccnz .LBB270_36
.LBB270_33:                             ;   in Loop: Header=BB270_30 Depth=1
	flat_load_ushort v2, v[0:1] offset:256
	flat_load_ushort v3, v[0:1] offset:384
	s_waitcnt vmcnt(0) lgkmcnt(0)
	v_mul_f16_e32 v124, v46, v2
	v_mul_f16_e32 v125, v46, v3
	s_branch .LBB270_37
.LBB270_34:                             ;   in Loop: Header=BB270_30 Depth=1
	v_mov_b32_e32 v44, 0
	s_and_b64 vcc, exec, s[4:5]
	v_lshl_add_u64 v[0:1], v[40:41], 0, v[32:33]
	s_cbranch_vccz .LBB270_32
.LBB270_35:                             ;   in Loop: Header=BB270_30 Depth=1
	v_mov_b32_e32 v45, 0
	v_mov_b32_e32 v123, 0
	s_and_b64 vcc, exec, s[4:5]
	s_cbranch_vccz .LBB270_33
.LBB270_36:                             ;   in Loop: Header=BB270_30 Depth=1
	v_mov_b32_e32 v124, 0
	v_mov_b32_e32 v125, 0
.LBB270_37:                             ;   in Loop: Header=BB270_30 Depth=1
	ds_read2_b64 v[12:15], v121 offset1:8
	ds_read2_b64 v[8:11], v121 offset0:16 offset1:24
	ds_read2_b64 v[4:7], v121 offset0:32 offset1:40
	;; [unrolled: 1-line block ×3, first 2 shown]
	ds_read2_b64 v[28:31], v122 offset1:32
	ds_read2_b64 v[24:27], v122 offset0:64 offset1:96
	ds_read2_b64 v[20:23], v122 offset0:128 offset1:160
	ds_read2_b64 v[16:19], v122 offset0:192 offset1:224
	s_mov_b64 vcc, s[6:7]
	ds_write_b16 v118, v44
	ds_write_b16 v47, v45
	ds_write_b16 v47, v123 offset:512
	ds_write_b16 v47, v124 offset:1024
	;; [unrolled: 1-line block ×3, first 2 shown]
	s_waitcnt lgkmcnt(0)
	s_barrier
	s_cbranch_vccz .LBB270_40
; %bb.38:                               ;   in Loop: Header=BB270_30 Depth=1
	v_lshl_add_u64 v[44:45], v[36:37], 0, v[34:35]
	flat_load_ushort v44, v[44:45]
	s_waitcnt vmcnt(0) lgkmcnt(0)
	v_mul_f16_e32 v123, v46, v44
	s_and_b64 vcc, exec, s[4:5]
	v_lshl_add_u64 v[44:45], v[40:41], 0, v[38:39]
	s_cbranch_vccnz .LBB270_41
.LBB270_39:                             ;   in Loop: Header=BB270_30 Depth=1
	flat_load_ushort v124, v[44:45]
	flat_load_ushort v125, v[44:45] offset:128
	s_waitcnt vmcnt(0) lgkmcnt(0)
	v_mul_f16_e32 v124, v46, v124
	v_mul_f16_e32 v125, v46, v125
	s_branch .LBB270_42
.LBB270_40:                             ;   in Loop: Header=BB270_30 Depth=1
	v_mov_b32_e32 v123, 0
	s_and_b64 vcc, exec, s[4:5]
	v_lshl_add_u64 v[44:45], v[40:41], 0, v[38:39]
	s_cbranch_vccz .LBB270_39
.LBB270_41:                             ;   in Loop: Header=BB270_30 Depth=1
	v_mov_b32_e32 v124, 0
	v_mov_b32_e32 v125, 0
.LBB270_42:                             ;   in Loop: Header=BB270_30 Depth=1
	v_pk_add_f16 v126, v12, v28
	v_pk_max_f16 v117, v117, v117
	v_pk_max_f16 v116, v116, v116
	v_pk_min_f16 v117, v117, v126
	v_pk_add_f16 v126, v14, v28
	v_pk_max_f16 v115, v115, v115
	v_pk_min_f16 v116, v116, v126
	v_pk_add_f16 v126, v8, v28
	v_pk_max_f16 v114, v114, v114
	v_pk_min_f16 v126, v115, v126
	v_pk_add_f16 v115, v10, v28
	v_pk_max_f16 v113, v113, v113
	v_pk_min_f16 v127, v114, v115
	v_pk_add_f16 v114, v4, v28
	v_pk_max_f16 v112, v112, v112
	v_pk_min_f16 v128, v113, v114
	v_pk_add_f16 v113, v6, v28
	v_pk_max_f16 v110, v110, v110
	v_pk_min_f16 v129, v112, v113
	v_pk_add_f16 v112, v0, v28
	v_pk_add_f16 v28, v2, v28
	v_pk_max_f16 v109, v109, v109
	v_pk_min_f16 v28, v110, v28
	v_pk_add_f16 v110, v12, v30
	v_pk_max_f16 v108, v108, v108
	v_pk_min_f16 v131, v109, v110
	v_pk_add_f16 v109, v14, v30
	v_pk_max_f16 v107, v107, v107
	v_pk_min_f16 v132, v108, v109
	v_pk_add_f16 v108, v8, v30
	v_pk_max_f16 v106, v106, v106
	v_pk_min_f16 v133, v107, v108
	v_pk_add_f16 v107, v10, v30
	v_pk_max_f16 v105, v105, v105
	v_pk_min_f16 v134, v106, v107
	v_pk_add_f16 v106, v4, v30
	v_pk_max_f16 v104, v104, v104
	v_pk_min_f16 v135, v105, v106
	v_pk_add_f16 v105, v6, v30
	v_pk_max_f16 v102, v102, v102
	v_pk_min_f16 v136, v104, v105
	v_pk_add_f16 v104, v0, v30
	v_pk_add_f16 v30, v2, v30
	v_pk_max_f16 v101, v101, v101
	v_pk_min_f16 v30, v102, v30
	v_pk_add_f16 v102, v12, v24
	;; [unrolled: 22-line block ×6, first 2 shown]
	v_pk_max_f16 v66, v66, v66
	v_pk_min_f16 v166, v67, v69
	v_pk_add_f16 v67, v14, v16
	v_pk_max_f16 v65, v65, v65
	v_pk_min_f16 v167, v66, v67
	v_pk_add_f16 v66, v8, v16
	;; [unrolled: 3-line block ×5, first 2 shown]
	v_pk_add_f16 v12, v12, v18
	v_pk_min_f16 v171, v62, v63
	v_pk_add_f16 v62, v0, v16
	v_pk_add_f16 v16, v2, v16
	;; [unrolled: 1-line block ×9, first 2 shown]
	v_pk_max_f16 v18, v68, v68
	v_pk_max_f16 v111, v111, v111
	v_pk_min_f16 v2, v18, v2
	v_pk_add_f16 v18, v13, v29
	v_pk_min_f16 v130, v111, v112
	v_pk_min_f16 v115, v117, v18
	v_pk_add_f16 v18, v15, v29
	v_pk_max_f16 v103, v103, v103
	v_pk_min_f16 v114, v116, v18
	v_pk_add_f16 v18, v9, v29
	v_pk_min_f16 v137, v103, v104
	v_pk_min_f16 v113, v126, v18
	v_pk_add_f16 v18, v11, v29
	;; [unrolled: 6-line block ×6, first 2 shown]
	v_pk_max_f16 v61, v61, v61
	v_pk_min_f16 v104, v134, v18
	v_pk_add_f16 v18, v5, v31
	v_pk_max_f16 v59, v59, v59
	v_pk_min_f16 v103, v135, v18
	v_pk_add_f16 v18, v7, v31
	;; [unrolled: 3-line block ×3, first 2 shown]
	v_pk_min_f16 v172, v61, v62
	v_pk_min_f16 v101, v137, v18
	v_pk_add_f16 v18, v3, v31
	v_pk_min_f16 v16, v59, v16
	v_pk_min_f16 v100, v30, v18
	v_pk_add_f16 v18, v13, v25
	v_pk_max_f16 v59, v60, v60
	v_pk_min_f16 v99, v138, v18
	v_pk_add_f16 v18, v15, v25
	v_pk_max_f16 v57, v57, v57
	;; [unrolled: 3-line block ×3, first 2 shown]
	v_pk_min_f16 v97, v140, v18
	v_pk_add_f16 v18, v11, v25
	v_pk_min_f16 v6, v53, v6
	v_pk_min_f16 v96, v141, v18
	v_pk_add_f16 v18, v5, v25
	v_pk_max_f16 v53, v54, v54
	v_pk_min_f16 v95, v142, v18
	v_pk_add_f16 v18, v7, v25
	v_pk_min_f16 v12, v59, v12
	v_pk_min_f16 v94, v143, v18
	v_pk_add_f16 v18, v1, v25
	v_pk_max_f16 v58, v58, v58
	;; [unrolled: 6-line block ×3, first 2 shown]
	v_pk_min_f16 v91, v145, v18
	v_pk_add_f16 v18, v15, v27
	v_pk_min_f16 v4, v55, v4
	v_pk_min_f16 v90, v146, v18
	v_pk_add_f16 v18, v9, v27
	v_pk_min_f16 v0, v53, v0
	;; [unrolled: 3-line block ×4, first 2 shown]
	v_pk_min_f16 v87, v149, v18
	v_pk_add_f16 v18, v7, v27
	s_and_b64 vcc, exec, s[4:5]
	v_pk_min_f16 v86, v150, v18
	v_pk_add_f16 v18, v1, v27
	s_nop 0
	v_pk_min_f16 v85, v151, v18
	v_pk_add_f16 v18, v3, v27
	s_nop 0
	;; [unrolled: 3-line block ×18, first 2 shown]
	v_pk_min_f16 v67, v22, v18
	v_pk_add_f16 v18, v13, v17
	v_pk_add_f16 v13, v13, v19
	v_pk_min_f16 v66, v166, v18
	v_pk_add_f16 v18, v15, v17
	v_pk_min_f16 v58, v12, v13
	v_pk_min_f16 v65, v167, v18
	v_pk_add_f16 v18, v9, v17
	v_pk_add_f16 v9, v9, v19
	v_pk_min_f16 v64, v168, v18
	v_pk_add_f16 v18, v11, v17
	v_pk_add_f16 v12, v15, v19
	;; [unrolled: 3-line block ×3, first 2 shown]
	v_pk_min_f16 v62, v170, v18
	v_pk_add_f16 v18, v7, v17
	v_pk_min_f16 v56, v8, v9
	v_pk_min_f16 v61, v171, v18
	v_pk_add_f16 v18, v1, v17
	v_pk_add_f16 v1, v1, v19
	;; [unrolled: 1-line block ×4, first 2 shown]
	v_pk_min_f16 v54, v4, v5
	v_pk_add_f16 v4, v7, v19
	v_pk_min_f16 v30, v0, v1
	v_pk_add_f16 v0, v3, v19
	v_pk_min_f16 v60, v172, v18
	v_pk_min_f16 v59, v16, v17
	;; [unrolled: 1-line block ×6, first 2 shown]
	s_cbranch_vccz .LBB270_28
; %bb.43:                               ;   in Loop: Header=BB270_30 Depth=1
	v_mov_b32_e32 v28, 0
	v_mov_b32_e32 v29, 0
	s_branch .LBB270_29
.LBB270_44:
	s_load_dword s6, s[0:1], 0x58
	ds_read_b64 v[30:31], v50 offset:4608
	ds_read_b64 v[46:47], v51 offset:2048
	v_add_u32_e32 v80, s26, v49
	v_cmp_neq_f16_e64 s[4:5], 0, v52
	v_add_u32_e32 v28, s21, v48
	s_waitcnt lgkmcnt(0)
	v_mad_i64_i32 v[0:1], s[2:3], v80, s6, 0
	v_ashrrev_i32_e32 v29, 31, v28
	v_lshl_add_u64 v[48:49], v[0:1], 1, s[14:15]
	s_and_b64 vcc, exec, s[4:5]
	v_mov_b32_e32 v36, 0
	v_mov_b32_e32 v34, 0
	s_cbranch_vccz .LBB270_46
; %bb.45:
	v_lshl_add_u64 v[0:1], v[28:29], 1, v[48:49]
	flat_load_ushort v0, v[0:1]
	s_waitcnt vmcnt(0) lgkmcnt(0)
	v_mul_f16_e32 v34, v52, v0
.LBB270_46:
	v_add_u32_e32 v0, 0x1000, v50
	ds_read2_b64 v[8:11], v0 offset0:72 offset1:80
	ds_read2_b64 v[4:7], v0 offset0:88 offset1:96
	;; [unrolled: 1-line block ×3, first 2 shown]
	ds_read_b64 v[24:25], v50 offset:5056
	s_load_dword s7, s[0:1], 0x70
	s_load_dwordx2 s[2:3], s[0:1], 0x78
	v_add_u32_e32 v12, 0x800, v51
	ds_read2_b64 v[20:23], v12 offset0:32 offset1:64
	ds_read2_b64 v[16:19], v12 offset0:96 offset1:128
	;; [unrolled: 1-line block ×3, first 2 shown]
	ds_read_b64 v[26:27], v51 offset:3840
	v_pk_add_f16 v32, v30, v46
	v_pk_max_f16 v33, v117, v117
	s_waitcnt lgkmcnt(0)
	s_mul_i32 s0, s20, s3
	s_mul_hi_u32 s1, s20, s2
	s_add_i32 s1, s1, s0
	s_mul_i32 s0, s20, s2
	s_lshl_b64 s[0:1], s[0:1], 1
	s_add_u32 s2, s18, s0
	v_pk_min_f16 v32, v33, v32
	v_pk_add_f16 v33, v31, v47
	s_addc_u32 s3, s19, s1
	v_pk_min_f16 v35, v32, v33
	v_mad_i64_i32 v[38:39], s[0:1], v80, s7, 0
	v_add_u32_e32 v32, 8, v28
	v_lshl_add_u64 v[50:51], v[38:39], 1, s[2:3]
	v_lshrrev_b32_e32 v37, 16, v35
	v_cndmask_b32_e64 v38, 0, 1, s[4:5]
	v_ashrrev_i32_e32 v33, 31, v32
	v_min3_f16 v37, v34, v35, v37
	v_lshl_add_u64 v[34:35], v[28:29], 1, v[50:51]
	v_cmp_ne_u32_e64 s[0:1], 1, v38
	s_andn2_b64 vcc, exec, s[4:5]
	global_store_short v[34:35], v37, off
	s_cbranch_vccnz .LBB270_48
; %bb.47:
	v_lshl_add_u64 v[34:35], v[32:33], 1, v[48:49]
	flat_load_ushort v34, v[34:35]
	s_waitcnt vmcnt(0) lgkmcnt(0)
	v_mul_f16_e32 v36, v52, v34
.LBB270_48:
	v_pk_add_f16 v34, v8, v46
	v_pk_max_f16 v35, v116, v116
	s_and_b64 vcc, exec, s[0:1]
	v_pk_min_f16 v34, v35, v34
	v_pk_add_f16 v35, v9, v47
	v_mov_b32_e32 v39, 0
	v_pk_min_f16 v37, v34, v35
	v_add_u32_e32 v34, 16, v28
	v_lshrrev_b32_e32 v38, 16, v37
	v_min3_f16 v38, v36, v37, v38
	v_lshl_add_u64 v[36:37], v[32:33], 1, v[50:51]
	v_ashrrev_i32_e32 v35, 31, v34
	global_store_short v[36:37], v38, off
	v_mov_b32_e32 v38, 0
	s_cbranch_vccnz .LBB270_50
; %bb.49:
	v_lshl_add_u64 v[36:37], v[34:35], 1, v[48:49]
	flat_load_ushort v36, v[36:37]
	s_waitcnt vmcnt(0) lgkmcnt(0)
	v_mul_f16_e32 v39, v52, v36
.LBB270_50:
	v_pk_add_f16 v36, v10, v46
	v_pk_max_f16 v37, v115, v115
	s_and_b64 vcc, exec, s[0:1]
	v_pk_min_f16 v36, v37, v36
	v_pk_add_f16 v37, v11, v47
	s_nop 0
	v_pk_min_f16 v40, v36, v37
	v_add_u32_e32 v36, 24, v28
	v_lshrrev_b32_e32 v41, 16, v40
	v_ashrrev_i32_e32 v37, 31, v36
	v_min3_f16 v39, v39, v40, v41
	v_lshl_add_u64 v[40:41], v[34:35], 1, v[50:51]
	global_store_short v[40:41], v39, off
	s_cbranch_vccnz .LBB270_52
; %bb.51:
	v_lshl_add_u64 v[38:39], v[36:37], 1, v[48:49]
	flat_load_ushort v38, v[38:39]
	s_waitcnt vmcnt(0) lgkmcnt(0)
	v_mul_f16_e32 v38, v52, v38
.LBB270_52:
	v_pk_add_f16 v39, v4, v46
	v_pk_max_f16 v40, v114, v114
	v_add_u32_e32 v44, 32, v28
	v_pk_min_f16 v39, v40, v39
	v_pk_add_f16 v40, v5, v47
	v_ashrrev_i32_e32 v45, 31, v44
	v_pk_min_f16 v39, v39, v40
	s_and_b64 vcc, exec, s[0:1]
	v_lshrrev_b32_e32 v40, 16, v39
	v_min3_f16 v40, v38, v39, v40
	v_lshl_add_u64 v[38:39], v[36:37], 1, v[50:51]
	global_store_short v[38:39], v40, off
	v_mov_b32_e32 v38, 0
	v_mov_b32_e32 v39, 0
	s_cbranch_vccnz .LBB270_54
; %bb.53:
	v_lshl_add_u64 v[40:41], v[44:45], 1, v[48:49]
	flat_load_ushort v39, v[40:41]
	s_waitcnt vmcnt(0) lgkmcnt(0)
	v_mul_f16_e32 v39, v52, v39
.LBB270_54:
	v_pk_add_f16 v40, v6, v46
	v_pk_max_f16 v41, v113, v113
	v_add_u32_e32 v42, 40, v28
	v_pk_min_f16 v40, v41, v40
	v_pk_add_f16 v41, v7, v47
	v_ashrrev_i32_e32 v43, 31, v42
	v_pk_min_f16 v40, v40, v41
	s_and_b64 vcc, exec, s[0:1]
	v_lshrrev_b32_e32 v41, 16, v40
	v_min3_f16 v39, v39, v40, v41
	v_lshl_add_u64 v[40:41], v[44:45], 1, v[50:51]
	global_store_short v[40:41], v39, off
	s_cbranch_vccnz .LBB270_56
; %bb.55:
	v_lshl_add_u64 v[38:39], v[42:43], 1, v[48:49]
	flat_load_ushort v38, v[38:39]
	s_waitcnt vmcnt(0) lgkmcnt(0)
	v_mul_f16_e32 v38, v52, v38
.LBB270_56:
	v_pk_add_f16 v39, v0, v46
	v_pk_max_f16 v40, v112, v112
	s_and_b64 vcc, exec, s[0:1]
	v_pk_min_f16 v39, v40, v39
	v_pk_add_f16 v40, v1, v47
	v_mov_b32_e32 v113, 0
	v_pk_min_f16 v39, v39, v40
	v_add_u32_e32 v40, 48, v28
	v_lshrrev_b32_e32 v112, 16, v39
	v_min3_f16 v112, v38, v39, v112
	v_lshl_add_u64 v[38:39], v[42:43], 1, v[50:51]
	v_ashrrev_i32_e32 v41, 31, v40
	global_store_short v[38:39], v112, off
	v_mov_b32_e32 v112, 0
	s_cbranch_vccnz .LBB270_58
; %bb.57:
	v_lshl_add_u64 v[38:39], v[40:41], 1, v[48:49]
	flat_load_ushort v38, v[38:39]
	s_waitcnt vmcnt(0) lgkmcnt(0)
	v_mul_f16_e32 v113, v52, v38
.LBB270_58:
	v_pk_add_f16 v38, v2, v46
	v_pk_max_f16 v39, v111, v111
	s_and_b64 vcc, exec, s[0:1]
	v_pk_min_f16 v38, v39, v38
	v_pk_add_f16 v39, v3, v47
	s_nop 0
	v_pk_min_f16 v111, v38, v39
	v_add_u32_e32 v38, 56, v28
	v_lshrrev_b32_e32 v114, 16, v111
	v_ashrrev_i32_e32 v39, 31, v38
	v_min3_f16 v111, v113, v111, v114
	v_lshl_add_u64 v[114:115], v[40:41], 1, v[50:51]
	global_store_short v[114:115], v111, off
	s_cbranch_vccnz .LBB270_60
; %bb.59:
	v_lshl_add_u64 v[48:49], v[38:39], 1, v[48:49]
	flat_load_ushort v48, v[48:49]
	s_waitcnt vmcnt(0) lgkmcnt(0)
	v_mul_f16_e32 v112, v52, v48
.LBB270_60:
	v_pk_add_f16 v46, v24, v46
	v_pk_max_f16 v48, v110, v110
	v_pk_add_f16 v47, v25, v47
	v_pk_min_f16 v46, v48, v46
	s_and_b64 vcc, exec, s[0:1]
	v_pk_min_f16 v46, v46, v47
	s_nop 0
	v_lshrrev_b32_e32 v47, 16, v46
	v_min3_f16 v48, v112, v46, v47
	v_lshl_add_u64 v[46:47], v[38:39], 1, v[50:51]
	global_store_short v[46:47], v48, off
	v_add_u32_e32 v48, 32, v80
	v_mad_i64_i32 v[46:47], s[4:5], v48, s6, 0
	v_lshl_add_u64 v[46:47], v[46:47], 1, s[14:15]
	v_mov_b32_e32 v50, 0
	v_mov_b32_e32 v51, 0
	s_cbranch_vccnz .LBB270_62
; %bb.61:
	v_lshl_add_u64 v[110:111], v[28:29], 1, v[46:47]
	flat_load_ushort v49, v[110:111]
	s_waitcnt vmcnt(0) lgkmcnt(0)
	v_mul_f16_e32 v51, v52, v49
.LBB270_62:
	v_pk_add_f16 v49, v30, v20
	v_pk_max_f16 v109, v109, v109
	s_and_b64 vcc, exec, s[0:1]
	v_pk_min_f16 v49, v109, v49
	v_pk_add_f16 v109, v31, v21
	s_nop 0
	v_pk_min_f16 v109, v49, v109
	v_mad_i64_i32 v[48:49], s[4:5], v48, s7, 0
	v_lshl_add_u64 v[48:49], v[48:49], 1, s[2:3]
	v_lshrrev_b32_e32 v110, 16, v109
	v_min3_f16 v51, v51, v109, v110
	v_lshl_add_u64 v[110:111], v[28:29], 1, v[48:49]
	global_store_short v[110:111], v51, off
	s_cbranch_vccnz .LBB270_64
; %bb.63:
	v_lshl_add_u64 v[50:51], v[32:33], 1, v[46:47]
	flat_load_ushort v50, v[50:51]
	s_waitcnt vmcnt(0) lgkmcnt(0)
	v_mul_f16_e32 v50, v52, v50
.LBB270_64:
	v_pk_add_f16 v51, v8, v20
	v_pk_max_f16 v108, v108, v108
	s_and_b64 vcc, exec, s[0:1]
	v_pk_min_f16 v51, v108, v51
	v_pk_add_f16 v108, v9, v21
	s_nop 0
	v_pk_min_f16 v51, v51, v108
	s_nop 0
	v_lshrrev_b32_e32 v108, 16, v51
	v_min3_f16 v108, v50, v51, v108
	v_lshl_add_u64 v[50:51], v[32:33], 1, v[48:49]
	global_store_short v[50:51], v108, off
	v_mov_b32_e32 v50, 0
	v_mov_b32_e32 v51, 0
	s_cbranch_vccnz .LBB270_66
; %bb.65:
	v_lshl_add_u64 v[108:109], v[34:35], 1, v[46:47]
	flat_load_ushort v51, v[108:109]
	s_waitcnt vmcnt(0) lgkmcnt(0)
	v_mul_f16_e32 v51, v52, v51
.LBB270_66:
	v_pk_add_f16 v108, v10, v20
	v_pk_max_f16 v107, v107, v107
	s_and_b64 vcc, exec, s[0:1]
	v_pk_min_f16 v107, v107, v108
	v_pk_add_f16 v108, v11, v21
	s_nop 0
	v_pk_min_f16 v107, v107, v108
	s_nop 0
	v_lshrrev_b32_e32 v108, 16, v107
	v_min3_f16 v51, v51, v107, v108
	v_lshl_add_u64 v[108:109], v[34:35], 1, v[48:49]
	global_store_short v[108:109], v51, off
	s_cbranch_vccnz .LBB270_68
; %bb.67:
	v_lshl_add_u64 v[50:51], v[36:37], 1, v[46:47]
	flat_load_ushort v50, v[50:51]
	s_waitcnt vmcnt(0) lgkmcnt(0)
	v_mul_f16_e32 v50, v52, v50
.LBB270_68:
	v_pk_add_f16 v51, v4, v20
	v_pk_max_f16 v106, v106, v106
	s_and_b64 vcc, exec, s[0:1]
	v_pk_min_f16 v51, v106, v51
	v_pk_add_f16 v106, v5, v21
	s_nop 0
	v_pk_min_f16 v51, v51, v106
	s_nop 0
	v_lshrrev_b32_e32 v106, 16, v51
	v_min3_f16 v106, v50, v51, v106
	v_lshl_add_u64 v[50:51], v[36:37], 1, v[48:49]
	global_store_short v[50:51], v106, off
	v_mov_b32_e32 v50, 0
	v_mov_b32_e32 v51, 0
	s_cbranch_vccnz .LBB270_70
; %bb.69:
	v_lshl_add_u64 v[106:107], v[44:45], 1, v[46:47]
	flat_load_ushort v51, v[106:107]
	s_waitcnt vmcnt(0) lgkmcnt(0)
	v_mul_f16_e32 v51, v52, v51
.LBB270_70:
	v_pk_add_f16 v106, v6, v20
	v_pk_max_f16 v105, v105, v105
	s_and_b64 vcc, exec, s[0:1]
	v_pk_min_f16 v105, v105, v106
	v_pk_add_f16 v106, v7, v21
	s_nop 0
	v_pk_min_f16 v105, v105, v106
	s_nop 0
	;; [unrolled: 40-line block ×3, first 2 shown]
	v_lshrrev_b32_e32 v104, 16, v103
	v_min3_f16 v51, v51, v103, v104
	v_lshl_add_u64 v[104:105], v[40:41], 1, v[48:49]
	global_store_short v[104:105], v51, off
	s_cbranch_vccnz .LBB270_76
; %bb.75:
	v_lshl_add_u64 v[46:47], v[38:39], 1, v[46:47]
	flat_load_ushort v46, v[46:47]
	s_waitcnt vmcnt(0) lgkmcnt(0)
	v_mul_f16_e32 v50, v52, v46
.LBB270_76:
	v_pk_add_f16 v20, v24, v20
	v_pk_max_f16 v46, v102, v102
	v_pk_add_f16 v21, v25, v21
	v_pk_min_f16 v20, v46, v20
	s_and_b64 vcc, exec, s[0:1]
	v_pk_min_f16 v20, v20, v21
	s_nop 0
	v_lshrrev_b32_e32 v21, 16, v20
	v_min3_f16 v46, v50, v20, v21
	v_lshl_add_u64 v[20:21], v[38:39], 1, v[48:49]
	global_store_short v[20:21], v46, off
	v_add_u32_e32 v46, 64, v80
	v_mad_i64_i32 v[20:21], s[4:5], v46, s6, 0
	v_lshl_add_u64 v[20:21], v[20:21], 1, s[14:15]
	v_mov_b32_e32 v48, 0
	v_mov_b32_e32 v49, 0
	s_cbranch_vccnz .LBB270_78
; %bb.77:
	v_lshl_add_u64 v[50:51], v[28:29], 1, v[20:21]
	flat_load_ushort v47, v[50:51]
	s_waitcnt vmcnt(0) lgkmcnt(0)
	v_mul_f16_e32 v49, v52, v47
.LBB270_78:
	v_pk_add_f16 v47, v30, v22
	v_pk_max_f16 v50, v101, v101
	s_and_b64 vcc, exec, s[0:1]
	v_pk_min_f16 v47, v50, v47
	v_pk_add_f16 v50, v31, v23
	s_nop 0
	v_pk_min_f16 v50, v47, v50
	v_mad_i64_i32 v[46:47], s[4:5], v46, s7, 0
	v_lshl_add_u64 v[46:47], v[46:47], 1, s[2:3]
	v_lshrrev_b32_e32 v51, 16, v50
	v_min3_f16 v49, v49, v50, v51
	v_lshl_add_u64 v[50:51], v[28:29], 1, v[46:47]
	global_store_short v[50:51], v49, off
	s_cbranch_vccnz .LBB270_80
; %bb.79:
	v_lshl_add_u64 v[48:49], v[32:33], 1, v[20:21]
	flat_load_ushort v48, v[48:49]
	s_waitcnt vmcnt(0) lgkmcnt(0)
	v_mul_f16_e32 v48, v52, v48
.LBB270_80:
	v_pk_add_f16 v49, v8, v22
	v_pk_max_f16 v50, v100, v100
	s_and_b64 vcc, exec, s[0:1]
	v_pk_min_f16 v49, v50, v49
	v_pk_add_f16 v50, v9, v23
	s_nop 0
	v_pk_min_f16 v49, v49, v50
	s_nop 0
	v_lshrrev_b32_e32 v50, 16, v49
	v_min3_f16 v50, v48, v49, v50
	v_lshl_add_u64 v[48:49], v[32:33], 1, v[46:47]
	global_store_short v[48:49], v50, off
	v_mov_b32_e32 v48, 0
	v_mov_b32_e32 v49, 0
	s_cbranch_vccnz .LBB270_82
; %bb.81:
	v_lshl_add_u64 v[50:51], v[34:35], 1, v[20:21]
	flat_load_ushort v49, v[50:51]
	s_waitcnt vmcnt(0) lgkmcnt(0)
	v_mul_f16_e32 v49, v52, v49
.LBB270_82:
	v_pk_add_f16 v50, v10, v22
	v_pk_max_f16 v51, v99, v99
	s_and_b64 vcc, exec, s[0:1]
	v_pk_min_f16 v50, v51, v50
	v_pk_add_f16 v51, v11, v23
	s_nop 0
	v_pk_min_f16 v50, v50, v51
	s_nop 0
	v_lshrrev_b32_e32 v51, 16, v50
	v_min3_f16 v49, v49, v50, v51
	v_lshl_add_u64 v[50:51], v[34:35], 1, v[46:47]
	global_store_short v[50:51], v49, off
	s_cbranch_vccnz .LBB270_84
; %bb.83:
	v_lshl_add_u64 v[48:49], v[36:37], 1, v[20:21]
	flat_load_ushort v48, v[48:49]
	s_waitcnt vmcnt(0) lgkmcnt(0)
	v_mul_f16_e32 v48, v52, v48
.LBB270_84:
	v_pk_add_f16 v49, v4, v22
	v_pk_max_f16 v50, v98, v98
	s_and_b64 vcc, exec, s[0:1]
	v_pk_min_f16 v49, v50, v49
	v_pk_add_f16 v50, v5, v23
	s_nop 0
	v_pk_min_f16 v49, v49, v50
	s_nop 0
	v_lshrrev_b32_e32 v50, 16, v49
	v_min3_f16 v50, v48, v49, v50
	v_lshl_add_u64 v[48:49], v[36:37], 1, v[46:47]
	global_store_short v[48:49], v50, off
	v_mov_b32_e32 v48, 0
	v_mov_b32_e32 v49, 0
	s_cbranch_vccnz .LBB270_86
; %bb.85:
	v_lshl_add_u64 v[50:51], v[44:45], 1, v[20:21]
	flat_load_ushort v49, v[50:51]
	s_waitcnt vmcnt(0) lgkmcnt(0)
	v_mul_f16_e32 v49, v52, v49
.LBB270_86:
	v_pk_add_f16 v50, v6, v22
	v_pk_max_f16 v51, v97, v97
	s_and_b64 vcc, exec, s[0:1]
	v_pk_min_f16 v50, v51, v50
	v_pk_add_f16 v51, v7, v23
	s_nop 0
	v_pk_min_f16 v50, v50, v51
	s_nop 0
	;; [unrolled: 40-line block ×3, first 2 shown]
	v_lshrrev_b32_e32 v51, 16, v50
	v_min3_f16 v49, v49, v50, v51
	v_lshl_add_u64 v[50:51], v[40:41], 1, v[46:47]
	global_store_short v[50:51], v49, off
	s_cbranch_vccnz .LBB270_92
; %bb.91:
	v_lshl_add_u64 v[20:21], v[38:39], 1, v[20:21]
	flat_load_ushort v20, v[20:21]
	s_waitcnt vmcnt(0) lgkmcnt(0)
	v_mul_f16_e32 v48, v52, v20
.LBB270_92:
	v_pk_add_f16 v20, v24, v22
	v_pk_max_f16 v21, v94, v94
	s_and_b64 vcc, exec, s[0:1]
	v_pk_min_f16 v20, v21, v20
	v_pk_add_f16 v21, v25, v23
	s_nop 0
	v_pk_min_f16 v20, v20, v21
	s_nop 0
	v_lshrrev_b32_e32 v21, 16, v20
	v_min3_f16 v22, v48, v20, v21
	v_lshl_add_u64 v[20:21], v[38:39], 1, v[46:47]
	global_store_short v[20:21], v22, off
	v_add_u32_e32 v22, 0x60, v80
	v_mad_i64_i32 v[20:21], s[4:5], v22, s6, 0
	v_lshl_add_u64 v[20:21], v[20:21], 1, s[14:15]
	v_mov_b32_e32 v46, 0
	v_mov_b32_e32 v47, 0
	s_cbranch_vccnz .LBB270_94
; %bb.93:
	v_lshl_add_u64 v[48:49], v[28:29], 1, v[20:21]
	flat_load_ushort v23, v[48:49]
	s_waitcnt vmcnt(0) lgkmcnt(0)
	v_mul_f16_e32 v47, v52, v23
.LBB270_94:
	v_pk_add_f16 v23, v30, v16
	v_pk_max_f16 v48, v93, v93
	s_and_b64 vcc, exec, s[0:1]
	v_pk_min_f16 v23, v48, v23
	v_pk_add_f16 v48, v31, v17
	s_nop 0
	v_pk_min_f16 v48, v23, v48
	v_mad_i64_i32 v[22:23], s[4:5], v22, s7, 0
	v_lshl_add_u64 v[22:23], v[22:23], 1, s[2:3]
	v_lshrrev_b32_e32 v49, 16, v48
	v_min3_f16 v47, v47, v48, v49
	v_lshl_add_u64 v[48:49], v[28:29], 1, v[22:23]
	global_store_short v[48:49], v47, off
	s_cbranch_vccnz .LBB270_96
; %bb.95:
	v_lshl_add_u64 v[46:47], v[32:33], 1, v[20:21]
	flat_load_ushort v46, v[46:47]
	s_waitcnt vmcnt(0) lgkmcnt(0)
	v_mul_f16_e32 v46, v52, v46
.LBB270_96:
	v_pk_add_f16 v47, v8, v16
	v_pk_max_f16 v48, v92, v92
	s_and_b64 vcc, exec, s[0:1]
	v_pk_min_f16 v47, v48, v47
	v_pk_add_f16 v48, v9, v17
	s_nop 0
	v_pk_min_f16 v47, v47, v48
	s_nop 0
	v_lshrrev_b32_e32 v48, 16, v47
	v_min3_f16 v48, v46, v47, v48
	v_lshl_add_u64 v[46:47], v[32:33], 1, v[22:23]
	global_store_short v[46:47], v48, off
	v_mov_b32_e32 v46, 0
	v_mov_b32_e32 v47, 0
	s_cbranch_vccnz .LBB270_98
; %bb.97:
	v_lshl_add_u64 v[48:49], v[34:35], 1, v[20:21]
	flat_load_ushort v47, v[48:49]
	s_waitcnt vmcnt(0) lgkmcnt(0)
	v_mul_f16_e32 v47, v52, v47
.LBB270_98:
	v_pk_add_f16 v48, v10, v16
	v_pk_max_f16 v49, v91, v91
	s_and_b64 vcc, exec, s[0:1]
	v_pk_min_f16 v48, v49, v48
	v_pk_add_f16 v49, v11, v17
	s_nop 0
	v_pk_min_f16 v48, v48, v49
	s_nop 0
	v_lshrrev_b32_e32 v49, 16, v48
	v_min3_f16 v47, v47, v48, v49
	v_lshl_add_u64 v[48:49], v[34:35], 1, v[22:23]
	global_store_short v[48:49], v47, off
	s_cbranch_vccnz .LBB270_100
; %bb.99:
	v_lshl_add_u64 v[46:47], v[36:37], 1, v[20:21]
	flat_load_ushort v46, v[46:47]
	s_waitcnt vmcnt(0) lgkmcnt(0)
	v_mul_f16_e32 v46, v52, v46
.LBB270_100:
	v_pk_add_f16 v47, v4, v16
	v_pk_max_f16 v48, v90, v90
	s_and_b64 vcc, exec, s[0:1]
	v_pk_min_f16 v47, v48, v47
	v_pk_add_f16 v48, v5, v17
	s_nop 0
	v_pk_min_f16 v47, v47, v48
	s_nop 0
	v_lshrrev_b32_e32 v48, 16, v47
	v_min3_f16 v48, v46, v47, v48
	v_lshl_add_u64 v[46:47], v[36:37], 1, v[22:23]
	global_store_short v[46:47], v48, off
	v_mov_b32_e32 v46, 0
	v_mov_b32_e32 v47, 0
	s_cbranch_vccnz .LBB270_102
; %bb.101:
	v_lshl_add_u64 v[48:49], v[44:45], 1, v[20:21]
	flat_load_ushort v47, v[48:49]
	s_waitcnt vmcnt(0) lgkmcnt(0)
	v_mul_f16_e32 v47, v52, v47
.LBB270_102:
	v_pk_add_f16 v48, v6, v16
	v_pk_max_f16 v49, v89, v89
	s_and_b64 vcc, exec, s[0:1]
	v_pk_min_f16 v48, v49, v48
	v_pk_add_f16 v49, v7, v17
	s_nop 0
	v_pk_min_f16 v48, v48, v49
	s_nop 0
	;; [unrolled: 40-line block ×3, first 2 shown]
	v_lshrrev_b32_e32 v49, 16, v48
	v_min3_f16 v47, v47, v48, v49
	v_lshl_add_u64 v[48:49], v[40:41], 1, v[22:23]
	global_store_short v[48:49], v47, off
	s_cbranch_vccnz .LBB270_108
; %bb.107:
	v_lshl_add_u64 v[20:21], v[38:39], 1, v[20:21]
	flat_load_ushort v20, v[20:21]
	s_waitcnt vmcnt(0) lgkmcnt(0)
	v_mul_f16_e32 v46, v52, v20
.LBB270_108:
	v_pk_add_f16 v16, v24, v16
	v_pk_max_f16 v20, v85, v85
	v_pk_add_f16 v17, v25, v17
	v_pk_min_f16 v16, v20, v16
	s_and_b64 vcc, exec, s[0:1]
	v_pk_min_f16 v16, v16, v17
	s_nop 0
	v_lshrrev_b32_e32 v17, 16, v16
	v_min3_f16 v20, v46, v16, v17
	v_lshl_add_u64 v[16:17], v[38:39], 1, v[22:23]
	global_store_short v[16:17], v20, off
	v_add_u32_e32 v20, 0x80, v80
	v_mad_i64_i32 v[16:17], s[4:5], v20, s6, 0
	v_lshl_add_u64 v[16:17], v[16:17], 1, s[14:15]
	v_mov_b32_e32 v22, 0
	v_mov_b32_e32 v23, 0
	s_cbranch_vccnz .LBB270_110
; %bb.109:
	v_lshl_add_u64 v[46:47], v[28:29], 1, v[16:17]
	flat_load_ushort v21, v[46:47]
	s_waitcnt vmcnt(0) lgkmcnt(0)
	v_mul_f16_e32 v23, v52, v21
.LBB270_110:
	v_pk_add_f16 v21, v30, v18
	v_pk_max_f16 v46, v86, v86
	s_and_b64 vcc, exec, s[0:1]
	v_pk_min_f16 v21, v46, v21
	v_pk_add_f16 v46, v31, v19
	s_nop 0
	v_pk_min_f16 v46, v21, v46
	v_mad_i64_i32 v[20:21], s[4:5], v20, s7, 0
	v_lshl_add_u64 v[20:21], v[20:21], 1, s[2:3]
	v_lshrrev_b32_e32 v47, 16, v46
	v_min3_f16 v23, v23, v46, v47
	v_lshl_add_u64 v[46:47], v[28:29], 1, v[20:21]
	global_store_short v[46:47], v23, off
	s_cbranch_vccnz .LBB270_112
; %bb.111:
	v_lshl_add_u64 v[22:23], v[32:33], 1, v[16:17]
	flat_load_ushort v22, v[22:23]
	s_waitcnt vmcnt(0) lgkmcnt(0)
	v_mul_f16_e32 v22, v52, v22
.LBB270_112:
	v_pk_add_f16 v23, v8, v18
	v_pk_max_f16 v46, v84, v84
	s_and_b64 vcc, exec, s[0:1]
	v_pk_min_f16 v23, v46, v23
	v_pk_add_f16 v46, v9, v19
	s_nop 0
	v_pk_min_f16 v23, v23, v46
	s_nop 0
	v_lshrrev_b32_e32 v46, 16, v23
	v_min3_f16 v46, v22, v23, v46
	v_lshl_add_u64 v[22:23], v[32:33], 1, v[20:21]
	global_store_short v[22:23], v46, off
	v_mov_b32_e32 v22, 0
	v_mov_b32_e32 v23, 0
	s_cbranch_vccnz .LBB270_114
; %bb.113:
	v_lshl_add_u64 v[46:47], v[34:35], 1, v[16:17]
	flat_load_ushort v23, v[46:47]
	s_waitcnt vmcnt(0) lgkmcnt(0)
	v_mul_f16_e32 v23, v52, v23
.LBB270_114:
	v_pk_add_f16 v46, v10, v18
	v_pk_max_f16 v47, v83, v83
	s_and_b64 vcc, exec, s[0:1]
	v_pk_min_f16 v46, v47, v46
	v_pk_add_f16 v47, v11, v19
	s_nop 0
	v_pk_min_f16 v46, v46, v47
	s_nop 0
	v_lshrrev_b32_e32 v47, 16, v46
	v_min3_f16 v23, v23, v46, v47
	v_lshl_add_u64 v[46:47], v[34:35], 1, v[20:21]
	global_store_short v[46:47], v23, off
	s_cbranch_vccnz .LBB270_116
; %bb.115:
	v_lshl_add_u64 v[22:23], v[36:37], 1, v[16:17]
	flat_load_ushort v22, v[22:23]
	s_waitcnt vmcnt(0) lgkmcnt(0)
	v_mul_f16_e32 v22, v52, v22
.LBB270_116:
	v_pk_add_f16 v23, v4, v18
	v_pk_max_f16 v46, v82, v82
	s_and_b64 vcc, exec, s[0:1]
	v_pk_min_f16 v23, v46, v23
	v_pk_add_f16 v46, v5, v19
	s_nop 0
	v_pk_min_f16 v23, v23, v46
	s_nop 0
	v_lshrrev_b32_e32 v46, 16, v23
	v_min3_f16 v46, v22, v23, v46
	v_lshl_add_u64 v[22:23], v[36:37], 1, v[20:21]
	global_store_short v[22:23], v46, off
	v_mov_b32_e32 v22, 0
	v_mov_b32_e32 v23, 0
	s_cbranch_vccnz .LBB270_118
; %bb.117:
	v_lshl_add_u64 v[46:47], v[44:45], 1, v[16:17]
	flat_load_ushort v23, v[46:47]
	s_waitcnt vmcnt(0) lgkmcnt(0)
	v_mul_f16_e32 v23, v52, v23
.LBB270_118:
	v_pk_add_f16 v46, v6, v18
	v_pk_max_f16 v47, v81, v81
	s_and_b64 vcc, exec, s[0:1]
	v_pk_min_f16 v46, v47, v46
	v_pk_add_f16 v47, v7, v19
	s_nop 0
	v_pk_min_f16 v46, v46, v47
	s_nop 0
	v_lshrrev_b32_e32 v47, 16, v46
	v_min3_f16 v23, v23, v46, v47
	v_lshl_add_u64 v[46:47], v[44:45], 1, v[20:21]
	global_store_short v[46:47], v23, off
	s_cbranch_vccnz .LBB270_120
; %bb.119:
	v_lshl_add_u64 v[22:23], v[42:43], 1, v[16:17]
	flat_load_ushort v22, v[22:23]
	s_waitcnt vmcnt(0) lgkmcnt(0)
	v_mul_f16_e32 v22, v52, v22
.LBB270_120:
	v_pk_add_f16 v23, v0, v18
	v_pk_max_f16 v46, v79, v79
	s_and_b64 vcc, exec, s[0:1]
	v_pk_min_f16 v23, v46, v23
	v_pk_add_f16 v46, v1, v19
	s_nop 0
	v_pk_min_f16 v23, v23, v46
	s_nop 0
	v_lshrrev_b32_e32 v46, 16, v23
	v_min3_f16 v46, v22, v23, v46
	v_lshl_add_u64 v[22:23], v[42:43], 1, v[20:21]
	global_store_short v[22:23], v46, off
	v_mov_b32_e32 v22, 0
	v_mov_b32_e32 v23, 0
	s_cbranch_vccnz .LBB270_122
; %bb.121:
	v_lshl_add_u64 v[46:47], v[40:41], 1, v[16:17]
	flat_load_ushort v23, v[46:47]
	s_waitcnt vmcnt(0) lgkmcnt(0)
	v_mul_f16_e32 v23, v52, v23
.LBB270_122:
	v_pk_add_f16 v46, v2, v18
	v_pk_max_f16 v47, v78, v78
	s_and_b64 vcc, exec, s[0:1]
	v_pk_min_f16 v46, v47, v46
	v_pk_add_f16 v47, v3, v19
	s_nop 0
	v_pk_min_f16 v46, v46, v47
	s_nop 0
	v_lshrrev_b32_e32 v47, 16, v46
	v_min3_f16 v23, v23, v46, v47
	v_lshl_add_u64 v[46:47], v[40:41], 1, v[20:21]
	global_store_short v[46:47], v23, off
	s_cbranch_vccnz .LBB270_124
; %bb.123:
	v_lshl_add_u64 v[16:17], v[38:39], 1, v[16:17]
	flat_load_ushort v16, v[16:17]
	s_waitcnt vmcnt(0) lgkmcnt(0)
	v_mul_f16_e32 v22, v52, v16
.LBB270_124:
	v_pk_add_f16 v16, v24, v18
	v_pk_max_f16 v17, v77, v77
	s_and_b64 vcc, exec, s[0:1]
	v_pk_min_f16 v16, v17, v16
	v_pk_add_f16 v17, v25, v19
	s_nop 0
	v_pk_min_f16 v16, v16, v17
	s_nop 0
	v_lshrrev_b32_e32 v17, 16, v16
	v_min3_f16 v18, v22, v16, v17
	v_lshl_add_u64 v[16:17], v[38:39], 1, v[20:21]
	global_store_short v[16:17], v18, off
	v_add_u32_e32 v18, 0xa0, v80
	v_mad_i64_i32 v[16:17], s[4:5], v18, s6, 0
	v_lshl_add_u64 v[16:17], v[16:17], 1, s[14:15]
	v_mov_b32_e32 v20, 0
	v_mov_b32_e32 v21, 0
	s_cbranch_vccnz .LBB270_126
; %bb.125:
	v_lshl_add_u64 v[22:23], v[28:29], 1, v[16:17]
	flat_load_ushort v19, v[22:23]
	s_waitcnt vmcnt(0) lgkmcnt(0)
	v_mul_f16_e32 v21, v52, v19
.LBB270_126:
	v_pk_add_f16 v19, v30, v12
	v_pk_max_f16 v22, v76, v76
	s_and_b64 vcc, exec, s[0:1]
	v_pk_min_f16 v19, v22, v19
	v_pk_add_f16 v22, v31, v13
	s_nop 0
	v_pk_min_f16 v22, v19, v22
	v_mad_i64_i32 v[18:19], s[4:5], v18, s7, 0
	v_lshl_add_u64 v[18:19], v[18:19], 1, s[2:3]
	v_lshrrev_b32_e32 v23, 16, v22
	v_min3_f16 v21, v21, v22, v23
	v_lshl_add_u64 v[22:23], v[28:29], 1, v[18:19]
	global_store_short v[22:23], v21, off
	s_cbranch_vccnz .LBB270_128
; %bb.127:
	v_lshl_add_u64 v[20:21], v[32:33], 1, v[16:17]
	flat_load_ushort v20, v[20:21]
	s_waitcnt vmcnt(0) lgkmcnt(0)
	v_mul_f16_e32 v20, v52, v20
.LBB270_128:
	v_pk_add_f16 v21, v8, v12
	v_pk_max_f16 v22, v75, v75
	s_and_b64 vcc, exec, s[0:1]
	v_pk_min_f16 v21, v22, v21
	v_pk_add_f16 v22, v9, v13
	s_nop 0
	v_pk_min_f16 v21, v21, v22
	s_nop 0
	v_lshrrev_b32_e32 v22, 16, v21
	v_min3_f16 v22, v20, v21, v22
	v_lshl_add_u64 v[20:21], v[32:33], 1, v[18:19]
	global_store_short v[20:21], v22, off
	v_mov_b32_e32 v20, 0
	v_mov_b32_e32 v21, 0
	s_cbranch_vccnz .LBB270_130
; %bb.129:
	v_lshl_add_u64 v[22:23], v[34:35], 1, v[16:17]
	flat_load_ushort v21, v[22:23]
	s_waitcnt vmcnt(0) lgkmcnt(0)
	v_mul_f16_e32 v21, v52, v21
.LBB270_130:
	v_pk_add_f16 v22, v10, v12
	v_pk_max_f16 v23, v74, v74
	s_and_b64 vcc, exec, s[0:1]
	v_pk_min_f16 v22, v23, v22
	v_pk_add_f16 v23, v11, v13
	s_nop 0
	v_pk_min_f16 v22, v22, v23
	s_nop 0
	v_lshrrev_b32_e32 v23, 16, v22
	v_min3_f16 v21, v21, v22, v23
	v_lshl_add_u64 v[22:23], v[34:35], 1, v[18:19]
	global_store_short v[22:23], v21, off
	s_cbranch_vccnz .LBB270_132
; %bb.131:
	v_lshl_add_u64 v[20:21], v[36:37], 1, v[16:17]
	flat_load_ushort v20, v[20:21]
	s_waitcnt vmcnt(0) lgkmcnt(0)
	v_mul_f16_e32 v20, v52, v20
.LBB270_132:
	v_pk_add_f16 v21, v4, v12
	v_pk_max_f16 v22, v73, v73
	s_and_b64 vcc, exec, s[0:1]
	v_pk_min_f16 v21, v22, v21
	v_pk_add_f16 v22, v5, v13
	s_nop 0
	v_pk_min_f16 v21, v21, v22
	s_nop 0
	v_lshrrev_b32_e32 v22, 16, v21
	v_min3_f16 v22, v20, v21, v22
	v_lshl_add_u64 v[20:21], v[36:37], 1, v[18:19]
	global_store_short v[20:21], v22, off
	v_mov_b32_e32 v20, 0
	v_mov_b32_e32 v21, 0
	s_cbranch_vccnz .LBB270_134
; %bb.133:
	v_lshl_add_u64 v[22:23], v[44:45], 1, v[16:17]
	flat_load_ushort v21, v[22:23]
	s_waitcnt vmcnt(0) lgkmcnt(0)
	v_mul_f16_e32 v21, v52, v21
.LBB270_134:
	v_pk_add_f16 v22, v6, v12
	v_pk_max_f16 v23, v72, v72
	s_and_b64 vcc, exec, s[0:1]
	v_pk_min_f16 v22, v23, v22
	v_pk_add_f16 v23, v7, v13
	s_nop 0
	v_pk_min_f16 v22, v22, v23
	s_nop 0
	;; [unrolled: 40-line block ×3, first 2 shown]
	v_lshrrev_b32_e32 v23, 16, v22
	v_min3_f16 v21, v21, v22, v23
	v_lshl_add_u64 v[22:23], v[40:41], 1, v[18:19]
	global_store_short v[22:23], v21, off
	s_cbranch_vccnz .LBB270_140
; %bb.139:
	v_lshl_add_u64 v[16:17], v[38:39], 1, v[16:17]
	flat_load_ushort v16, v[16:17]
	s_waitcnt vmcnt(0) lgkmcnt(0)
	v_mul_f16_e32 v20, v52, v16
.LBB270_140:
	v_pk_add_f16 v12, v24, v12
	v_pk_max_f16 v16, v69, v69
	v_pk_add_f16 v13, v25, v13
	v_pk_min_f16 v12, v16, v12
	s_and_b64 vcc, exec, s[0:1]
	v_pk_min_f16 v12, v12, v13
	s_nop 0
	v_lshrrev_b32_e32 v13, 16, v12
	v_min3_f16 v16, v20, v12, v13
	v_lshl_add_u64 v[12:13], v[38:39], 1, v[18:19]
	global_store_short v[12:13], v16, off
	v_add_u32_e32 v16, 0xc0, v80
	v_mad_i64_i32 v[12:13], s[4:5], v16, s6, 0
	v_lshl_add_u64 v[12:13], v[12:13], 1, s[14:15]
	v_mov_b32_e32 v18, 0
	v_mov_b32_e32 v19, 0
	s_cbranch_vccnz .LBB270_142
; %bb.141:
	v_lshl_add_u64 v[20:21], v[28:29], 1, v[12:13]
	flat_load_ushort v17, v[20:21]
	s_waitcnt vmcnt(0) lgkmcnt(0)
	v_mul_f16_e32 v19, v52, v17
.LBB270_142:
	v_pk_add_f16 v17, v30, v14
	v_pk_max_f16 v20, v67, v67
	s_and_b64 vcc, exec, s[0:1]
	v_pk_min_f16 v17, v20, v17
	v_pk_add_f16 v20, v31, v15
	s_nop 0
	v_pk_min_f16 v20, v17, v20
	v_mad_i64_i32 v[16:17], s[4:5], v16, s7, 0
	v_lshl_add_u64 v[16:17], v[16:17], 1, s[2:3]
	v_lshrrev_b32_e32 v21, 16, v20
	v_min3_f16 v19, v19, v20, v21
	v_lshl_add_u64 v[20:21], v[28:29], 1, v[16:17]
	global_store_short v[20:21], v19, off
	s_cbranch_vccnz .LBB270_144
; %bb.143:
	v_lshl_add_u64 v[18:19], v[32:33], 1, v[12:13]
	flat_load_ushort v18, v[18:19]
	s_waitcnt vmcnt(0) lgkmcnt(0)
	v_mul_f16_e32 v18, v52, v18
.LBB270_144:
	v_pk_add_f16 v19, v8, v14
	v_pk_max_f16 v20, v66, v66
	s_and_b64 vcc, exec, s[0:1]
	v_pk_min_f16 v19, v20, v19
	v_pk_add_f16 v20, v9, v15
	s_nop 0
	v_pk_min_f16 v19, v19, v20
	s_nop 0
	v_lshrrev_b32_e32 v20, 16, v19
	v_min3_f16 v20, v18, v19, v20
	v_lshl_add_u64 v[18:19], v[32:33], 1, v[16:17]
	global_store_short v[18:19], v20, off
	v_mov_b32_e32 v18, 0
	v_mov_b32_e32 v19, 0
	s_cbranch_vccnz .LBB270_146
; %bb.145:
	v_lshl_add_u64 v[20:21], v[34:35], 1, v[12:13]
	flat_load_ushort v19, v[20:21]
	s_waitcnt vmcnt(0) lgkmcnt(0)
	v_mul_f16_e32 v19, v52, v19
.LBB270_146:
	v_pk_add_f16 v20, v10, v14
	v_pk_max_f16 v21, v65, v65
	s_and_b64 vcc, exec, s[0:1]
	v_pk_min_f16 v20, v21, v20
	v_pk_add_f16 v21, v11, v15
	s_nop 0
	v_pk_min_f16 v20, v20, v21
	s_nop 0
	v_lshrrev_b32_e32 v21, 16, v20
	v_min3_f16 v19, v19, v20, v21
	v_lshl_add_u64 v[20:21], v[34:35], 1, v[16:17]
	global_store_short v[20:21], v19, off
	s_cbranch_vccnz .LBB270_148
; %bb.147:
	v_lshl_add_u64 v[18:19], v[36:37], 1, v[12:13]
	flat_load_ushort v18, v[18:19]
	s_waitcnt vmcnt(0) lgkmcnt(0)
	v_mul_f16_e32 v18, v52, v18
.LBB270_148:
	v_pk_add_f16 v19, v4, v14
	v_pk_max_f16 v20, v64, v64
	s_and_b64 vcc, exec, s[0:1]
	v_pk_min_f16 v19, v20, v19
	v_pk_add_f16 v20, v5, v15
	s_nop 0
	v_pk_min_f16 v19, v19, v20
	s_nop 0
	v_lshrrev_b32_e32 v20, 16, v19
	v_min3_f16 v20, v18, v19, v20
	v_lshl_add_u64 v[18:19], v[36:37], 1, v[16:17]
	global_store_short v[18:19], v20, off
	v_mov_b32_e32 v18, 0
	v_mov_b32_e32 v19, 0
	s_cbranch_vccnz .LBB270_150
; %bb.149:
	v_lshl_add_u64 v[20:21], v[44:45], 1, v[12:13]
	flat_load_ushort v19, v[20:21]
	s_waitcnt vmcnt(0) lgkmcnt(0)
	v_mul_f16_e32 v19, v52, v19
.LBB270_150:
	v_pk_add_f16 v20, v6, v14
	v_pk_max_f16 v21, v63, v63
	s_and_b64 vcc, exec, s[0:1]
	v_pk_min_f16 v20, v21, v20
	v_pk_add_f16 v21, v7, v15
	s_nop 0
	v_pk_min_f16 v20, v20, v21
	s_nop 0
	;; [unrolled: 40-line block ×3, first 2 shown]
	v_lshrrev_b32_e32 v21, 16, v20
	v_min3_f16 v19, v19, v20, v21
	v_lshl_add_u64 v[20:21], v[40:41], 1, v[16:17]
	global_store_short v[20:21], v19, off
	s_cbranch_vccnz .LBB270_156
; %bb.155:
	v_lshl_add_u64 v[12:13], v[38:39], 1, v[12:13]
	flat_load_ushort v12, v[12:13]
	s_waitcnt vmcnt(0) lgkmcnt(0)
	v_mul_f16_e32 v18, v52, v12
.LBB270_156:
	v_pk_add_f16 v12, v24, v14
	v_pk_max_f16 v13, v59, v59
	s_and_b64 vcc, exec, s[0:1]
	v_pk_min_f16 v12, v13, v12
	v_pk_add_f16 v13, v25, v15
	s_nop 0
	v_pk_min_f16 v12, v12, v13
	s_nop 0
	v_lshrrev_b32_e32 v13, 16, v12
	v_min3_f16 v14, v18, v12, v13
	v_lshl_add_u64 v[12:13], v[38:39], 1, v[16:17]
	global_store_short v[12:13], v14, off
	v_add_u32_e32 v14, 0xe0, v80
	v_mad_i64_i32 v[12:13], s[4:5], v14, s6, 0
	v_lshl_add_u64 v[12:13], v[12:13], 1, s[14:15]
	v_mov_b32_e32 v16, 0
	v_mov_b32_e32 v17, 0
	s_cbranch_vccnz .LBB270_158
; %bb.157:
	v_lshl_add_u64 v[18:19], v[28:29], 1, v[12:13]
	flat_load_ushort v15, v[18:19]
	s_waitcnt vmcnt(0) lgkmcnt(0)
	v_mul_f16_e32 v17, v52, v15
.LBB270_158:
	v_pk_add_f16 v15, v30, v26
	v_pk_max_f16 v18, v60, v60
	s_and_b64 vcc, exec, s[0:1]
	v_pk_min_f16 v15, v18, v15
	v_pk_add_f16 v18, v31, v27
	s_nop 0
	v_pk_min_f16 v18, v15, v18
	v_mad_i64_i32 v[14:15], s[4:5], v14, s7, 0
	v_lshl_add_u64 v[14:15], v[14:15], 1, s[2:3]
	v_lshrrev_b32_e32 v19, 16, v18
	v_min3_f16 v17, v17, v18, v19
	v_lshl_add_u64 v[18:19], v[28:29], 1, v[14:15]
	global_store_short v[18:19], v17, off
	s_cbranch_vccnz .LBB270_160
; %bb.159:
	v_lshl_add_u64 v[16:17], v[32:33], 1, v[12:13]
	flat_load_ushort v16, v[16:17]
	s_waitcnt vmcnt(0) lgkmcnt(0)
	v_mul_f16_e32 v16, v52, v16
.LBB270_160:
	v_pk_add_f16 v8, v8, v26
	v_pk_max_f16 v17, v58, v58
	v_pk_add_f16 v9, v9, v27
	v_pk_min_f16 v8, v17, v8
	s_and_b64 vcc, exec, s[0:1]
	v_pk_min_f16 v8, v8, v9
	s_nop 0
	v_lshrrev_b32_e32 v9, 16, v8
	v_min3_f16 v16, v16, v8, v9
	v_lshl_add_u64 v[8:9], v[32:33], 1, v[14:15]
	global_store_short v[8:9], v16, off
	v_mov_b32_e32 v8, 0
	v_mov_b32_e32 v9, 0
	s_cbranch_vccnz .LBB270_162
; %bb.161:
	v_lshl_add_u64 v[16:17], v[34:35], 1, v[12:13]
	flat_load_ushort v9, v[16:17]
	s_waitcnt vmcnt(0) lgkmcnt(0)
	v_mul_f16_e32 v9, v52, v9
.LBB270_162:
	v_pk_add_f16 v10, v10, v26
	v_pk_max_f16 v16, v57, v57
	v_pk_add_f16 v11, v11, v27
	v_pk_min_f16 v10, v16, v10
	s_and_b64 vcc, exec, s[0:1]
	v_pk_min_f16 v10, v10, v11
	s_nop 0
	v_lshrrev_b32_e32 v11, 16, v10
	v_min3_f16 v9, v9, v10, v11
	v_lshl_add_u64 v[10:11], v[34:35], 1, v[14:15]
	global_store_short v[10:11], v9, off
	s_cbranch_vccnz .LBB270_164
; %bb.163:
	v_lshl_add_u64 v[8:9], v[36:37], 1, v[12:13]
	flat_load_ushort v8, v[8:9]
	s_waitcnt vmcnt(0) lgkmcnt(0)
	v_mul_f16_e32 v8, v52, v8
.LBB270_164:
	v_pk_add_f16 v4, v4, v26
	v_pk_max_f16 v9, v56, v56
	v_pk_add_f16 v5, v5, v27
	v_pk_min_f16 v4, v9, v4
	s_and_b64 vcc, exec, s[0:1]
	v_pk_min_f16 v4, v4, v5
	s_nop 0
	v_lshrrev_b32_e32 v5, 16, v4
	v_min3_f16 v8, v8, v4, v5
	v_lshl_add_u64 v[4:5], v[36:37], 1, v[14:15]
	global_store_short v[4:5], v8, off
	v_mov_b32_e32 v4, 0
	v_mov_b32_e32 v5, 0
	s_cbranch_vccnz .LBB270_166
; %bb.165:
	v_lshl_add_u64 v[8:9], v[44:45], 1, v[12:13]
	flat_load_ushort v5, v[8:9]
	s_waitcnt vmcnt(0) lgkmcnt(0)
	v_mul_f16_e32 v5, v52, v5
.LBB270_166:
	v_pk_add_f16 v6, v6, v26
	v_pk_max_f16 v8, v55, v55
	v_pk_add_f16 v7, v7, v27
	v_pk_min_f16 v6, v8, v6
	s_and_b64 vcc, exec, s[0:1]
	v_pk_min_f16 v6, v6, v7
	s_nop 0
	v_lshrrev_b32_e32 v7, 16, v6
	v_min3_f16 v5, v5, v6, v7
	v_lshl_add_u64 v[6:7], v[44:45], 1, v[14:15]
	global_store_short v[6:7], v5, off
	s_cbranch_vccnz .LBB270_168
; %bb.167:
	v_lshl_add_u64 v[4:5], v[42:43], 1, v[12:13]
	flat_load_ushort v4, v[4:5]
	s_waitcnt vmcnt(0) lgkmcnt(0)
	v_mul_f16_e32 v4, v52, v4
.LBB270_168:
	v_pk_add_f16 v0, v0, v26
	v_pk_max_f16 v5, v53, v53
	v_pk_add_f16 v2, v2, v26
	v_pk_min_f16 v0, v5, v0
	v_pk_max_f16 v5, v54, v54
	v_pk_add_f16 v1, v1, v27
	v_pk_min_f16 v2, v5, v2
	v_pk_min_f16 v0, v0, v1
	v_pk_add_f16 v1, v3, v27
	s_mov_b64 vcc, s[12:13]
	v_pk_min_f16 v2, v2, v1
	v_lshrrev_b32_e32 v1, 16, v0
	v_min3_f16 v3, v4, v0, v1
	v_lshl_add_u64 v[0:1], v[42:43], 1, v[14:15]
	global_store_short v[0:1], v3, off
	v_min_f16_sdwa v0, v2, v2 dst_sel:DWORD dst_unused:UNUSED_PAD src0_sel:DWORD src1_sel:WORD_1
	v_max_f16_e32 v0, v0, v0
	s_cbranch_vccz .LBB270_171
; %bb.169:
	v_min_f16_e32 v1, 0, v0
	v_lshl_add_u64 v[2:3], v[40:41], 1, v[14:15]
	s_mov_b32 s2, 0
	global_store_short v[2:3], v1, off
	s_cbranch_execz .LBB270_172
; %bb.170:
	v_mov_b32_e32 v0, s2
	s_branch .LBB270_173
.LBB270_171:
                                        ; implicit-def: $sgpr2
.LBB270_172:
	v_lshlrev_b64 v[2:3], 1, v[40:41]
	v_lshl_add_u64 v[4:5], v[12:13], 0, v[2:3]
	flat_load_ushort v1, v[4:5]
	v_lshl_add_u64 v[2:3], v[14:15], 0, v[2:3]
	s_waitcnt vmcnt(0) lgkmcnt(0)
	v_mul_f16_e32 v1, v52, v1
	v_min_f16_e32 v0, v1, v0
	global_store_short v[2:3], v0, off
	v_lshl_add_u64 v[0:1], v[38:39], 1, v[12:13]
	flat_load_ushort v0, v[0:1]
	s_waitcnt vmcnt(0) lgkmcnt(0)
	v_mul_f16_e32 v0, v52, v0
.LBB270_173:
	v_pk_add_f16 v1, v24, v26
	v_pk_max_f16 v2, v68, v68
	s_nop 0
	v_pk_min_f16 v1, v2, v1
	v_pk_add_f16 v2, v25, v27
	s_nop 0
	v_pk_min_f16 v1, v1, v2
	s_nop 0
	v_lshrrev_b32_e32 v2, 16, v1
	v_min3_f16 v2, v0, v1, v2
	v_lshl_add_u64 v[0:1], v[38:39], 1, v[14:15]
	global_store_short v[0:1], v2, off
	s_endpgm
	.section	.rodata,"a",@progbits
	.p2align	6, 0x0
	.amdhsa_kernel _ZN12_GLOBAL__N_120geam_min_plus_kernelIDF16_Dv2_DF16_S1_Li8ELi32ELi64ELi256ELi4ELi64ELi4ELi64ELi4ELc78ELc84ELb0ELb0ELb1EPKDF16_S2_DF16_EEviiiT16_PT17_ilS6_ilS4_S6_ilPT18_ili26rocblas_geam_ex_operation_
		.amdhsa_group_segment_fixed_size 5120
		.amdhsa_private_segment_fixed_size 0
		.amdhsa_kernarg_size 136
		.amdhsa_user_sgpr_count 2
		.amdhsa_user_sgpr_dispatch_ptr 0
		.amdhsa_user_sgpr_queue_ptr 0
		.amdhsa_user_sgpr_kernarg_segment_ptr 1
		.amdhsa_user_sgpr_dispatch_id 0
		.amdhsa_user_sgpr_kernarg_preload_length 0
		.amdhsa_user_sgpr_kernarg_preload_offset 0
		.amdhsa_user_sgpr_private_segment_size 0
		.amdhsa_uses_dynamic_stack 0
		.amdhsa_enable_private_segment 0
		.amdhsa_system_sgpr_workgroup_id_x 1
		.amdhsa_system_sgpr_workgroup_id_y 0
		.amdhsa_system_sgpr_workgroup_id_z 1
		.amdhsa_system_sgpr_workgroup_info 0
		.amdhsa_system_vgpr_workitem_id 1
		.amdhsa_next_free_vgpr 173
		.amdhsa_next_free_sgpr 30
		.amdhsa_accum_offset 176
		.amdhsa_reserve_vcc 1
		.amdhsa_float_round_mode_32 0
		.amdhsa_float_round_mode_16_64 0
		.amdhsa_float_denorm_mode_32 3
		.amdhsa_float_denorm_mode_16_64 3
		.amdhsa_dx10_clamp 1
		.amdhsa_ieee_mode 1
		.amdhsa_fp16_overflow 0
		.amdhsa_tg_split 0
		.amdhsa_exception_fp_ieee_invalid_op 0
		.amdhsa_exception_fp_denorm_src 0
		.amdhsa_exception_fp_ieee_div_zero 0
		.amdhsa_exception_fp_ieee_overflow 0
		.amdhsa_exception_fp_ieee_underflow 0
		.amdhsa_exception_fp_ieee_inexact 0
		.amdhsa_exception_int_div_zero 0
	.end_amdhsa_kernel
	.section	.text._ZN12_GLOBAL__N_120geam_min_plus_kernelIDF16_Dv2_DF16_S1_Li8ELi32ELi64ELi256ELi4ELi64ELi4ELi64ELi4ELc78ELc84ELb0ELb0ELb1EPKDF16_S2_DF16_EEviiiT16_PT17_ilS6_ilS4_S6_ilPT18_ili26rocblas_geam_ex_operation_,"axG",@progbits,_ZN12_GLOBAL__N_120geam_min_plus_kernelIDF16_Dv2_DF16_S1_Li8ELi32ELi64ELi256ELi4ELi64ELi4ELi64ELi4ELc78ELc84ELb0ELb0ELb1EPKDF16_S2_DF16_EEviiiT16_PT17_ilS6_ilS4_S6_ilPT18_ili26rocblas_geam_ex_operation_,comdat
.Lfunc_end270:
	.size	_ZN12_GLOBAL__N_120geam_min_plus_kernelIDF16_Dv2_DF16_S1_Li8ELi32ELi64ELi256ELi4ELi64ELi4ELi64ELi4ELc78ELc84ELb0ELb0ELb1EPKDF16_S2_DF16_EEviiiT16_PT17_ilS6_ilS4_S6_ilPT18_ili26rocblas_geam_ex_operation_, .Lfunc_end270-_ZN12_GLOBAL__N_120geam_min_plus_kernelIDF16_Dv2_DF16_S1_Li8ELi32ELi64ELi256ELi4ELi64ELi4ELi64ELi4ELc78ELc84ELb0ELb0ELb1EPKDF16_S2_DF16_EEviiiT16_PT17_ilS6_ilS4_S6_ilPT18_ili26rocblas_geam_ex_operation_
                                        ; -- End function
	.section	.AMDGPU.csdata,"",@progbits
; Kernel info:
; codeLenInByte = 16956
; NumSgprs: 36
; NumVgprs: 173
; NumAgprs: 0
; TotalNumVgprs: 173
; ScratchSize: 0
; MemoryBound: 0
; FloatMode: 240
; IeeeMode: 1
; LDSByteSize: 5120 bytes/workgroup (compile time only)
; SGPRBlocks: 4
; VGPRBlocks: 21
; NumSGPRsForWavesPerEU: 36
; NumVGPRsForWavesPerEU: 173
; AccumOffset: 176
; Occupancy: 2
; WaveLimiterHint : 1
; COMPUTE_PGM_RSRC2:SCRATCH_EN: 0
; COMPUTE_PGM_RSRC2:USER_SGPR: 2
; COMPUTE_PGM_RSRC2:TRAP_HANDLER: 0
; COMPUTE_PGM_RSRC2:TGID_X_EN: 1
; COMPUTE_PGM_RSRC2:TGID_Y_EN: 0
; COMPUTE_PGM_RSRC2:TGID_Z_EN: 1
; COMPUTE_PGM_RSRC2:TIDIG_COMP_CNT: 1
; COMPUTE_PGM_RSRC3_GFX90A:ACCUM_OFFSET: 43
; COMPUTE_PGM_RSRC3_GFX90A:TG_SPLIT: 0
	.section	.text._ZN12_GLOBAL__N_120geam_min_plus_kernelIDF16_Dv2_DF16_S1_Li8ELi32ELi64ELi256ELi4ELi64ELi4ELi64ELi4ELc78ELc84ELb1ELb0ELb1EDF16_KDF16_DF16_EEviiiT16_PT17_ilS5_ilS3_S5_ilPT18_ili26rocblas_geam_ex_operation_,"axG",@progbits,_ZN12_GLOBAL__N_120geam_min_plus_kernelIDF16_Dv2_DF16_S1_Li8ELi32ELi64ELi256ELi4ELi64ELi4ELi64ELi4ELc78ELc84ELb1ELb0ELb1EDF16_KDF16_DF16_EEviiiT16_PT17_ilS5_ilS3_S5_ilPT18_ili26rocblas_geam_ex_operation_,comdat
	.globl	_ZN12_GLOBAL__N_120geam_min_plus_kernelIDF16_Dv2_DF16_S1_Li8ELi32ELi64ELi256ELi4ELi64ELi4ELi64ELi4ELc78ELc84ELb1ELb0ELb1EDF16_KDF16_DF16_EEviiiT16_PT17_ilS5_ilS3_S5_ilPT18_ili26rocblas_geam_ex_operation_ ; -- Begin function _ZN12_GLOBAL__N_120geam_min_plus_kernelIDF16_Dv2_DF16_S1_Li8ELi32ELi64ELi256ELi4ELi64ELi4ELi64ELi4ELc78ELc84ELb1ELb0ELb1EDF16_KDF16_DF16_EEviiiT16_PT17_ilS5_ilS3_S5_ilPT18_ili26rocblas_geam_ex_operation_
	.p2align	8
	.type	_ZN12_GLOBAL__N_120geam_min_plus_kernelIDF16_Dv2_DF16_S1_Li8ELi32ELi64ELi256ELi4ELi64ELi4ELi64ELi4ELc78ELc84ELb1ELb0ELb1EDF16_KDF16_DF16_EEviiiT16_PT17_ilS5_ilS3_S5_ilPT18_ili26rocblas_geam_ex_operation_,@function
_ZN12_GLOBAL__N_120geam_min_plus_kernelIDF16_Dv2_DF16_S1_Li8ELi32ELi64ELi256ELi4ELi64ELi4ELi64ELi4ELc78ELc84ELb1ELb0ELb1EDF16_KDF16_DF16_EEviiiT16_PT17_ilS5_ilS3_S5_ilPT18_ili26rocblas_geam_ex_operation_: ; @_ZN12_GLOBAL__N_120geam_min_plus_kernelIDF16_Dv2_DF16_S1_Li8ELi32ELi64ELi256ELi4ELi64ELi4ELi64ELi4ELc78ELc84ELb1ELb0ELb1EDF16_KDF16_DF16_EEviiiT16_PT17_ilS5_ilS3_S5_ilPT18_ili26rocblas_geam_ex_operation_
; %bb.0:
	s_load_dwordx2 s[14:15], s[0:1], 0x8
	s_load_dwordx4 s[4:7], s[0:1], 0x20
	s_waitcnt lgkmcnt(0)
	v_cmp_eq_f16_e64 s[8:9], s15, 0
	s_and_b64 vcc, exec, s[8:9]
	s_cbranch_vccnz .LBB271_3
; %bb.1:
	s_load_dwordx2 s[10:11], s[0:1], 0x10
	s_mul_i32 s5, s3, s5
	s_mul_hi_u32 s12, s3, s4
	s_add_i32 s5, s12, s5
	s_mul_i32 s4, s3, s4
	s_lshl_b64 s[4:5], s[4:5], 1
	s_waitcnt lgkmcnt(0)
	s_add_u32 s16, s10, s4
	s_addc_u32 s17, s11, s5
	s_andn2_b64 vcc, exec, s[8:9]
	s_cbranch_vccnz .LBB271_4
.LBB271_2:
	s_mov_b32 s13, 0
	s_mov_b64 s[18:19], 0
	s_cbranch_execz .LBB271_5
	s_branch .LBB271_6
.LBB271_3:
	s_mov_b64 s[16:17], 0
	s_andn2_b64 vcc, exec, s[8:9]
	s_cbranch_vccz .LBB271_2
.LBB271_4:
                                        ; implicit-def: $sgpr18_sgpr19
                                        ; implicit-def: $sgpr12_sgpr13
.LBB271_5:
	s_load_dwordx2 s[4:5], s[0:1], 0x38
	s_mov_b32 s13, 0
	s_waitcnt lgkmcnt(0)
	s_mul_i32 s5, s3, s5
	s_mul_hi_u32 s8, s3, s4
	s_add_i32 s5, s8, s5
	s_mul_i32 s4, s3, s4
	s_lshl_b64 s[4:5], s[4:5], 1
	s_add_u32 s18, s6, s4
	s_addc_u32 s19, s7, s5
.LBB271_6:
	s_load_dword s12, s[0:1], 0x40
	s_load_dwordx4 s[8:11], s[0:1], 0x58
	s_waitcnt lgkmcnt(0)
	v_cmp_eq_f16_e64 s[4:5], s12, 0
	s_and_b64 s[4:5], exec, s[4:5]
	s_mov_b64 vcc, s[4:5]
	s_cbranch_vccnz .LBB271_8
; %bb.7:
	s_load_dwordx2 s[6:7], s[0:1], 0x48
	s_mul_i32 s9, s3, s9
	s_mul_hi_u32 s15, s3, s8
	s_add_i32 s9, s15, s9
	s_mul_i32 s15, s13, s8
	s_add_i32 s9, s9, s15
	s_mul_i32 s8, s3, s8
	s_lshl_b64 s[8:9], s[8:9], 1
	s_waitcnt lgkmcnt(0)
	s_add_u32 s6, s6, s8
	s_addc_u32 s7, s7, s9
	s_branch .LBB271_9
.LBB271_8:
	s_mov_b64 s[6:7], 0
.LBB271_9:
	s_load_dword s8, s[0:1], 0x0
	s_load_dword s22, s[0:1], 0x18
	s_load_dword s20, s[0:1], 0x30
	v_bfe_u32 v48, v0, 10, 10
	v_and_b32_e32 v45, 0x3ff, v0
	s_waitcnt lgkmcnt(0)
	s_add_i32 s8, s8, -1
	s_ashr_i32 s9, s8, 31
	s_lshr_b32 s9, s9, 26
	s_add_i32 s8, s8, s9
	s_ashr_i32 s8, s8, 6
	s_add_i32 s9, s8, 1
	v_cvt_f32_u32_e32 v1, s9
	s_not_b32 s8, s8
	v_lshlrev_b32_e32 v44, 3, v48
	v_add_u32_e32 v0, v44, v45
	v_rcp_iflag_f32_e32 v1, v1
	v_and_b32_e32 v8, 63, v0
	v_lshrrev_b32_e32 v40, 6, v0
	v_lshlrev_b32_e32 v50, 3, v45
	v_mul_f32_e32 v1, 0x4f7ffffe, v1
	v_cvt_u32_f32_e32 v1, v1
	v_lshlrev_b32_e32 v14, 1, v40
	v_add_u32_e32 v46, 0x1000, v50
	v_lshl_add_u32 v47, v8, 3, v14
	v_readfirstlane_b32 s15, v1
	s_mul_i32 s8, s8, s15
	s_mul_hi_u32 s8, s15, s8
	s_add_i32 s15, s15, s8
	s_mul_hi_u32 s8, s2, s15
	s_mul_i32 s15, s8, s9
	s_sub_i32 s15, s2, s15
	s_add_i32 s21, s8, 1
	s_sub_i32 s23, s15, s9
	s_cmp_ge_u32 s15, s9
	s_cselect_b32 s8, s21, s8
	s_cselect_b32 s15, s23, s15
	s_add_i32 s21, s8, 1
	s_cmp_ge_u32 s15, s9
	s_cselect_b32 s8, s21, s8
	s_mul_i32 s9, s8, s9
	s_lshl_b32 s24, s8, 8
	s_sub_i32 s2, s2, s9
	s_lshl_b32 s2, s2, 6
	v_or_b32_e32 v34, s24, v8
	v_or_b32_e32 v32, s2, v8
	v_mad_i64_i32 v[4:5], s[8:9], s20, v40, 0
	v_ashrrev_i32_e32 v35, 31, v34
	v_mad_i64_i32 v[0:1], s[8:9], s22, v40, 0
	v_ashrrev_i32_e32 v33, 31, v32
	v_lshl_add_u64 v[4:5], v[4:5], 1, s[18:19]
	v_lshlrev_b64 v[6:7], 1, v[34:35]
	v_lshl_add_u64 v[0:1], v[0:1], 1, s[16:17]
	v_lshlrev_b64 v[2:3], 1, v[32:33]
	v_lshl_add_u64 v[4:5], v[4:5], 0, v[6:7]
	v_lshl_add_u64 v[0:1], v[0:1], 0, v[2:3]
	flat_load_ushort v9, v[4:5]
	flat_load_ushort v10, v[4:5] offset:128
	flat_load_ushort v11, v[4:5] offset:256
	;; [unrolled: 1-line block ×3, first 2 shown]
	flat_load_ushort v13, v[0:1]
	v_add_u32_e32 v4, 4, v40
	v_mad_i64_i32 v[0:1], s[26:27], s22, v4, 0
	v_mad_i64_i32 v[4:5], s[26:27], s20, v4, 0
	v_lshl_add_u64 v[0:1], v[0:1], 1, s[16:17]
	v_lshl_add_u64 v[4:5], v[4:5], 1, s[18:19]
	;; [unrolled: 1-line block ×4, first 2 shown]
	flat_load_ushort v36, v[4:5]
	flat_load_ushort v37, v[4:5] offset:128
	flat_load_ushort v38, v[4:5] offset:256
	;; [unrolled: 1-line block ×3, first 2 shown]
	flat_load_ushort v41, v[0:1]
	s_movk_i32 s8, 0x7c00
	s_cmp_lt_i32 s14, 9
	s_waitcnt vmcnt(0) lgkmcnt(0)
	ds_write_b16 v47, v9
	ds_write_b16 v47, v10 offset:512
	ds_write_b16 v47, v11 offset:1024
	;; [unrolled: 1-line block ×4, first 2 shown]
	s_waitcnt lgkmcnt(0)
	s_barrier
	ds_read2_b64 v[16:19], v46 offset1:8
	ds_read2_b64 v[12:15], v46 offset0:16 offset1:24
	ds_read2_b64 v[8:11], v46 offset0:32 offset1:40
	ds_read2_b64 v[28:31], v44 offset1:32
	ds_read2_b64 v[0:3], v46 offset0:48 offset1:56
	ds_read2_b64 v[24:27], v44 offset0:64 offset1:96
	ds_read2_b64 v[20:23], v44 offset0:128 offset1:160
	ds_read2_b64 v[4:7], v44 offset0:192 offset1:224
	s_waitcnt lgkmcnt(4)
	v_pk_add_f16 v51, v14, v28
	v_pk_add_f16 v42, v16, v28
	v_pk_min_f16 v65, v51, s8 op_sel_hi:[1,0]
	s_waitcnt lgkmcnt(2)
	v_pk_add_f16 v51, v14, v24
	v_pk_add_f16 v55, v16, v30
	v_pk_min_f16 v76, v51, s8 op_sel_hi:[1,0]
	v_pk_add_f16 v51, v8, v24
	v_pk_add_f16 v62, v16, v24
	v_pk_min_f16 v77, v51, s8 op_sel_hi:[1,0]
	;; [unrolled: 3-line block ×11, first 2 shown]
	s_waitcnt lgkmcnt(1)
	v_pk_add_f16 v51, v16, v20
	v_pk_add_f16 v52, v8, v28
	v_pk_min_f16 v87, v51, s8 op_sel_hi:[1,0]
	v_pk_add_f16 v51, v18, v20
	v_pk_add_f16 v53, v10, v28
	v_pk_min_f16 v88, v51, s8 op_sel_hi:[1,0]
	;; [unrolled: 3-line block ×6, first 2 shown]
	v_pk_add_f16 v51, v0, v20
	v_pk_min_f16 v42, v42, s8 op_sel_hi:[1,0]
	v_pk_min_f16 v93, v51, s8 op_sel_hi:[1,0]
	v_pk_add_f16 v51, v16, v22
	v_pk_add_f16 v24, v2, v24
	v_pk_min_f16 v95, v51, s8 op_sel_hi:[1,0]
	v_pk_add_f16 v51, v18, v22
	v_pk_add_f16 v26, v2, v26
	v_pk_min_f16 v96, v51, s8 op_sel_hi:[1,0]
	v_pk_add_f16 v51, v12, v22
	v_pk_add_f16 v20, v2, v20
	v_pk_min_f16 v97, v51, s8 op_sel_hi:[1,0]
	v_pk_add_f16 v51, v14, v22
	v_pk_min_f16 v43, v43, s8 op_sel_hi:[1,0]
	v_pk_min_f16 v98, v51, s8 op_sel_hi:[1,0]
	v_pk_add_f16 v51, v8, v22
	v_pk_min_f16 v49, v49, s8 op_sel_hi:[1,0]
	;; [unrolled: 3-line block ×3, first 2 shown]
	v_pk_min_f16 v100, v51, s8 op_sel_hi:[1,0]
	v_pk_add_f16 v51, v0, v22
	v_pk_add_f16 v22, v2, v22
	v_pk_min_f16 v101, v51, s8 op_sel_hi:[1,0]
	s_waitcnt lgkmcnt(0)
	v_pk_add_f16 v51, v16, v4
	v_pk_min_f16 v68, v54, s8 op_sel_hi:[1,0]
	v_pk_min_f16 v102, v51, s8 op_sel_hi:[1,0]
	v_pk_add_f16 v51, v18, v4
	v_pk_min_f16 v67, v53, s8 op_sel_hi:[1,0]
	v_pk_min_f16 v103, v51, s8 op_sel_hi:[1,0]
	;; [unrolled: 3-line block ×6, first 2 shown]
	v_pk_add_f16 v51, v0, v4
	v_pk_add_f16 v4, v2, v4
	;; [unrolled: 1-line block ×3, first 2 shown]
	v_pk_min_f16 v111, v4, s8 op_sel_hi:[1,0]
	v_pk_add_f16 v4, v16, v6
	v_pk_min_f16 v110, v51, s8 op_sel_hi:[1,0]
	v_pk_min_f16 v16, v4, s8 op_sel_hi:[1,0]
	v_pk_add_f16 v4, v18, v6
	v_pk_min_f16 v71, v57, s8 op_sel_hi:[1,0]
	;; [unrolled: 3-line block ×6, first 2 shown]
	v_pk_min_f16 v8, v4, s8 op_sel_hi:[1,0]
	v_pk_min_f16 v4, v0, s8 op_sel_hi:[1,0]
	v_pk_add_f16 v0, v2, v6
	v_pk_add_f16 v2, v17, v29
	v_pk_min_f16 v73, v62, s8 op_sel_hi:[1,0]
	v_pk_min_f16 v51, v42, v2
	v_pk_add_f16 v2, v19, v29
	v_pk_min_f16 v61, v61, s8 op_sel_hi:[1,0]
	v_pk_min_f16 v52, v43, v2
	;; [unrolled: 3-line block ×8, first 2 shown]
	v_pk_add_f16 v2, v17, v31
	ds_write_b16 v47, v41 offset:4608
	ds_write_b16 v47, v36 offset:2048
	;; [unrolled: 1-line block ×5, first 2 shown]
	v_pk_min_f16 v66, v69, v2
	v_pk_add_f16 v2, v19, v31
	s_waitcnt lgkmcnt(0)
	v_pk_min_f16 v65, v70, v2
	v_pk_add_f16 v2, v13, v31
	s_barrier
	v_pk_min_f16 v64, v71, v2
	v_pk_add_f16 v2, v15, v31
	s_nop 0
	v_pk_min_f16 v63, v72, v2
	v_pk_add_f16 v2, v9, v31
	s_nop 0
	;; [unrolled: 3-line block ×43, first 2 shown]
	v_pk_min_f16 v101, v109, v2
	v_pk_add_f16 v2, v1, v5
	v_pk_add_f16 v1, v1, v7
	v_pk_min_f16 v100, v110, v2
	v_pk_add_f16 v2, v3, v5
	v_pk_min_f16 v117, v4, v1
	v_pk_min_f16 v99, v111, v2
	v_pk_add_f16 v2, v17, v7
	v_pk_add_f16 v1, v3, v7
	v_pk_min_f16 v108, v16, v2
	v_pk_add_f16 v2, v19, v7
	v_pk_min_f16 v118, v0, v1
	v_pk_min_f16 v107, v18, v2
	v_pk_add_f16 v2, v13, v7
	s_nop 0
	v_pk_min_f16 v110, v112, v2
	v_pk_add_f16 v2, v15, v7
	s_nop 0
	;; [unrolled: 3-line block ×4, first 2 shown]
	v_pk_min_f16 v116, v8, v2
	s_cbranch_scc1 .LBB271_12
; %bb.10:
	v_mov_b32_e32 v0, 0x1200
	v_add_u32_e32 v2, 12, v40
	v_lshl_add_u32 v113, v45, 3, v0
	v_mad_i64_i32 v[0:1], s[8:9], v2, s22, 0
	s_add_i32 s25, s14, -8
	v_lshlrev_b64 v[36:37], 1, v[0:1]
	v_mad_i64_i32 v[0:1], s[14:15], v2, s20, 0
	v_add_u32_e32 v2, 8, v40
	v_lshl_add_u64 v[32:33], v[32:33], 1, s[16:17]
	v_lshlrev_b64 v[38:39], 1, v[0:1]
	v_mad_i64_i32 v[0:1], s[16:17], v2, s22, 0
	s_ashr_i32 s23, s22, 31
	s_ashr_i32 s21, s20, 31
	v_lshlrev_b64 v[40:41], 1, v[0:1]
	v_mad_i64_i32 v[0:1], s[16:17], v2, s20, 0
	v_or_b32_e32 v49, 0x1000, v47
	v_add_u32_e32 v109, 0x1200, v47
	v_or_b32_e32 v111, 0x800, v47
	v_add_u32_e32 v114, 0x800, v44
	v_lshl_add_u64 v[34:35], v[34:35], 1, s[18:19]
	s_lshl_b64 s[8:9], s[22:23], 4
	s_lshl_b64 s[14:15], s[20:21], 4
	v_lshlrev_b64 v[42:43], 1, v[0:1]
	s_mov_b32 s16, 0
.LBB271_11:                             ; =>This Inner Loop Header: Depth=1
	v_lshl_add_u64 v[0:1], v[34:35], 0, v[42:43]
	flat_load_ushort v119, v[0:1] offset:384
	flat_load_ushort v120, v[0:1] offset:256
	;; [unrolled: 1-line block ×3, first 2 shown]
	flat_load_ushort v122, v[0:1]
	v_lshl_add_u64 v[0:1], v[32:33], 0, v[40:41]
	flat_load_ushort v123, v[0:1]
	ds_read2_b64 v[0:3], v113 offset1:8
	ds_read2_b64 v[4:7], v113 offset0:16 offset1:24
	ds_read2_b64 v[8:11], v113 offset0:32 offset1:40
	;; [unrolled: 1-line block ×3, first 2 shown]
	ds_read2_b64 v[12:15], v114 offset1:32
	ds_read2_b64 v[20:23], v114 offset0:64 offset1:96
	ds_read2_b64 v[24:27], v114 offset0:128 offset1:160
	;; [unrolled: 1-line block ×3, first 2 shown]
	v_lshl_add_u64 v[124:125], v[34:35], 0, v[38:39]
	v_pk_max_f16 v118, v118, v118
	v_pk_max_f16 v117, v117, v117
	;; [unrolled: 1-line block ×8, first 2 shown]
	s_add_i32 s16, s16, 8
	v_lshl_add_u64 v[34:35], v[34:35], 0, s[14:15]
	s_cmp_ge_i32 s16, s25
	s_waitcnt vmcnt(0) lgkmcnt(0)
	ds_write_b16 v49, v123
	ds_write_b16 v47, v122
	ds_write_b16 v47, v121 offset:512
	ds_write_b16 v47, v120 offset:1024
	;; [unrolled: 1-line block ×3, first 2 shown]
	s_waitcnt lgkmcnt(0)
	s_barrier
	flat_load_ushort v119, v[124:125] offset:384
	flat_load_ushort v120, v[124:125] offset:256
	;; [unrolled: 1-line block ×3, first 2 shown]
	flat_load_ushort v122, v[124:125]
	v_lshl_add_u64 v[124:125], v[32:33], 0, v[36:37]
	flat_load_ushort v123, v[124:125]
	v_pk_add_f16 v124, v18, v30
	v_lshl_add_u64 v[32:33], v[32:33], 0, s[8:9]
	v_pk_min_f16 v118, v118, v124
	v_pk_add_f16 v124, v19, v31
	s_nop 0
	v_pk_min_f16 v118, v118, v124
	v_pk_add_f16 v124, v16, v30
	s_nop 0
	;; [unrolled: 3-line block ×11, first 2 shown]
	v_pk_min_f16 v110, v110, v124
	v_pk_add_f16 v124, v2, v30
	v_pk_add_f16 v30, v0, v30
	v_pk_min_f16 v107, v107, v124
	v_pk_add_f16 v124, v3, v31
	v_pk_min_f16 v30, v108, v30
	;; [unrolled: 2-line block ×3, first 2 shown]
	v_pk_min_f16 v108, v30, v31
	v_pk_add_f16 v30, v18, v28
	v_pk_max_f16 v31, v99, v99
	s_nop 0
	v_pk_min_f16 v30, v31, v30
	v_pk_add_f16 v31, v19, v29
	s_nop 0
	v_pk_min_f16 v99, v30, v31
	v_pk_add_f16 v30, v16, v28
	v_pk_max_f16 v31, v100, v100
	s_nop 0
	v_pk_min_f16 v30, v31, v30
	v_pk_add_f16 v31, v17, v29
	s_nop 0
	v_pk_min_f16 v100, v30, v31
	v_pk_add_f16 v30, v10, v28
	v_pk_max_f16 v31, v101, v101
	s_nop 0
	v_pk_min_f16 v30, v31, v30
	v_pk_add_f16 v31, v11, v29
	s_nop 0
	v_pk_min_f16 v101, v30, v31
	v_pk_add_f16 v30, v8, v28
	v_pk_max_f16 v31, v102, v102
	s_nop 0
	v_pk_min_f16 v30, v31, v30
	v_pk_add_f16 v31, v9, v29
	s_nop 0
	v_pk_min_f16 v102, v30, v31
	v_pk_add_f16 v30, v6, v28
	v_pk_max_f16 v31, v103, v103
	s_nop 0
	v_pk_min_f16 v30, v31, v30
	v_pk_add_f16 v31, v7, v29
	s_nop 0
	v_pk_min_f16 v103, v30, v31
	v_pk_add_f16 v30, v4, v28
	v_pk_max_f16 v31, v104, v104
	s_nop 0
	v_pk_min_f16 v30, v31, v30
	v_pk_add_f16 v31, v5, v29
	s_nop 0
	v_pk_min_f16 v104, v30, v31
	v_pk_add_f16 v30, v2, v28
	v_pk_max_f16 v31, v105, v105
	v_pk_add_f16 v28, v0, v28
	v_pk_min_f16 v30, v31, v30
	v_pk_add_f16 v31, v3, v29
	v_pk_add_f16 v29, v1, v29
	v_pk_min_f16 v105, v30, v31
	v_pk_max_f16 v30, v106, v106
	s_nop 0
	v_pk_min_f16 v28, v30, v28
	s_nop 0
	v_pk_min_f16 v106, v28, v29
	v_pk_add_f16 v28, v18, v26
	v_pk_max_f16 v29, v98, v98
	s_nop 0
	v_pk_min_f16 v28, v29, v28
	v_pk_add_f16 v29, v19, v27
	s_nop 0
	v_pk_min_f16 v98, v28, v29
	v_pk_add_f16 v28, v16, v26
	v_pk_max_f16 v29, v97, v97
	s_nop 0
	v_pk_min_f16 v28, v29, v28
	v_pk_add_f16 v29, v17, v27
	s_nop 0
	v_pk_min_f16 v97, v28, v29
	v_pk_add_f16 v28, v10, v26
	v_pk_max_f16 v29, v96, v96
	s_nop 0
	v_pk_min_f16 v28, v29, v28
	v_pk_add_f16 v29, v11, v27
	s_nop 0
	v_pk_min_f16 v96, v28, v29
	v_pk_add_f16 v28, v8, v26
	v_pk_max_f16 v29, v95, v95
	s_nop 0
	v_pk_min_f16 v28, v29, v28
	v_pk_add_f16 v29, v9, v27
	s_nop 0
	v_pk_min_f16 v95, v28, v29
	v_pk_add_f16 v28, v6, v26
	v_pk_max_f16 v29, v93, v93
	s_nop 0
	v_pk_min_f16 v28, v29, v28
	v_pk_add_f16 v29, v7, v27
	s_nop 0
	v_pk_min_f16 v93, v28, v29
	v_pk_add_f16 v28, v4, v26
	v_pk_max_f16 v29, v91, v91
	s_nop 0
	v_pk_min_f16 v28, v29, v28
	v_pk_add_f16 v29, v5, v27
	s_nop 0
	v_pk_min_f16 v91, v28, v29
	v_pk_add_f16 v28, v2, v26
	v_pk_max_f16 v29, v88, v88
	v_pk_add_f16 v26, v0, v26
	v_pk_min_f16 v28, v29, v28
	v_pk_add_f16 v29, v3, v27
	v_pk_add_f16 v27, v1, v27
	v_pk_min_f16 v88, v28, v29
	v_pk_max_f16 v28, v90, v90
	s_nop 0
	v_pk_min_f16 v26, v28, v26
	s_nop 0
	v_pk_min_f16 v90, v26, v27
	v_pk_add_f16 v26, v18, v24
	v_pk_max_f16 v27, v94, v94
	s_nop 0
	v_pk_min_f16 v26, v27, v26
	v_pk_add_f16 v27, v19, v25
	s_nop 0
	v_pk_min_f16 v94, v26, v27
	v_pk_add_f16 v26, v16, v24
	v_pk_max_f16 v27, v92, v92
	s_nop 0
	v_pk_min_f16 v26, v27, v26
	v_pk_add_f16 v27, v17, v25
	s_nop 0
	v_pk_min_f16 v92, v26, v27
	v_pk_add_f16 v26, v10, v24
	v_pk_max_f16 v27, v89, v89
	s_nop 0
	v_pk_min_f16 v26, v27, v26
	v_pk_add_f16 v27, v11, v25
	s_nop 0
	v_pk_min_f16 v89, v26, v27
	v_pk_add_f16 v26, v8, v24
	v_pk_max_f16 v27, v87, v87
	s_nop 0
	v_pk_min_f16 v26, v27, v26
	v_pk_add_f16 v27, v9, v25
	s_nop 0
	v_pk_min_f16 v87, v26, v27
	v_pk_add_f16 v26, v6, v24
	v_pk_max_f16 v27, v86, v86
	s_nop 0
	v_pk_min_f16 v26, v27, v26
	v_pk_add_f16 v27, v7, v25
	s_nop 0
	v_pk_min_f16 v86, v26, v27
	v_pk_add_f16 v26, v4, v24
	v_pk_max_f16 v27, v85, v85
	s_nop 0
	v_pk_min_f16 v26, v27, v26
	v_pk_add_f16 v27, v5, v25
	s_nop 0
	v_pk_min_f16 v85, v26, v27
	v_pk_add_f16 v26, v2, v24
	v_pk_max_f16 v27, v83, v83
	v_pk_add_f16 v24, v0, v24
	v_pk_min_f16 v26, v27, v26
	v_pk_add_f16 v27, v3, v25
	v_pk_add_f16 v25, v1, v25
	v_pk_min_f16 v83, v26, v27
	v_pk_max_f16 v26, v84, v84
	s_nop 0
	v_pk_min_f16 v24, v26, v24
	s_nop 0
	v_pk_min_f16 v84, v24, v25
	v_pk_add_f16 v24, v18, v22
	v_pk_max_f16 v25, v82, v82
	s_nop 0
	v_pk_min_f16 v24, v25, v24
	v_pk_add_f16 v25, v19, v23
	s_nop 0
	v_pk_min_f16 v82, v24, v25
	v_pk_add_f16 v24, v16, v22
	v_pk_max_f16 v25, v81, v81
	s_nop 0
	v_pk_min_f16 v24, v25, v24
	v_pk_add_f16 v25, v17, v23
	s_nop 0
	v_pk_min_f16 v81, v24, v25
	v_pk_add_f16 v24, v10, v22
	v_pk_max_f16 v25, v80, v80
	s_nop 0
	v_pk_min_f16 v24, v25, v24
	v_pk_add_f16 v25, v11, v23
	s_nop 0
	v_pk_min_f16 v80, v24, v25
	v_pk_add_f16 v24, v8, v22
	v_pk_max_f16 v25, v79, v79
	s_nop 0
	v_pk_min_f16 v24, v25, v24
	v_pk_add_f16 v25, v9, v23
	s_nop 0
	v_pk_min_f16 v79, v24, v25
	v_pk_add_f16 v24, v6, v22
	v_pk_max_f16 v25, v77, v77
	s_nop 0
	v_pk_min_f16 v24, v25, v24
	v_pk_add_f16 v25, v7, v23
	s_nop 0
	v_pk_min_f16 v77, v24, v25
	v_pk_add_f16 v24, v4, v22
	v_pk_max_f16 v25, v75, v75
	s_nop 0
	v_pk_min_f16 v24, v25, v24
	v_pk_add_f16 v25, v5, v23
	s_nop 0
	v_pk_min_f16 v75, v24, v25
	v_pk_add_f16 v24, v2, v22
	v_pk_max_f16 v25, v72, v72
	v_pk_add_f16 v22, v0, v22
	v_pk_min_f16 v24, v25, v24
	v_pk_add_f16 v25, v3, v23
	v_pk_add_f16 v23, v1, v23
	v_pk_min_f16 v72, v24, v25
	v_pk_max_f16 v24, v74, v74
	s_nop 0
	v_pk_min_f16 v22, v24, v22
	s_nop 0
	v_pk_min_f16 v74, v22, v23
	v_pk_add_f16 v22, v18, v20
	v_pk_max_f16 v23, v78, v78
	s_nop 0
	v_pk_min_f16 v22, v23, v22
	v_pk_add_f16 v23, v19, v21
	s_nop 0
	v_pk_min_f16 v78, v22, v23
	v_pk_add_f16 v22, v16, v20
	v_pk_max_f16 v23, v76, v76
	s_nop 0
	v_pk_min_f16 v22, v23, v22
	v_pk_add_f16 v23, v17, v21
	s_nop 0
	v_pk_min_f16 v76, v22, v23
	v_pk_add_f16 v22, v10, v20
	v_pk_max_f16 v23, v73, v73
	s_nop 0
	v_pk_min_f16 v22, v23, v22
	v_pk_add_f16 v23, v11, v21
	s_nop 0
	v_pk_min_f16 v73, v22, v23
	v_pk_add_f16 v22, v8, v20
	v_pk_max_f16 v23, v71, v71
	s_nop 0
	v_pk_min_f16 v22, v23, v22
	v_pk_add_f16 v23, v9, v21
	s_nop 0
	v_pk_min_f16 v71, v22, v23
	v_pk_add_f16 v22, v6, v20
	v_pk_max_f16 v23, v70, v70
	s_nop 0
	v_pk_min_f16 v22, v23, v22
	v_pk_add_f16 v23, v7, v21
	s_nop 0
	v_pk_min_f16 v70, v22, v23
	v_pk_add_f16 v22, v4, v20
	v_pk_max_f16 v23, v69, v69
	s_nop 0
	v_pk_min_f16 v22, v23, v22
	v_pk_add_f16 v23, v5, v21
	s_nop 0
	v_pk_min_f16 v69, v22, v23
	v_pk_add_f16 v22, v2, v20
	v_pk_max_f16 v23, v67, v67
	v_pk_add_f16 v20, v0, v20
	v_pk_min_f16 v22, v23, v22
	v_pk_add_f16 v23, v3, v21
	v_pk_add_f16 v21, v1, v21
	v_pk_min_f16 v67, v22, v23
	v_pk_max_f16 v22, v68, v68
	s_nop 0
	v_pk_min_f16 v20, v22, v20
	s_nop 0
	v_pk_min_f16 v68, v20, v21
	v_pk_add_f16 v20, v18, v14
	v_pk_max_f16 v21, v61, v61
	s_nop 0
	v_pk_min_f16 v20, v21, v20
	v_pk_add_f16 v21, v19, v15
	s_nop 0
	v_pk_min_f16 v61, v20, v21
	v_pk_add_f16 v20, v16, v14
	v_pk_max_f16 v21, v59, v59
	s_nop 0
	v_pk_min_f16 v20, v21, v20
	v_pk_add_f16 v21, v17, v15
	s_nop 0
	v_pk_min_f16 v59, v20, v21
	v_pk_add_f16 v20, v10, v14
	v_pk_max_f16 v21, v60, v60
	v_pk_add_f16 v10, v10, v12
	v_pk_min_f16 v20, v21, v20
	v_pk_add_f16 v21, v11, v15
	v_pk_add_f16 v11, v11, v13
	v_pk_min_f16 v60, v20, v21
	v_pk_add_f16 v20, v8, v14
	v_pk_max_f16 v21, v62, v62
	v_pk_add_f16 v8, v8, v12
	v_pk_min_f16 v20, v21, v20
	v_pk_add_f16 v21, v9, v15
	v_pk_add_f16 v9, v9, v13
	;; [unrolled: 7-line block ×5, first 2 shown]
	v_pk_min_f16 v65, v20, v21
	v_pk_max_f16 v20, v66, v66
	v_pk_add_f16 v2, v2, v12
	v_pk_min_f16 v14, v20, v14
	v_pk_add_f16 v3, v3, v13
	v_pk_min_f16 v66, v14, v15
	v_pk_add_f16 v14, v18, v12
	v_pk_max_f16 v15, v57, v57
	v_pk_add_f16 v0, v0, v12
	v_pk_min_f16 v14, v15, v14
	v_pk_add_f16 v15, v19, v13
	v_pk_add_f16 v1, v1, v13
	v_pk_min_f16 v57, v14, v15
	v_pk_add_f16 v14, v16, v12
	v_pk_max_f16 v15, v58, v58
	s_nop 0
	v_pk_min_f16 v14, v15, v14
	v_pk_add_f16 v15, v17, v13
	s_nop 0
	v_pk_min_f16 v58, v14, v15
	v_pk_max_f16 v14, v55, v55
	s_nop 0
	v_pk_min_f16 v10, v14, v10
	s_nop 0
	v_pk_min_f16 v55, v10, v11
	v_pk_max_f16 v10, v56, v56
	s_nop 0
	v_pk_min_f16 v8, v10, v8
	;; [unrolled: 5-line block ×6, first 2 shown]
	s_nop 0
	v_pk_min_f16 v51, v0, v1
	ds_read2_b64 v[16:19], v46 offset1:8
	ds_read2_b64 v[12:15], v46 offset0:16 offset1:24
	ds_read2_b64 v[8:11], v46 offset0:32 offset1:40
	;; [unrolled: 1-line block ×3, first 2 shown]
	ds_read2_b64 v[28:31], v44 offset1:32
	ds_read2_b64 v[24:27], v44 offset0:64 offset1:96
	ds_read2_b64 v[20:23], v44 offset0:128 offset1:160
	;; [unrolled: 1-line block ×3, first 2 shown]
	s_waitcnt vmcnt(0) lgkmcnt(0)
	ds_write_b16 v109, v123
	ds_write_b16 v111, v122
	ds_write_b16 v111, v121 offset:512
	ds_write_b16 v111, v120 offset:1024
	;; [unrolled: 1-line block ×3, first 2 shown]
	v_pk_add_f16 v124, v16, v28
	s_waitcnt lgkmcnt(0)
	v_pk_min_f16 v51, v51, v124
	v_pk_add_f16 v124, v18, v28
	s_barrier
	v_pk_min_f16 v52, v52, v124
	v_pk_add_f16 v124, v12, v28
	s_nop 0
	v_pk_min_f16 v54, v54, v124
	v_pk_add_f16 v124, v14, v28
	s_nop 0
	v_pk_min_f16 v53, v53, v124
	v_pk_add_f16 v124, v8, v28
	s_nop 0
	v_pk_min_f16 v56, v56, v124
	v_pk_add_f16 v124, v10, v28
	s_nop 0
	v_pk_min_f16 v55, v55, v124
	v_pk_add_f16 v124, v0, v28
	v_pk_add_f16 v28, v2, v28
	v_pk_min_f16 v58, v58, v124
	v_pk_min_f16 v57, v57, v28
	v_pk_add_f16 v28, v16, v30
	s_nop 0
	v_pk_min_f16 v66, v66, v28
	v_pk_add_f16 v28, v18, v30
	s_nop 0
	v_pk_min_f16 v65, v65, v28
	v_pk_add_f16 v28, v12, v30
	s_nop 0
	v_pk_min_f16 v64, v64, v28
	v_pk_add_f16 v28, v14, v30
	s_nop 0
	v_pk_min_f16 v63, v63, v28
	v_pk_add_f16 v28, v8, v30
	s_nop 0
	v_pk_min_f16 v62, v62, v28
	v_pk_add_f16 v28, v10, v30
	s_nop 0
	v_pk_min_f16 v60, v60, v28
	v_pk_add_f16 v28, v0, v30
	s_nop 0
	v_pk_min_f16 v59, v59, v28
	v_pk_add_f16 v28, v2, v30
	s_nop 0
	v_pk_min_f16 v61, v61, v28
	v_pk_add_f16 v28, v16, v24
	s_nop 0
	v_pk_min_f16 v68, v68, v28
	v_pk_add_f16 v28, v18, v24
	s_nop 0
	v_pk_min_f16 v67, v67, v28
	v_pk_add_f16 v28, v12, v24
	s_nop 0
	v_pk_min_f16 v69, v69, v28
	v_pk_add_f16 v28, v14, v24
	s_nop 0
	v_pk_min_f16 v70, v70, v28
	v_pk_add_f16 v28, v8, v24
	s_nop 0
	v_pk_min_f16 v71, v71, v28
	v_pk_add_f16 v28, v10, v24
	s_nop 0
	v_pk_min_f16 v73, v73, v28
	v_pk_add_f16 v28, v0, v24
	v_pk_add_f16 v24, v2, v24
	v_pk_min_f16 v76, v76, v28
	v_pk_min_f16 v78, v78, v24
	v_pk_add_f16 v24, v16, v26
	s_nop 0
	v_pk_min_f16 v74, v74, v24
	v_pk_add_f16 v24, v18, v26
	s_nop 0
	v_pk_min_f16 v72, v72, v24
	v_pk_add_f16 v24, v12, v26
	s_nop 0
	v_pk_min_f16 v75, v75, v24
	v_pk_add_f16 v24, v14, v26
	s_nop 0
	v_pk_min_f16 v77, v77, v24
	v_pk_add_f16 v24, v8, v26
	s_nop 0
	v_pk_min_f16 v79, v79, v24
	v_pk_add_f16 v24, v10, v26
	s_nop 0
	v_pk_min_f16 v80, v80, v24
	v_pk_add_f16 v24, v0, v26
	s_nop 0
	v_pk_min_f16 v81, v81, v24
	v_pk_add_f16 v24, v2, v26
	s_nop 0
	v_pk_min_f16 v82, v82, v24
	v_pk_add_f16 v24, v16, v20
	s_nop 0
	v_pk_min_f16 v84, v84, v24
	v_pk_add_f16 v24, v18, v20
	s_nop 0
	;; [unrolled: 46-line block ×3, first 2 shown]
	v_pk_min_f16 v22, v105, v20
	v_pk_add_f16 v20, v12, v4
	s_nop 0
	v_pk_min_f16 v24, v104, v20
	v_pk_add_f16 v20, v14, v4
	s_nop 0
	;; [unrolled: 3-line block ×4, first 2 shown]
	v_pk_min_f16 v30, v101, v20
	v_pk_add_f16 v20, v0, v4
	v_pk_add_f16 v4, v2, v4
	v_pk_min_f16 v100, v100, v20
	v_pk_min_f16 v99, v99, v4
	v_pk_add_f16 v4, v16, v6
	v_pk_add_f16 v0, v0, v6
	v_pk_min_f16 v20, v108, v4
	v_pk_add_f16 v4, v18, v6
	s_nop 0
	v_pk_min_f16 v18, v107, v4
	v_pk_add_f16 v4, v12, v6
	s_nop 0
	;; [unrolled: 3-line block ×5, first 2 shown]
	v_pk_min_f16 v8, v116, v4
	v_pk_min_f16 v4, v117, v0
	v_pk_add_f16 v0, v2, v6
	v_pk_add_f16 v2, v17, v29
	v_pk_min_f16 v0, v118, v0
	v_pk_min_f16 v51, v51, v2
	v_pk_add_f16 v2, v19, v29
	s_nop 0
	v_pk_min_f16 v52, v52, v2
	v_pk_add_f16 v2, v13, v29
	s_nop 0
	;; [unrolled: 3-line block ×53, first 2 shown]
	v_pk_min_f16 v101, v30, v2
	v_pk_add_f16 v2, v1, v5
	v_pk_add_f16 v1, v1, v7
	v_pk_min_f16 v100, v100, v2
	v_pk_add_f16 v2, v3, v5
	v_pk_min_f16 v117, v4, v1
	v_pk_min_f16 v99, v99, v2
	v_pk_add_f16 v2, v17, v7
	v_pk_add_f16 v1, v3, v7
	v_pk_min_f16 v108, v20, v2
	v_pk_add_f16 v2, v19, v7
	v_pk_min_f16 v118, v0, v1
	v_pk_min_f16 v107, v18, v2
	v_pk_add_f16 v2, v13, v7
	s_nop 0
	v_pk_min_f16 v110, v16, v2
	v_pk_add_f16 v2, v15, v7
	s_nop 0
	;; [unrolled: 3-line block ×4, first 2 shown]
	v_pk_min_f16 v116, v8, v2
	s_cbranch_scc0 .LBB271_11
.LBB271_12:
	s_load_dword s14, s[0:1], 0x50
	ds_read_b64 v[30:31], v50 offset:4608
	ds_read_b64 v[46:47], v44 offset:2048
	v_add_u32_e32 v109, s24, v48
	v_cmp_neq_f16_e64 s[8:9], s12, 0
	v_add_u32_e32 v28, s2, v45
	s_waitcnt lgkmcnt(0)
	v_mad_i64_i32 v[0:1], s[16:17], v109, s14, 0
	v_ashrrev_i32_e32 v29, 31, v28
	v_lshl_add_u64 v[48:49], v[0:1], 1, s[6:7]
	s_and_b64 vcc, exec, s[8:9]
	v_mov_b32_e32 v36, 0
	v_mov_b32_e32 v34, 0
	s_cbranch_vccz .LBB271_14
; %bb.13:
	v_lshl_add_u64 v[0:1], v[28:29], 1, v[48:49]
	flat_load_ushort v0, v[0:1]
	s_waitcnt vmcnt(0) lgkmcnt(0)
	v_mul_f16_e32 v34, s12, v0
.LBB271_14:
	v_add_u32_e32 v0, 0x1000, v50
	ds_read2_b64 v[8:11], v0 offset0:72 offset1:80
	ds_read2_b64 v[4:7], v0 offset0:88 offset1:96
	ds_read2_b64 v[0:3], v0 offset0:104 offset1:112
	ds_read_b64 v[24:25], v50 offset:5056
	s_load_dword s15, s[0:1], 0x68
	s_load_dwordx2 s[16:17], s[0:1], 0x70
	v_add_u32_e32 v12, 0x800, v44
	ds_read2_b64 v[20:23], v12 offset0:32 offset1:64
	ds_read2_b64 v[16:19], v12 offset0:96 offset1:128
	;; [unrolled: 1-line block ×3, first 2 shown]
	ds_read_b64 v[26:27], v44 offset:3840
	v_pk_add_f16 v32, v30, v46
	v_pk_max_f16 v33, v51, v51
	s_waitcnt lgkmcnt(0)
	s_mul_i32 s0, s3, s17
	s_mul_hi_u32 s1, s3, s16
	s_add_i32 s0, s1, s0
	s_mul_i32 s1, s13, s16
	s_add_i32 s1, s0, s1
	s_mul_i32 s0, s3, s16
	s_lshl_b64 s[0:1], s[0:1], 1
	s_add_u32 s2, s10, s0
	v_pk_min_f16 v32, v33, v32
	v_pk_add_f16 v33, v31, v47
	s_addc_u32 s3, s11, s1
	v_pk_min_f16 v35, v32, v33
	v_mad_i64_i32 v[38:39], s[0:1], v109, s15, 0
	v_add_u32_e32 v32, 8, v28
	v_lshl_add_u64 v[50:51], v[38:39], 1, s[2:3]
	v_lshrrev_b32_e32 v37, 16, v35
	v_cndmask_b32_e64 v38, 0, 1, s[8:9]
	v_ashrrev_i32_e32 v33, 31, v32
	v_min3_f16 v37, v34, v35, v37
	v_lshl_add_u64 v[34:35], v[28:29], 1, v[50:51]
	v_cmp_ne_u32_e64 s[0:1], 1, v38
	s_andn2_b64 vcc, exec, s[8:9]
	global_store_short v[34:35], v37, off
	s_cbranch_vccnz .LBB271_16
; %bb.15:
	v_lshl_add_u64 v[34:35], v[32:33], 1, v[48:49]
	flat_load_ushort v34, v[34:35]
	s_waitcnt vmcnt(0) lgkmcnt(0)
	v_mul_f16_e32 v36, s12, v34
.LBB271_16:
	v_pk_add_f16 v34, v8, v46
	v_pk_max_f16 v35, v52, v52
	s_and_b64 vcc, exec, s[0:1]
	v_pk_min_f16 v34, v35, v34
	v_pk_add_f16 v35, v9, v47
	v_mov_b32_e32 v39, 0
	v_pk_min_f16 v37, v34, v35
	v_add_u32_e32 v34, 16, v28
	v_lshrrev_b32_e32 v38, 16, v37
	v_min3_f16 v38, v36, v37, v38
	v_lshl_add_u64 v[36:37], v[32:33], 1, v[50:51]
	v_ashrrev_i32_e32 v35, 31, v34
	global_store_short v[36:37], v38, off
	v_mov_b32_e32 v38, 0
	s_cbranch_vccnz .LBB271_18
; %bb.17:
	v_lshl_add_u64 v[36:37], v[34:35], 1, v[48:49]
	flat_load_ushort v36, v[36:37]
	s_waitcnt vmcnt(0) lgkmcnt(0)
	v_mul_f16_e32 v39, s12, v36
.LBB271_18:
	v_pk_add_f16 v36, v10, v46
	v_pk_max_f16 v37, v54, v54
	s_and_b64 vcc, exec, s[0:1]
	v_pk_min_f16 v36, v37, v36
	v_pk_add_f16 v37, v11, v47
	s_nop 0
	v_pk_min_f16 v40, v36, v37
	v_add_u32_e32 v36, 24, v28
	v_lshrrev_b32_e32 v41, 16, v40
	v_ashrrev_i32_e32 v37, 31, v36
	v_min3_f16 v39, v39, v40, v41
	v_lshl_add_u64 v[40:41], v[34:35], 1, v[50:51]
	global_store_short v[40:41], v39, off
	s_cbranch_vccnz .LBB271_20
; %bb.19:
	v_lshl_add_u64 v[38:39], v[36:37], 1, v[48:49]
	flat_load_ushort v38, v[38:39]
	s_waitcnt vmcnt(0) lgkmcnt(0)
	v_mul_f16_e32 v38, s12, v38
.LBB271_20:
	v_pk_add_f16 v39, v4, v46
	v_pk_max_f16 v40, v53, v53
	v_add_u32_e32 v44, 32, v28
	v_pk_min_f16 v39, v40, v39
	v_pk_add_f16 v40, v5, v47
	v_ashrrev_i32_e32 v45, 31, v44
	v_pk_min_f16 v39, v39, v40
	s_and_b64 vcc, exec, s[0:1]
	v_lshrrev_b32_e32 v40, 16, v39
	v_min3_f16 v40, v38, v39, v40
	v_lshl_add_u64 v[38:39], v[36:37], 1, v[50:51]
	global_store_short v[38:39], v40, off
	v_mov_b32_e32 v38, 0
	v_mov_b32_e32 v39, 0
	s_cbranch_vccnz .LBB271_22
; %bb.21:
	v_lshl_add_u64 v[40:41], v[44:45], 1, v[48:49]
	flat_load_ushort v39, v[40:41]
	s_waitcnt vmcnt(0) lgkmcnt(0)
	v_mul_f16_e32 v39, s12, v39
.LBB271_22:
	v_pk_add_f16 v40, v6, v46
	v_pk_max_f16 v41, v56, v56
	v_add_u32_e32 v42, 40, v28
	v_pk_min_f16 v40, v41, v40
	v_pk_add_f16 v41, v7, v47
	v_ashrrev_i32_e32 v43, 31, v42
	v_pk_min_f16 v40, v40, v41
	s_and_b64 vcc, exec, s[0:1]
	v_lshrrev_b32_e32 v41, 16, v40
	v_min3_f16 v39, v39, v40, v41
	v_lshl_add_u64 v[40:41], v[44:45], 1, v[50:51]
	global_store_short v[40:41], v39, off
	s_cbranch_vccnz .LBB271_24
; %bb.23:
	v_lshl_add_u64 v[38:39], v[42:43], 1, v[48:49]
	flat_load_ushort v38, v[38:39]
	s_waitcnt vmcnt(0) lgkmcnt(0)
	v_mul_f16_e32 v38, s12, v38
.LBB271_24:
	v_pk_add_f16 v39, v0, v46
	v_pk_max_f16 v40, v55, v55
	s_and_b64 vcc, exec, s[0:1]
	v_pk_min_f16 v39, v40, v39
	v_pk_add_f16 v40, v1, v47
	v_mov_b32_e32 v53, 0
	v_pk_min_f16 v39, v39, v40
	v_add_u32_e32 v40, 48, v28
	v_lshrrev_b32_e32 v52, 16, v39
	v_min3_f16 v52, v38, v39, v52
	v_lshl_add_u64 v[38:39], v[42:43], 1, v[50:51]
	v_ashrrev_i32_e32 v41, 31, v40
	global_store_short v[38:39], v52, off
	v_mov_b32_e32 v52, 0
	s_cbranch_vccnz .LBB271_26
; %bb.25:
	v_lshl_add_u64 v[38:39], v[40:41], 1, v[48:49]
	flat_load_ushort v38, v[38:39]
	s_waitcnt vmcnt(0) lgkmcnt(0)
	v_mul_f16_e32 v53, s12, v38
.LBB271_26:
	v_pk_add_f16 v38, v2, v46
	v_pk_max_f16 v39, v58, v58
	s_and_b64 vcc, exec, s[0:1]
	v_pk_min_f16 v38, v39, v38
	v_pk_add_f16 v39, v3, v47
	s_nop 0
	v_pk_min_f16 v54, v38, v39
	v_add_u32_e32 v38, 56, v28
	v_lshrrev_b32_e32 v55, 16, v54
	v_ashrrev_i32_e32 v39, 31, v38
	v_min3_f16 v53, v53, v54, v55
	v_lshl_add_u64 v[54:55], v[40:41], 1, v[50:51]
	global_store_short v[54:55], v53, off
	s_cbranch_vccnz .LBB271_28
; %bb.27:
	v_lshl_add_u64 v[48:49], v[38:39], 1, v[48:49]
	flat_load_ushort v48, v[48:49]
	s_waitcnt vmcnt(0) lgkmcnt(0)
	v_mul_f16_e32 v52, s12, v48
.LBB271_28:
	v_pk_add_f16 v46, v24, v46
	v_pk_max_f16 v48, v57, v57
	v_pk_add_f16 v47, v25, v47
	v_pk_min_f16 v46, v48, v46
	s_and_b64 vcc, exec, s[0:1]
	v_pk_min_f16 v46, v46, v47
	s_nop 0
	v_lshrrev_b32_e32 v47, 16, v46
	v_min3_f16 v48, v52, v46, v47
	v_lshl_add_u64 v[46:47], v[38:39], 1, v[50:51]
	global_store_short v[46:47], v48, off
	v_add_u32_e32 v48, 32, v109
	v_mad_i64_i32 v[46:47], s[8:9], v48, s14, 0
	v_lshl_add_u64 v[46:47], v[46:47], 1, s[6:7]
	v_mov_b32_e32 v50, 0
	v_mov_b32_e32 v51, 0
	s_cbranch_vccnz .LBB271_30
; %bb.29:
	v_lshl_add_u64 v[52:53], v[28:29], 1, v[46:47]
	flat_load_ushort v49, v[52:53]
	s_waitcnt vmcnt(0) lgkmcnt(0)
	v_mul_f16_e32 v51, s12, v49
.LBB271_30:
	v_pk_add_f16 v49, v30, v20
	v_pk_max_f16 v52, v66, v66
	s_and_b64 vcc, exec, s[0:1]
	v_pk_min_f16 v49, v52, v49
	v_pk_add_f16 v52, v31, v21
	s_nop 0
	v_pk_min_f16 v52, v49, v52
	v_mad_i64_i32 v[48:49], s[8:9], v48, s15, 0
	v_lshl_add_u64 v[48:49], v[48:49], 1, s[2:3]
	v_lshrrev_b32_e32 v53, 16, v52
	v_min3_f16 v51, v51, v52, v53
	v_lshl_add_u64 v[52:53], v[28:29], 1, v[48:49]
	global_store_short v[52:53], v51, off
	s_cbranch_vccnz .LBB271_32
; %bb.31:
	v_lshl_add_u64 v[50:51], v[32:33], 1, v[46:47]
	flat_load_ushort v50, v[50:51]
	s_waitcnt vmcnt(0) lgkmcnt(0)
	v_mul_f16_e32 v50, s12, v50
.LBB271_32:
	v_pk_add_f16 v51, v8, v20
	v_pk_max_f16 v52, v65, v65
	s_and_b64 vcc, exec, s[0:1]
	v_pk_min_f16 v51, v52, v51
	v_pk_add_f16 v52, v9, v21
	s_nop 0
	v_pk_min_f16 v51, v51, v52
	s_nop 0
	v_lshrrev_b32_e32 v52, 16, v51
	v_min3_f16 v52, v50, v51, v52
	v_lshl_add_u64 v[50:51], v[32:33], 1, v[48:49]
	global_store_short v[50:51], v52, off
	v_mov_b32_e32 v50, 0
	v_mov_b32_e32 v51, 0
	s_cbranch_vccnz .LBB271_34
; %bb.33:
	v_lshl_add_u64 v[52:53], v[34:35], 1, v[46:47]
	flat_load_ushort v51, v[52:53]
	s_waitcnt vmcnt(0) lgkmcnt(0)
	v_mul_f16_e32 v51, s12, v51
.LBB271_34:
	v_pk_add_f16 v52, v10, v20
	v_pk_max_f16 v53, v64, v64
	s_and_b64 vcc, exec, s[0:1]
	v_pk_min_f16 v52, v53, v52
	v_pk_add_f16 v53, v11, v21
	s_nop 0
	v_pk_min_f16 v52, v52, v53
	s_nop 0
	v_lshrrev_b32_e32 v53, 16, v52
	v_min3_f16 v51, v51, v52, v53
	v_lshl_add_u64 v[52:53], v[34:35], 1, v[48:49]
	global_store_short v[52:53], v51, off
	s_cbranch_vccnz .LBB271_36
; %bb.35:
	v_lshl_add_u64 v[50:51], v[36:37], 1, v[46:47]
	flat_load_ushort v50, v[50:51]
	s_waitcnt vmcnt(0) lgkmcnt(0)
	v_mul_f16_e32 v50, s12, v50
.LBB271_36:
	v_pk_add_f16 v51, v4, v20
	v_pk_max_f16 v52, v63, v63
	s_and_b64 vcc, exec, s[0:1]
	v_pk_min_f16 v51, v52, v51
	v_pk_add_f16 v52, v5, v21
	s_nop 0
	v_pk_min_f16 v51, v51, v52
	s_nop 0
	v_lshrrev_b32_e32 v52, 16, v51
	v_min3_f16 v52, v50, v51, v52
	v_lshl_add_u64 v[50:51], v[36:37], 1, v[48:49]
	global_store_short v[50:51], v52, off
	v_mov_b32_e32 v50, 0
	v_mov_b32_e32 v51, 0
	s_cbranch_vccnz .LBB271_38
; %bb.37:
	v_lshl_add_u64 v[52:53], v[44:45], 1, v[46:47]
	flat_load_ushort v51, v[52:53]
	s_waitcnt vmcnt(0) lgkmcnt(0)
	v_mul_f16_e32 v51, s12, v51
.LBB271_38:
	v_pk_add_f16 v52, v6, v20
	v_pk_max_f16 v53, v62, v62
	s_and_b64 vcc, exec, s[0:1]
	v_pk_min_f16 v52, v53, v52
	v_pk_add_f16 v53, v7, v21
	s_nop 0
	v_pk_min_f16 v52, v52, v53
	s_nop 0
	;; [unrolled: 40-line block ×3, first 2 shown]
	v_lshrrev_b32_e32 v53, 16, v52
	v_min3_f16 v51, v51, v52, v53
	v_lshl_add_u64 v[52:53], v[40:41], 1, v[48:49]
	global_store_short v[52:53], v51, off
	s_cbranch_vccnz .LBB271_44
; %bb.43:
	v_lshl_add_u64 v[46:47], v[38:39], 1, v[46:47]
	flat_load_ushort v46, v[46:47]
	s_waitcnt vmcnt(0) lgkmcnt(0)
	v_mul_f16_e32 v50, s12, v46
.LBB271_44:
	v_pk_add_f16 v20, v24, v20
	v_pk_max_f16 v46, v61, v61
	v_pk_add_f16 v21, v25, v21
	v_pk_min_f16 v20, v46, v20
	s_and_b64 vcc, exec, s[0:1]
	v_pk_min_f16 v20, v20, v21
	s_nop 0
	v_lshrrev_b32_e32 v21, 16, v20
	v_min3_f16 v46, v50, v20, v21
	v_lshl_add_u64 v[20:21], v[38:39], 1, v[48:49]
	global_store_short v[20:21], v46, off
	v_add_u32_e32 v46, 64, v109
	v_mad_i64_i32 v[20:21], s[8:9], v46, s14, 0
	v_lshl_add_u64 v[20:21], v[20:21], 1, s[6:7]
	v_mov_b32_e32 v48, 0
	v_mov_b32_e32 v49, 0
	s_cbranch_vccnz .LBB271_46
; %bb.45:
	v_lshl_add_u64 v[50:51], v[28:29], 1, v[20:21]
	flat_load_ushort v47, v[50:51]
	s_waitcnt vmcnt(0) lgkmcnt(0)
	v_mul_f16_e32 v49, s12, v47
.LBB271_46:
	v_pk_add_f16 v47, v30, v22
	v_pk_max_f16 v50, v68, v68
	s_and_b64 vcc, exec, s[0:1]
	v_pk_min_f16 v47, v50, v47
	v_pk_add_f16 v50, v31, v23
	s_nop 0
	v_pk_min_f16 v50, v47, v50
	v_mad_i64_i32 v[46:47], s[8:9], v46, s15, 0
	v_lshl_add_u64 v[46:47], v[46:47], 1, s[2:3]
	v_lshrrev_b32_e32 v51, 16, v50
	v_min3_f16 v49, v49, v50, v51
	v_lshl_add_u64 v[50:51], v[28:29], 1, v[46:47]
	global_store_short v[50:51], v49, off
	s_cbranch_vccnz .LBB271_48
; %bb.47:
	v_lshl_add_u64 v[48:49], v[32:33], 1, v[20:21]
	flat_load_ushort v48, v[48:49]
	s_waitcnt vmcnt(0) lgkmcnt(0)
	v_mul_f16_e32 v48, s12, v48
.LBB271_48:
	v_pk_add_f16 v49, v8, v22
	v_pk_max_f16 v50, v67, v67
	s_and_b64 vcc, exec, s[0:1]
	v_pk_min_f16 v49, v50, v49
	v_pk_add_f16 v50, v9, v23
	s_nop 0
	v_pk_min_f16 v49, v49, v50
	s_nop 0
	v_lshrrev_b32_e32 v50, 16, v49
	v_min3_f16 v50, v48, v49, v50
	v_lshl_add_u64 v[48:49], v[32:33], 1, v[46:47]
	global_store_short v[48:49], v50, off
	v_mov_b32_e32 v48, 0
	v_mov_b32_e32 v49, 0
	s_cbranch_vccnz .LBB271_50
; %bb.49:
	v_lshl_add_u64 v[50:51], v[34:35], 1, v[20:21]
	flat_load_ushort v49, v[50:51]
	s_waitcnt vmcnt(0) lgkmcnt(0)
	v_mul_f16_e32 v49, s12, v49
.LBB271_50:
	v_pk_add_f16 v50, v10, v22
	v_pk_max_f16 v51, v69, v69
	s_and_b64 vcc, exec, s[0:1]
	v_pk_min_f16 v50, v51, v50
	v_pk_add_f16 v51, v11, v23
	s_nop 0
	v_pk_min_f16 v50, v50, v51
	s_nop 0
	v_lshrrev_b32_e32 v51, 16, v50
	v_min3_f16 v49, v49, v50, v51
	v_lshl_add_u64 v[50:51], v[34:35], 1, v[46:47]
	global_store_short v[50:51], v49, off
	s_cbranch_vccnz .LBB271_52
; %bb.51:
	v_lshl_add_u64 v[48:49], v[36:37], 1, v[20:21]
	flat_load_ushort v48, v[48:49]
	s_waitcnt vmcnt(0) lgkmcnt(0)
	v_mul_f16_e32 v48, s12, v48
.LBB271_52:
	v_pk_add_f16 v49, v4, v22
	v_pk_max_f16 v50, v70, v70
	s_and_b64 vcc, exec, s[0:1]
	v_pk_min_f16 v49, v50, v49
	v_pk_add_f16 v50, v5, v23
	s_nop 0
	v_pk_min_f16 v49, v49, v50
	s_nop 0
	v_lshrrev_b32_e32 v50, 16, v49
	v_min3_f16 v50, v48, v49, v50
	v_lshl_add_u64 v[48:49], v[36:37], 1, v[46:47]
	global_store_short v[48:49], v50, off
	v_mov_b32_e32 v48, 0
	v_mov_b32_e32 v49, 0
	s_cbranch_vccnz .LBB271_54
; %bb.53:
	v_lshl_add_u64 v[50:51], v[44:45], 1, v[20:21]
	flat_load_ushort v49, v[50:51]
	s_waitcnt vmcnt(0) lgkmcnt(0)
	v_mul_f16_e32 v49, s12, v49
.LBB271_54:
	v_pk_add_f16 v50, v6, v22
	v_pk_max_f16 v51, v71, v71
	s_and_b64 vcc, exec, s[0:1]
	v_pk_min_f16 v50, v51, v50
	v_pk_add_f16 v51, v7, v23
	s_nop 0
	v_pk_min_f16 v50, v50, v51
	s_nop 0
	;; [unrolled: 40-line block ×3, first 2 shown]
	v_lshrrev_b32_e32 v51, 16, v50
	v_min3_f16 v49, v49, v50, v51
	v_lshl_add_u64 v[50:51], v[40:41], 1, v[46:47]
	global_store_short v[50:51], v49, off
	s_cbranch_vccnz .LBB271_60
; %bb.59:
	v_lshl_add_u64 v[20:21], v[38:39], 1, v[20:21]
	flat_load_ushort v20, v[20:21]
	s_waitcnt vmcnt(0) lgkmcnt(0)
	v_mul_f16_e32 v48, s12, v20
.LBB271_60:
	v_pk_add_f16 v20, v24, v22
	v_pk_max_f16 v21, v78, v78
	s_and_b64 vcc, exec, s[0:1]
	v_pk_min_f16 v20, v21, v20
	v_pk_add_f16 v21, v25, v23
	s_nop 0
	v_pk_min_f16 v20, v20, v21
	s_nop 0
	v_lshrrev_b32_e32 v21, 16, v20
	v_min3_f16 v22, v48, v20, v21
	v_lshl_add_u64 v[20:21], v[38:39], 1, v[46:47]
	global_store_short v[20:21], v22, off
	v_add_u32_e32 v22, 0x60, v109
	v_mad_i64_i32 v[20:21], s[8:9], v22, s14, 0
	v_lshl_add_u64 v[20:21], v[20:21], 1, s[6:7]
	v_mov_b32_e32 v46, 0
	v_mov_b32_e32 v47, 0
	s_cbranch_vccnz .LBB271_62
; %bb.61:
	v_lshl_add_u64 v[48:49], v[28:29], 1, v[20:21]
	flat_load_ushort v23, v[48:49]
	s_waitcnt vmcnt(0) lgkmcnt(0)
	v_mul_f16_e32 v47, s12, v23
.LBB271_62:
	v_pk_add_f16 v23, v30, v16
	v_pk_max_f16 v48, v74, v74
	s_and_b64 vcc, exec, s[0:1]
	v_pk_min_f16 v23, v48, v23
	v_pk_add_f16 v48, v31, v17
	s_nop 0
	v_pk_min_f16 v48, v23, v48
	v_mad_i64_i32 v[22:23], s[8:9], v22, s15, 0
	v_lshl_add_u64 v[22:23], v[22:23], 1, s[2:3]
	v_lshrrev_b32_e32 v49, 16, v48
	v_min3_f16 v47, v47, v48, v49
	v_lshl_add_u64 v[48:49], v[28:29], 1, v[22:23]
	global_store_short v[48:49], v47, off
	s_cbranch_vccnz .LBB271_64
; %bb.63:
	v_lshl_add_u64 v[46:47], v[32:33], 1, v[20:21]
	flat_load_ushort v46, v[46:47]
	s_waitcnt vmcnt(0) lgkmcnt(0)
	v_mul_f16_e32 v46, s12, v46
.LBB271_64:
	v_pk_add_f16 v47, v8, v16
	v_pk_max_f16 v48, v72, v72
	s_and_b64 vcc, exec, s[0:1]
	v_pk_min_f16 v47, v48, v47
	v_pk_add_f16 v48, v9, v17
	s_nop 0
	v_pk_min_f16 v47, v47, v48
	s_nop 0
	v_lshrrev_b32_e32 v48, 16, v47
	v_min3_f16 v48, v46, v47, v48
	v_lshl_add_u64 v[46:47], v[32:33], 1, v[22:23]
	global_store_short v[46:47], v48, off
	v_mov_b32_e32 v46, 0
	v_mov_b32_e32 v47, 0
	s_cbranch_vccnz .LBB271_66
; %bb.65:
	v_lshl_add_u64 v[48:49], v[34:35], 1, v[20:21]
	flat_load_ushort v47, v[48:49]
	s_waitcnt vmcnt(0) lgkmcnt(0)
	v_mul_f16_e32 v47, s12, v47
.LBB271_66:
	v_pk_add_f16 v48, v10, v16
	v_pk_max_f16 v49, v75, v75
	s_and_b64 vcc, exec, s[0:1]
	v_pk_min_f16 v48, v49, v48
	v_pk_add_f16 v49, v11, v17
	s_nop 0
	v_pk_min_f16 v48, v48, v49
	s_nop 0
	v_lshrrev_b32_e32 v49, 16, v48
	v_min3_f16 v47, v47, v48, v49
	v_lshl_add_u64 v[48:49], v[34:35], 1, v[22:23]
	global_store_short v[48:49], v47, off
	s_cbranch_vccnz .LBB271_68
; %bb.67:
	v_lshl_add_u64 v[46:47], v[36:37], 1, v[20:21]
	flat_load_ushort v46, v[46:47]
	s_waitcnt vmcnt(0) lgkmcnt(0)
	v_mul_f16_e32 v46, s12, v46
.LBB271_68:
	v_pk_add_f16 v47, v4, v16
	v_pk_max_f16 v48, v77, v77
	s_and_b64 vcc, exec, s[0:1]
	v_pk_min_f16 v47, v48, v47
	v_pk_add_f16 v48, v5, v17
	s_nop 0
	v_pk_min_f16 v47, v47, v48
	s_nop 0
	v_lshrrev_b32_e32 v48, 16, v47
	v_min3_f16 v48, v46, v47, v48
	v_lshl_add_u64 v[46:47], v[36:37], 1, v[22:23]
	global_store_short v[46:47], v48, off
	v_mov_b32_e32 v46, 0
	v_mov_b32_e32 v47, 0
	s_cbranch_vccnz .LBB271_70
; %bb.69:
	v_lshl_add_u64 v[48:49], v[44:45], 1, v[20:21]
	flat_load_ushort v47, v[48:49]
	s_waitcnt vmcnt(0) lgkmcnt(0)
	v_mul_f16_e32 v47, s12, v47
.LBB271_70:
	v_pk_add_f16 v48, v6, v16
	v_pk_max_f16 v49, v79, v79
	s_and_b64 vcc, exec, s[0:1]
	v_pk_min_f16 v48, v49, v48
	v_pk_add_f16 v49, v7, v17
	s_nop 0
	v_pk_min_f16 v48, v48, v49
	s_nop 0
	v_lshrrev_b32_e32 v49, 16, v48
	v_min3_f16 v47, v47, v48, v49
	v_lshl_add_u64 v[48:49], v[44:45], 1, v[22:23]
	global_store_short v[48:49], v47, off
	s_cbranch_vccnz .LBB271_72
; %bb.71:
	v_lshl_add_u64 v[46:47], v[42:43], 1, v[20:21]
	flat_load_ushort v46, v[46:47]
	s_waitcnt vmcnt(0) lgkmcnt(0)
	v_mul_f16_e32 v46, s12, v46
.LBB271_72:
	v_pk_add_f16 v47, v0, v16
	v_pk_max_f16 v48, v80, v80
	s_and_b64 vcc, exec, s[0:1]
	v_pk_min_f16 v47, v48, v47
	v_pk_add_f16 v48, v1, v17
	s_nop 0
	v_pk_min_f16 v47, v47, v48
	s_nop 0
	v_lshrrev_b32_e32 v48, 16, v47
	v_min3_f16 v48, v46, v47, v48
	v_lshl_add_u64 v[46:47], v[42:43], 1, v[22:23]
	global_store_short v[46:47], v48, off
	v_mov_b32_e32 v46, 0
	v_mov_b32_e32 v47, 0
	s_cbranch_vccnz .LBB271_74
; %bb.73:
	v_lshl_add_u64 v[48:49], v[40:41], 1, v[20:21]
	flat_load_ushort v47, v[48:49]
	s_waitcnt vmcnt(0) lgkmcnt(0)
	v_mul_f16_e32 v47, s12, v47
.LBB271_74:
	v_pk_add_f16 v48, v2, v16
	v_pk_max_f16 v49, v81, v81
	s_and_b64 vcc, exec, s[0:1]
	v_pk_min_f16 v48, v49, v48
	v_pk_add_f16 v49, v3, v17
	s_nop 0
	v_pk_min_f16 v48, v48, v49
	s_nop 0
	v_lshrrev_b32_e32 v49, 16, v48
	v_min3_f16 v47, v47, v48, v49
	v_lshl_add_u64 v[48:49], v[40:41], 1, v[22:23]
	global_store_short v[48:49], v47, off
	s_cbranch_vccnz .LBB271_76
; %bb.75:
	v_lshl_add_u64 v[20:21], v[38:39], 1, v[20:21]
	flat_load_ushort v20, v[20:21]
	s_waitcnt vmcnt(0) lgkmcnt(0)
	v_mul_f16_e32 v46, s12, v20
.LBB271_76:
	v_pk_add_f16 v16, v24, v16
	v_pk_max_f16 v20, v82, v82
	v_pk_add_f16 v17, v25, v17
	v_pk_min_f16 v16, v20, v16
	s_and_b64 vcc, exec, s[0:1]
	v_pk_min_f16 v16, v16, v17
	s_nop 0
	v_lshrrev_b32_e32 v17, 16, v16
	v_min3_f16 v20, v46, v16, v17
	v_lshl_add_u64 v[16:17], v[38:39], 1, v[22:23]
	global_store_short v[16:17], v20, off
	v_add_u32_e32 v20, 0x80, v109
	v_mad_i64_i32 v[16:17], s[8:9], v20, s14, 0
	v_lshl_add_u64 v[16:17], v[16:17], 1, s[6:7]
	v_mov_b32_e32 v22, 0
	v_mov_b32_e32 v23, 0
	s_cbranch_vccnz .LBB271_78
; %bb.77:
	v_lshl_add_u64 v[46:47], v[28:29], 1, v[16:17]
	flat_load_ushort v21, v[46:47]
	s_waitcnt vmcnt(0) lgkmcnt(0)
	v_mul_f16_e32 v23, s12, v21
.LBB271_78:
	v_pk_add_f16 v21, v30, v18
	v_pk_max_f16 v46, v84, v84
	s_and_b64 vcc, exec, s[0:1]
	v_pk_min_f16 v21, v46, v21
	v_pk_add_f16 v46, v31, v19
	s_nop 0
	v_pk_min_f16 v46, v21, v46
	v_mad_i64_i32 v[20:21], s[8:9], v20, s15, 0
	v_lshl_add_u64 v[20:21], v[20:21], 1, s[2:3]
	v_lshrrev_b32_e32 v47, 16, v46
	v_min3_f16 v23, v23, v46, v47
	v_lshl_add_u64 v[46:47], v[28:29], 1, v[20:21]
	global_store_short v[46:47], v23, off
	s_cbranch_vccnz .LBB271_80
; %bb.79:
	v_lshl_add_u64 v[22:23], v[32:33], 1, v[16:17]
	flat_load_ushort v22, v[22:23]
	s_waitcnt vmcnt(0) lgkmcnt(0)
	v_mul_f16_e32 v22, s12, v22
.LBB271_80:
	v_pk_add_f16 v23, v8, v18
	v_pk_max_f16 v46, v83, v83
	s_and_b64 vcc, exec, s[0:1]
	v_pk_min_f16 v23, v46, v23
	v_pk_add_f16 v46, v9, v19
	s_nop 0
	v_pk_min_f16 v23, v23, v46
	s_nop 0
	v_lshrrev_b32_e32 v46, 16, v23
	v_min3_f16 v46, v22, v23, v46
	v_lshl_add_u64 v[22:23], v[32:33], 1, v[20:21]
	global_store_short v[22:23], v46, off
	v_mov_b32_e32 v22, 0
	v_mov_b32_e32 v23, 0
	s_cbranch_vccnz .LBB271_82
; %bb.81:
	v_lshl_add_u64 v[46:47], v[34:35], 1, v[16:17]
	flat_load_ushort v23, v[46:47]
	s_waitcnt vmcnt(0) lgkmcnt(0)
	v_mul_f16_e32 v23, s12, v23
.LBB271_82:
	v_pk_add_f16 v46, v10, v18
	v_pk_max_f16 v47, v85, v85
	s_and_b64 vcc, exec, s[0:1]
	v_pk_min_f16 v46, v47, v46
	v_pk_add_f16 v47, v11, v19
	s_nop 0
	v_pk_min_f16 v46, v46, v47
	s_nop 0
	v_lshrrev_b32_e32 v47, 16, v46
	v_min3_f16 v23, v23, v46, v47
	v_lshl_add_u64 v[46:47], v[34:35], 1, v[20:21]
	global_store_short v[46:47], v23, off
	s_cbranch_vccnz .LBB271_84
; %bb.83:
	v_lshl_add_u64 v[22:23], v[36:37], 1, v[16:17]
	flat_load_ushort v22, v[22:23]
	s_waitcnt vmcnt(0) lgkmcnt(0)
	v_mul_f16_e32 v22, s12, v22
.LBB271_84:
	v_pk_add_f16 v23, v4, v18
	v_pk_max_f16 v46, v86, v86
	s_and_b64 vcc, exec, s[0:1]
	v_pk_min_f16 v23, v46, v23
	v_pk_add_f16 v46, v5, v19
	s_nop 0
	v_pk_min_f16 v23, v23, v46
	s_nop 0
	v_lshrrev_b32_e32 v46, 16, v23
	v_min3_f16 v46, v22, v23, v46
	v_lshl_add_u64 v[22:23], v[36:37], 1, v[20:21]
	global_store_short v[22:23], v46, off
	v_mov_b32_e32 v22, 0
	v_mov_b32_e32 v23, 0
	s_cbranch_vccnz .LBB271_86
; %bb.85:
	v_lshl_add_u64 v[46:47], v[44:45], 1, v[16:17]
	flat_load_ushort v23, v[46:47]
	s_waitcnt vmcnt(0) lgkmcnt(0)
	v_mul_f16_e32 v23, s12, v23
.LBB271_86:
	v_pk_add_f16 v46, v6, v18
	v_pk_max_f16 v47, v87, v87
	s_and_b64 vcc, exec, s[0:1]
	v_pk_min_f16 v46, v47, v46
	v_pk_add_f16 v47, v7, v19
	s_nop 0
	v_pk_min_f16 v46, v46, v47
	s_nop 0
	;; [unrolled: 40-line block ×3, first 2 shown]
	v_lshrrev_b32_e32 v47, 16, v46
	v_min3_f16 v23, v23, v46, v47
	v_lshl_add_u64 v[46:47], v[40:41], 1, v[20:21]
	global_store_short v[46:47], v23, off
	s_cbranch_vccnz .LBB271_92
; %bb.91:
	v_lshl_add_u64 v[16:17], v[38:39], 1, v[16:17]
	flat_load_ushort v16, v[16:17]
	s_waitcnt vmcnt(0) lgkmcnt(0)
	v_mul_f16_e32 v22, s12, v16
.LBB271_92:
	v_pk_add_f16 v16, v24, v18
	v_pk_max_f16 v17, v94, v94
	s_and_b64 vcc, exec, s[0:1]
	v_pk_min_f16 v16, v17, v16
	v_pk_add_f16 v17, v25, v19
	s_nop 0
	v_pk_min_f16 v16, v16, v17
	s_nop 0
	v_lshrrev_b32_e32 v17, 16, v16
	v_min3_f16 v18, v22, v16, v17
	v_lshl_add_u64 v[16:17], v[38:39], 1, v[20:21]
	global_store_short v[16:17], v18, off
	v_add_u32_e32 v18, 0xa0, v109
	v_mad_i64_i32 v[16:17], s[8:9], v18, s14, 0
	v_lshl_add_u64 v[16:17], v[16:17], 1, s[6:7]
	v_mov_b32_e32 v20, 0
	v_mov_b32_e32 v21, 0
	s_cbranch_vccnz .LBB271_94
; %bb.93:
	v_lshl_add_u64 v[22:23], v[28:29], 1, v[16:17]
	flat_load_ushort v19, v[22:23]
	s_waitcnt vmcnt(0) lgkmcnt(0)
	v_mul_f16_e32 v21, s12, v19
.LBB271_94:
	v_pk_add_f16 v19, v30, v12
	v_pk_max_f16 v22, v90, v90
	s_and_b64 vcc, exec, s[0:1]
	v_pk_min_f16 v19, v22, v19
	v_pk_add_f16 v22, v31, v13
	s_nop 0
	v_pk_min_f16 v22, v19, v22
	v_mad_i64_i32 v[18:19], s[8:9], v18, s15, 0
	v_lshl_add_u64 v[18:19], v[18:19], 1, s[2:3]
	v_lshrrev_b32_e32 v23, 16, v22
	v_min3_f16 v21, v21, v22, v23
	v_lshl_add_u64 v[22:23], v[28:29], 1, v[18:19]
	global_store_short v[22:23], v21, off
	s_cbranch_vccnz .LBB271_96
; %bb.95:
	v_lshl_add_u64 v[20:21], v[32:33], 1, v[16:17]
	flat_load_ushort v20, v[20:21]
	s_waitcnt vmcnt(0) lgkmcnt(0)
	v_mul_f16_e32 v20, s12, v20
.LBB271_96:
	v_pk_add_f16 v21, v8, v12
	v_pk_max_f16 v22, v88, v88
	s_and_b64 vcc, exec, s[0:1]
	v_pk_min_f16 v21, v22, v21
	v_pk_add_f16 v22, v9, v13
	s_nop 0
	v_pk_min_f16 v21, v21, v22
	s_nop 0
	v_lshrrev_b32_e32 v22, 16, v21
	v_min3_f16 v22, v20, v21, v22
	v_lshl_add_u64 v[20:21], v[32:33], 1, v[18:19]
	global_store_short v[20:21], v22, off
	v_mov_b32_e32 v20, 0
	v_mov_b32_e32 v21, 0
	s_cbranch_vccnz .LBB271_98
; %bb.97:
	v_lshl_add_u64 v[22:23], v[34:35], 1, v[16:17]
	flat_load_ushort v21, v[22:23]
	s_waitcnt vmcnt(0) lgkmcnt(0)
	v_mul_f16_e32 v21, s12, v21
.LBB271_98:
	v_pk_add_f16 v22, v10, v12
	v_pk_max_f16 v23, v91, v91
	s_and_b64 vcc, exec, s[0:1]
	v_pk_min_f16 v22, v23, v22
	v_pk_add_f16 v23, v11, v13
	s_nop 0
	v_pk_min_f16 v22, v22, v23
	s_nop 0
	v_lshrrev_b32_e32 v23, 16, v22
	v_min3_f16 v21, v21, v22, v23
	v_lshl_add_u64 v[22:23], v[34:35], 1, v[18:19]
	global_store_short v[22:23], v21, off
	s_cbranch_vccnz .LBB271_100
; %bb.99:
	v_lshl_add_u64 v[20:21], v[36:37], 1, v[16:17]
	flat_load_ushort v20, v[20:21]
	s_waitcnt vmcnt(0) lgkmcnt(0)
	v_mul_f16_e32 v20, s12, v20
.LBB271_100:
	v_pk_add_f16 v21, v4, v12
	v_pk_max_f16 v22, v93, v93
	s_and_b64 vcc, exec, s[0:1]
	v_pk_min_f16 v21, v22, v21
	v_pk_add_f16 v22, v5, v13
	s_nop 0
	v_pk_min_f16 v21, v21, v22
	s_nop 0
	v_lshrrev_b32_e32 v22, 16, v21
	v_min3_f16 v22, v20, v21, v22
	v_lshl_add_u64 v[20:21], v[36:37], 1, v[18:19]
	global_store_short v[20:21], v22, off
	v_mov_b32_e32 v20, 0
	v_mov_b32_e32 v21, 0
	s_cbranch_vccnz .LBB271_102
; %bb.101:
	v_lshl_add_u64 v[22:23], v[44:45], 1, v[16:17]
	flat_load_ushort v21, v[22:23]
	s_waitcnt vmcnt(0) lgkmcnt(0)
	v_mul_f16_e32 v21, s12, v21
.LBB271_102:
	v_pk_add_f16 v22, v6, v12
	v_pk_max_f16 v23, v95, v95
	s_and_b64 vcc, exec, s[0:1]
	v_pk_min_f16 v22, v23, v22
	v_pk_add_f16 v23, v7, v13
	s_nop 0
	v_pk_min_f16 v22, v22, v23
	s_nop 0
	;; [unrolled: 40-line block ×3, first 2 shown]
	v_lshrrev_b32_e32 v23, 16, v22
	v_min3_f16 v21, v21, v22, v23
	v_lshl_add_u64 v[22:23], v[40:41], 1, v[18:19]
	global_store_short v[22:23], v21, off
	s_cbranch_vccnz .LBB271_108
; %bb.107:
	v_lshl_add_u64 v[16:17], v[38:39], 1, v[16:17]
	flat_load_ushort v16, v[16:17]
	s_waitcnt vmcnt(0) lgkmcnt(0)
	v_mul_f16_e32 v20, s12, v16
.LBB271_108:
	v_pk_add_f16 v12, v24, v12
	v_pk_max_f16 v16, v98, v98
	v_pk_add_f16 v13, v25, v13
	v_pk_min_f16 v12, v16, v12
	s_and_b64 vcc, exec, s[0:1]
	v_pk_min_f16 v12, v12, v13
	s_nop 0
	v_lshrrev_b32_e32 v13, 16, v12
	v_min3_f16 v16, v20, v12, v13
	v_lshl_add_u64 v[12:13], v[38:39], 1, v[18:19]
	global_store_short v[12:13], v16, off
	v_add_u32_e32 v16, 0xc0, v109
	v_mad_i64_i32 v[12:13], s[8:9], v16, s14, 0
	v_lshl_add_u64 v[12:13], v[12:13], 1, s[6:7]
	v_mov_b32_e32 v18, 0
	v_mov_b32_e32 v19, 0
	s_cbranch_vccnz .LBB271_110
; %bb.109:
	v_lshl_add_u64 v[20:21], v[28:29], 1, v[12:13]
	flat_load_ushort v17, v[20:21]
	s_waitcnt vmcnt(0) lgkmcnt(0)
	v_mul_f16_e32 v19, s12, v17
.LBB271_110:
	v_pk_add_f16 v17, v30, v14
	v_pk_max_f16 v20, v106, v106
	s_and_b64 vcc, exec, s[0:1]
	v_pk_min_f16 v17, v20, v17
	v_pk_add_f16 v20, v31, v15
	s_nop 0
	v_pk_min_f16 v20, v17, v20
	v_mad_i64_i32 v[16:17], s[8:9], v16, s15, 0
	v_lshl_add_u64 v[16:17], v[16:17], 1, s[2:3]
	v_lshrrev_b32_e32 v21, 16, v20
	v_min3_f16 v19, v19, v20, v21
	v_lshl_add_u64 v[20:21], v[28:29], 1, v[16:17]
	global_store_short v[20:21], v19, off
	s_cbranch_vccnz .LBB271_112
; %bb.111:
	v_lshl_add_u64 v[18:19], v[32:33], 1, v[12:13]
	flat_load_ushort v18, v[18:19]
	s_waitcnt vmcnt(0) lgkmcnt(0)
	v_mul_f16_e32 v18, s12, v18
.LBB271_112:
	v_pk_add_f16 v19, v8, v14
	v_pk_max_f16 v20, v105, v105
	s_and_b64 vcc, exec, s[0:1]
	v_pk_min_f16 v19, v20, v19
	v_pk_add_f16 v20, v9, v15
	s_nop 0
	v_pk_min_f16 v19, v19, v20
	s_nop 0
	v_lshrrev_b32_e32 v20, 16, v19
	v_min3_f16 v20, v18, v19, v20
	v_lshl_add_u64 v[18:19], v[32:33], 1, v[16:17]
	global_store_short v[18:19], v20, off
	v_mov_b32_e32 v18, 0
	v_mov_b32_e32 v19, 0
	s_cbranch_vccnz .LBB271_114
; %bb.113:
	v_lshl_add_u64 v[20:21], v[34:35], 1, v[12:13]
	flat_load_ushort v19, v[20:21]
	s_waitcnt vmcnt(0) lgkmcnt(0)
	v_mul_f16_e32 v19, s12, v19
.LBB271_114:
	v_pk_add_f16 v20, v10, v14
	v_pk_max_f16 v21, v104, v104
	s_and_b64 vcc, exec, s[0:1]
	v_pk_min_f16 v20, v21, v20
	v_pk_add_f16 v21, v11, v15
	s_nop 0
	v_pk_min_f16 v20, v20, v21
	s_nop 0
	v_lshrrev_b32_e32 v21, 16, v20
	v_min3_f16 v19, v19, v20, v21
	v_lshl_add_u64 v[20:21], v[34:35], 1, v[16:17]
	global_store_short v[20:21], v19, off
	s_cbranch_vccnz .LBB271_116
; %bb.115:
	v_lshl_add_u64 v[18:19], v[36:37], 1, v[12:13]
	flat_load_ushort v18, v[18:19]
	s_waitcnt vmcnt(0) lgkmcnt(0)
	v_mul_f16_e32 v18, s12, v18
.LBB271_116:
	v_pk_add_f16 v19, v4, v14
	v_pk_max_f16 v20, v103, v103
	s_and_b64 vcc, exec, s[0:1]
	v_pk_min_f16 v19, v20, v19
	v_pk_add_f16 v20, v5, v15
	s_nop 0
	v_pk_min_f16 v19, v19, v20
	s_nop 0
	v_lshrrev_b32_e32 v20, 16, v19
	v_min3_f16 v20, v18, v19, v20
	v_lshl_add_u64 v[18:19], v[36:37], 1, v[16:17]
	global_store_short v[18:19], v20, off
	v_mov_b32_e32 v18, 0
	v_mov_b32_e32 v19, 0
	s_cbranch_vccnz .LBB271_118
; %bb.117:
	v_lshl_add_u64 v[20:21], v[44:45], 1, v[12:13]
	flat_load_ushort v19, v[20:21]
	s_waitcnt vmcnt(0) lgkmcnt(0)
	v_mul_f16_e32 v19, s12, v19
.LBB271_118:
	v_pk_add_f16 v20, v6, v14
	v_pk_max_f16 v21, v102, v102
	s_and_b64 vcc, exec, s[0:1]
	v_pk_min_f16 v20, v21, v20
	v_pk_add_f16 v21, v7, v15
	s_nop 0
	v_pk_min_f16 v20, v20, v21
	s_nop 0
	;; [unrolled: 40-line block ×3, first 2 shown]
	v_lshrrev_b32_e32 v21, 16, v20
	v_min3_f16 v19, v19, v20, v21
	v_lshl_add_u64 v[20:21], v[40:41], 1, v[16:17]
	global_store_short v[20:21], v19, off
	s_cbranch_vccnz .LBB271_124
; %bb.123:
	v_lshl_add_u64 v[12:13], v[38:39], 1, v[12:13]
	flat_load_ushort v12, v[12:13]
	s_waitcnt vmcnt(0) lgkmcnt(0)
	v_mul_f16_e32 v18, s12, v12
.LBB271_124:
	v_pk_add_f16 v12, v24, v14
	v_pk_max_f16 v13, v99, v99
	s_and_b64 vcc, exec, s[0:1]
	v_pk_min_f16 v12, v13, v12
	v_pk_add_f16 v13, v25, v15
	s_nop 0
	v_pk_min_f16 v12, v12, v13
	s_nop 0
	v_lshrrev_b32_e32 v13, 16, v12
	v_min3_f16 v14, v18, v12, v13
	v_lshl_add_u64 v[12:13], v[38:39], 1, v[16:17]
	global_store_short v[12:13], v14, off
	v_add_u32_e32 v14, 0xe0, v109
	v_mad_i64_i32 v[12:13], s[8:9], v14, s14, 0
	v_lshl_add_u64 v[12:13], v[12:13], 1, s[6:7]
	v_mov_b32_e32 v16, 0
	v_mov_b32_e32 v17, 0
	s_cbranch_vccnz .LBB271_126
; %bb.125:
	v_lshl_add_u64 v[18:19], v[28:29], 1, v[12:13]
	flat_load_ushort v15, v[18:19]
	s_waitcnt vmcnt(0) lgkmcnt(0)
	v_mul_f16_e32 v17, s12, v15
.LBB271_126:
	v_pk_add_f16 v15, v30, v26
	v_pk_max_f16 v18, v108, v108
	s_and_b64 vcc, exec, s[0:1]
	v_pk_min_f16 v15, v18, v15
	v_pk_add_f16 v18, v31, v27
	s_nop 0
	v_pk_min_f16 v18, v15, v18
	v_mad_i64_i32 v[14:15], s[6:7], v14, s15, 0
	v_lshl_add_u64 v[14:15], v[14:15], 1, s[2:3]
	v_lshrrev_b32_e32 v19, 16, v18
	v_min3_f16 v17, v17, v18, v19
	v_lshl_add_u64 v[18:19], v[28:29], 1, v[14:15]
	global_store_short v[18:19], v17, off
	s_cbranch_vccnz .LBB271_128
; %bb.127:
	v_lshl_add_u64 v[16:17], v[32:33], 1, v[12:13]
	flat_load_ushort v16, v[16:17]
	s_waitcnt vmcnt(0) lgkmcnt(0)
	v_mul_f16_e32 v16, s12, v16
.LBB271_128:
	v_pk_add_f16 v8, v8, v26
	v_pk_max_f16 v17, v107, v107
	v_pk_add_f16 v9, v9, v27
	v_pk_min_f16 v8, v17, v8
	s_and_b64 vcc, exec, s[0:1]
	v_pk_min_f16 v8, v8, v9
	s_nop 0
	v_lshrrev_b32_e32 v9, 16, v8
	v_min3_f16 v16, v16, v8, v9
	v_lshl_add_u64 v[8:9], v[32:33], 1, v[14:15]
	global_store_short v[8:9], v16, off
	v_mov_b32_e32 v8, 0
	v_mov_b32_e32 v9, 0
	s_cbranch_vccnz .LBB271_130
; %bb.129:
	v_lshl_add_u64 v[16:17], v[34:35], 1, v[12:13]
	flat_load_ushort v9, v[16:17]
	s_waitcnt vmcnt(0) lgkmcnt(0)
	v_mul_f16_e32 v9, s12, v9
.LBB271_130:
	v_pk_add_f16 v10, v10, v26
	v_pk_max_f16 v16, v110, v110
	v_pk_add_f16 v11, v11, v27
	v_pk_min_f16 v10, v16, v10
	s_and_b64 vcc, exec, s[0:1]
	v_pk_min_f16 v10, v10, v11
	s_nop 0
	v_lshrrev_b32_e32 v11, 16, v10
	v_min3_f16 v9, v9, v10, v11
	v_lshl_add_u64 v[10:11], v[34:35], 1, v[14:15]
	global_store_short v[10:11], v9, off
	s_cbranch_vccnz .LBB271_132
; %bb.131:
	v_lshl_add_u64 v[8:9], v[36:37], 1, v[12:13]
	flat_load_ushort v8, v[8:9]
	s_waitcnt vmcnt(0) lgkmcnt(0)
	v_mul_f16_e32 v8, s12, v8
.LBB271_132:
	v_pk_add_f16 v4, v4, v26
	v_pk_max_f16 v9, v112, v112
	v_pk_add_f16 v5, v5, v27
	v_pk_min_f16 v4, v9, v4
	s_and_b64 vcc, exec, s[0:1]
	v_pk_min_f16 v4, v4, v5
	s_nop 0
	v_lshrrev_b32_e32 v5, 16, v4
	v_min3_f16 v8, v8, v4, v5
	v_lshl_add_u64 v[4:5], v[36:37], 1, v[14:15]
	global_store_short v[4:5], v8, off
	v_mov_b32_e32 v4, 0
	v_mov_b32_e32 v5, 0
	s_cbranch_vccnz .LBB271_134
; %bb.133:
	v_lshl_add_u64 v[8:9], v[44:45], 1, v[12:13]
	flat_load_ushort v5, v[8:9]
	s_waitcnt vmcnt(0) lgkmcnt(0)
	v_mul_f16_e32 v5, s12, v5
.LBB271_134:
	v_pk_add_f16 v6, v6, v26
	v_pk_max_f16 v8, v115, v115
	v_pk_add_f16 v7, v7, v27
	v_pk_min_f16 v6, v8, v6
	s_and_b64 vcc, exec, s[0:1]
	v_pk_min_f16 v6, v6, v7
	s_nop 0
	v_lshrrev_b32_e32 v7, 16, v6
	v_min3_f16 v5, v5, v6, v7
	v_lshl_add_u64 v[6:7], v[44:45], 1, v[14:15]
	global_store_short v[6:7], v5, off
	s_cbranch_vccnz .LBB271_136
; %bb.135:
	v_lshl_add_u64 v[4:5], v[42:43], 1, v[12:13]
	flat_load_ushort v4, v[4:5]
	s_waitcnt vmcnt(0) lgkmcnt(0)
	v_mul_f16_e32 v4, s12, v4
.LBB271_136:
	v_pk_add_f16 v0, v0, v26
	v_pk_max_f16 v5, v116, v116
	v_pk_add_f16 v2, v2, v26
	v_pk_min_f16 v0, v5, v0
	v_pk_max_f16 v5, v117, v117
	v_pk_add_f16 v1, v1, v27
	v_pk_min_f16 v2, v5, v2
	v_pk_min_f16 v0, v0, v1
	v_pk_add_f16 v1, v3, v27
	s_mov_b64 vcc, s[4:5]
	v_pk_min_f16 v2, v2, v1
	v_lshrrev_b32_e32 v1, 16, v0
	v_min3_f16 v3, v4, v0, v1
	v_lshl_add_u64 v[0:1], v[42:43], 1, v[14:15]
	global_store_short v[0:1], v3, off
	v_min_f16_sdwa v0, v2, v2 dst_sel:DWORD dst_unused:UNUSED_PAD src0_sel:DWORD src1_sel:WORD_1
	v_max_f16_e32 v0, v0, v0
	s_cbranch_vccz .LBB271_139
; %bb.137:
	v_min_f16_e32 v1, 0, v0
	v_lshl_add_u64 v[2:3], v[40:41], 1, v[14:15]
	s_mov_b32 s2, 0
	global_store_short v[2:3], v1, off
	s_cbranch_execz .LBB271_140
; %bb.138:
	v_mov_b32_e32 v0, s2
	s_branch .LBB271_141
.LBB271_139:
                                        ; implicit-def: $sgpr2
.LBB271_140:
	v_lshlrev_b64 v[2:3], 1, v[40:41]
	v_lshl_add_u64 v[4:5], v[12:13], 0, v[2:3]
	flat_load_ushort v1, v[4:5]
	v_lshl_add_u64 v[2:3], v[14:15], 0, v[2:3]
	s_waitcnt vmcnt(0) lgkmcnt(0)
	v_mul_f16_e32 v1, s12, v1
	v_min_f16_e32 v0, v1, v0
	global_store_short v[2:3], v0, off
	v_lshl_add_u64 v[0:1], v[38:39], 1, v[12:13]
	flat_load_ushort v0, v[0:1]
	s_waitcnt vmcnt(0) lgkmcnt(0)
	v_mul_f16_e32 v0, s12, v0
.LBB271_141:
	v_pk_add_f16 v1, v24, v26
	v_pk_max_f16 v2, v118, v118
	s_nop 0
	v_pk_min_f16 v1, v2, v1
	v_pk_add_f16 v2, v25, v27
	s_nop 0
	v_pk_min_f16 v1, v1, v2
	s_nop 0
	v_lshrrev_b32_e32 v2, 16, v1
	v_min3_f16 v2, v0, v1, v2
	v_lshl_add_u64 v[0:1], v[38:39], 1, v[14:15]
	global_store_short v[0:1], v2, off
	s_endpgm
	.section	.rodata,"a",@progbits
	.p2align	6, 0x0
	.amdhsa_kernel _ZN12_GLOBAL__N_120geam_min_plus_kernelIDF16_Dv2_DF16_S1_Li8ELi32ELi64ELi256ELi4ELi64ELi4ELi64ELi4ELc78ELc84ELb1ELb0ELb1EDF16_KDF16_DF16_EEviiiT16_PT17_ilS5_ilS3_S5_ilPT18_ili26rocblas_geam_ex_operation_
		.amdhsa_group_segment_fixed_size 5120
		.amdhsa_private_segment_fixed_size 0
		.amdhsa_kernarg_size 128
		.amdhsa_user_sgpr_count 2
		.amdhsa_user_sgpr_dispatch_ptr 0
		.amdhsa_user_sgpr_queue_ptr 0
		.amdhsa_user_sgpr_kernarg_segment_ptr 1
		.amdhsa_user_sgpr_dispatch_id 0
		.amdhsa_user_sgpr_kernarg_preload_length 0
		.amdhsa_user_sgpr_kernarg_preload_offset 0
		.amdhsa_user_sgpr_private_segment_size 0
		.amdhsa_uses_dynamic_stack 0
		.amdhsa_enable_private_segment 0
		.amdhsa_system_sgpr_workgroup_id_x 1
		.amdhsa_system_sgpr_workgroup_id_y 0
		.amdhsa_system_sgpr_workgroup_id_z 1
		.amdhsa_system_sgpr_workgroup_info 0
		.amdhsa_system_vgpr_workitem_id 1
		.amdhsa_next_free_vgpr 126
		.amdhsa_next_free_sgpr 28
		.amdhsa_accum_offset 128
		.amdhsa_reserve_vcc 1
		.amdhsa_float_round_mode_32 0
		.amdhsa_float_round_mode_16_64 0
		.amdhsa_float_denorm_mode_32 3
		.amdhsa_float_denorm_mode_16_64 3
		.amdhsa_dx10_clamp 1
		.amdhsa_ieee_mode 1
		.amdhsa_fp16_overflow 0
		.amdhsa_tg_split 0
		.amdhsa_exception_fp_ieee_invalid_op 0
		.amdhsa_exception_fp_denorm_src 0
		.amdhsa_exception_fp_ieee_div_zero 0
		.amdhsa_exception_fp_ieee_overflow 0
		.amdhsa_exception_fp_ieee_underflow 0
		.amdhsa_exception_fp_ieee_inexact 0
		.amdhsa_exception_int_div_zero 0
	.end_amdhsa_kernel
	.section	.text._ZN12_GLOBAL__N_120geam_min_plus_kernelIDF16_Dv2_DF16_S1_Li8ELi32ELi64ELi256ELi4ELi64ELi4ELi64ELi4ELc78ELc84ELb1ELb0ELb1EDF16_KDF16_DF16_EEviiiT16_PT17_ilS5_ilS3_S5_ilPT18_ili26rocblas_geam_ex_operation_,"axG",@progbits,_ZN12_GLOBAL__N_120geam_min_plus_kernelIDF16_Dv2_DF16_S1_Li8ELi32ELi64ELi256ELi4ELi64ELi4ELi64ELi4ELc78ELc84ELb1ELb0ELb1EDF16_KDF16_DF16_EEviiiT16_PT17_ilS5_ilS3_S5_ilPT18_ili26rocblas_geam_ex_operation_,comdat
.Lfunc_end271:
	.size	_ZN12_GLOBAL__N_120geam_min_plus_kernelIDF16_Dv2_DF16_S1_Li8ELi32ELi64ELi256ELi4ELi64ELi4ELi64ELi4ELc78ELc84ELb1ELb0ELb1EDF16_KDF16_DF16_EEviiiT16_PT17_ilS5_ilS3_S5_ilPT18_ili26rocblas_geam_ex_operation_, .Lfunc_end271-_ZN12_GLOBAL__N_120geam_min_plus_kernelIDF16_Dv2_DF16_S1_Li8ELi32ELi64ELi256ELi4ELi64ELi4ELi64ELi4ELc78ELc84ELb1ELb0ELb1EDF16_KDF16_DF16_EEviiiT16_PT17_ilS5_ilS3_S5_ilPT18_ili26rocblas_geam_ex_operation_
                                        ; -- End function
	.section	.AMDGPU.csdata,"",@progbits
; Kernel info:
; codeLenInByte = 16712
; NumSgprs: 34
; NumVgprs: 126
; NumAgprs: 0
; TotalNumVgprs: 126
; ScratchSize: 0
; MemoryBound: 0
; FloatMode: 240
; IeeeMode: 1
; LDSByteSize: 5120 bytes/workgroup (compile time only)
; SGPRBlocks: 4
; VGPRBlocks: 15
; NumSGPRsForWavesPerEU: 34
; NumVGPRsForWavesPerEU: 126
; AccumOffset: 128
; Occupancy: 4
; WaveLimiterHint : 1
; COMPUTE_PGM_RSRC2:SCRATCH_EN: 0
; COMPUTE_PGM_RSRC2:USER_SGPR: 2
; COMPUTE_PGM_RSRC2:TRAP_HANDLER: 0
; COMPUTE_PGM_RSRC2:TGID_X_EN: 1
; COMPUTE_PGM_RSRC2:TGID_Y_EN: 0
; COMPUTE_PGM_RSRC2:TGID_Z_EN: 1
; COMPUTE_PGM_RSRC2:TIDIG_COMP_CNT: 1
; COMPUTE_PGM_RSRC3_GFX90A:ACCUM_OFFSET: 31
; COMPUTE_PGM_RSRC3_GFX90A:TG_SPLIT: 0
	.section	.text._ZN12_GLOBAL__N_120geam_min_plus_kernelIDF16_Dv2_DF16_S1_Li8ELi32ELi64ELi256ELi4ELi64ELi4ELi64ELi4ELc78ELc84ELb0ELb0ELb1EDF16_KDF16_DF16_EEviiiT16_PT17_ilS5_ilS3_S5_ilPT18_ili26rocblas_geam_ex_operation_,"axG",@progbits,_ZN12_GLOBAL__N_120geam_min_plus_kernelIDF16_Dv2_DF16_S1_Li8ELi32ELi64ELi256ELi4ELi64ELi4ELi64ELi4ELc78ELc84ELb0ELb0ELb1EDF16_KDF16_DF16_EEviiiT16_PT17_ilS5_ilS3_S5_ilPT18_ili26rocblas_geam_ex_operation_,comdat
	.globl	_ZN12_GLOBAL__N_120geam_min_plus_kernelIDF16_Dv2_DF16_S1_Li8ELi32ELi64ELi256ELi4ELi64ELi4ELi64ELi4ELc78ELc84ELb0ELb0ELb1EDF16_KDF16_DF16_EEviiiT16_PT17_ilS5_ilS3_S5_ilPT18_ili26rocblas_geam_ex_operation_ ; -- Begin function _ZN12_GLOBAL__N_120geam_min_plus_kernelIDF16_Dv2_DF16_S1_Li8ELi32ELi64ELi256ELi4ELi64ELi4ELi64ELi4ELc78ELc84ELb0ELb0ELb1EDF16_KDF16_DF16_EEviiiT16_PT17_ilS5_ilS3_S5_ilPT18_ili26rocblas_geam_ex_operation_
	.p2align	8
	.type	_ZN12_GLOBAL__N_120geam_min_plus_kernelIDF16_Dv2_DF16_S1_Li8ELi32ELi64ELi256ELi4ELi64ELi4ELi64ELi4ELc78ELc84ELb0ELb0ELb1EDF16_KDF16_DF16_EEviiiT16_PT17_ilS5_ilS3_S5_ilPT18_ili26rocblas_geam_ex_operation_,@function
_ZN12_GLOBAL__N_120geam_min_plus_kernelIDF16_Dv2_DF16_S1_Li8ELi32ELi64ELi256ELi4ELi64ELi4ELi64ELi4ELc78ELc84ELb0ELb0ELb1EDF16_KDF16_DF16_EEviiiT16_PT17_ilS5_ilS3_S5_ilPT18_ili26rocblas_geam_ex_operation_: ; @_ZN12_GLOBAL__N_120geam_min_plus_kernelIDF16_Dv2_DF16_S1_Li8ELi32ELi64ELi256ELi4ELi64ELi4ELi64ELi4ELc78ELc84ELb0ELb0ELb1EDF16_KDF16_DF16_EEviiiT16_PT17_ilS5_ilS3_S5_ilPT18_ili26rocblas_geam_ex_operation_
; %bb.0:
	s_load_dwordx2 s[18:19], s[0:1], 0x8
	s_load_dwordx4 s[8:11], s[0:1], 0x20
	s_waitcnt lgkmcnt(0)
	v_cmp_eq_f16_e64 s[4:5], s19, 0
	s_and_b64 vcc, exec, s[4:5]
	s_cbranch_vccnz .LBB272_3
; %bb.1:
	s_load_dwordx2 s[6:7], s[0:1], 0x10
	s_mul_i32 s9, s3, s9
	s_mul_hi_u32 s12, s3, s8
	s_add_i32 s9, s12, s9
	s_mul_i32 s8, s3, s8
	s_lshl_b64 s[8:9], s[8:9], 1
	s_waitcnt lgkmcnt(0)
	s_add_u32 s20, s6, s8
	s_addc_u32 s21, s7, s9
	v_cndmask_b32_e64 v1, 0, 1, s[4:5]
	v_cmp_ne_u32_e64 s[6:7], 1, v1
	s_andn2_b64 vcc, exec, s[4:5]
	s_cbranch_vccnz .LBB272_4
.LBB272_2:
	s_mov_b32 s17, 0
	s_mov_b64 s[22:23], 0
	s_cbranch_execz .LBB272_5
	s_branch .LBB272_6
.LBB272_3:
	s_mov_b64 s[20:21], 0
	v_cndmask_b32_e64 v1, 0, 1, s[4:5]
	v_cmp_ne_u32_e64 s[6:7], 1, v1
	s_andn2_b64 vcc, exec, s[4:5]
	s_cbranch_vccz .LBB272_2
.LBB272_4:
                                        ; implicit-def: $sgpr22_sgpr23
                                        ; implicit-def: $sgpr16_sgpr17
.LBB272_5:
	s_load_dwordx2 s[4:5], s[0:1], 0x38
	s_mov_b32 s17, 0
	s_waitcnt lgkmcnt(0)
	s_mul_i32 s5, s3, s5
	s_mul_hi_u32 s8, s3, s4
	s_add_i32 s5, s8, s5
	s_mul_i32 s4, s3, s4
	s_lshl_b64 s[4:5], s[4:5], 1
	s_add_u32 s22, s10, s4
	s_addc_u32 s23, s11, s5
.LBB272_6:
	s_load_dword s16, s[0:1], 0x40
	s_load_dwordx4 s[12:15], s[0:1], 0x58
	s_waitcnt lgkmcnt(0)
	v_cmp_eq_f16_e64 s[4:5], s16, 0
	s_and_b64 s[8:9], exec, s[4:5]
	s_mov_b64 vcc, s[8:9]
	s_cbranch_vccnz .LBB272_8
; %bb.7:
	s_load_dwordx2 s[4:5], s[0:1], 0x48
	s_mul_i32 s10, s3, s13
	s_mul_hi_u32 s11, s3, s12
	s_add_i32 s10, s11, s10
	s_mul_i32 s11, s17, s12
	s_add_i32 s11, s10, s11
	s_mul_i32 s10, s3, s12
	s_lshl_b64 s[10:11], s[10:11], 1
	s_waitcnt lgkmcnt(0)
	s_add_u32 s10, s4, s10
	s_addc_u32 s11, s5, s11
	s_branch .LBB272_9
.LBB272_8:
	s_mov_b64 s[10:11], 0
.LBB272_9:
	s_load_dword s4, s[0:1], 0x0
	s_load_dword s24, s[0:1], 0x18
	v_and_b32_e32 v48, 0x3ff, v0
	v_bfe_u32 v49, v0, 10, 10
	v_lshl_add_u32 v0, v49, 3, v48
	s_waitcnt lgkmcnt(0)
	s_add_i32 s4, s4, -1
	s_ashr_i32 s5, s4, 31
	s_lshr_b32 s5, s5, 26
	s_add_i32 s4, s4, s5
	s_ashr_i32 s4, s4, 6
	s_add_i32 s5, s4, 1
	v_cvt_f32_u32_e32 v1, s5
	s_not_b32 s4, s4
	s_ashr_i32 s25, s24, 31
	v_and_b32_e32 v38, 63, v0
	v_rcp_iflag_f32_e32 v1, v1
	v_lshrrev_b32_e32 v40, 6, v0
	v_mul_f32_e32 v1, 0x4f7ffffe, v1
	v_cvt_u32_f32_e32 v1, v1
	s_nop 0
	v_readfirstlane_b32 s12, v1
	s_mul_i32 s4, s4, s12
	s_mul_hi_u32 s4, s12, s4
	s_add_i32 s12, s12, s4
	s_mul_hi_u32 s4, s2, s12
	s_mul_i32 s12, s4, s5
	s_sub_i32 s12, s2, s12
	s_add_i32 s13, s4, 1
	s_sub_i32 s26, s12, s5
	s_cmp_ge_u32 s12, s5
	s_cselect_b32 s4, s13, s4
	s_cselect_b32 s12, s26, s12
	s_add_i32 s13, s4, 1
	s_cmp_ge_u32 s12, s5
	s_cselect_b32 s13, s13, s4
	s_mul_i32 s12, s13, s5
	s_sub_i32 s4, s2, s12
	s_and_b64 vcc, exec, s[6:7]
	s_lshl_b32 s30, s4, 6
	s_cbranch_vccnz .LBB272_11
; %bb.10:
	v_mov_b32_e32 v1, 0
	s_mov_b64 s[4:5], 0
	s_mov_b32 s28, 0
	s_branch .LBB272_12
.LBB272_11:
	s_mov_b64 s[4:5], -1
                                        ; implicit-def: $sgpr28
                                        ; implicit-def: $vgpr0_vgpr1
.LBB272_12:
	v_or_b32_e32 v2, s30, v38
	v_cmp_neq_f16_e64 s[26:27], s19, 0
	s_andn2_b64 vcc, exec, s[4:5]
	v_ashrrev_i32_e32 v3, 31, v2
	s_cbranch_vccnz .LBB272_14
; %bb.13:
	v_mad_i64_i32 v[0:1], s[4:5], s24, v40, 0
	v_lshl_add_u64 v[0:1], v[0:1], 1, s[20:21]
	v_lshl_add_u64 v[0:1], v[2:3], 1, v[0:1]
	flat_load_ushort v0, v[0:1]
	v_mov_b32_e32 v1, 0
	s_waitcnt vmcnt(0) lgkmcnt(0)
	v_mul_f16_e32 v8, s19, v0
	s_branch .LBB272_15
.LBB272_14:
	v_mov_b32_e32 v8, s28
.LBB272_15:
	s_load_dword s28, s[0:1], 0x30
	s_lshl_b32 s31, s13, 8
	v_or_b32_e32 v0, s31, v38
	s_andn2_b64 vcc, exec, s[26:27]
	s_waitcnt lgkmcnt(0)
	s_ashr_i32 s29, s28, 31
	v_mul_lo_u32 v1, v1, s28
	v_mul_lo_u32 v6, v40, s29
	v_mad_u64_u32 v[4:5], s[4:5], v40, s28, 0
	v_add3_u32 v5, v5, v6, v1
	v_cndmask_b32_e64 v1, 0, 1, s[26:27]
	v_lshl_add_u64 v[4:5], v[4:5], 1, s[22:23]
	v_cmp_ne_u32_e64 s[4:5], 1, v1
	v_ashrrev_i32_e32 v1, 31, v0
	s_cbranch_vccnz .LBB272_20
; %bb.16:
	v_lshl_add_u64 v[6:7], v[0:1], 1, v[4:5]
	flat_load_ushort v9, v[6:7]
	flat_load_ushort v10, v[6:7] offset:128
	s_waitcnt vmcnt(0) lgkmcnt(0)
	v_mul_f16_e32 v9, s19, v9
	v_mul_f16_e32 v10, s19, v10
	s_and_b64 vcc, exec, s[4:5]
	s_cbranch_vccnz .LBB272_21
.LBB272_17:
	v_lshl_add_u64 v[4:5], v[0:1], 1, v[4:5]
	flat_load_ushort v6, v[4:5] offset:256
	flat_load_ushort v7, v[4:5] offset:384
	s_waitcnt vmcnt(0) lgkmcnt(0)
	v_mul_f16_e32 v5, s19, v6
	v_mul_f16_e32 v11, s19, v7
	s_and_b64 vcc, exec, s[6:7]
	v_add_u32_e32 v4, 4, v40
	s_cbranch_vccnz .LBB272_22
.LBB272_18:
	v_mov_b32_e32 v7, 0
	s_mov_b32 s13, 0
	s_cbranch_execz .LBB272_23
; %bb.19:
	v_mov_b32_e32 v32, s13
	s_branch .LBB272_24
.LBB272_20:
	v_mov_b32_e32 v9, 0
	v_mov_b32_e32 v10, 0
	s_and_b64 vcc, exec, s[4:5]
	s_cbranch_vccz .LBB272_17
.LBB272_21:
	v_mov_b32_e32 v5, 0
	v_mov_b32_e32 v11, 0
	s_and_b64 vcc, exec, s[6:7]
	v_add_u32_e32 v4, 4, v40
	s_cbranch_vccz .LBB272_18
.LBB272_22:
                                        ; implicit-def: $sgpr13
                                        ; implicit-def: $vgpr6_vgpr7
.LBB272_23:
	v_mad_i64_i32 v[6:7], s[6:7], s24, v4, 0
	v_lshl_add_u64 v[6:7], v[6:7], 1, s[20:21]
	v_lshl_add_u64 v[2:3], v[2:3], 1, v[6:7]
	flat_load_ushort v2, v[2:3]
	v_mov_b32_e32 v7, 0
	s_waitcnt vmcnt(0) lgkmcnt(0)
	v_mul_f16_e32 v32, s19, v2
.LBB272_24:
	v_mul_lo_u32 v6, v7, s28
	v_mul_lo_u32 v7, v4, s29
	v_mad_u64_u32 v[2:3], s[6:7], v4, s28, 0
	v_add3_u32 v3, v3, v7, v6
	s_and_b64 vcc, exec, s[4:5]
	v_lshl_add_u64 v[2:3], v[2:3], 1, s[22:23]
	s_cbranch_vccnz .LBB272_27
; %bb.25:
	v_lshl_add_u64 v[6:7], v[0:1], 1, v[2:3]
	flat_load_ushort v4, v[6:7]
	flat_load_ushort v12, v[6:7] offset:128
	s_waitcnt vmcnt(0) lgkmcnt(0)
	v_mul_f16_e32 v33, s19, v4
	v_mul_f16_e32 v34, s19, v12
	s_and_b64 vcc, exec, s[4:5]
	s_cbranch_vccnz .LBB272_28
.LBB272_26:
	v_lshl_add_u64 v[0:1], v[0:1], 1, v[2:3]
	flat_load_ushort v2, v[0:1] offset:256
	flat_load_ushort v3, v[0:1] offset:384
	s_waitcnt vmcnt(0) lgkmcnt(0)
	v_mul_f16_e32 v35, s19, v2
	v_mul_f16_e32 v36, s19, v3
	s_branch .LBB272_29
.LBB272_27:
	v_mov_b32_e32 v33, 0
	v_mov_b32_e32 v34, 0
	s_and_b64 vcc, exec, s[4:5]
	s_cbranch_vccz .LBB272_26
.LBB272_28:
	v_mov_b32_e32 v35, 0
	v_mov_b32_e32 v36, 0
.LBB272_29:
	v_lshlrev_b32_e32 v0, 1, v40
	v_lshlrev_b32_e32 v51, 3, v48
	v_lshl_add_u32 v46, v38, 3, v0
	v_add_u32_e32 v47, 0x1000, v51
	v_lshlrev_b32_e32 v50, 3, v49
	ds_write_b16 v46, v8 offset:4096
	ds_write_b16 v46, v9
	ds_write_b16 v46, v10 offset:512
	ds_write_b16 v46, v5 offset:1024
	;; [unrolled: 1-line block ×3, first 2 shown]
	s_waitcnt lgkmcnt(0)
	s_barrier
	ds_read2_b64 v[16:19], v47 offset1:8
	ds_read2_b64 v[12:15], v47 offset0:16 offset1:24
	ds_read2_b64 v[0:3], v47 offset0:32 offset1:40
	ds_read2_b64 v[28:31], v50 offset1:32
	ds_read2_b64 v[4:7], v47 offset0:48 offset1:56
	ds_read2_b64 v[24:27], v50 offset0:64 offset1:96
	;; [unrolled: 1-line block ×4, first 2 shown]
	s_movk_i32 s6, 0x7c00
	s_waitcnt lgkmcnt(4)
	v_pk_add_f16 v37, v16, v28
	v_pk_add_f16 v39, v18, v28
	s_waitcnt lgkmcnt(1)
	v_pk_add_f16 v79, v4, v20
	v_pk_min_f16 v37, v37, s6 op_sel_hi:[1,0]
	v_pk_min_f16 v109, v79, s6 op_sel_hi:[1,0]
	v_pk_add_f16 v79, v16, v22
	v_pk_add_f16 v41, v12, v28
	v_pk_min_f16 v117, v79, s6 op_sel_hi:[1,0]
	v_pk_add_f16 v79, v18, v22
	v_pk_add_f16 v42, v14, v28
	;; [unrolled: 3-line block ×7, first 2 shown]
	v_pk_min_f16 v123, v79, s6 op_sel_hi:[1,0]
	s_waitcnt lgkmcnt(0)
	v_pk_add_f16 v79, v16, v8
	v_pk_add_f16 v53, v18, v30
	v_pk_min_f16 v124, v79, s6 op_sel_hi:[1,0]
	v_pk_add_f16 v79, v18, v8
	v_pk_add_f16 v54, v12, v30
	v_pk_min_f16 v125, v79, s6 op_sel_hi:[1,0]
	;; [unrolled: 3-line block ×5, first 2 shown]
	v_pk_add_f16 v79, v2, v8
	v_pk_add_f16 v58, v4, v30
	;; [unrolled: 1-line block ×27, first 2 shown]
	v_pk_min_f16 v129, v79, s6 op_sel_hi:[1,0]
	v_pk_add_f16 v79, v4, v8
	v_pk_add_f16 v8, v6, v8
	;; [unrolled: 1-line block ×11, first 2 shown]
	v_pk_min_f16 v39, v39, s6 op_sel_hi:[1,0]
	v_pk_min_f16 v116, v37, v10
	v_pk_add_f16 v10, v19, v29
	v_pk_min_f16 v41, v41, s6 op_sel_hi:[1,0]
	v_pk_min_f16 v115, v39, v10
	v_pk_add_f16 v10, v13, v29
	;; [unrolled: 3-line block ×36, first 2 shown]
	v_pk_min_f16 v78, v78, s6 op_sel_hi:[1,0]
	v_pk_min_f16 v130, v79, s6 op_sel_hi:[1,0]
	v_pk_min_f16 v79, v77, v10
	v_pk_add_f16 v10, v3, v21
	v_pk_min_f16 v20, v20, s6 op_sel_hi:[1,0]
	v_pk_min_f16 v78, v78, v10
	v_pk_add_f16 v10, v5, v21
	;; [unrolled: 3-line block ×12, first 2 shown]
	s_cmp_lt_i32 s18, 9
	v_pk_min_f16 v67, v124, v10
	v_pk_add_f16 v10, v19, v9
	ds_write_b16 v46, v32 offset:4608
	ds_write_b16 v46, v33 offset:2048
	;; [unrolled: 1-line block ×5, first 2 shown]
	v_pk_min_f16 v66, v125, v10
	v_pk_add_f16 v10, v13, v9
	s_waitcnt lgkmcnt(0)
	v_pk_min_f16 v65, v126, v10
	v_pk_add_f16 v10, v15, v9
	s_barrier
	v_pk_min_f16 v64, v127, v10
	v_pk_add_f16 v10, v1, v9
	v_pk_add_f16 v1, v1, v11
	v_pk_min_f16 v63, v128, v10
	v_pk_add_f16 v10, v3, v9
	v_pk_min_f16 v54, v0, v1
	v_pk_min_f16 v62, v129, v10
	v_pk_add_f16 v10, v5, v9
	v_pk_add_f16 v9, v7, v9
	;; [unrolled: 1-line block ×3, first 2 shown]
	v_pk_min_f16 v60, v8, v9
	v_pk_add_f16 v8, v17, v11
	v_pk_min_f16 v52, v2, v0
	v_pk_min_f16 v59, v16, v8
	v_pk_add_f16 v8, v19, v11
	v_pk_add_f16 v0, v5, v11
	v_pk_min_f16 v57, v18, v8
	v_pk_add_f16 v8, v13, v11
	v_pk_min_f16 v53, v4, v0
	v_pk_min_f16 v56, v12, v8
	v_pk_add_f16 v8, v15, v11
	v_pk_add_f16 v0, v7, v11
	v_pk_min_f16 v61, v130, v10
	v_pk_min_f16 v55, v14, v8
	;; [unrolled: 1-line block ×3, first 2 shown]
	s_cbranch_scc1 .LBB272_47
; %bb.30:
	v_mov_b32_e32 v0, 0x1200
	v_lshl_add_u32 v119, v48, 3, v0
	v_mov_b32_e32 v0, 0x800
	v_add_u32_e32 v2, 12, v40
	v_lshl_add_u32 v120, v49, 3, v0
	v_mad_i64_i32 v[0:1], s[6:7], v2, s24, 0
	v_lshlrev_b64 v[32:33], 1, v[0:1]
	v_lshl_or_b32 v0, s2, 6, v38
	s_lshl_b32 s2, s12, 6
	v_subrev_u32_e32 v0, s2, v0
	v_ashrrev_i32_e32 v1, 31, v0
	v_lshl_add_u64 v[34:35], v[0:1], 1, s[20:21]
	v_mad_i64_i32 v[0:1], s[6:7], v2, s28, 0
	v_lshlrev_b64 v[36:37], 1, v[0:1]
	v_add_u32_e32 v0, s31, v38
	v_ashrrev_i32_e32 v1, 31, v0
	v_add_u32_e32 v2, 8, v40
	v_lshl_add_u64 v[38:39], v[0:1], 1, s[22:23]
	v_mad_i64_i32 v[0:1], s[6:7], v2, s28, 0
	v_lshlrev_b64 v[40:41], 1, v[0:1]
	v_mad_i64_i32 v[0:1], s[6:7], v2, s24, 0
	v_or_b32_e32 v109, 0x1000, v46
	v_add_u32_e32 v117, 0x1200, v46
	v_or_b32_e32 v118, 0x800, v46
	s_add_i32 s18, s18, -8
	s_lshl_b64 s[12:13], s[24:25], 4
	s_lshl_b64 s[20:21], s[28:29], 4
	v_lshlrev_b64 v[42:43], 1, v[0:1]
	s_mov_b32 s2, 0
	s_and_b64 s[6:7], exec, s[26:27]
	s_branch .LBB272_33
.LBB272_31:                             ;   in Loop: Header=BB272_33 Depth=1
	flat_load_ushort v0, v[44:45] offset:256
	flat_load_ushort v1, v[44:45] offset:384
	s_waitcnt vmcnt(0) lgkmcnt(0)
	v_mul_f16_e32 v28, s19, v0
	v_mul_f16_e32 v29, s19, v1
.LBB272_32:                             ;   in Loop: Header=BB272_33 Depth=1
	ds_read2_b64 v[8:11], v47 offset1:8
	ds_read2_b64 v[4:7], v47 offset0:16 offset1:24
	ds_read2_b64 v[0:3], v47 offset0:32 offset1:40
	ds_read2_b64 v[124:127], v50 offset1:32
	ds_read2_b64 v[12:15], v47 offset0:48 offset1:56
	ds_read2_b64 v[24:27], v50 offset0:64 offset1:96
	;; [unrolled: 1-line block ×4, first 2 shown]
	s_waitcnt lgkmcnt(4)
	v_pk_add_f16 v44, v8, v124
	v_pk_max_f16 v45, v114, v114
	v_pk_max_f16 v113, v113, v113
	v_pk_min_f16 v44, v45, v44
	v_pk_add_f16 v45, v10, v124
	v_pk_max_f16 v112, v112, v112
	v_pk_min_f16 v45, v113, v45
	v_pk_add_f16 v113, v4, v124
	;; [unrolled: 3-line block ×5, first 2 shown]
	v_pk_max_f16 v107, v107, v107
	v_pk_min_f16 v108, v108, v113
	s_waitcnt lgkmcnt(3)
	v_pk_add_f16 v113, v12, v124
	v_pk_max_f16 v106, v106, v106
	v_pk_min_f16 v107, v107, v113
	v_pk_add_f16 v113, v14, v124
	v_pk_max_f16 v105, v105, v105
	v_pk_min_f16 v106, v106, v113
	;; [unrolled: 3-line block ×10, first 2 shown]
	s_waitcnt lgkmcnt(2)
	v_pk_add_f16 v113, v8, v24
	v_pk_max_f16 v96, v96, v96
	v_pk_min_f16 v97, v97, v113
	v_pk_add_f16 v113, v10, v24
	v_pk_max_f16 v95, v95, v95
	v_pk_min_f16 v96, v96, v113
	v_pk_add_f16 v113, v4, v24
	v_pk_max_f16 v94, v94, v94
	v_pk_min_f16 v95, v95, v113
	v_pk_add_f16 v113, v6, v24
	v_pk_max_f16 v93, v93, v93
	v_pk_min_f16 v94, v94, v113
	v_pk_add_f16 v113, v0, v24
	v_pk_max_f16 v92, v92, v92
	v_pk_min_f16 v93, v93, v113
	v_pk_add_f16 v113, v2, v24
	v_pk_max_f16 v90, v90, v90
	v_pk_min_f16 v92, v92, v113
	v_pk_add_f16 v113, v12, v24
	v_pk_add_f16 v24, v14, v24
	v_pk_max_f16 v89, v89, v89
	v_pk_min_f16 v24, v90, v24
	v_pk_add_f16 v90, v8, v26
	v_pk_max_f16 v88, v88, v88
	v_pk_min_f16 v89, v89, v90
	;; [unrolled: 3-line block ×7, first 2 shown]
	v_pk_add_f16 v90, v12, v26
	v_pk_add_f16 v26, v14, v26
	v_pk_max_f16 v81, v81, v81
	v_pk_min_f16 v26, v82, v26
	s_waitcnt lgkmcnt(1)
	v_pk_add_f16 v82, v8, v20
	v_pk_max_f16 v80, v80, v80
	v_pk_min_f16 v81, v81, v82
	v_pk_add_f16 v82, v10, v20
	v_pk_max_f16 v79, v79, v79
	v_pk_min_f16 v80, v80, v82
	;; [unrolled: 3-line block ×6, first 2 shown]
	v_pk_add_f16 v82, v12, v20
	v_pk_add_f16 v20, v14, v20
	v_pk_max_f16 v73, v73, v73
	v_pk_min_f16 v20, v74, v20
	v_pk_add_f16 v74, v8, v22
	v_pk_max_f16 v72, v72, v72
	v_pk_min_f16 v73, v73, v74
	;; [unrolled: 3-line block ×7, first 2 shown]
	v_pk_add_f16 v74, v12, v22
	v_pk_add_f16 v22, v14, v22
	v_pk_max_f16 v65, v65, v65
	v_pk_min_f16 v22, v66, v22
	s_waitcnt lgkmcnt(0)
	v_pk_add_f16 v66, v8, v16
	v_pk_max_f16 v64, v64, v64
	v_pk_min_f16 v65, v65, v66
	v_pk_add_f16 v66, v10, v16
	v_pk_max_f16 v63, v63, v63
	v_pk_min_f16 v64, v64, v66
	;; [unrolled: 3-line block ×5, first 2 shown]
	v_pk_add_f16 v66, v2, v16
	v_pk_add_f16 v8, v8, v18
	v_pk_min_f16 v60, v60, v66
	v_pk_add_f16 v66, v12, v16
	v_pk_add_f16 v16, v14, v16
	;; [unrolled: 1-line block ×9, first 2 shown]
	v_pk_max_f16 v18, v52, v52
	v_pk_max_f16 v91, v91, v91
	v_pk_min_f16 v14, v18, v14
	v_pk_add_f16 v18, v9, v125
	v_pk_min_f16 v91, v91, v113
	v_pk_min_f16 v116, v44, v18
	v_pk_add_f16 v18, v11, v125
	v_pk_max_f16 v83, v83, v83
	v_pk_min_f16 v115, v45, v18
	v_pk_add_f16 v18, v5, v125
	v_pk_min_f16 v83, v83, v90
	v_pk_min_f16 v114, v112, v18
	v_pk_add_f16 v18, v7, v125
	;; [unrolled: 6-line block ×5, first 2 shown]
	v_pk_max_f16 v53, v53, v53
	v_pk_min_f16 v106, v104, v18
	v_pk_add_f16 v18, v5, v127
	v_pk_max_f16 v54, v54, v54
	v_pk_min_f16 v105, v103, v18
	v_pk_add_f16 v18, v7, v127
	v_pk_min_f16 v0, v53, v0
	v_pk_min_f16 v104, v102, v18
	v_pk_add_f16 v18, v1, v127
	v_pk_max_f16 v31, v31, v31
	v_pk_min_f16 v103, v101, v18
	v_pk_add_f16 v18, v3, v127
	v_pk_max_f16 v57, v57, v57
	;; [unrolled: 3-line block ×3, first 2 shown]
	v_pk_min_f16 v101, v99, v18
	v_pk_add_f16 v18, v15, v127
	v_pk_min_f16 v6, v54, v6
	v_pk_min_f16 v100, v98, v18
	v_pk_add_f16 v18, v9, v25
	v_pk_min_f16 v2, v31, v2
	v_pk_min_f16 v99, v97, v18
	v_pk_add_f16 v18, v11, v25
	v_pk_max_f16 v30, v30, v30
	v_pk_min_f16 v98, v96, v18
	v_pk_add_f16 v18, v5, v25
	v_pk_max_f16 v58, v58, v58
	v_pk_min_f16 v97, v95, v18
	v_pk_add_f16 v18, v7, v25
	v_pk_min_f16 v8, v57, v8
	v_pk_min_f16 v96, v94, v18
	v_pk_add_f16 v18, v1, v25
	v_pk_max_f16 v56, v56, v56
	v_pk_min_f16 v95, v93, v18
	v_pk_add_f16 v18, v3, v25
	v_pk_min_f16 v4, v55, v4
	v_pk_min_f16 v94, v92, v18
	v_pk_add_f16 v18, v13, v25
	v_pk_min_f16 v12, v30, v12
	;; [unrolled: 3-line block ×4, first 2 shown]
	v_pk_min_f16 v91, v89, v18
	v_pk_add_f16 v18, v11, v27
	s_add_i32 s2, s2, 8
	v_pk_min_f16 v90, v88, v18
	v_pk_add_f16 v18, v5, v27
	v_lshl_add_u64 v[34:35], v[34:35], 0, s[12:13]
	v_pk_min_f16 v89, v87, v18
	v_pk_add_f16 v18, v7, v27
	s_cmp_ge_i32 s2, s18
	v_pk_min_f16 v88, v86, v18
	v_pk_add_f16 v18, v1, v27
	v_lshl_add_u64 v[38:39], v[38:39], 0, s[20:21]
	v_pk_min_f16 v87, v85, v18
	v_pk_add_f16 v18, v3, v27
	ds_write_b16 v117, v121
	ds_write_b16 v118, v122
	ds_write_b16 v118, v123 offset:512
	ds_write_b16 v118, v28 offset:1024
	;; [unrolled: 1-line block ×3, first 2 shown]
	v_pk_min_f16 v86, v84, v18
	v_pk_add_f16 v18, v13, v27
	s_waitcnt lgkmcnt(0)
	v_pk_min_f16 v85, v83, v18
	v_pk_add_f16 v18, v15, v27
	s_barrier
	v_pk_min_f16 v84, v26, v18
	v_pk_add_f16 v18, v9, v21
	s_nop 0
	v_pk_min_f16 v83, v81, v18
	v_pk_add_f16 v18, v11, v21
	s_nop 0
	;; [unrolled: 3-line block ×16, first 2 shown]
	v_pk_min_f16 v68, v22, v18
	v_pk_add_f16 v18, v9, v17
	v_pk_add_f16 v9, v9, v19
	v_pk_min_f16 v67, v65, v18
	v_pk_add_f16 v18, v11, v17
	s_nop 0
	v_pk_min_f16 v66, v64, v18
	v_pk_add_f16 v18, v5, v17
	v_pk_add_f16 v5, v5, v19
	v_pk_min_f16 v65, v63, v18
	v_pk_add_f16 v18, v7, v17
	v_pk_min_f16 v56, v4, v5
	v_pk_min_f16 v64, v62, v18
	v_pk_add_f16 v18, v1, v17
	v_pk_add_f16 v1, v1, v19
	v_pk_min_f16 v63, v61, v18
	v_pk_add_f16 v18, v3, v17
	v_pk_min_f16 v54, v0, v1
	;; [unrolled: 2-line block ×6, first 2 shown]
	v_pk_add_f16 v8, v11, v19
	v_pk_add_f16 v4, v7, v19
	v_pk_min_f16 v53, v12, v0
	v_pk_add_f16 v0, v15, v19
	v_pk_min_f16 v60, v16, v17
	v_pk_min_f16 v57, v10, v8
	;; [unrolled: 1-line block ×4, first 2 shown]
	s_cbranch_scc1 .LBB272_47
.LBB272_33:                             ; =>This Inner Loop Header: Depth=1
	s_and_b64 vcc, exec, s[4:5]
	s_cbranch_vccnz .LBB272_37
; %bb.34:                               ;   in Loop: Header=BB272_33 Depth=1
	v_lshl_add_u64 v[0:1], v[34:35], 0, v[42:43]
	flat_load_ushort v0, v[0:1]
	s_waitcnt vmcnt(0) lgkmcnt(0)
	v_mul_f16_e32 v44, s19, v0
	s_and_b64 vcc, exec, s[4:5]
	v_lshl_add_u64 v[0:1], v[38:39], 0, v[40:41]
	s_cbranch_vccnz .LBB272_38
.LBB272_35:                             ;   in Loop: Header=BB272_33 Depth=1
	flat_load_ushort v2, v[0:1]
	flat_load_ushort v3, v[0:1] offset:128
	s_waitcnt vmcnt(0) lgkmcnt(0)
	v_mul_f16_e32 v45, s19, v2
	v_mul_f16_e32 v121, s19, v3
	s_and_b64 vcc, exec, s[4:5]
	s_cbranch_vccnz .LBB272_39
.LBB272_36:                             ;   in Loop: Header=BB272_33 Depth=1
	flat_load_ushort v2, v[0:1] offset:256
	flat_load_ushort v3, v[0:1] offset:384
	s_waitcnt vmcnt(0) lgkmcnt(0)
	v_mul_f16_e32 v122, s19, v2
	v_mul_f16_e32 v123, s19, v3
	s_branch .LBB272_40
.LBB272_37:                             ;   in Loop: Header=BB272_33 Depth=1
	v_mov_b32_e32 v44, 0
	s_and_b64 vcc, exec, s[4:5]
	v_lshl_add_u64 v[0:1], v[38:39], 0, v[40:41]
	s_cbranch_vccz .LBB272_35
.LBB272_38:                             ;   in Loop: Header=BB272_33 Depth=1
	v_mov_b32_e32 v45, 0
	v_mov_b32_e32 v121, 0
	s_and_b64 vcc, exec, s[4:5]
	s_cbranch_vccz .LBB272_36
.LBB272_39:                             ;   in Loop: Header=BB272_33 Depth=1
	v_mov_b32_e32 v122, 0
	v_mov_b32_e32 v123, 0
.LBB272_40:                             ;   in Loop: Header=BB272_33 Depth=1
	ds_read2_b64 v[12:15], v119 offset1:8
	ds_read2_b64 v[8:11], v119 offset0:16 offset1:24
	ds_read2_b64 v[4:7], v119 offset0:32 offset1:40
	;; [unrolled: 1-line block ×3, first 2 shown]
	ds_read2_b64 v[28:31], v120 offset1:32
	ds_read2_b64 v[24:27], v120 offset0:64 offset1:96
	ds_read2_b64 v[20:23], v120 offset0:128 offset1:160
	;; [unrolled: 1-line block ×3, first 2 shown]
	s_mov_b64 vcc, s[6:7]
	ds_write_b16 v109, v44
	ds_write_b16 v46, v45
	ds_write_b16 v46, v121 offset:512
	ds_write_b16 v46, v122 offset:1024
	ds_write_b16 v46, v123 offset:1536
	s_waitcnt lgkmcnt(0)
	s_barrier
	s_cbranch_vccz .LBB272_43
; %bb.41:                               ;   in Loop: Header=BB272_33 Depth=1
	v_lshl_add_u64 v[44:45], v[34:35], 0, v[32:33]
	flat_load_ushort v44, v[44:45]
	s_waitcnt vmcnt(0) lgkmcnt(0)
	v_mul_f16_e32 v121, s19, v44
	s_and_b64 vcc, exec, s[4:5]
	v_lshl_add_u64 v[44:45], v[38:39], 0, v[36:37]
	s_cbranch_vccnz .LBB272_44
.LBB272_42:                             ;   in Loop: Header=BB272_33 Depth=1
	flat_load_ushort v122, v[44:45]
	flat_load_ushort v123, v[44:45] offset:128
	s_waitcnt vmcnt(0) lgkmcnt(0)
	v_mul_f16_e32 v122, s19, v122
	v_mul_f16_e32 v123, s19, v123
	s_branch .LBB272_45
.LBB272_43:                             ;   in Loop: Header=BB272_33 Depth=1
	v_mov_b32_e32 v121, 0
	s_and_b64 vcc, exec, s[4:5]
	v_lshl_add_u64 v[44:45], v[38:39], 0, v[36:37]
	s_cbranch_vccz .LBB272_42
.LBB272_44:                             ;   in Loop: Header=BB272_33 Depth=1
	v_mov_b32_e32 v122, 0
	v_mov_b32_e32 v123, 0
.LBB272_45:                             ;   in Loop: Header=BB272_33 Depth=1
	v_pk_add_f16 v124, v12, v28
	v_pk_max_f16 v116, v116, v116
	v_pk_max_f16 v115, v115, v115
	v_pk_min_f16 v116, v116, v124
	v_pk_add_f16 v124, v14, v28
	v_pk_max_f16 v114, v114, v114
	v_pk_min_f16 v115, v115, v124
	v_pk_add_f16 v124, v8, v28
	v_pk_max_f16 v113, v113, v113
	v_pk_min_f16 v124, v114, v124
	v_pk_add_f16 v114, v10, v28
	v_pk_max_f16 v112, v112, v112
	v_pk_min_f16 v125, v113, v114
	v_pk_add_f16 v113, v4, v28
	v_pk_max_f16 v111, v111, v111
	v_pk_min_f16 v126, v112, v113
	v_pk_add_f16 v112, v6, v28
	v_pk_max_f16 v108, v108, v108
	v_pk_min_f16 v127, v111, v112
	v_pk_add_f16 v111, v0, v28
	v_pk_add_f16 v28, v2, v28
	v_pk_max_f16 v107, v107, v107
	v_pk_min_f16 v28, v108, v28
	v_pk_add_f16 v108, v12, v30
	v_pk_max_f16 v106, v106, v106
	v_pk_min_f16 v129, v107, v108
	v_pk_add_f16 v107, v14, v30
	v_pk_max_f16 v105, v105, v105
	v_pk_min_f16 v130, v106, v107
	v_pk_add_f16 v106, v8, v30
	v_pk_max_f16 v104, v104, v104
	v_pk_min_f16 v131, v105, v106
	v_pk_add_f16 v105, v10, v30
	v_pk_max_f16 v103, v103, v103
	v_pk_min_f16 v132, v104, v105
	v_pk_add_f16 v104, v4, v30
	v_pk_max_f16 v102, v102, v102
	v_pk_min_f16 v133, v103, v104
	v_pk_add_f16 v103, v6, v30
	v_pk_max_f16 v100, v100, v100
	v_pk_min_f16 v134, v102, v103
	v_pk_add_f16 v102, v0, v30
	v_pk_add_f16 v30, v2, v30
	v_pk_max_f16 v99, v99, v99
	v_pk_min_f16 v30, v100, v30
	v_pk_add_f16 v100, v12, v24
	;; [unrolled: 22-line block ×6, first 2 shown]
	v_pk_max_f16 v66, v66, v66
	v_pk_min_f16 v164, v67, v68
	v_pk_add_f16 v67, v14, v16
	v_pk_max_f16 v65, v65, v65
	v_pk_min_f16 v165, v66, v67
	v_pk_add_f16 v66, v8, v16
	;; [unrolled: 3-line block ×5, first 2 shown]
	v_pk_add_f16 v12, v12, v18
	v_pk_min_f16 v169, v62, v63
	v_pk_add_f16 v62, v0, v16
	v_pk_add_f16 v16, v2, v16
	;; [unrolled: 1-line block ×9, first 2 shown]
	v_pk_max_f16 v18, v58, v58
	v_pk_max_f16 v110, v110, v110
	v_pk_min_f16 v2, v18, v2
	v_pk_add_f16 v18, v13, v29
	v_pk_min_f16 v128, v110, v111
	v_pk_min_f16 v114, v116, v18
	v_pk_add_f16 v18, v15, v29
	v_pk_max_f16 v101, v101, v101
	v_pk_min_f16 v113, v115, v18
	v_pk_add_f16 v18, v9, v29
	v_pk_min_f16 v135, v101, v102
	v_pk_min_f16 v112, v124, v18
	v_pk_add_f16 v18, v11, v29
	;; [unrolled: 6-line block ×7, first 2 shown]
	v_pk_max_f16 v52, v52, v52
	v_pk_min_f16 v100, v134, v18
	v_pk_add_f16 v18, v1, v31
	v_pk_max_f16 v60, v60, v60
	v_pk_min_f16 v99, v135, v18
	v_pk_add_f16 v18, v3, v31
	;; [unrolled: 3-line block ×5, first 2 shown]
	v_pk_min_f16 v6, v52, v6
	v_pk_min_f16 v95, v138, v18
	v_pk_add_f16 v18, v11, v25
	v_pk_max_f16 v52, v53, v53
	v_pk_min_f16 v94, v139, v18
	v_pk_add_f16 v18, v5, v25
	v_pk_min_f16 v16, v60, v16
	v_pk_min_f16 v93, v140, v18
	v_pk_add_f16 v18, v7, v25
	v_pk_min_f16 v12, v59, v12
	v_pk_min_f16 v92, v141, v18
	v_pk_add_f16 v18, v1, v25
	v_pk_max_f16 v57, v57, v57
	v_pk_min_f16 v91, v142, v18
	v_pk_add_f16 v18, v3, v25
	v_pk_min_f16 v8, v56, v8
	v_pk_min_f16 v90, v24, v18
	v_pk_add_f16 v18, v13, v27
	v_pk_max_f16 v55, v55, v55
	v_pk_min_f16 v89, v143, v18
	v_pk_add_f16 v18, v15, v27
	v_pk_min_f16 v4, v54, v4
	v_pk_min_f16 v88, v144, v18
	v_pk_add_f16 v18, v9, v27
	v_pk_min_f16 v0, v52, v0
	;; [unrolled: 3-line block ×4, first 2 shown]
	v_pk_min_f16 v85, v147, v18
	v_pk_add_f16 v18, v7, v27
	s_and_b64 vcc, exec, s[4:5]
	v_pk_min_f16 v84, v148, v18
	v_pk_add_f16 v18, v1, v27
	s_nop 0
	v_pk_min_f16 v83, v149, v18
	v_pk_add_f16 v18, v3, v27
	s_nop 0
	;; [unrolled: 3-line block ×18, first 2 shown]
	v_pk_min_f16 v66, v22, v18
	v_pk_add_f16 v18, v13, v17
	v_pk_add_f16 v13, v13, v19
	v_pk_min_f16 v65, v164, v18
	v_pk_add_f16 v18, v15, v17
	v_pk_min_f16 v57, v12, v13
	v_pk_min_f16 v64, v165, v18
	v_pk_add_f16 v18, v9, v17
	v_pk_add_f16 v9, v9, v19
	v_pk_min_f16 v63, v166, v18
	v_pk_add_f16 v18, v11, v17
	v_pk_add_f16 v12, v15, v19
	;; [unrolled: 3-line block ×3, first 2 shown]
	v_pk_min_f16 v61, v168, v18
	v_pk_add_f16 v18, v7, v17
	v_pk_min_f16 v55, v8, v9
	v_pk_min_f16 v60, v169, v18
	v_pk_add_f16 v18, v1, v17
	v_pk_add_f16 v1, v1, v19
	;; [unrolled: 1-line block ×4, first 2 shown]
	v_pk_min_f16 v53, v4, v5
	v_pk_add_f16 v4, v7, v19
	v_pk_min_f16 v30, v0, v1
	v_pk_add_f16 v0, v3, v19
	v_pk_min_f16 v59, v170, v18
	v_pk_min_f16 v58, v16, v17
	;; [unrolled: 1-line block ×6, first 2 shown]
	s_cbranch_vccz .LBB272_31
; %bb.46:                               ;   in Loop: Header=BB272_33 Depth=1
	v_mov_b32_e32 v28, 0
	v_mov_b32_e32 v29, 0
	s_branch .LBB272_32
.LBB272_47:
	s_load_dword s6, s[0:1], 0x50
	ds_read_b64 v[30:31], v51 offset:4608
	ds_read_b64 v[46:47], v50 offset:2048
	v_add_u32_e32 v109, s31, v49
	v_cmp_neq_f16_e64 s[4:5], s16, 0
	v_add_u32_e32 v28, s30, v48
	s_waitcnt lgkmcnt(0)
	v_mad_i64_i32 v[0:1], s[12:13], v109, s6, 0
	v_ashrrev_i32_e32 v29, 31, v28
	v_lshl_add_u64 v[48:49], v[0:1], 1, s[10:11]
	s_and_b64 vcc, exec, s[4:5]
	v_mov_b32_e32 v36, 0
	v_mov_b32_e32 v34, 0
	s_cbranch_vccz .LBB272_49
; %bb.48:
	v_lshl_add_u64 v[0:1], v[28:29], 1, v[48:49]
	flat_load_ushort v0, v[0:1]
	s_waitcnt vmcnt(0) lgkmcnt(0)
	v_mul_f16_e32 v34, s16, v0
.LBB272_49:
	v_add_u32_e32 v0, 0x1000, v51
	ds_read2_b64 v[8:11], v0 offset0:72 offset1:80
	ds_read2_b64 v[4:7], v0 offset0:88 offset1:96
	;; [unrolled: 1-line block ×3, first 2 shown]
	ds_read_b64 v[24:25], v51 offset:5056
	s_load_dword s7, s[0:1], 0x68
	s_load_dwordx2 s[12:13], s[0:1], 0x70
	v_add_u32_e32 v12, 0x800, v50
	ds_read2_b64 v[20:23], v12 offset0:32 offset1:64
	ds_read2_b64 v[16:19], v12 offset0:96 offset1:128
	;; [unrolled: 1-line block ×3, first 2 shown]
	ds_read_b64 v[26:27], v50 offset:3840
	v_pk_add_f16 v32, v30, v46
	v_pk_max_f16 v33, v116, v116
	s_waitcnt lgkmcnt(0)
	s_mul_i32 s0, s3, s13
	s_mul_hi_u32 s1, s3, s12
	s_add_i32 s0, s1, s0
	s_mul_i32 s1, s17, s12
	s_add_i32 s1, s0, s1
	s_mul_i32 s0, s3, s12
	s_lshl_b64 s[0:1], s[0:1], 1
	s_add_u32 s2, s14, s0
	v_pk_min_f16 v32, v33, v32
	v_pk_add_f16 v33, v31, v47
	s_addc_u32 s3, s15, s1
	v_pk_min_f16 v35, v32, v33
	v_mad_i64_i32 v[38:39], s[0:1], v109, s7, 0
	v_add_u32_e32 v32, 8, v28
	v_lshl_add_u64 v[50:51], v[38:39], 1, s[2:3]
	v_lshrrev_b32_e32 v37, 16, v35
	v_cndmask_b32_e64 v38, 0, 1, s[4:5]
	v_ashrrev_i32_e32 v33, 31, v32
	v_min3_f16 v37, v34, v35, v37
	v_lshl_add_u64 v[34:35], v[28:29], 1, v[50:51]
	v_cmp_ne_u32_e64 s[0:1], 1, v38
	s_andn2_b64 vcc, exec, s[4:5]
	global_store_short v[34:35], v37, off
	s_cbranch_vccnz .LBB272_51
; %bb.50:
	v_lshl_add_u64 v[34:35], v[32:33], 1, v[48:49]
	flat_load_ushort v34, v[34:35]
	s_waitcnt vmcnt(0) lgkmcnt(0)
	v_mul_f16_e32 v36, s16, v34
.LBB272_51:
	v_pk_add_f16 v34, v8, v46
	v_pk_max_f16 v35, v115, v115
	s_and_b64 vcc, exec, s[0:1]
	v_pk_min_f16 v34, v35, v34
	v_pk_add_f16 v35, v9, v47
	v_mov_b32_e32 v39, 0
	v_pk_min_f16 v37, v34, v35
	v_add_u32_e32 v34, 16, v28
	v_lshrrev_b32_e32 v38, 16, v37
	v_min3_f16 v38, v36, v37, v38
	v_lshl_add_u64 v[36:37], v[32:33], 1, v[50:51]
	v_ashrrev_i32_e32 v35, 31, v34
	global_store_short v[36:37], v38, off
	v_mov_b32_e32 v38, 0
	s_cbranch_vccnz .LBB272_53
; %bb.52:
	v_lshl_add_u64 v[36:37], v[34:35], 1, v[48:49]
	flat_load_ushort v36, v[36:37]
	s_waitcnt vmcnt(0) lgkmcnt(0)
	v_mul_f16_e32 v39, s16, v36
.LBB272_53:
	v_pk_add_f16 v36, v10, v46
	v_pk_max_f16 v37, v114, v114
	s_and_b64 vcc, exec, s[0:1]
	v_pk_min_f16 v36, v37, v36
	v_pk_add_f16 v37, v11, v47
	s_nop 0
	v_pk_min_f16 v40, v36, v37
	v_add_u32_e32 v36, 24, v28
	v_lshrrev_b32_e32 v41, 16, v40
	v_ashrrev_i32_e32 v37, 31, v36
	v_min3_f16 v39, v39, v40, v41
	v_lshl_add_u64 v[40:41], v[34:35], 1, v[50:51]
	global_store_short v[40:41], v39, off
	s_cbranch_vccnz .LBB272_55
; %bb.54:
	v_lshl_add_u64 v[38:39], v[36:37], 1, v[48:49]
	flat_load_ushort v38, v[38:39]
	s_waitcnt vmcnt(0) lgkmcnt(0)
	v_mul_f16_e32 v38, s16, v38
.LBB272_55:
	v_pk_add_f16 v39, v4, v46
	v_pk_max_f16 v40, v113, v113
	v_add_u32_e32 v44, 32, v28
	v_pk_min_f16 v39, v40, v39
	v_pk_add_f16 v40, v5, v47
	v_ashrrev_i32_e32 v45, 31, v44
	v_pk_min_f16 v39, v39, v40
	s_and_b64 vcc, exec, s[0:1]
	v_lshrrev_b32_e32 v40, 16, v39
	v_min3_f16 v40, v38, v39, v40
	v_lshl_add_u64 v[38:39], v[36:37], 1, v[50:51]
	global_store_short v[38:39], v40, off
	v_mov_b32_e32 v38, 0
	v_mov_b32_e32 v39, 0
	s_cbranch_vccnz .LBB272_57
; %bb.56:
	v_lshl_add_u64 v[40:41], v[44:45], 1, v[48:49]
	flat_load_ushort v39, v[40:41]
	s_waitcnt vmcnt(0) lgkmcnt(0)
	v_mul_f16_e32 v39, s16, v39
.LBB272_57:
	v_pk_add_f16 v40, v6, v46
	v_pk_max_f16 v41, v112, v112
	v_add_u32_e32 v42, 40, v28
	v_pk_min_f16 v40, v41, v40
	v_pk_add_f16 v41, v7, v47
	v_ashrrev_i32_e32 v43, 31, v42
	v_pk_min_f16 v40, v40, v41
	s_and_b64 vcc, exec, s[0:1]
	v_lshrrev_b32_e32 v41, 16, v40
	v_min3_f16 v39, v39, v40, v41
	v_lshl_add_u64 v[40:41], v[44:45], 1, v[50:51]
	global_store_short v[40:41], v39, off
	s_cbranch_vccnz .LBB272_59
; %bb.58:
	v_lshl_add_u64 v[38:39], v[42:43], 1, v[48:49]
	flat_load_ushort v38, v[38:39]
	s_waitcnt vmcnt(0) lgkmcnt(0)
	v_mul_f16_e32 v38, s16, v38
.LBB272_59:
	v_pk_add_f16 v39, v0, v46
	v_pk_max_f16 v40, v111, v111
	s_and_b64 vcc, exec, s[0:1]
	v_pk_min_f16 v39, v40, v39
	v_pk_add_f16 v40, v1, v47
	v_mov_b32_e32 v112, 0
	v_pk_min_f16 v39, v39, v40
	v_add_u32_e32 v40, 48, v28
	v_lshrrev_b32_e32 v111, 16, v39
	v_min3_f16 v111, v38, v39, v111
	v_lshl_add_u64 v[38:39], v[42:43], 1, v[50:51]
	v_ashrrev_i32_e32 v41, 31, v40
	global_store_short v[38:39], v111, off
	v_mov_b32_e32 v111, 0
	s_cbranch_vccnz .LBB272_61
; %bb.60:
	v_lshl_add_u64 v[38:39], v[40:41], 1, v[48:49]
	flat_load_ushort v38, v[38:39]
	s_waitcnt vmcnt(0) lgkmcnt(0)
	v_mul_f16_e32 v112, s16, v38
.LBB272_61:
	v_pk_add_f16 v38, v2, v46
	v_pk_max_f16 v39, v110, v110
	s_and_b64 vcc, exec, s[0:1]
	v_pk_min_f16 v38, v39, v38
	v_pk_add_f16 v39, v3, v47
	s_nop 0
	v_pk_min_f16 v110, v38, v39
	v_add_u32_e32 v38, 56, v28
	v_lshrrev_b32_e32 v113, 16, v110
	v_ashrrev_i32_e32 v39, 31, v38
	v_min3_f16 v110, v112, v110, v113
	v_lshl_add_u64 v[112:113], v[40:41], 1, v[50:51]
	global_store_short v[112:113], v110, off
	s_cbranch_vccnz .LBB272_63
; %bb.62:
	v_lshl_add_u64 v[48:49], v[38:39], 1, v[48:49]
	flat_load_ushort v48, v[48:49]
	s_waitcnt vmcnt(0) lgkmcnt(0)
	v_mul_f16_e32 v111, s16, v48
.LBB272_63:
	v_pk_add_f16 v46, v24, v46
	v_pk_max_f16 v48, v108, v108
	v_pk_add_f16 v47, v25, v47
	v_pk_min_f16 v46, v48, v46
	s_and_b64 vcc, exec, s[0:1]
	v_pk_min_f16 v46, v46, v47
	s_nop 0
	v_lshrrev_b32_e32 v47, 16, v46
	v_min3_f16 v48, v111, v46, v47
	v_lshl_add_u64 v[46:47], v[38:39], 1, v[50:51]
	global_store_short v[46:47], v48, off
	v_add_u32_e32 v48, 32, v109
	v_mad_i64_i32 v[46:47], s[4:5], v48, s6, 0
	v_lshl_add_u64 v[46:47], v[46:47], 1, s[10:11]
	v_mov_b32_e32 v50, 0
	v_mov_b32_e32 v51, 0
	s_cbranch_vccnz .LBB272_65
; %bb.64:
	v_lshl_add_u64 v[110:111], v[28:29], 1, v[46:47]
	flat_load_ushort v49, v[110:111]
	s_waitcnt vmcnt(0) lgkmcnt(0)
	v_mul_f16_e32 v51, s16, v49
.LBB272_65:
	v_pk_add_f16 v49, v30, v20
	v_pk_max_f16 v107, v107, v107
	s_and_b64 vcc, exec, s[0:1]
	v_pk_min_f16 v49, v107, v49
	v_pk_add_f16 v107, v31, v21
	s_nop 0
	v_pk_min_f16 v107, v49, v107
	v_mad_i64_i32 v[48:49], s[4:5], v48, s7, 0
	v_lshl_add_u64 v[48:49], v[48:49], 1, s[2:3]
	v_lshrrev_b32_e32 v108, 16, v107
	v_min3_f16 v51, v51, v107, v108
	v_lshl_add_u64 v[110:111], v[28:29], 1, v[48:49]
	global_store_short v[110:111], v51, off
	s_cbranch_vccnz .LBB272_67
; %bb.66:
	v_lshl_add_u64 v[50:51], v[32:33], 1, v[46:47]
	flat_load_ushort v50, v[50:51]
	s_waitcnt vmcnt(0) lgkmcnt(0)
	v_mul_f16_e32 v50, s16, v50
.LBB272_67:
	v_pk_add_f16 v51, v8, v20
	v_pk_max_f16 v106, v106, v106
	s_and_b64 vcc, exec, s[0:1]
	v_pk_min_f16 v51, v106, v51
	v_pk_add_f16 v106, v9, v21
	s_nop 0
	v_pk_min_f16 v51, v51, v106
	s_nop 0
	v_lshrrev_b32_e32 v106, 16, v51
	v_min3_f16 v106, v50, v51, v106
	v_lshl_add_u64 v[50:51], v[32:33], 1, v[48:49]
	global_store_short v[50:51], v106, off
	v_mov_b32_e32 v50, 0
	v_mov_b32_e32 v51, 0
	s_cbranch_vccnz .LBB272_69
; %bb.68:
	v_lshl_add_u64 v[106:107], v[34:35], 1, v[46:47]
	flat_load_ushort v51, v[106:107]
	s_waitcnt vmcnt(0) lgkmcnt(0)
	v_mul_f16_e32 v51, s16, v51
.LBB272_69:
	v_pk_add_f16 v106, v10, v20
	v_pk_max_f16 v105, v105, v105
	s_and_b64 vcc, exec, s[0:1]
	v_pk_min_f16 v105, v105, v106
	v_pk_add_f16 v106, v11, v21
	s_nop 0
	v_pk_min_f16 v105, v105, v106
	s_nop 0
	v_lshrrev_b32_e32 v106, 16, v105
	v_min3_f16 v51, v51, v105, v106
	v_lshl_add_u64 v[106:107], v[34:35], 1, v[48:49]
	global_store_short v[106:107], v51, off
	s_cbranch_vccnz .LBB272_71
; %bb.70:
	v_lshl_add_u64 v[50:51], v[36:37], 1, v[46:47]
	flat_load_ushort v50, v[50:51]
	s_waitcnt vmcnt(0) lgkmcnt(0)
	v_mul_f16_e32 v50, s16, v50
.LBB272_71:
	v_pk_add_f16 v51, v4, v20
	v_pk_max_f16 v104, v104, v104
	s_and_b64 vcc, exec, s[0:1]
	v_pk_min_f16 v51, v104, v51
	v_pk_add_f16 v104, v5, v21
	s_nop 0
	v_pk_min_f16 v51, v51, v104
	s_nop 0
	v_lshrrev_b32_e32 v104, 16, v51
	v_min3_f16 v104, v50, v51, v104
	v_lshl_add_u64 v[50:51], v[36:37], 1, v[48:49]
	global_store_short v[50:51], v104, off
	v_mov_b32_e32 v50, 0
	v_mov_b32_e32 v51, 0
	s_cbranch_vccnz .LBB272_73
; %bb.72:
	v_lshl_add_u64 v[104:105], v[44:45], 1, v[46:47]
	flat_load_ushort v51, v[104:105]
	s_waitcnt vmcnt(0) lgkmcnt(0)
	v_mul_f16_e32 v51, s16, v51
.LBB272_73:
	v_pk_add_f16 v104, v6, v20
	v_pk_max_f16 v103, v103, v103
	s_and_b64 vcc, exec, s[0:1]
	v_pk_min_f16 v103, v103, v104
	v_pk_add_f16 v104, v7, v21
	s_nop 0
	v_pk_min_f16 v103, v103, v104
	s_nop 0
	;; [unrolled: 40-line block ×3, first 2 shown]
	v_lshrrev_b32_e32 v102, 16, v101
	v_min3_f16 v51, v51, v101, v102
	v_lshl_add_u64 v[102:103], v[40:41], 1, v[48:49]
	global_store_short v[102:103], v51, off
	s_cbranch_vccnz .LBB272_79
; %bb.78:
	v_lshl_add_u64 v[46:47], v[38:39], 1, v[46:47]
	flat_load_ushort v46, v[46:47]
	s_waitcnt vmcnt(0) lgkmcnt(0)
	v_mul_f16_e32 v50, s16, v46
.LBB272_79:
	v_pk_add_f16 v20, v24, v20
	v_pk_max_f16 v46, v100, v100
	v_pk_add_f16 v21, v25, v21
	v_pk_min_f16 v20, v46, v20
	s_and_b64 vcc, exec, s[0:1]
	v_pk_min_f16 v20, v20, v21
	s_nop 0
	v_lshrrev_b32_e32 v21, 16, v20
	v_min3_f16 v46, v50, v20, v21
	v_lshl_add_u64 v[20:21], v[38:39], 1, v[48:49]
	global_store_short v[20:21], v46, off
	v_add_u32_e32 v46, 64, v109
	v_mad_i64_i32 v[20:21], s[4:5], v46, s6, 0
	v_lshl_add_u64 v[20:21], v[20:21], 1, s[10:11]
	v_mov_b32_e32 v48, 0
	v_mov_b32_e32 v49, 0
	s_cbranch_vccnz .LBB272_81
; %bb.80:
	v_lshl_add_u64 v[50:51], v[28:29], 1, v[20:21]
	flat_load_ushort v47, v[50:51]
	s_waitcnt vmcnt(0) lgkmcnt(0)
	v_mul_f16_e32 v49, s16, v47
.LBB272_81:
	v_pk_add_f16 v47, v30, v22
	v_pk_max_f16 v50, v99, v99
	s_and_b64 vcc, exec, s[0:1]
	v_pk_min_f16 v47, v50, v47
	v_pk_add_f16 v50, v31, v23
	s_nop 0
	v_pk_min_f16 v50, v47, v50
	v_mad_i64_i32 v[46:47], s[4:5], v46, s7, 0
	v_lshl_add_u64 v[46:47], v[46:47], 1, s[2:3]
	v_lshrrev_b32_e32 v51, 16, v50
	v_min3_f16 v49, v49, v50, v51
	v_lshl_add_u64 v[50:51], v[28:29], 1, v[46:47]
	global_store_short v[50:51], v49, off
	s_cbranch_vccnz .LBB272_83
; %bb.82:
	v_lshl_add_u64 v[48:49], v[32:33], 1, v[20:21]
	flat_load_ushort v48, v[48:49]
	s_waitcnt vmcnt(0) lgkmcnt(0)
	v_mul_f16_e32 v48, s16, v48
.LBB272_83:
	v_pk_add_f16 v49, v8, v22
	v_pk_max_f16 v50, v98, v98
	s_and_b64 vcc, exec, s[0:1]
	v_pk_min_f16 v49, v50, v49
	v_pk_add_f16 v50, v9, v23
	s_nop 0
	v_pk_min_f16 v49, v49, v50
	s_nop 0
	v_lshrrev_b32_e32 v50, 16, v49
	v_min3_f16 v50, v48, v49, v50
	v_lshl_add_u64 v[48:49], v[32:33], 1, v[46:47]
	global_store_short v[48:49], v50, off
	v_mov_b32_e32 v48, 0
	v_mov_b32_e32 v49, 0
	s_cbranch_vccnz .LBB272_85
; %bb.84:
	v_lshl_add_u64 v[50:51], v[34:35], 1, v[20:21]
	flat_load_ushort v49, v[50:51]
	s_waitcnt vmcnt(0) lgkmcnt(0)
	v_mul_f16_e32 v49, s16, v49
.LBB272_85:
	v_pk_add_f16 v50, v10, v22
	v_pk_max_f16 v51, v97, v97
	s_and_b64 vcc, exec, s[0:1]
	v_pk_min_f16 v50, v51, v50
	v_pk_add_f16 v51, v11, v23
	s_nop 0
	v_pk_min_f16 v50, v50, v51
	s_nop 0
	v_lshrrev_b32_e32 v51, 16, v50
	v_min3_f16 v49, v49, v50, v51
	v_lshl_add_u64 v[50:51], v[34:35], 1, v[46:47]
	global_store_short v[50:51], v49, off
	s_cbranch_vccnz .LBB272_87
; %bb.86:
	v_lshl_add_u64 v[48:49], v[36:37], 1, v[20:21]
	flat_load_ushort v48, v[48:49]
	s_waitcnt vmcnt(0) lgkmcnt(0)
	v_mul_f16_e32 v48, s16, v48
.LBB272_87:
	v_pk_add_f16 v49, v4, v22
	v_pk_max_f16 v50, v96, v96
	s_and_b64 vcc, exec, s[0:1]
	v_pk_min_f16 v49, v50, v49
	v_pk_add_f16 v50, v5, v23
	s_nop 0
	v_pk_min_f16 v49, v49, v50
	s_nop 0
	v_lshrrev_b32_e32 v50, 16, v49
	v_min3_f16 v50, v48, v49, v50
	v_lshl_add_u64 v[48:49], v[36:37], 1, v[46:47]
	global_store_short v[48:49], v50, off
	v_mov_b32_e32 v48, 0
	v_mov_b32_e32 v49, 0
	s_cbranch_vccnz .LBB272_89
; %bb.88:
	v_lshl_add_u64 v[50:51], v[44:45], 1, v[20:21]
	flat_load_ushort v49, v[50:51]
	s_waitcnt vmcnt(0) lgkmcnt(0)
	v_mul_f16_e32 v49, s16, v49
.LBB272_89:
	v_pk_add_f16 v50, v6, v22
	v_pk_max_f16 v51, v95, v95
	s_and_b64 vcc, exec, s[0:1]
	v_pk_min_f16 v50, v51, v50
	v_pk_add_f16 v51, v7, v23
	s_nop 0
	v_pk_min_f16 v50, v50, v51
	s_nop 0
	;; [unrolled: 40-line block ×3, first 2 shown]
	v_lshrrev_b32_e32 v51, 16, v50
	v_min3_f16 v49, v49, v50, v51
	v_lshl_add_u64 v[50:51], v[40:41], 1, v[46:47]
	global_store_short v[50:51], v49, off
	s_cbranch_vccnz .LBB272_95
; %bb.94:
	v_lshl_add_u64 v[20:21], v[38:39], 1, v[20:21]
	flat_load_ushort v20, v[20:21]
	s_waitcnt vmcnt(0) lgkmcnt(0)
	v_mul_f16_e32 v48, s16, v20
.LBB272_95:
	v_pk_add_f16 v20, v24, v22
	v_pk_max_f16 v21, v92, v92
	s_and_b64 vcc, exec, s[0:1]
	v_pk_min_f16 v20, v21, v20
	v_pk_add_f16 v21, v25, v23
	s_nop 0
	v_pk_min_f16 v20, v20, v21
	s_nop 0
	v_lshrrev_b32_e32 v21, 16, v20
	v_min3_f16 v22, v48, v20, v21
	v_lshl_add_u64 v[20:21], v[38:39], 1, v[46:47]
	global_store_short v[20:21], v22, off
	v_add_u32_e32 v22, 0x60, v109
	v_mad_i64_i32 v[20:21], s[4:5], v22, s6, 0
	v_lshl_add_u64 v[20:21], v[20:21], 1, s[10:11]
	v_mov_b32_e32 v46, 0
	v_mov_b32_e32 v47, 0
	s_cbranch_vccnz .LBB272_97
; %bb.96:
	v_lshl_add_u64 v[48:49], v[28:29], 1, v[20:21]
	flat_load_ushort v23, v[48:49]
	s_waitcnt vmcnt(0) lgkmcnt(0)
	v_mul_f16_e32 v47, s16, v23
.LBB272_97:
	v_pk_add_f16 v23, v30, v16
	v_pk_max_f16 v48, v91, v91
	s_and_b64 vcc, exec, s[0:1]
	v_pk_min_f16 v23, v48, v23
	v_pk_add_f16 v48, v31, v17
	s_nop 0
	v_pk_min_f16 v48, v23, v48
	v_mad_i64_i32 v[22:23], s[4:5], v22, s7, 0
	v_lshl_add_u64 v[22:23], v[22:23], 1, s[2:3]
	v_lshrrev_b32_e32 v49, 16, v48
	v_min3_f16 v47, v47, v48, v49
	v_lshl_add_u64 v[48:49], v[28:29], 1, v[22:23]
	global_store_short v[48:49], v47, off
	s_cbranch_vccnz .LBB272_99
; %bb.98:
	v_lshl_add_u64 v[46:47], v[32:33], 1, v[20:21]
	flat_load_ushort v46, v[46:47]
	s_waitcnt vmcnt(0) lgkmcnt(0)
	v_mul_f16_e32 v46, s16, v46
.LBB272_99:
	v_pk_add_f16 v47, v8, v16
	v_pk_max_f16 v48, v90, v90
	s_and_b64 vcc, exec, s[0:1]
	v_pk_min_f16 v47, v48, v47
	v_pk_add_f16 v48, v9, v17
	s_nop 0
	v_pk_min_f16 v47, v47, v48
	s_nop 0
	v_lshrrev_b32_e32 v48, 16, v47
	v_min3_f16 v48, v46, v47, v48
	v_lshl_add_u64 v[46:47], v[32:33], 1, v[22:23]
	global_store_short v[46:47], v48, off
	v_mov_b32_e32 v46, 0
	v_mov_b32_e32 v47, 0
	s_cbranch_vccnz .LBB272_101
; %bb.100:
	v_lshl_add_u64 v[48:49], v[34:35], 1, v[20:21]
	flat_load_ushort v47, v[48:49]
	s_waitcnt vmcnt(0) lgkmcnt(0)
	v_mul_f16_e32 v47, s16, v47
.LBB272_101:
	v_pk_add_f16 v48, v10, v16
	v_pk_max_f16 v49, v89, v89
	s_and_b64 vcc, exec, s[0:1]
	v_pk_min_f16 v48, v49, v48
	v_pk_add_f16 v49, v11, v17
	s_nop 0
	v_pk_min_f16 v48, v48, v49
	s_nop 0
	v_lshrrev_b32_e32 v49, 16, v48
	v_min3_f16 v47, v47, v48, v49
	v_lshl_add_u64 v[48:49], v[34:35], 1, v[22:23]
	global_store_short v[48:49], v47, off
	s_cbranch_vccnz .LBB272_103
; %bb.102:
	v_lshl_add_u64 v[46:47], v[36:37], 1, v[20:21]
	flat_load_ushort v46, v[46:47]
	s_waitcnt vmcnt(0) lgkmcnt(0)
	v_mul_f16_e32 v46, s16, v46
.LBB272_103:
	v_pk_add_f16 v47, v4, v16
	v_pk_max_f16 v48, v88, v88
	s_and_b64 vcc, exec, s[0:1]
	v_pk_min_f16 v47, v48, v47
	v_pk_add_f16 v48, v5, v17
	s_nop 0
	v_pk_min_f16 v47, v47, v48
	s_nop 0
	v_lshrrev_b32_e32 v48, 16, v47
	v_min3_f16 v48, v46, v47, v48
	v_lshl_add_u64 v[46:47], v[36:37], 1, v[22:23]
	global_store_short v[46:47], v48, off
	v_mov_b32_e32 v46, 0
	v_mov_b32_e32 v47, 0
	s_cbranch_vccnz .LBB272_105
; %bb.104:
	v_lshl_add_u64 v[48:49], v[44:45], 1, v[20:21]
	flat_load_ushort v47, v[48:49]
	s_waitcnt vmcnt(0) lgkmcnt(0)
	v_mul_f16_e32 v47, s16, v47
.LBB272_105:
	v_pk_add_f16 v48, v6, v16
	v_pk_max_f16 v49, v87, v87
	s_and_b64 vcc, exec, s[0:1]
	v_pk_min_f16 v48, v49, v48
	v_pk_add_f16 v49, v7, v17
	s_nop 0
	v_pk_min_f16 v48, v48, v49
	s_nop 0
	;; [unrolled: 40-line block ×3, first 2 shown]
	v_lshrrev_b32_e32 v49, 16, v48
	v_min3_f16 v47, v47, v48, v49
	v_lshl_add_u64 v[48:49], v[40:41], 1, v[22:23]
	global_store_short v[48:49], v47, off
	s_cbranch_vccnz .LBB272_111
; %bb.110:
	v_lshl_add_u64 v[20:21], v[38:39], 1, v[20:21]
	flat_load_ushort v20, v[20:21]
	s_waitcnt vmcnt(0) lgkmcnt(0)
	v_mul_f16_e32 v46, s16, v20
.LBB272_111:
	v_pk_add_f16 v16, v24, v16
	v_pk_max_f16 v20, v84, v84
	v_pk_add_f16 v17, v25, v17
	v_pk_min_f16 v16, v20, v16
	s_and_b64 vcc, exec, s[0:1]
	v_pk_min_f16 v16, v16, v17
	s_nop 0
	v_lshrrev_b32_e32 v17, 16, v16
	v_min3_f16 v20, v46, v16, v17
	v_lshl_add_u64 v[16:17], v[38:39], 1, v[22:23]
	global_store_short v[16:17], v20, off
	v_add_u32_e32 v20, 0x80, v109
	v_mad_i64_i32 v[16:17], s[4:5], v20, s6, 0
	v_lshl_add_u64 v[16:17], v[16:17], 1, s[10:11]
	v_mov_b32_e32 v22, 0
	v_mov_b32_e32 v23, 0
	s_cbranch_vccnz .LBB272_113
; %bb.112:
	v_lshl_add_u64 v[46:47], v[28:29], 1, v[16:17]
	flat_load_ushort v21, v[46:47]
	s_waitcnt vmcnt(0) lgkmcnt(0)
	v_mul_f16_e32 v23, s16, v21
.LBB272_113:
	v_pk_add_f16 v21, v30, v18
	v_pk_max_f16 v46, v83, v83
	s_and_b64 vcc, exec, s[0:1]
	v_pk_min_f16 v21, v46, v21
	v_pk_add_f16 v46, v31, v19
	s_nop 0
	v_pk_min_f16 v46, v21, v46
	v_mad_i64_i32 v[20:21], s[4:5], v20, s7, 0
	v_lshl_add_u64 v[20:21], v[20:21], 1, s[2:3]
	v_lshrrev_b32_e32 v47, 16, v46
	v_min3_f16 v23, v23, v46, v47
	v_lshl_add_u64 v[46:47], v[28:29], 1, v[20:21]
	global_store_short v[46:47], v23, off
	s_cbranch_vccnz .LBB272_115
; %bb.114:
	v_lshl_add_u64 v[22:23], v[32:33], 1, v[16:17]
	flat_load_ushort v22, v[22:23]
	s_waitcnt vmcnt(0) lgkmcnt(0)
	v_mul_f16_e32 v22, s16, v22
.LBB272_115:
	v_pk_add_f16 v23, v8, v18
	v_pk_max_f16 v46, v82, v82
	s_and_b64 vcc, exec, s[0:1]
	v_pk_min_f16 v23, v46, v23
	v_pk_add_f16 v46, v9, v19
	s_nop 0
	v_pk_min_f16 v23, v23, v46
	s_nop 0
	v_lshrrev_b32_e32 v46, 16, v23
	v_min3_f16 v46, v22, v23, v46
	v_lshl_add_u64 v[22:23], v[32:33], 1, v[20:21]
	global_store_short v[22:23], v46, off
	v_mov_b32_e32 v22, 0
	v_mov_b32_e32 v23, 0
	s_cbranch_vccnz .LBB272_117
; %bb.116:
	v_lshl_add_u64 v[46:47], v[34:35], 1, v[16:17]
	flat_load_ushort v23, v[46:47]
	s_waitcnt vmcnt(0) lgkmcnt(0)
	v_mul_f16_e32 v23, s16, v23
.LBB272_117:
	v_pk_add_f16 v46, v10, v18
	v_pk_max_f16 v47, v81, v81
	s_and_b64 vcc, exec, s[0:1]
	v_pk_min_f16 v46, v47, v46
	v_pk_add_f16 v47, v11, v19
	s_nop 0
	v_pk_min_f16 v46, v46, v47
	s_nop 0
	v_lshrrev_b32_e32 v47, 16, v46
	v_min3_f16 v23, v23, v46, v47
	v_lshl_add_u64 v[46:47], v[34:35], 1, v[20:21]
	global_store_short v[46:47], v23, off
	s_cbranch_vccnz .LBB272_119
; %bb.118:
	v_lshl_add_u64 v[22:23], v[36:37], 1, v[16:17]
	flat_load_ushort v22, v[22:23]
	s_waitcnt vmcnt(0) lgkmcnt(0)
	v_mul_f16_e32 v22, s16, v22
.LBB272_119:
	v_pk_add_f16 v23, v4, v18
	v_pk_max_f16 v46, v80, v80
	s_and_b64 vcc, exec, s[0:1]
	v_pk_min_f16 v23, v46, v23
	v_pk_add_f16 v46, v5, v19
	s_nop 0
	v_pk_min_f16 v23, v23, v46
	s_nop 0
	v_lshrrev_b32_e32 v46, 16, v23
	v_min3_f16 v46, v22, v23, v46
	v_lshl_add_u64 v[22:23], v[36:37], 1, v[20:21]
	global_store_short v[22:23], v46, off
	v_mov_b32_e32 v22, 0
	v_mov_b32_e32 v23, 0
	s_cbranch_vccnz .LBB272_121
; %bb.120:
	v_lshl_add_u64 v[46:47], v[44:45], 1, v[16:17]
	flat_load_ushort v23, v[46:47]
	s_waitcnt vmcnt(0) lgkmcnt(0)
	v_mul_f16_e32 v23, s16, v23
.LBB272_121:
	v_pk_add_f16 v46, v6, v18
	v_pk_max_f16 v47, v79, v79
	s_and_b64 vcc, exec, s[0:1]
	v_pk_min_f16 v46, v47, v46
	v_pk_add_f16 v47, v7, v19
	s_nop 0
	v_pk_min_f16 v46, v46, v47
	s_nop 0
	;; [unrolled: 40-line block ×3, first 2 shown]
	v_lshrrev_b32_e32 v47, 16, v46
	v_min3_f16 v23, v23, v46, v47
	v_lshl_add_u64 v[46:47], v[40:41], 1, v[20:21]
	global_store_short v[46:47], v23, off
	s_cbranch_vccnz .LBB272_127
; %bb.126:
	v_lshl_add_u64 v[16:17], v[38:39], 1, v[16:17]
	flat_load_ushort v16, v[16:17]
	s_waitcnt vmcnt(0) lgkmcnt(0)
	v_mul_f16_e32 v22, s16, v16
.LBB272_127:
	v_pk_add_f16 v16, v24, v18
	v_pk_max_f16 v17, v76, v76
	s_and_b64 vcc, exec, s[0:1]
	v_pk_min_f16 v16, v17, v16
	v_pk_add_f16 v17, v25, v19
	s_nop 0
	v_pk_min_f16 v16, v16, v17
	s_nop 0
	v_lshrrev_b32_e32 v17, 16, v16
	v_min3_f16 v18, v22, v16, v17
	v_lshl_add_u64 v[16:17], v[38:39], 1, v[20:21]
	global_store_short v[16:17], v18, off
	v_add_u32_e32 v18, 0xa0, v109
	v_mad_i64_i32 v[16:17], s[4:5], v18, s6, 0
	v_lshl_add_u64 v[16:17], v[16:17], 1, s[10:11]
	v_mov_b32_e32 v20, 0
	v_mov_b32_e32 v21, 0
	s_cbranch_vccnz .LBB272_129
; %bb.128:
	v_lshl_add_u64 v[22:23], v[28:29], 1, v[16:17]
	flat_load_ushort v19, v[22:23]
	s_waitcnt vmcnt(0) lgkmcnt(0)
	v_mul_f16_e32 v21, s16, v19
.LBB272_129:
	v_pk_add_f16 v19, v30, v12
	v_pk_max_f16 v22, v75, v75
	s_and_b64 vcc, exec, s[0:1]
	v_pk_min_f16 v19, v22, v19
	v_pk_add_f16 v22, v31, v13
	s_nop 0
	v_pk_min_f16 v22, v19, v22
	v_mad_i64_i32 v[18:19], s[4:5], v18, s7, 0
	v_lshl_add_u64 v[18:19], v[18:19], 1, s[2:3]
	v_lshrrev_b32_e32 v23, 16, v22
	v_min3_f16 v21, v21, v22, v23
	v_lshl_add_u64 v[22:23], v[28:29], 1, v[18:19]
	global_store_short v[22:23], v21, off
	s_cbranch_vccnz .LBB272_131
; %bb.130:
	v_lshl_add_u64 v[20:21], v[32:33], 1, v[16:17]
	flat_load_ushort v20, v[20:21]
	s_waitcnt vmcnt(0) lgkmcnt(0)
	v_mul_f16_e32 v20, s16, v20
.LBB272_131:
	v_pk_add_f16 v21, v8, v12
	v_pk_max_f16 v22, v74, v74
	s_and_b64 vcc, exec, s[0:1]
	v_pk_min_f16 v21, v22, v21
	v_pk_add_f16 v22, v9, v13
	s_nop 0
	v_pk_min_f16 v21, v21, v22
	s_nop 0
	v_lshrrev_b32_e32 v22, 16, v21
	v_min3_f16 v22, v20, v21, v22
	v_lshl_add_u64 v[20:21], v[32:33], 1, v[18:19]
	global_store_short v[20:21], v22, off
	v_mov_b32_e32 v20, 0
	v_mov_b32_e32 v21, 0
	s_cbranch_vccnz .LBB272_133
; %bb.132:
	v_lshl_add_u64 v[22:23], v[34:35], 1, v[16:17]
	flat_load_ushort v21, v[22:23]
	s_waitcnt vmcnt(0) lgkmcnt(0)
	v_mul_f16_e32 v21, s16, v21
.LBB272_133:
	v_pk_add_f16 v22, v10, v12
	v_pk_max_f16 v23, v73, v73
	s_and_b64 vcc, exec, s[0:1]
	v_pk_min_f16 v22, v23, v22
	v_pk_add_f16 v23, v11, v13
	s_nop 0
	v_pk_min_f16 v22, v22, v23
	s_nop 0
	v_lshrrev_b32_e32 v23, 16, v22
	v_min3_f16 v21, v21, v22, v23
	v_lshl_add_u64 v[22:23], v[34:35], 1, v[18:19]
	global_store_short v[22:23], v21, off
	s_cbranch_vccnz .LBB272_135
; %bb.134:
	v_lshl_add_u64 v[20:21], v[36:37], 1, v[16:17]
	flat_load_ushort v20, v[20:21]
	s_waitcnt vmcnt(0) lgkmcnt(0)
	v_mul_f16_e32 v20, s16, v20
.LBB272_135:
	v_pk_add_f16 v21, v4, v12
	v_pk_max_f16 v22, v72, v72
	s_and_b64 vcc, exec, s[0:1]
	v_pk_min_f16 v21, v22, v21
	v_pk_add_f16 v22, v5, v13
	s_nop 0
	v_pk_min_f16 v21, v21, v22
	s_nop 0
	v_lshrrev_b32_e32 v22, 16, v21
	v_min3_f16 v22, v20, v21, v22
	v_lshl_add_u64 v[20:21], v[36:37], 1, v[18:19]
	global_store_short v[20:21], v22, off
	v_mov_b32_e32 v20, 0
	v_mov_b32_e32 v21, 0
	s_cbranch_vccnz .LBB272_137
; %bb.136:
	v_lshl_add_u64 v[22:23], v[44:45], 1, v[16:17]
	flat_load_ushort v21, v[22:23]
	s_waitcnt vmcnt(0) lgkmcnt(0)
	v_mul_f16_e32 v21, s16, v21
.LBB272_137:
	v_pk_add_f16 v22, v6, v12
	v_pk_max_f16 v23, v71, v71
	s_and_b64 vcc, exec, s[0:1]
	v_pk_min_f16 v22, v23, v22
	v_pk_add_f16 v23, v7, v13
	s_nop 0
	v_pk_min_f16 v22, v22, v23
	s_nop 0
	;; [unrolled: 40-line block ×3, first 2 shown]
	v_lshrrev_b32_e32 v23, 16, v22
	v_min3_f16 v21, v21, v22, v23
	v_lshl_add_u64 v[22:23], v[40:41], 1, v[18:19]
	global_store_short v[22:23], v21, off
	s_cbranch_vccnz .LBB272_143
; %bb.142:
	v_lshl_add_u64 v[16:17], v[38:39], 1, v[16:17]
	flat_load_ushort v16, v[16:17]
	s_waitcnt vmcnt(0) lgkmcnt(0)
	v_mul_f16_e32 v20, s16, v16
.LBB272_143:
	v_pk_add_f16 v12, v24, v12
	v_pk_max_f16 v16, v68, v68
	v_pk_add_f16 v13, v25, v13
	v_pk_min_f16 v12, v16, v12
	s_and_b64 vcc, exec, s[0:1]
	v_pk_min_f16 v12, v12, v13
	s_nop 0
	v_lshrrev_b32_e32 v13, 16, v12
	v_min3_f16 v16, v20, v12, v13
	v_lshl_add_u64 v[12:13], v[38:39], 1, v[18:19]
	global_store_short v[12:13], v16, off
	v_add_u32_e32 v16, 0xc0, v109
	v_mad_i64_i32 v[12:13], s[4:5], v16, s6, 0
	v_lshl_add_u64 v[12:13], v[12:13], 1, s[10:11]
	v_mov_b32_e32 v18, 0
	v_mov_b32_e32 v19, 0
	s_cbranch_vccnz .LBB272_145
; %bb.144:
	v_lshl_add_u64 v[20:21], v[28:29], 1, v[12:13]
	flat_load_ushort v17, v[20:21]
	s_waitcnt vmcnt(0) lgkmcnt(0)
	v_mul_f16_e32 v19, s16, v17
.LBB272_145:
	v_pk_add_f16 v17, v30, v14
	v_pk_max_f16 v20, v67, v67
	s_and_b64 vcc, exec, s[0:1]
	v_pk_min_f16 v17, v20, v17
	v_pk_add_f16 v20, v31, v15
	s_nop 0
	v_pk_min_f16 v20, v17, v20
	v_mad_i64_i32 v[16:17], s[4:5], v16, s7, 0
	v_lshl_add_u64 v[16:17], v[16:17], 1, s[2:3]
	v_lshrrev_b32_e32 v21, 16, v20
	v_min3_f16 v19, v19, v20, v21
	v_lshl_add_u64 v[20:21], v[28:29], 1, v[16:17]
	global_store_short v[20:21], v19, off
	s_cbranch_vccnz .LBB272_147
; %bb.146:
	v_lshl_add_u64 v[18:19], v[32:33], 1, v[12:13]
	flat_load_ushort v18, v[18:19]
	s_waitcnt vmcnt(0) lgkmcnt(0)
	v_mul_f16_e32 v18, s16, v18
.LBB272_147:
	v_pk_add_f16 v19, v8, v14
	v_pk_max_f16 v20, v66, v66
	s_and_b64 vcc, exec, s[0:1]
	v_pk_min_f16 v19, v20, v19
	v_pk_add_f16 v20, v9, v15
	s_nop 0
	v_pk_min_f16 v19, v19, v20
	s_nop 0
	v_lshrrev_b32_e32 v20, 16, v19
	v_min3_f16 v20, v18, v19, v20
	v_lshl_add_u64 v[18:19], v[32:33], 1, v[16:17]
	global_store_short v[18:19], v20, off
	v_mov_b32_e32 v18, 0
	v_mov_b32_e32 v19, 0
	s_cbranch_vccnz .LBB272_149
; %bb.148:
	v_lshl_add_u64 v[20:21], v[34:35], 1, v[12:13]
	flat_load_ushort v19, v[20:21]
	s_waitcnt vmcnt(0) lgkmcnt(0)
	v_mul_f16_e32 v19, s16, v19
.LBB272_149:
	v_pk_add_f16 v20, v10, v14
	v_pk_max_f16 v21, v65, v65
	s_and_b64 vcc, exec, s[0:1]
	v_pk_min_f16 v20, v21, v20
	v_pk_add_f16 v21, v11, v15
	s_nop 0
	v_pk_min_f16 v20, v20, v21
	s_nop 0
	v_lshrrev_b32_e32 v21, 16, v20
	v_min3_f16 v19, v19, v20, v21
	v_lshl_add_u64 v[20:21], v[34:35], 1, v[16:17]
	global_store_short v[20:21], v19, off
	s_cbranch_vccnz .LBB272_151
; %bb.150:
	v_lshl_add_u64 v[18:19], v[36:37], 1, v[12:13]
	flat_load_ushort v18, v[18:19]
	s_waitcnt vmcnt(0) lgkmcnt(0)
	v_mul_f16_e32 v18, s16, v18
.LBB272_151:
	v_pk_add_f16 v19, v4, v14
	v_pk_max_f16 v20, v64, v64
	s_and_b64 vcc, exec, s[0:1]
	v_pk_min_f16 v19, v20, v19
	v_pk_add_f16 v20, v5, v15
	s_nop 0
	v_pk_min_f16 v19, v19, v20
	s_nop 0
	v_lshrrev_b32_e32 v20, 16, v19
	v_min3_f16 v20, v18, v19, v20
	v_lshl_add_u64 v[18:19], v[36:37], 1, v[16:17]
	global_store_short v[18:19], v20, off
	v_mov_b32_e32 v18, 0
	v_mov_b32_e32 v19, 0
	s_cbranch_vccnz .LBB272_153
; %bb.152:
	v_lshl_add_u64 v[20:21], v[44:45], 1, v[12:13]
	flat_load_ushort v19, v[20:21]
	s_waitcnt vmcnt(0) lgkmcnt(0)
	v_mul_f16_e32 v19, s16, v19
.LBB272_153:
	v_pk_add_f16 v20, v6, v14
	v_pk_max_f16 v21, v63, v63
	s_and_b64 vcc, exec, s[0:1]
	v_pk_min_f16 v20, v21, v20
	v_pk_add_f16 v21, v7, v15
	s_nop 0
	v_pk_min_f16 v20, v20, v21
	s_nop 0
	;; [unrolled: 40-line block ×3, first 2 shown]
	v_lshrrev_b32_e32 v21, 16, v20
	v_min3_f16 v19, v19, v20, v21
	v_lshl_add_u64 v[20:21], v[40:41], 1, v[16:17]
	global_store_short v[20:21], v19, off
	s_cbranch_vccnz .LBB272_159
; %bb.158:
	v_lshl_add_u64 v[12:13], v[38:39], 1, v[12:13]
	flat_load_ushort v12, v[12:13]
	s_waitcnt vmcnt(0) lgkmcnt(0)
	v_mul_f16_e32 v18, s16, v12
.LBB272_159:
	v_pk_add_f16 v12, v24, v14
	v_pk_max_f16 v13, v60, v60
	s_and_b64 vcc, exec, s[0:1]
	v_pk_min_f16 v12, v13, v12
	v_pk_add_f16 v13, v25, v15
	s_nop 0
	v_pk_min_f16 v12, v12, v13
	s_nop 0
	v_lshrrev_b32_e32 v13, 16, v12
	v_min3_f16 v14, v18, v12, v13
	v_lshl_add_u64 v[12:13], v[38:39], 1, v[16:17]
	global_store_short v[12:13], v14, off
	v_add_u32_e32 v14, 0xe0, v109
	v_mad_i64_i32 v[12:13], s[4:5], v14, s6, 0
	v_lshl_add_u64 v[12:13], v[12:13], 1, s[10:11]
	v_mov_b32_e32 v16, 0
	v_mov_b32_e32 v17, 0
	s_cbranch_vccnz .LBB272_161
; %bb.160:
	v_lshl_add_u64 v[18:19], v[28:29], 1, v[12:13]
	flat_load_ushort v15, v[18:19]
	s_waitcnt vmcnt(0) lgkmcnt(0)
	v_mul_f16_e32 v17, s16, v15
.LBB272_161:
	v_pk_add_f16 v15, v30, v26
	v_pk_max_f16 v18, v59, v59
	s_and_b64 vcc, exec, s[0:1]
	v_pk_min_f16 v15, v18, v15
	v_pk_add_f16 v18, v31, v27
	s_nop 0
	v_pk_min_f16 v18, v15, v18
	v_mad_i64_i32 v[14:15], s[4:5], v14, s7, 0
	v_lshl_add_u64 v[14:15], v[14:15], 1, s[2:3]
	v_lshrrev_b32_e32 v19, 16, v18
	v_min3_f16 v17, v17, v18, v19
	v_lshl_add_u64 v[18:19], v[28:29], 1, v[14:15]
	global_store_short v[18:19], v17, off
	s_cbranch_vccnz .LBB272_163
; %bb.162:
	v_lshl_add_u64 v[16:17], v[32:33], 1, v[12:13]
	flat_load_ushort v16, v[16:17]
	s_waitcnt vmcnt(0) lgkmcnt(0)
	v_mul_f16_e32 v16, s16, v16
.LBB272_163:
	v_pk_add_f16 v8, v8, v26
	v_pk_max_f16 v17, v57, v57
	v_pk_add_f16 v9, v9, v27
	v_pk_min_f16 v8, v17, v8
	s_and_b64 vcc, exec, s[0:1]
	v_pk_min_f16 v8, v8, v9
	s_nop 0
	v_lshrrev_b32_e32 v9, 16, v8
	v_min3_f16 v16, v16, v8, v9
	v_lshl_add_u64 v[8:9], v[32:33], 1, v[14:15]
	global_store_short v[8:9], v16, off
	v_mov_b32_e32 v8, 0
	v_mov_b32_e32 v9, 0
	s_cbranch_vccnz .LBB272_165
; %bb.164:
	v_lshl_add_u64 v[16:17], v[34:35], 1, v[12:13]
	flat_load_ushort v9, v[16:17]
	s_waitcnt vmcnt(0) lgkmcnt(0)
	v_mul_f16_e32 v9, s16, v9
.LBB272_165:
	v_pk_add_f16 v10, v10, v26
	v_pk_max_f16 v16, v56, v56
	v_pk_add_f16 v11, v11, v27
	v_pk_min_f16 v10, v16, v10
	s_and_b64 vcc, exec, s[0:1]
	v_pk_min_f16 v10, v10, v11
	s_nop 0
	v_lshrrev_b32_e32 v11, 16, v10
	v_min3_f16 v9, v9, v10, v11
	v_lshl_add_u64 v[10:11], v[34:35], 1, v[14:15]
	global_store_short v[10:11], v9, off
	s_cbranch_vccnz .LBB272_167
; %bb.166:
	v_lshl_add_u64 v[8:9], v[36:37], 1, v[12:13]
	flat_load_ushort v8, v[8:9]
	s_waitcnt vmcnt(0) lgkmcnt(0)
	v_mul_f16_e32 v8, s16, v8
.LBB272_167:
	v_pk_add_f16 v4, v4, v26
	v_pk_max_f16 v9, v55, v55
	v_pk_add_f16 v5, v5, v27
	v_pk_min_f16 v4, v9, v4
	s_and_b64 vcc, exec, s[0:1]
	v_pk_min_f16 v4, v4, v5
	s_nop 0
	v_lshrrev_b32_e32 v5, 16, v4
	v_min3_f16 v8, v8, v4, v5
	v_lshl_add_u64 v[4:5], v[36:37], 1, v[14:15]
	global_store_short v[4:5], v8, off
	v_mov_b32_e32 v4, 0
	v_mov_b32_e32 v5, 0
	s_cbranch_vccnz .LBB272_169
; %bb.168:
	v_lshl_add_u64 v[8:9], v[44:45], 1, v[12:13]
	flat_load_ushort v5, v[8:9]
	s_waitcnt vmcnt(0) lgkmcnt(0)
	v_mul_f16_e32 v5, s16, v5
.LBB272_169:
	v_pk_add_f16 v6, v6, v26
	v_pk_max_f16 v8, v54, v54
	v_pk_add_f16 v7, v7, v27
	v_pk_min_f16 v6, v8, v6
	s_and_b64 vcc, exec, s[0:1]
	v_pk_min_f16 v6, v6, v7
	s_nop 0
	v_lshrrev_b32_e32 v7, 16, v6
	v_min3_f16 v5, v5, v6, v7
	v_lshl_add_u64 v[6:7], v[44:45], 1, v[14:15]
	global_store_short v[6:7], v5, off
	s_cbranch_vccnz .LBB272_171
; %bb.170:
	v_lshl_add_u64 v[4:5], v[42:43], 1, v[12:13]
	flat_load_ushort v4, v[4:5]
	s_waitcnt vmcnt(0) lgkmcnt(0)
	v_mul_f16_e32 v4, s16, v4
.LBB272_171:
	v_pk_add_f16 v0, v0, v26
	v_pk_max_f16 v5, v52, v52
	v_pk_add_f16 v2, v2, v26
	v_pk_min_f16 v0, v5, v0
	v_pk_max_f16 v5, v53, v53
	v_pk_add_f16 v1, v1, v27
	v_pk_min_f16 v2, v5, v2
	v_pk_min_f16 v0, v0, v1
	v_pk_add_f16 v1, v3, v27
	s_mov_b64 vcc, s[8:9]
	v_pk_min_f16 v2, v2, v1
	v_lshrrev_b32_e32 v1, 16, v0
	v_min3_f16 v3, v4, v0, v1
	v_lshl_add_u64 v[0:1], v[42:43], 1, v[14:15]
	global_store_short v[0:1], v3, off
	v_min_f16_sdwa v0, v2, v2 dst_sel:DWORD dst_unused:UNUSED_PAD src0_sel:DWORD src1_sel:WORD_1
	v_max_f16_e32 v0, v0, v0
	s_cbranch_vccz .LBB272_174
; %bb.172:
	v_min_f16_e32 v1, 0, v0
	v_lshl_add_u64 v[2:3], v[40:41], 1, v[14:15]
	s_mov_b32 s2, 0
	global_store_short v[2:3], v1, off
	s_cbranch_execz .LBB272_175
; %bb.173:
	v_mov_b32_e32 v0, s2
	s_branch .LBB272_176
.LBB272_174:
                                        ; implicit-def: $sgpr2
.LBB272_175:
	v_lshlrev_b64 v[2:3], 1, v[40:41]
	v_lshl_add_u64 v[4:5], v[12:13], 0, v[2:3]
	flat_load_ushort v1, v[4:5]
	v_lshl_add_u64 v[2:3], v[14:15], 0, v[2:3]
	s_waitcnt vmcnt(0) lgkmcnt(0)
	v_mul_f16_e32 v1, s16, v1
	v_min_f16_e32 v0, v1, v0
	global_store_short v[2:3], v0, off
	v_lshl_add_u64 v[0:1], v[38:39], 1, v[12:13]
	flat_load_ushort v0, v[0:1]
	s_waitcnt vmcnt(0) lgkmcnt(0)
	v_mul_f16_e32 v0, s16, v0
.LBB272_176:
	v_pk_add_f16 v1, v24, v26
	v_pk_max_f16 v2, v58, v58
	s_nop 0
	v_pk_min_f16 v1, v2, v1
	v_pk_add_f16 v2, v25, v27
	s_nop 0
	v_pk_min_f16 v1, v1, v2
	s_nop 0
	v_lshrrev_b32_e32 v2, 16, v1
	v_min3_f16 v2, v0, v1, v2
	v_lshl_add_u64 v[0:1], v[38:39], 1, v[14:15]
	global_store_short v[0:1], v2, off
	s_endpgm
	.section	.rodata,"a",@progbits
	.p2align	6, 0x0
	.amdhsa_kernel _ZN12_GLOBAL__N_120geam_min_plus_kernelIDF16_Dv2_DF16_S1_Li8ELi32ELi64ELi256ELi4ELi64ELi4ELi64ELi4ELc78ELc84ELb0ELb0ELb1EDF16_KDF16_DF16_EEviiiT16_PT17_ilS5_ilS3_S5_ilPT18_ili26rocblas_geam_ex_operation_
		.amdhsa_group_segment_fixed_size 5120
		.amdhsa_private_segment_fixed_size 0
		.amdhsa_kernarg_size 128
		.amdhsa_user_sgpr_count 2
		.amdhsa_user_sgpr_dispatch_ptr 0
		.amdhsa_user_sgpr_queue_ptr 0
		.amdhsa_user_sgpr_kernarg_segment_ptr 1
		.amdhsa_user_sgpr_dispatch_id 0
		.amdhsa_user_sgpr_kernarg_preload_length 0
		.amdhsa_user_sgpr_kernarg_preload_offset 0
		.amdhsa_user_sgpr_private_segment_size 0
		.amdhsa_uses_dynamic_stack 0
		.amdhsa_enable_private_segment 0
		.amdhsa_system_sgpr_workgroup_id_x 1
		.amdhsa_system_sgpr_workgroup_id_y 0
		.amdhsa_system_sgpr_workgroup_id_z 1
		.amdhsa_system_sgpr_workgroup_info 0
		.amdhsa_system_vgpr_workitem_id 1
		.amdhsa_next_free_vgpr 171
		.amdhsa_next_free_sgpr 32
		.amdhsa_accum_offset 172
		.amdhsa_reserve_vcc 1
		.amdhsa_float_round_mode_32 0
		.amdhsa_float_round_mode_16_64 0
		.amdhsa_float_denorm_mode_32 3
		.amdhsa_float_denorm_mode_16_64 3
		.amdhsa_dx10_clamp 1
		.amdhsa_ieee_mode 1
		.amdhsa_fp16_overflow 0
		.amdhsa_tg_split 0
		.amdhsa_exception_fp_ieee_invalid_op 0
		.amdhsa_exception_fp_denorm_src 0
		.amdhsa_exception_fp_ieee_div_zero 0
		.amdhsa_exception_fp_ieee_overflow 0
		.amdhsa_exception_fp_ieee_underflow 0
		.amdhsa_exception_fp_ieee_inexact 0
		.amdhsa_exception_int_div_zero 0
	.end_amdhsa_kernel
	.section	.text._ZN12_GLOBAL__N_120geam_min_plus_kernelIDF16_Dv2_DF16_S1_Li8ELi32ELi64ELi256ELi4ELi64ELi4ELi64ELi4ELc78ELc84ELb0ELb0ELb1EDF16_KDF16_DF16_EEviiiT16_PT17_ilS5_ilS3_S5_ilPT18_ili26rocblas_geam_ex_operation_,"axG",@progbits,_ZN12_GLOBAL__N_120geam_min_plus_kernelIDF16_Dv2_DF16_S1_Li8ELi32ELi64ELi256ELi4ELi64ELi4ELi64ELi4ELc78ELc84ELb0ELb0ELb1EDF16_KDF16_DF16_EEviiiT16_PT17_ilS5_ilS3_S5_ilPT18_ili26rocblas_geam_ex_operation_,comdat
.Lfunc_end272:
	.size	_ZN12_GLOBAL__N_120geam_min_plus_kernelIDF16_Dv2_DF16_S1_Li8ELi32ELi64ELi256ELi4ELi64ELi4ELi64ELi4ELc78ELc84ELb0ELb0ELb1EDF16_KDF16_DF16_EEviiiT16_PT17_ilS5_ilS3_S5_ilPT18_ili26rocblas_geam_ex_operation_, .Lfunc_end272-_ZN12_GLOBAL__N_120geam_min_plus_kernelIDF16_Dv2_DF16_S1_Li8ELi32ELi64ELi256ELi4ELi64ELi4ELi64ELi4ELc78ELc84ELb0ELb0ELb1EDF16_KDF16_DF16_EEviiiT16_PT17_ilS5_ilS3_S5_ilPT18_ili26rocblas_geam_ex_operation_
                                        ; -- End function
	.section	.AMDGPU.csdata,"",@progbits
; Kernel info:
; codeLenInByte = 16956
; NumSgprs: 38
; NumVgprs: 171
; NumAgprs: 0
; TotalNumVgprs: 171
; ScratchSize: 0
; MemoryBound: 0
; FloatMode: 240
; IeeeMode: 1
; LDSByteSize: 5120 bytes/workgroup (compile time only)
; SGPRBlocks: 4
; VGPRBlocks: 21
; NumSGPRsForWavesPerEU: 38
; NumVGPRsForWavesPerEU: 171
; AccumOffset: 172
; Occupancy: 2
; WaveLimiterHint : 1
; COMPUTE_PGM_RSRC2:SCRATCH_EN: 0
; COMPUTE_PGM_RSRC2:USER_SGPR: 2
; COMPUTE_PGM_RSRC2:TRAP_HANDLER: 0
; COMPUTE_PGM_RSRC2:TGID_X_EN: 1
; COMPUTE_PGM_RSRC2:TGID_Y_EN: 0
; COMPUTE_PGM_RSRC2:TGID_Z_EN: 1
; COMPUTE_PGM_RSRC2:TIDIG_COMP_CNT: 1
; COMPUTE_PGM_RSRC3_GFX90A:ACCUM_OFFSET: 42
; COMPUTE_PGM_RSRC3_GFX90A:TG_SPLIT: 0
	.section	.text._ZN12_GLOBAL__N_120geam_min_plus_kernelIDF16_Dv2_DF16_S1_Li8ELi32ELi64ELi256ELi4ELi64ELi4ELi64ELi4ELc78ELc84ELb0ELb1ELb1EPKDF16_S2_DF16_EEviiiT16_PT17_ilS6_ilS4_S6_ilPT18_ili26rocblas_geam_ex_operation_,"axG",@progbits,_ZN12_GLOBAL__N_120geam_min_plus_kernelIDF16_Dv2_DF16_S1_Li8ELi32ELi64ELi256ELi4ELi64ELi4ELi64ELi4ELc78ELc84ELb0ELb1ELb1EPKDF16_S2_DF16_EEviiiT16_PT17_ilS6_ilS4_S6_ilPT18_ili26rocblas_geam_ex_operation_,comdat
	.globl	_ZN12_GLOBAL__N_120geam_min_plus_kernelIDF16_Dv2_DF16_S1_Li8ELi32ELi64ELi256ELi4ELi64ELi4ELi64ELi4ELc78ELc84ELb0ELb1ELb1EPKDF16_S2_DF16_EEviiiT16_PT17_ilS6_ilS4_S6_ilPT18_ili26rocblas_geam_ex_operation_ ; -- Begin function _ZN12_GLOBAL__N_120geam_min_plus_kernelIDF16_Dv2_DF16_S1_Li8ELi32ELi64ELi256ELi4ELi64ELi4ELi64ELi4ELc78ELc84ELb0ELb1ELb1EPKDF16_S2_DF16_EEviiiT16_PT17_ilS6_ilS4_S6_ilPT18_ili26rocblas_geam_ex_operation_
	.p2align	8
	.type	_ZN12_GLOBAL__N_120geam_min_plus_kernelIDF16_Dv2_DF16_S1_Li8ELi32ELi64ELi256ELi4ELi64ELi4ELi64ELi4ELc78ELc84ELb0ELb1ELb1EPKDF16_S2_DF16_EEviiiT16_PT17_ilS6_ilS4_S6_ilPT18_ili26rocblas_geam_ex_operation_,@function
_ZN12_GLOBAL__N_120geam_min_plus_kernelIDF16_Dv2_DF16_S1_Li8ELi32ELi64ELi256ELi4ELi64ELi4ELi64ELi4ELc78ELc84ELb0ELb1ELb1EPKDF16_S2_DF16_EEviiiT16_PT17_ilS6_ilS4_S6_ilPT18_ili26rocblas_geam_ex_operation_: ; @_ZN12_GLOBAL__N_120geam_min_plus_kernelIDF16_Dv2_DF16_S1_Li8ELi32ELi64ELi256ELi4ELi64ELi4ELi64ELi4ELc78ELc84ELb0ELb1ELb1EPKDF16_S2_DF16_EEviiiT16_PT17_ilS6_ilS4_S6_ilPT18_ili26rocblas_geam_ex_operation_
; %bb.0:
	s_load_dwordx4 s[16:19], s[0:1], 0x10
	s_load_dwordx4 s[8:11], s[0:1], 0x28
	;; [unrolled: 1-line block ×3, first 2 shown]
	s_load_dwordx2 s[22:23], s[0:1], 0x50
	s_mov_b32 s28, s3
	s_mov_b32 s29, 0
	s_lshl_b64 s[4:5], s[28:29], 1
	s_waitcnt lgkmcnt(0)
	s_add_u32 s6, s16, s4
	s_addc_u32 s7, s17, s5
	v_mov_b32_e32 v1, 0
	global_load_ushort v50, v1, s[6:7]
	s_add_u32 s4, s14, s4
	s_addc_u32 s5, s15, s5
	global_load_ushort v52, v1, s[4:5]
	s_mov_b64 s[30:31], 0
	s_mov_b64 s[34:35], 0
	s_waitcnt vmcnt(1)
	v_cmp_eq_f16_e64 s[4:5], 0, v50
	v_cmp_neq_f16_e64 s[6:7], 0, v50
	s_and_b64 vcc, exec, s[4:5]
	s_cbranch_vccnz .LBB273_2
; %bb.1:
	s_mul_i32 s3, s28, s9
	s_mul_hi_u32 s9, s28, s8
	s_add_i32 s9, s9, s3
	s_mul_i32 s8, s28, s8
	s_lshl_b64 s[8:9], s[8:9], 1
	s_add_u32 s34, s18, s8
	s_addc_u32 s35, s19, s9
.LBB273_2:
	s_andn2_b64 vcc, exec, s[6:7]
	s_cbranch_vccnz .LBB273_4
; %bb.3:
	s_mul_i32 s3, s28, s13
	s_mul_hi_u32 s6, s28, s12
	s_add_i32 s7, s6, s3
	s_mul_i32 s6, s28, s12
	s_lshl_b64 s[6:7], s[6:7], 1
	s_add_u32 s30, s10, s6
	s_addc_u32 s31, s11, s7
.LBB273_4:
	s_load_dwordx4 s[16:19], s[0:1], 0x60
	s_waitcnt vmcnt(0)
	v_cmp_eq_f16_e32 vcc, 0, v52
	v_cmp_neq_f16_e64 s[20:21], 0, v52
	s_cbranch_vccnz .LBB273_6
; %bb.5:
	s_waitcnt lgkmcnt(0)
	s_mul_i32 s3, s28, s17
	s_mul_hi_u32 s6, s28, s16
	s_add_i32 s7, s6, s3
	s_mul_i32 s6, s28, s16
	s_lshl_b64 s[6:7], s[6:7], 1
	s_add_u32 s22, s22, s6
	s_addc_u32 s23, s23, s7
	s_branch .LBB273_7
.LBB273_6:
	s_mov_b64 s[22:23], 0
.LBB273_7:
	s_load_dwordx4 s[24:27], s[0:1], 0x0
	s_load_dword s36, s[0:1], 0x20
	v_and_b32_e32 v48, 0x3ff, v0
	v_bfe_u32 v49, v0, 10, 10
                                        ; implicit-def: $vgpr3
	s_waitcnt lgkmcnt(0)
	s_add_i32 s3, s24, -1
	s_ashr_i32 s6, s3, 31
	s_lshr_b32 s6, s6, 26
	s_add_i32 s6, s3, s6
	s_ashr_i32 s6, s6, 6
	s_add_i32 s7, s6, 1
	v_cvt_f32_u32_e32 v1, s7
	s_not_b32 s6, s6
	s_ashr_i32 s37, s36, 31
	v_rcp_iflag_f32_e32 v0, v1
	v_lshl_add_u32 v1, v49, 3, v48
	v_and_b32_e32 v2, 63, v1
	v_lshrrev_b32_e32 v51, 6, v1
	v_mul_f32_e32 v0, 0x4f7ffffe, v0
	v_cvt_u32_f32_e32 v0, v0
	v_cmp_le_i32_e64 s[14:15], s26, v51
	v_readfirstlane_b32 s8, v0
	s_mul_i32 s6, s6, s8
	s_mul_hi_u32 s6, s8, s6
	s_add_i32 s8, s8, s6
	s_mul_hi_u32 s6, s2, s8
	s_mul_i32 s8, s6, s7
	s_sub_i32 s8, s2, s8
	s_add_i32 s9, s6, 1
	s_sub_i32 s10, s8, s7
	s_cmp_ge_u32 s8, s7
	s_cselect_b32 s6, s9, s6
	s_cselect_b32 s8, s10, s8
	s_add_i32 s9, s6, 1
	s_cmp_ge_u32 s8, s7
	s_cselect_b32 s8, s9, s6
	s_mul_i32 s6, s8, s7
	s_sub_i32 s2, s2, s6
	s_lshl_b32 s29, s2, 6
	v_or_b32_e32 v0, s29, v2
	v_cmp_le_i32_e32 vcc, s24, v0
	s_add_i32 s27, s26, -1
	s_or_b64 s[6:7], vcc, s[14:15]
	v_min_i32_e32 v40, s3, v0
	v_min_i32_e32 v0, s27, v51
	s_or_b64 s[2:3], s[4:5], s[6:7]
	s_xor_b64 s[2:3], s[2:3], -1
	v_ashrrev_i32_e32 v1, 31, v0
	v_ashrrev_i32_e32 v41, 31, v40
	s_and_saveexec_b64 s[10:11], s[2:3]
	s_xor_b64 s[2:3], exec, s[10:11]
	s_cbranch_execz .LBB273_9
; %bb.8:
	v_mad_i64_i32 v[4:5], s[10:11], s36, v0, 0
	v_lshl_add_u64 v[4:5], v[4:5], 1, s[34:35]
	v_lshl_add_u64 v[4:5], v[40:41], 1, v[4:5]
	flat_load_ushort v3, v[4:5]
	s_waitcnt vmcnt(0) lgkmcnt(0)
	v_mul_f16_e32 v3, v50, v3
.LBB273_9:
	s_andn2_saveexec_b64 s[2:3], s[2:3]
; %bb.10:
	v_mov_b32_e32 v3, 0x7c00
	v_cndmask_b32_e64 v3, 0, v3, s[6:7]
; %bb.11:
	s_or_b64 exec, exec, s[2:3]
	s_load_dword s38, s[0:1], 0x38
	s_lshl_b32 s33, s8, 8
	v_or_b32_e32 v32, s33, v2
	v_cmp_le_i32_e64 s[6:7], s25, v32
	v_ashrrev_i32_e32 v33, 31, v32
	s_waitcnt lgkmcnt(0)
	s_ashr_i32 s39, s38, 31
	v_mul_lo_u32 v4, v1, s38
	v_mul_lo_u32 v5, v0, s39
	v_mad_u64_u32 v[0:1], s[2:3], v0, s38, 0
	v_add3_u32 v1, v1, v5, v4
	v_mov_b32_e32 v5, 0x7c00
	s_or_b64 s[2:3], s[6:7], s[14:15]
	v_cndmask_b32_e64 v4, 0, v5, s[2:3]
	s_or_b64 s[2:3], s[4:5], s[2:3]
	v_lshl_add_u64 v[0:1], v[0:1], 1, s[30:31]
	s_xor_b64 s[8:9], s[2:3], -1
	s_and_saveexec_b64 s[2:3], s[8:9]
	s_cbranch_execz .LBB273_13
; %bb.12:
	v_lshl_add_u64 v[6:7], v[32:33], 1, v[0:1]
	flat_load_ushort v4, v[6:7]
	s_waitcnt vmcnt(0) lgkmcnt(0)
	v_mul_f16_e32 v4, v50, v4
.LBB273_13:
	s_or_b64 exec, exec, s[2:3]
	v_or_b32_e32 v6, 64, v32
	v_cmp_le_i32_e64 s[8:9], s25, v6
	s_add_i32 s16, s25, -1
	s_or_b64 s[2:3], s[8:9], s[14:15]
	v_min_i32_e32 v34, s16, v6
	v_cndmask_b32_e64 v5, 0, v5, s[2:3]
	s_or_b64 s[2:3], s[4:5], s[2:3]
	s_xor_b64 s[10:11], s[2:3], -1
	v_ashrrev_i32_e32 v35, 31, v34
	s_and_saveexec_b64 s[2:3], s[10:11]
	s_cbranch_execz .LBB273_15
; %bb.14:
	v_lshl_add_u64 v[6:7], v[34:35], 1, v[0:1]
	flat_load_ushort v5, v[6:7]
	s_waitcnt vmcnt(0) lgkmcnt(0)
	v_mul_f16_e32 v5, v50, v5
.LBB273_15:
	s_or_b64 exec, exec, s[2:3]
	v_or_b32_e32 v6, 0x80, v32
	v_cmp_le_i32_e64 s[10:11], s25, v6
	v_mov_b32_e32 v7, 0x7c00
	s_or_b64 s[2:3], s[10:11], s[14:15]
	v_min_i32_e32 v36, s16, v6
	v_cndmask_b32_e64 v6, 0, v7, s[2:3]
	s_or_b64 s[2:3], s[4:5], s[2:3]
	s_xor_b64 s[12:13], s[2:3], -1
	v_ashrrev_i32_e32 v37, 31, v36
	s_and_saveexec_b64 s[2:3], s[12:13]
	s_cbranch_execz .LBB273_17
; %bb.16:
	v_lshl_add_u64 v[8:9], v[36:37], 1, v[0:1]
	flat_load_ushort v6, v[8:9]
	s_waitcnt vmcnt(0) lgkmcnt(0)
	v_mul_f16_e32 v6, v50, v6
.LBB273_17:
	s_or_b64 exec, exec, s[2:3]
	v_or_b32_e32 v8, 0xc0, v32
	v_cmp_le_i32_e64 s[12:13], s25, v8
	s_or_b64 s[2:3], s[12:13], s[14:15]
	v_min_i32_e32 v38, s16, v8
	v_cndmask_b32_e64 v7, 0, v7, s[2:3]
	s_or_b64 s[2:3], s[4:5], s[2:3]
	s_xor_b64 s[14:15], s[2:3], -1
	v_ashrrev_i32_e32 v39, 31, v38
	s_and_saveexec_b64 s[2:3], s[14:15]
	s_cbranch_execz .LBB273_19
; %bb.18:
	v_lshl_add_u64 v[0:1], v[38:39], 1, v[0:1]
	flat_load_ushort v0, v[0:1]
	s_waitcnt vmcnt(0) lgkmcnt(0)
	v_mul_f16_e32 v7, v50, v0
.LBB273_19:
	s_or_b64 exec, exec, s[2:3]
	v_add_u32_e32 v0, 4, v51
	v_cmp_le_i32_e64 s[14:15], s26, v0
	s_or_b64 s[16:17], vcc, s[14:15]
	v_min_i32_e32 v0, s27, v0
	s_or_b64 s[2:3], s[4:5], s[16:17]
	s_xor_b64 s[2:3], s[2:3], -1
	v_ashrrev_i32_e32 v1, 31, v0
                                        ; implicit-def: $vgpr42
	s_and_saveexec_b64 s[40:41], s[2:3]
	s_xor_b64 s[2:3], exec, s[40:41]
	s_cbranch_execz .LBB273_21
; %bb.20:
	v_mad_i64_i32 v[8:9], s[40:41], s36, v0, 0
	v_lshl_add_u64 v[8:9], v[8:9], 1, s[34:35]
	v_lshl_add_u64 v[8:9], v[40:41], 1, v[8:9]
	flat_load_ushort v8, v[8:9]
	s_waitcnt vmcnt(0) lgkmcnt(0)
	v_mul_f16_e32 v42, v50, v8
.LBB273_21:
	s_andn2_saveexec_b64 s[2:3], s[2:3]
; %bb.22:
	v_mov_b32_e32 v8, 0x7c00
	v_cndmask_b32_e64 v42, 0, v8, s[16:17]
; %bb.23:
	s_or_b64 exec, exec, s[2:3]
	v_mul_lo_u32 v8, v1, s38
	v_mul_lo_u32 v9, v0, s39
	v_mad_u64_u32 v[0:1], s[2:3], v0, s38, 0
	v_add3_u32 v1, v1, v9, v8
	v_mov_b32_e32 v8, 0x7c00
	s_or_b64 s[2:3], s[6:7], s[14:15]
	v_cndmask_b32_e64 v43, 0, v8, s[2:3]
	s_or_b64 s[2:3], s[4:5], s[2:3]
	v_lshl_add_u64 v[0:1], v[0:1], 1, s[30:31]
	s_xor_b64 s[16:17], s[2:3], -1
	s_and_saveexec_b64 s[2:3], s[16:17]
	s_cbranch_execz .LBB273_25
; %bb.24:
	v_lshl_add_u64 v[10:11], v[32:33], 1, v[0:1]
	flat_load_ushort v9, v[10:11]
	s_waitcnt vmcnt(0) lgkmcnt(0)
	v_mul_f16_e32 v43, v50, v9
.LBB273_25:
	s_or_b64 exec, exec, s[2:3]
	s_or_b64 s[2:3], s[8:9], s[14:15]
	v_cndmask_b32_e64 v44, 0, v8, s[2:3]
	s_or_b64 s[2:3], s[4:5], s[2:3]
	s_xor_b64 s[16:17], s[2:3], -1
	s_and_saveexec_b64 s[2:3], s[16:17]
	s_cbranch_execz .LBB273_27
; %bb.26:
	v_lshl_add_u64 v[8:9], v[34:35], 1, v[0:1]
	flat_load_ushort v8, v[8:9]
	s_waitcnt vmcnt(0) lgkmcnt(0)
	v_mul_f16_e32 v44, v50, v8
.LBB273_27:
	s_or_b64 exec, exec, s[2:3]
	v_mov_b32_e32 v8, 0x7c00
	s_or_b64 s[2:3], s[10:11], s[14:15]
	v_cndmask_b32_e64 v45, 0, v8, s[2:3]
	s_or_b64 s[2:3], s[4:5], s[2:3]
	s_xor_b64 s[16:17], s[2:3], -1
	s_and_saveexec_b64 s[2:3], s[16:17]
	s_cbranch_execz .LBB273_29
; %bb.28:
	v_lshl_add_u64 v[10:11], v[36:37], 1, v[0:1]
	flat_load_ushort v9, v[10:11]
	s_waitcnt vmcnt(0) lgkmcnt(0)
	v_mul_f16_e32 v45, v50, v9
.LBB273_29:
	s_or_b64 exec, exec, s[2:3]
	s_or_b64 s[2:3], s[12:13], s[14:15]
	v_cndmask_b32_e64 v46, 0, v8, s[2:3]
	s_or_b64 s[2:3], s[4:5], s[2:3]
	s_xor_b64 s[16:17], s[2:3], -1
	s_movk_i32 s14, 0x7c00
	s_and_saveexec_b64 s[2:3], s[16:17]
	s_cbranch_execz .LBB273_31
; %bb.30:
	v_lshl_add_u64 v[0:1], v[38:39], 1, v[0:1]
	flat_load_ushort v0, v[0:1]
	s_waitcnt vmcnt(0) lgkmcnt(0)
	v_mul_f16_e32 v46, v50, v0
.LBB273_31:
	s_or_b64 exec, exec, s[2:3]
	v_lshlrev_b32_e32 v0, 1, v51
	v_lshlrev_b32_e32 v94, 3, v48
	v_lshl_add_u32 v103, v2, 3, v0
	v_add_u32_e32 v104, 0x1000, v94
	v_lshlrev_b32_e32 v95, 3, v49
	ds_write_b16 v103, v3 offset:4096
	ds_write_b16 v103, v4
	ds_write_b16 v103, v5 offset:512
	ds_write_b16 v103, v6 offset:1024
	;; [unrolled: 1-line block ×3, first 2 shown]
	s_waitcnt lgkmcnt(0)
	s_barrier
	ds_read2_b64 v[16:19], v104 offset1:8
	ds_read2_b64 v[12:15], v104 offset0:16 offset1:24
	ds_read2_b64 v[0:3], v104 offset0:32 offset1:40
	ds_read2_b64 v[28:31], v95 offset1:32
	ds_read2_b64 v[4:7], v104 offset0:48 offset1:56
	ds_read2_b64 v[24:27], v95 offset0:64 offset1:96
	;; [unrolled: 1-line block ×4, first 2 shown]
	s_cmp_lt_i32 s26, 9
	s_waitcnt lgkmcnt(4)
	v_pk_add_f16 v47, v16, v28
	v_pk_add_f16 v53, v18, v28
	s_waitcnt lgkmcnt(1)
	v_pk_add_f16 v83, v14, v20
	v_pk_min_f16 v47, v47, s14 op_sel_hi:[1,0]
	v_pk_min_f16 v121, v83, s14 op_sel_hi:[1,0]
	v_pk_add_f16 v83, v0, v20
	v_pk_add_f16 v54, v12, v28
	v_pk_min_f16 v122, v83, s14 op_sel_hi:[1,0]
	v_pk_add_f16 v83, v2, v20
	v_pk_add_f16 v55, v14, v28
	;; [unrolled: 3-line block ×10, first 2 shown]
	v_pk_min_f16 v131, v83, s14 op_sel_hi:[1,0]
	s_waitcnt lgkmcnt(0)
	v_pk_add_f16 v83, v16, v8
	v_pk_add_f16 v63, v0, v30
	v_pk_min_f16 v132, v83, s14 op_sel_hi:[1,0]
	v_pk_add_f16 v83, v18, v8
	v_pk_add_f16 v64, v2, v30
	v_pk_min_f16 v133, v83, s14 op_sel_hi:[1,0]
	;; [unrolled: 3-line block ×5, first 2 shown]
	v_pk_add_f16 v83, v2, v8
	v_pk_add_f16 v67, v18, v24
	;; [unrolled: 1-line block ×21, first 2 shown]
	v_pk_min_f16 v137, v83, s14 op_sel_hi:[1,0]
	v_pk_add_f16 v83, v4, v8
	v_pk_add_f16 v8, v6, v8
	;; [unrolled: 1-line block ×11, first 2 shown]
	v_pk_min_f16 v53, v53, s14 op_sel_hi:[1,0]
	v_pk_min_f16 v120, v47, v10
	v_pk_add_f16 v10, v19, v29
	v_pk_min_f16 v54, v54, s14 op_sel_hi:[1,0]
	v_pk_min_f16 v119, v53, v10
	v_pk_add_f16 v10, v13, v29
	;; [unrolled: 3-line block ×33, first 2 shown]
	v_pk_min_f16 v82, v82, s14 op_sel_hi:[1,0]
	v_pk_min_f16 v138, v83, s14 op_sel_hi:[1,0]
	v_pk_min_f16 v83, v81, v10
	v_pk_add_f16 v10, v13, v21
	v_pk_min_f16 v20, v20, s14 op_sel_hi:[1,0]
	v_pk_min_f16 v82, v82, v10
	v_pk_add_f16 v10, v15, v21
	;; [unrolled: 3-line block ×12, first 2 shown]
	ds_write_b16 v103, v42 offset:4608
	ds_write_b16 v103, v43 offset:2048
	;; [unrolled: 1-line block ×5, first 2 shown]
	v_pk_min_f16 v71, v130, v10
	v_pk_add_f16 v10, v5, v23
	s_waitcnt lgkmcnt(0)
	v_pk_min_f16 v70, v131, v10
	v_pk_add_f16 v10, v7, v23
	s_barrier
	v_pk_min_f16 v69, v22, v10
	v_pk_add_f16 v10, v17, v9
	s_nop 0
	v_pk_min_f16 v68, v132, v10
	v_pk_add_f16 v10, v19, v9
	s_nop 0
	;; [unrolled: 3-line block ×4, first 2 shown]
	v_pk_min_f16 v65, v135, v10
	v_pk_add_f16 v10, v1, v9
	v_pk_add_f16 v1, v1, v11
	v_pk_min_f16 v64, v136, v10
	v_pk_add_f16 v10, v3, v9
	v_pk_min_f16 v55, v0, v1
	v_pk_min_f16 v63, v137, v10
	v_pk_add_f16 v10, v5, v9
	v_pk_add_f16 v9, v7, v9
	;; [unrolled: 1-line block ×3, first 2 shown]
	v_pk_min_f16 v61, v8, v9
	v_pk_add_f16 v8, v17, v11
	v_pk_min_f16 v54, v2, v0
	v_pk_min_f16 v60, v16, v8
	v_pk_add_f16 v8, v19, v11
	v_pk_add_f16 v0, v5, v11
	v_pk_min_f16 v59, v18, v8
	v_pk_add_f16 v8, v13, v11
	v_pk_min_f16 v53, v4, v0
	v_pk_min_f16 v58, v12, v8
	v_pk_add_f16 v8, v15, v11
	v_pk_add_f16 v0, v7, v11
	v_pk_min_f16 v62, v138, v10
	v_pk_min_f16 v56, v14, v8
	;; [unrolled: 1-line block ×3, first 2 shown]
	s_cbranch_scc1 .LBB273_54
; %bb.32:
	v_mov_b32_e32 v0, 0x1200
	v_lshl_add_u32 v124, v48, 3, v0
	v_add_u32_e32 v0, v95, v48
	v_lshrrev_b32_e32 v2, 6, v0
	v_add_u32_e32 v0, 12, v2
	v_mad_i64_i32 v[0:1], s[2:3], v0, s36, 0
	v_lshlrev_b64 v[42:43], 1, v[0:1]
	v_add_u32_e32 v0, 8, v2
	v_mad_i64_i32 v[0:1], s[2:3], v0, s36, 0
	v_or_b32_e32 v121, 0x1000, v103
	v_add_u32_e32 v122, 0x1200, v103
	v_or_b32_e32 v123, 0x800, v103
	s_add_i32 s39, s26, -8
	v_lshl_add_u64 v[40:41], v[40:41], 1, s[34:35]
	v_add_u32_e32 v125, 0x800, v95
	s_lshl_b64 s[16:17], s[36:37], 4
	v_lshlrev_b64 v[44:45], 1, v[0:1]
	s_mov_b32 s34, 0
	v_mov_b32_e32 v126, 0x7c00
	s_branch .LBB273_34
.LBB273_33:                             ;   in Loop: Header=BB273_34 Depth=1
	s_or_b64 exec, exec, s[2:3]
	ds_read2_b64 v[8:11], v104 offset1:8
	ds_read2_b64 v[4:7], v104 offset0:16 offset1:24
	ds_read2_b64 v[0:3], v104 offset0:32 offset1:40
	ds_read2_b64 v[132:135], v95 offset1:32
	ds_read2_b64 v[12:15], v104 offset0:48 offset1:56
	ds_read2_b64 v[24:27], v95 offset0:64 offset1:96
	;; [unrolled: 1-line block ×4, first 2 shown]
	s_waitcnt lgkmcnt(4)
	v_pk_add_f16 v46, v8, v132
	v_pk_max_f16 v47, v117, v117
	v_pk_max_f16 v116, v116, v116
	v_pk_min_f16 v46, v47, v46
	v_pk_add_f16 v47, v10, v132
	v_pk_max_f16 v115, v115, v115
	v_pk_min_f16 v47, v116, v47
	v_pk_add_f16 v116, v4, v132
	;; [unrolled: 3-line block ×5, first 2 shown]
	v_pk_max_f16 v111, v111, v111
	v_pk_min_f16 v112, v112, v116
	s_waitcnt lgkmcnt(3)
	v_pk_add_f16 v116, v12, v132
	v_pk_max_f16 v110, v110, v110
	v_pk_min_f16 v111, v111, v116
	v_pk_add_f16 v116, v14, v132
	v_pk_max_f16 v109, v109, v109
	v_pk_min_f16 v110, v110, v116
	;; [unrolled: 3-line block ×10, first 2 shown]
	s_waitcnt lgkmcnt(2)
	v_pk_add_f16 v116, v8, v24
	v_pk_max_f16 v98, v98, v98
	v_pk_min_f16 v99, v99, v116
	v_pk_add_f16 v116, v10, v24
	v_pk_max_f16 v97, v97, v97
	v_pk_min_f16 v98, v98, v116
	;; [unrolled: 3-line block ×6, first 2 shown]
	v_pk_add_f16 v116, v12, v24
	v_pk_add_f16 v24, v14, v24
	v_pk_max_f16 v89, v89, v89
	v_pk_min_f16 v24, v90, v24
	v_pk_add_f16 v90, v8, v26
	v_pk_max_f16 v88, v88, v88
	v_pk_min_f16 v89, v89, v90
	;; [unrolled: 3-line block ×7, first 2 shown]
	v_pk_add_f16 v90, v12, v26
	v_pk_add_f16 v26, v14, v26
	v_pk_max_f16 v81, v81, v81
	v_pk_min_f16 v26, v82, v26
	s_waitcnt lgkmcnt(1)
	v_pk_add_f16 v82, v8, v20
	v_pk_max_f16 v80, v80, v80
	v_pk_min_f16 v81, v81, v82
	v_pk_add_f16 v82, v10, v20
	v_pk_max_f16 v79, v79, v79
	v_pk_min_f16 v80, v80, v82
	v_pk_add_f16 v82, v4, v20
	v_pk_max_f16 v78, v78, v78
	v_pk_min_f16 v79, v79, v82
	v_pk_add_f16 v82, v6, v20
	v_pk_max_f16 v77, v77, v77
	v_pk_min_f16 v78, v78, v82
	v_pk_add_f16 v82, v0, v20
	v_pk_max_f16 v76, v76, v76
	v_pk_min_f16 v77, v77, v82
	v_pk_add_f16 v82, v2, v20
	v_pk_max_f16 v74, v74, v74
	v_pk_min_f16 v76, v76, v82
	v_pk_add_f16 v82, v12, v20
	v_pk_add_f16 v20, v14, v20
	v_pk_max_f16 v73, v73, v73
	v_pk_min_f16 v20, v74, v20
	v_pk_add_f16 v74, v8, v22
	v_pk_max_f16 v72, v72, v72
	v_pk_min_f16 v73, v73, v74
	;; [unrolled: 3-line block ×7, first 2 shown]
	v_pk_add_f16 v74, v12, v22
	v_pk_add_f16 v22, v14, v22
	v_pk_max_f16 v65, v65, v65
	v_pk_min_f16 v22, v66, v22
	s_waitcnt lgkmcnt(0)
	v_pk_add_f16 v66, v8, v16
	v_pk_max_f16 v64, v64, v64
	v_pk_min_f16 v65, v65, v66
	v_pk_add_f16 v66, v10, v16
	v_pk_max_f16 v63, v63, v63
	v_pk_min_f16 v64, v64, v66
	;; [unrolled: 3-line block ×5, first 2 shown]
	v_pk_add_f16 v66, v2, v16
	v_pk_add_f16 v8, v8, v18
	v_pk_min_f16 v60, v60, v66
	v_pk_add_f16 v66, v12, v16
	v_pk_add_f16 v16, v14, v16
	;; [unrolled: 1-line block ×9, first 2 shown]
	v_pk_max_f16 v18, v29, v29
	v_pk_max_f16 v91, v91, v91
	v_pk_min_f16 v14, v18, v14
	v_pk_add_f16 v18, v9, v133
	v_pk_min_f16 v91, v91, v116
	v_pk_min_f16 v120, v46, v18
	v_pk_add_f16 v18, v11, v133
	v_pk_max_f16 v83, v83, v83
	v_pk_min_f16 v119, v47, v18
	v_pk_add_f16 v18, v5, v133
	v_pk_min_f16 v83, v83, v90
	v_pk_min_f16 v118, v115, v18
	v_pk_add_f16 v18, v7, v133
	;; [unrolled: 6-line block ×5, first 2 shown]
	v_pk_max_f16 v53, v53, v53
	v_pk_min_f16 v111, v108, v18
	v_pk_add_f16 v18, v5, v135
	v_pk_max_f16 v55, v55, v55
	v_pk_min_f16 v110, v107, v18
	v_pk_add_f16 v18, v7, v135
	v_pk_min_f16 v0, v53, v0
	v_pk_min_f16 v109, v106, v18
	v_pk_add_f16 v18, v1, v135
	v_pk_max_f16 v31, v31, v31
	v_pk_min_f16 v108, v105, v18
	v_pk_add_f16 v18, v3, v135
	v_pk_max_f16 v57, v57, v57
	v_pk_min_f16 v107, v102, v18
	v_pk_add_f16 v18, v13, v135
	v_pk_min_f16 v4, v55, v4
	v_pk_min_f16 v106, v101, v18
	v_pk_add_f16 v18, v15, v135
	v_pk_max_f16 v54, v54, v54
	v_pk_min_f16 v105, v100, v18
	v_pk_add_f16 v18, v9, v25
	v_pk_min_f16 v2, v31, v2
	v_pk_min_f16 v102, v99, v18
	v_pk_add_f16 v18, v11, v25
	v_pk_max_f16 v30, v30, v30
	v_pk_min_f16 v101, v98, v18
	v_pk_add_f16 v18, v5, v25
	v_pk_max_f16 v58, v58, v58
	v_pk_min_f16 v100, v97, v18
	v_pk_add_f16 v18, v7, v25
	v_pk_min_f16 v8, v57, v8
	v_pk_min_f16 v99, v96, v18
	v_pk_add_f16 v18, v1, v25
	v_pk_max_f16 v56, v56, v56
	v_pk_min_f16 v98, v93, v18
	v_pk_add_f16 v18, v3, v25
	v_pk_min_f16 v6, v54, v6
	v_pk_min_f16 v97, v92, v18
	v_pk_add_f16 v18, v13, v25
	v_pk_min_f16 v12, v30, v12
	;; [unrolled: 3-line block ×4, first 2 shown]
	v_pk_min_f16 v92, v89, v18
	v_pk_add_f16 v18, v11, v27
	s_add_i32 s34, s34, 8
	v_pk_min_f16 v91, v88, v18
	v_pk_add_f16 v18, v5, v27
	s_cmp_ge_i32 s34, s39
	v_pk_min_f16 v90, v87, v18
	v_pk_add_f16 v18, v7, v27
	v_lshl_add_u64 v[40:41], v[40:41], 0, s[16:17]
	v_pk_min_f16 v89, v86, v18
	v_pk_add_f16 v18, v1, v27
	ds_write_b16 v122, v127
	ds_write_b16 v123, v128
	ds_write_b16 v123, v129 offset:512
	ds_write_b16 v123, v130 offset:1024
	;; [unrolled: 1-line block ×3, first 2 shown]
	v_pk_min_f16 v88, v85, v18
	v_pk_add_f16 v18, v3, v27
	s_waitcnt lgkmcnt(0)
	v_pk_min_f16 v87, v84, v18
	v_pk_add_f16 v18, v13, v27
	s_barrier
	v_pk_min_f16 v86, v83, v18
	v_pk_add_f16 v18, v15, v27
	s_nop 0
	v_pk_min_f16 v85, v26, v18
	v_pk_add_f16 v18, v9, v21
	s_nop 0
	;; [unrolled: 3-line block ×17, first 2 shown]
	v_pk_min_f16 v69, v22, v18
	v_pk_add_f16 v18, v9, v17
	v_pk_add_f16 v9, v9, v19
	v_pk_min_f16 v68, v65, v18
	v_pk_add_f16 v18, v11, v17
	s_nop 0
	v_pk_min_f16 v67, v64, v18
	v_pk_add_f16 v18, v5, v17
	v_pk_add_f16 v5, v5, v19
	v_pk_min_f16 v66, v63, v18
	v_pk_add_f16 v18, v7, v17
	v_pk_min_f16 v58, v4, v5
	v_pk_min_f16 v65, v62, v18
	v_pk_add_f16 v18, v1, v17
	v_pk_add_f16 v1, v1, v19
	v_pk_min_f16 v64, v61, v18
	v_pk_min_f16 v55, v0, v1
	v_pk_add_f16 v0, v3, v19
	v_pk_add_f16 v18, v3, v17
	v_pk_min_f16 v54, v2, v0
	v_pk_add_f16 v0, v13, v19
	v_pk_min_f16 v63, v60, v18
	v_pk_add_f16 v18, v13, v17
	v_pk_add_f16 v17, v15, v17
	v_pk_min_f16 v60, v8, v9
	v_pk_add_f16 v8, v11, v19
	;; [unrolled: 3-line block ×3, first 2 shown]
	v_pk_min_f16 v62, v59, v18
	v_pk_min_f16 v61, v16, v17
	;; [unrolled: 1-line block ×5, first 2 shown]
	s_cbranch_scc1 .LBB273_54
.LBB273_34:                             ; =>This Inner Loop Header: Depth=1
	v_add_u32_e32 v46, s34, v51
	v_add_u32_e32 v0, 8, v46
	v_cmp_le_i32_e64 s[14:15], s26, v0
	s_or_b64 s[2:3], vcc, s[14:15]
	v_cndmask_b32_e64 v47, 0, v126, s[2:3]
	s_or_b64 s[2:3], s[4:5], s[2:3]
	s_xor_b64 s[36:37], s[2:3], -1
	s_and_saveexec_b64 s[2:3], s[36:37]
	s_cbranch_execz .LBB273_36
; %bb.35:                               ;   in Loop: Header=BB273_34 Depth=1
	v_lshl_add_u64 v[2:3], v[40:41], 0, v[44:45]
	flat_load_ushort v1, v[2:3]
	s_waitcnt vmcnt(0) lgkmcnt(0)
	v_mul_f16_e32 v47, v50, v1
.LBB273_36:                             ;   in Loop: Header=BB273_34 Depth=1
	s_or_b64 exec, exec, s[2:3]
	v_min_i32_e32 v0, s27, v0
	v_mad_i64_i32 v[0:1], s[2:3], v0, s38, 0
	s_or_b64 s[2:3], s[6:7], s[14:15]
	s_nop 0
	v_cndmask_b32_e64 v127, 0, v126, s[2:3]
	s_or_b64 s[2:3], s[4:5], s[2:3]
	v_lshl_add_u64 v[0:1], v[0:1], 1, s[30:31]
	s_xor_b64 s[36:37], s[2:3], -1
	s_and_saveexec_b64 s[2:3], s[36:37]
	s_cbranch_execz .LBB273_38
; %bb.37:                               ;   in Loop: Header=BB273_34 Depth=1
	v_lshl_add_u64 v[2:3], v[32:33], 1, v[0:1]
	flat_load_ushort v2, v[2:3]
	s_waitcnt vmcnt(0) lgkmcnt(0)
	v_mul_f16_e32 v127, v50, v2
.LBB273_38:                             ;   in Loop: Header=BB273_34 Depth=1
	s_or_b64 exec, exec, s[2:3]
	s_or_b64 s[2:3], s[8:9], s[14:15]
	v_cndmask_b32_e64 v128, 0, v126, s[2:3]
	s_or_b64 s[2:3], s[4:5], s[2:3]
	s_xor_b64 s[36:37], s[2:3], -1
	s_and_saveexec_b64 s[2:3], s[36:37]
	s_cbranch_execz .LBB273_40
; %bb.39:                               ;   in Loop: Header=BB273_34 Depth=1
	v_lshl_add_u64 v[2:3], v[34:35], 1, v[0:1]
	flat_load_ushort v2, v[2:3]
	s_waitcnt vmcnt(0) lgkmcnt(0)
	v_mul_f16_e32 v128, v50, v2
.LBB273_40:                             ;   in Loop: Header=BB273_34 Depth=1
	s_or_b64 exec, exec, s[2:3]
	s_or_b64 s[2:3], s[10:11], s[14:15]
	v_cndmask_b32_e64 v129, 0, v126, s[2:3]
	s_or_b64 s[2:3], s[4:5], s[2:3]
	;; [unrolled: 13-line block ×3, first 2 shown]
	s_xor_b64 s[14:15], s[2:3], -1
	s_and_saveexec_b64 s[2:3], s[14:15]
	s_cbranch_execz .LBB273_44
; %bb.43:                               ;   in Loop: Header=BB273_34 Depth=1
	v_lshl_add_u64 v[0:1], v[38:39], 1, v[0:1]
	flat_load_ushort v0, v[0:1]
	s_waitcnt vmcnt(0) lgkmcnt(0)
	v_mul_f16_e32 v130, v50, v0
.LBB273_44:                             ;   in Loop: Header=BB273_34 Depth=1
	s_or_b64 exec, exec, s[2:3]
	ds_read2_b64 v[12:15], v124 offset1:8
	ds_read2_b64 v[8:11], v124 offset0:16 offset1:24
	ds_read2_b64 v[4:7], v124 offset0:32 offset1:40
	;; [unrolled: 1-line block ×3, first 2 shown]
	ds_read2_b64 v[28:31], v125 offset1:32
	ds_read2_b64 v[24:27], v125 offset0:64 offset1:96
	ds_read2_b64 v[20:23], v125 offset0:128 offset1:160
	;; [unrolled: 1-line block ×3, first 2 shown]
	v_add_u32_e32 v46, 12, v46
	v_cmp_le_i32_e64 s[14:15], s26, v46
	s_or_b64 s[2:3], vcc, s[14:15]
	ds_write_b16 v121, v47
	ds_write_b16 v103, v127
	ds_write_b16 v103, v128 offset:512
	ds_write_b16 v103, v129 offset:1024
	;; [unrolled: 1-line block ×3, first 2 shown]
	v_cndmask_b32_e64 v127, 0, v126, s[2:3]
	s_or_b64 s[2:3], s[4:5], s[2:3]
	s_xor_b64 s[2:3], s[2:3], -1
	s_waitcnt lgkmcnt(0)
	s_barrier
	s_and_saveexec_b64 s[36:37], s[2:3]
	s_xor_b64 s[2:3], exec, s[36:37]
	s_cbranch_execz .LBB273_46
; %bb.45:                               ;   in Loop: Header=BB273_34 Depth=1
	v_lshl_add_u64 v[128:129], v[40:41], 0, v[42:43]
	flat_load_ushort v47, v[128:129]
	s_waitcnt vmcnt(0) lgkmcnt(0)
	v_mul_f16_e32 v127, v50, v47
.LBB273_46:                             ;   in Loop: Header=BB273_34 Depth=1
	s_or_b64 exec, exec, s[2:3]
	v_min_i32_e32 v46, s27, v46
	v_mad_i64_i32 v[46:47], s[2:3], v46, s38, 0
	s_or_b64 s[2:3], s[6:7], s[14:15]
	s_nop 0
	v_cndmask_b32_e64 v128, 0, v126, s[2:3]
	s_or_b64 s[2:3], s[4:5], s[2:3]
	v_lshl_add_u64 v[46:47], v[46:47], 1, s[30:31]
	s_xor_b64 s[36:37], s[2:3], -1
	s_and_saveexec_b64 s[2:3], s[36:37]
	s_cbranch_execz .LBB273_48
; %bb.47:                               ;   in Loop: Header=BB273_34 Depth=1
	v_lshl_add_u64 v[128:129], v[32:33], 1, v[46:47]
	flat_load_ushort v128, v[128:129]
	s_waitcnt vmcnt(0) lgkmcnt(0)
	v_mul_f16_e32 v128, v50, v128
.LBB273_48:                             ;   in Loop: Header=BB273_34 Depth=1
	s_or_b64 exec, exec, s[2:3]
	s_or_b64 s[2:3], s[8:9], s[14:15]
	v_cndmask_b32_e64 v129, 0, v126, s[2:3]
	s_or_b64 s[2:3], s[4:5], s[2:3]
	s_xor_b64 s[36:37], s[2:3], -1
	s_and_saveexec_b64 s[2:3], s[36:37]
	s_cbranch_execz .LBB273_50
; %bb.49:                               ;   in Loop: Header=BB273_34 Depth=1
	v_lshl_add_u64 v[130:131], v[34:35], 1, v[46:47]
	flat_load_ushort v129, v[130:131]
	s_waitcnt vmcnt(0) lgkmcnt(0)
	v_mul_f16_e32 v129, v50, v129
.LBB273_50:                             ;   in Loop: Header=BB273_34 Depth=1
	s_or_b64 exec, exec, s[2:3]
	s_or_b64 s[2:3], s[10:11], s[14:15]
	v_cndmask_b32_e64 v130, 0, v126, s[2:3]
	s_or_b64 s[2:3], s[4:5], s[2:3]
	s_xor_b64 s[36:37], s[2:3], -1
	s_and_saveexec_b64 s[2:3], s[36:37]
	s_cbranch_execz .LBB273_52
; %bb.51:                               ;   in Loop: Header=BB273_34 Depth=1
	v_lshl_add_u64 v[130:131], v[36:37], 1, v[46:47]
	flat_load_ushort v130, v[130:131]
	s_waitcnt vmcnt(0) lgkmcnt(0)
	v_mul_f16_e32 v130, v50, v130
.LBB273_52:                             ;   in Loop: Header=BB273_34 Depth=1
	s_or_b64 exec, exec, s[2:3]
	v_pk_add_f16 v131, v12, v28
	v_pk_max_f16 v120, v120, v120
	v_pk_max_f16 v119, v119, v119
	v_pk_min_f16 v120, v120, v131
	v_pk_add_f16 v131, v14, v28
	v_pk_max_f16 v118, v118, v118
	v_pk_min_f16 v119, v119, v131
	v_pk_add_f16 v131, v8, v28
	v_pk_max_f16 v117, v117, v117
	v_pk_min_f16 v118, v118, v131
	v_pk_add_f16 v131, v10, v28
	v_pk_max_f16 v116, v116, v116
	v_pk_min_f16 v131, v117, v131
	v_pk_add_f16 v117, v4, v28
	v_pk_max_f16 v115, v115, v115
	v_pk_min_f16 v132, v116, v117
	v_pk_add_f16 v116, v6, v28
	v_pk_max_f16 v113, v113, v113
	v_pk_min_f16 v133, v115, v116
	v_pk_add_f16 v115, v0, v28
	v_pk_add_f16 v28, v2, v28
	v_pk_max_f16 v112, v112, v112
	v_pk_min_f16 v28, v113, v28
	v_pk_add_f16 v113, v12, v30
	v_pk_max_f16 v111, v111, v111
	v_pk_min_f16 v135, v112, v113
	v_pk_add_f16 v112, v14, v30
	v_pk_max_f16 v110, v110, v110
	v_pk_min_f16 v136, v111, v112
	v_pk_add_f16 v111, v8, v30
	v_pk_max_f16 v109, v109, v109
	v_pk_min_f16 v137, v110, v111
	v_pk_add_f16 v110, v10, v30
	v_pk_max_f16 v108, v108, v108
	v_pk_min_f16 v138, v109, v110
	v_pk_add_f16 v109, v4, v30
	v_pk_max_f16 v107, v107, v107
	v_pk_min_f16 v139, v108, v109
	v_pk_add_f16 v108, v6, v30
	v_pk_max_f16 v105, v105, v105
	v_pk_min_f16 v140, v107, v108
	v_pk_add_f16 v107, v0, v30
	v_pk_add_f16 v30, v2, v30
	v_pk_max_f16 v102, v102, v102
	v_pk_min_f16 v30, v105, v30
	v_pk_add_f16 v105, v12, v24
	;; [unrolled: 22-line block ×6, first 2 shown]
	v_pk_max_f16 v67, v67, v67
	v_pk_min_f16 v170, v68, v69
	v_pk_add_f16 v68, v14, v16
	v_pk_max_f16 v66, v66, v66
	v_pk_min_f16 v171, v67, v68
	v_pk_add_f16 v67, v8, v16
	;; [unrolled: 3-line block ×5, first 2 shown]
	v_pk_add_f16 v12, v12, v18
	v_pk_min_f16 v175, v63, v64
	v_pk_add_f16 v63, v0, v16
	v_pk_add_f16 v16, v2, v16
	;; [unrolled: 1-line block ×9, first 2 shown]
	v_pk_max_f16 v18, v57, v57
	v_pk_max_f16 v114, v114, v114
	v_pk_min_f16 v2, v18, v2
	v_pk_add_f16 v18, v13, v29
	v_pk_min_f16 v134, v114, v115
	v_pk_min_f16 v117, v120, v18
	v_pk_add_f16 v18, v15, v29
	v_pk_max_f16 v106, v106, v106
	v_pk_min_f16 v116, v119, v18
	v_pk_add_f16 v18, v9, v29
	v_pk_min_f16 v141, v106, v107
	v_pk_min_f16 v115, v118, v18
	v_pk_add_f16 v18, v11, v29
	;; [unrolled: 6-line block ×8, first 2 shown]
	v_pk_max_f16 v60, v60, v60
	v_pk_min_f16 v100, v30, v18
	v_pk_add_f16 v18, v13, v25
	v_pk_max_f16 v58, v58, v58
	v_pk_min_f16 v99, v142, v18
	v_pk_add_f16 v18, v15, v25
	;; [unrolled: 3-line block ×4, first 2 shown]
	v_pk_min_f16 v12, v60, v12
	v_pk_min_f16 v96, v145, v18
	v_pk_add_f16 v18, v5, v25
	v_pk_max_f16 v59, v59, v59
	v_pk_min_f16 v93, v146, v18
	v_pk_add_f16 v18, v7, v25
	v_pk_min_f16 v8, v58, v8
	v_pk_min_f16 v92, v147, v18
	v_pk_add_f16 v18, v1, v25
	v_pk_max_f16 v56, v56, v56
	v_pk_min_f16 v91, v148, v18
	v_pk_add_f16 v18, v3, v25
	;; [unrolled: 6-line block ×3, first 2 shown]
	v_pk_min_f16 v0, v53, v0
	v_pk_min_f16 v88, v150, v18
	v_pk_add_f16 v18, v9, v27
	s_or_b64 s[2:3], s[12:13], s[14:15]
	v_pk_min_f16 v87, v151, v18
	v_pk_add_f16 v18, v11, v27
	v_pk_min_f16 v14, v59, v14
	v_pk_min_f16 v86, v152, v18
	v_pk_add_f16 v18, v5, v27
	v_pk_min_f16 v10, v56, v10
	;; [unrolled: 3-line block ×3, first 2 shown]
	v_pk_min_f16 v84, v154, v18
	v_pk_add_f16 v18, v1, v27
	v_cndmask_b32_e64 v28, 0, v126, s[2:3]
	v_pk_min_f16 v83, v155, v18
	v_pk_add_f16 v18, v3, v27
	s_or_b64 s[2:3], s[4:5], s[2:3]
	v_pk_min_f16 v82, v26, v18
	v_pk_add_f16 v18, v13, v21
	s_xor_b64 s[14:15], s[2:3], -1
	v_pk_min_f16 v81, v156, v18
	v_pk_add_f16 v18, v15, v21
	s_nop 0
	v_pk_min_f16 v80, v157, v18
	v_pk_add_f16 v18, v9, v21
	s_nop 0
	;; [unrolled: 3-line block ×15, first 2 shown]
	v_pk_min_f16 v66, v22, v18
	v_pk_add_f16 v18, v13, v17
	v_pk_add_f16 v13, v13, v19
	v_pk_min_f16 v65, v170, v18
	v_pk_add_f16 v18, v15, v17
	v_pk_min_f16 v57, v12, v13
	v_pk_min_f16 v64, v171, v18
	v_pk_add_f16 v18, v9, v17
	v_pk_add_f16 v9, v9, v19
	v_pk_min_f16 v63, v172, v18
	v_pk_add_f16 v18, v11, v17
	v_pk_add_f16 v12, v15, v19
	;; [unrolled: 3-line block ×3, first 2 shown]
	v_pk_min_f16 v61, v174, v18
	v_pk_add_f16 v18, v7, v17
	v_pk_min_f16 v55, v8, v9
	v_pk_min_f16 v60, v175, v18
	v_pk_add_f16 v18, v1, v17
	v_pk_add_f16 v1, v1, v19
	;; [unrolled: 1-line block ×4, first 2 shown]
	v_pk_min_f16 v53, v4, v5
	v_pk_add_f16 v4, v7, v19
	v_pk_min_f16 v30, v0, v1
	v_pk_add_f16 v0, v3, v19
	v_pk_min_f16 v59, v176, v18
	v_pk_min_f16 v58, v16, v17
	;; [unrolled: 1-line block ×6, first 2 shown]
	s_and_saveexec_b64 s[2:3], s[14:15]
	s_cbranch_execz .LBB273_33
; %bb.53:                               ;   in Loop: Header=BB273_34 Depth=1
	v_lshl_add_u64 v[0:1], v[38:39], 1, v[46:47]
	flat_load_ushort v0, v[0:1]
	s_waitcnt vmcnt(0) lgkmcnt(0)
	v_mul_f16_e32 v28, v50, v0
	s_branch .LBB273_33
.LBB273_54:
	s_load_dwordx2 s[2:3], s[0:1], 0x78
	s_load_dword s31, s[0:1], 0x58
	s_load_dword s30, s[0:1], 0x70
	v_add_u32_e32 v0, 0x1000, v94
	v_add_u32_e32 v4, 0x800, v95
	s_waitcnt lgkmcnt(0)
	s_mul_i32 s1, s28, s3
	s_mul_hi_u32 s3, s28, s2
	s_mul_i32 s0, s28, s2
	s_add_i32 s1, s3, s1
	ds_read2_b64 v[16:19], v0 offset0:64 offset1:72
	ds_read2_b64 v[12:15], v0 offset0:80 offset1:88
	;; [unrolled: 1-line block ×4, first 2 shown]
	ds_read2_b64 v[28:31], v4 offset1:32
	ds_read2_b64 v[24:27], v4 offset0:64 offset1:96
	ds_read2_b64 v[20:23], v4 offset0:128 offset1:160
	;; [unrolled: 1-line block ×3, first 2 shown]
	s_lshl_b64 s[0:1], s[0:1], 1
	s_add_u32 s26, s18, s0
	v_add_u32_e32 v94, s33, v49
	s_addc_u32 s27, s19, s1
	v_mad_i64_i32 v[34:35], s[0:1], v94, s31, 0
	v_add_u32_e32 v32, s29, v48
	v_lshl_add_u64 v[50:51], v[34:35], 1, s[22:23]
	v_mad_i64_i32 v[34:35], s[0:1], v94, s30, 0
	v_cmp_gt_i32_e64 s[4:5], s24, v32
	v_cmp_gt_i32_e64 s[18:19], s25, v94
	v_lshl_add_u64 v[48:49], v[34:35], 1, s[26:27]
	v_cndmask_b32_e64 v34, 0, 1, s[20:21]
	v_ashrrev_i32_e32 v33, 31, v32
	s_and_b64 s[2:3], s[4:5], s[18:19]
	v_cmp_ne_u32_e64 s[0:1], 1, v34
	s_and_saveexec_b64 s[6:7], s[2:3]
	s_xor_b64 s[2:3], exec, s[6:7]
	s_cbranch_execz .LBB273_59
; %bb.55:
	s_and_b64 vcc, exec, s[0:1]
	s_cbranch_vccnz .LBB273_57
; %bb.56:
	v_lshl_add_u64 v[34:35], v[32:33], 1, v[50:51]
	flat_load_ushort v34, v[34:35]
	s_waitcnt vmcnt(0) lgkmcnt(0)
	v_mul_f16_e32 v34, v52, v34
	s_branch .LBB273_58
.LBB273_57:
	v_mov_b32_e32 v34, 0
.LBB273_58:
	s_waitcnt lgkmcnt(3)
	v_pk_add_f16 v35, v16, v28
	v_pk_max_f16 v36, v120, v120
	s_nop 0
	v_pk_min_f16 v35, v36, v35
	v_pk_add_f16 v36, v17, v29
	s_nop 0
	v_pk_min_f16 v35, v35, v36
	s_nop 0
	v_lshrrev_b32_e32 v36, 16, v35
	v_min3_f16 v36, v34, v35, v36
	v_lshl_add_u64 v[34:35], v[32:33], 1, v[48:49]
	global_store_short v[34:35], v36, off
.LBB273_59:
	s_or_b64 exec, exec, s[2:3]
	v_add_u32_e32 v34, 8, v32
	v_cmp_gt_i32_e64 s[2:3], s24, v34
	v_ashrrev_i32_e32 v35, 31, v34
	s_and_b64 s[8:9], s[2:3], s[18:19]
	s_and_saveexec_b64 s[6:7], s[8:9]
	s_cbranch_execz .LBB273_64
; %bb.60:
	s_and_b64 vcc, exec, s[0:1]
	s_cbranch_vccnz .LBB273_62
; %bb.61:
	v_lshl_add_u64 v[36:37], v[34:35], 1, v[50:51]
	flat_load_ushort v36, v[36:37]
	s_waitcnt vmcnt(0) lgkmcnt(0)
	v_mul_f16_e32 v36, v52, v36
	s_branch .LBB273_63
.LBB273_62:
	v_mov_b32_e32 v36, 0
.LBB273_63:
	s_waitcnt lgkmcnt(3)
	v_pk_add_f16 v37, v18, v28
	v_pk_max_f16 v38, v119, v119
	s_nop 0
	v_pk_min_f16 v37, v38, v37
	v_pk_add_f16 v38, v19, v29
	s_nop 0
	v_pk_min_f16 v37, v37, v38
	s_nop 0
	v_lshrrev_b32_e32 v38, 16, v37
	v_min3_f16 v38, v36, v37, v38
	v_lshl_add_u64 v[36:37], v[34:35], 1, v[48:49]
	global_store_short v[36:37], v38, off
.LBB273_64:
	s_or_b64 exec, exec, s[6:7]
	v_add_u32_e32 v36, 16, v32
	v_cmp_gt_i32_e64 s[6:7], s24, v36
	v_ashrrev_i32_e32 v37, 31, v36
	s_and_b64 s[10:11], s[6:7], s[18:19]
	s_and_saveexec_b64 s[8:9], s[10:11]
	;; [unrolled: 33-line block ×7, first 2 shown]
	s_cbranch_execz .LBB273_94
; %bb.90:
	s_and_b64 vcc, exec, s[0:1]
	s_cbranch_vccnz .LBB273_92
; %bb.91:
	v_lshl_add_u64 v[50:51], v[46:47], 1, v[50:51]
	flat_load_ushort v50, v[50:51]
	s_waitcnt vmcnt(0) lgkmcnt(0)
	v_mul_f16_e32 v50, v52, v50
	s_branch .LBB273_93
.LBB273_92:
	v_mov_b32_e32 v50, 0
.LBB273_93:
	s_waitcnt lgkmcnt(3)
	v_pk_add_f16 v28, v2, v28
	v_pk_max_f16 v51, v113, v113
	v_pk_add_f16 v29, v3, v29
	v_pk_min_f16 v28, v51, v28
	s_nop 0
	v_pk_min_f16 v28, v28, v29
	s_nop 0
	v_lshrrev_b32_e32 v29, 16, v28
	v_min3_f16 v50, v50, v28, v29
	v_lshl_add_u64 v[28:29], v[46:47], 1, v[48:49]
	global_store_short v[28:29], v50, off
.LBB273_94:
	s_or_b64 exec, exec, s[18:19]
	v_add_u32_e32 v50, 32, v94
	s_waitcnt lgkmcnt(3)
	v_mad_i64_i32 v[28:29], s[20:21], v50, s31, 0
	v_cmp_gt_i32_e64 s[18:19], s25, v50
	v_lshl_add_u64 v[48:49], v[28:29], 1, s[22:23]
	v_mad_i64_i32 v[28:29], s[20:21], v50, s30, 0
	v_lshl_add_u64 v[28:29], v[28:29], 1, s[26:27]
	s_and_b64 s[28:29], s[4:5], s[18:19]
	s_and_saveexec_b64 s[20:21], s[28:29]
	s_cbranch_execnz .LBB273_102
; %bb.95:
	s_or_b64 exec, exec, s[20:21]
	s_and_b64 s[28:29], s[2:3], s[18:19]
	s_and_saveexec_b64 s[20:21], s[28:29]
	s_cbranch_execnz .LBB273_106
.LBB273_96:
	s_or_b64 exec, exec, s[20:21]
	s_and_b64 s[28:29], s[6:7], s[18:19]
	s_and_saveexec_b64 s[20:21], s[28:29]
	s_cbranch_execnz .LBB273_110
.LBB273_97:
	s_or_b64 exec, exec, s[20:21]
	s_and_b64 s[28:29], s[8:9], s[18:19]
	s_and_saveexec_b64 s[20:21], s[28:29]
	s_cbranch_execnz .LBB273_114
.LBB273_98:
	s_or_b64 exec, exec, s[20:21]
	s_and_b64 s[28:29], s[10:11], s[18:19]
	s_and_saveexec_b64 s[20:21], s[28:29]
	s_cbranch_execnz .LBB273_118
.LBB273_99:
	s_or_b64 exec, exec, s[20:21]
	s_and_b64 s[28:29], s[12:13], s[18:19]
	s_and_saveexec_b64 s[20:21], s[28:29]
	s_cbranch_execnz .LBB273_122
.LBB273_100:
	s_or_b64 exec, exec, s[20:21]
	s_and_b64 s[28:29], s[14:15], s[18:19]
	s_and_saveexec_b64 s[20:21], s[28:29]
	s_cbranch_execnz .LBB273_126
.LBB273_101:
	s_or_b64 exec, exec, s[20:21]
	s_and_b64 s[20:21], s[16:17], s[18:19]
	s_and_saveexec_b64 s[18:19], s[20:21]
	s_cbranch_execnz .LBB273_130
	s_branch .LBB273_134
.LBB273_102:
	s_and_b64 vcc, exec, s[0:1]
	s_cbranch_vccnz .LBB273_104
; %bb.103:
	v_lshl_add_u64 v[50:51], v[32:33], 1, v[48:49]
	flat_load_ushort v50, v[50:51]
	s_waitcnt vmcnt(0) lgkmcnt(0)
	v_mul_f16_e32 v50, v52, v50
	s_branch .LBB273_105
.LBB273_104:
	v_mov_b32_e32 v50, 0
.LBB273_105:
	v_pk_add_f16 v51, v16, v30
	v_pk_max_f16 v95, v112, v112
	s_nop 0
	v_pk_min_f16 v51, v95, v51
	v_pk_add_f16 v95, v17, v31
	s_nop 0
	v_pk_min_f16 v51, v51, v95
	s_nop 0
	v_lshrrev_b32_e32 v95, 16, v51
	v_min3_f16 v95, v50, v51, v95
	v_lshl_add_u64 v[50:51], v[32:33], 1, v[28:29]
	global_store_short v[50:51], v95, off
	s_or_b64 exec, exec, s[20:21]
	s_and_b64 s[28:29], s[2:3], s[18:19]
	s_and_saveexec_b64 s[20:21], s[28:29]
	s_cbranch_execz .LBB273_96
.LBB273_106:
	s_and_b64 vcc, exec, s[0:1]
	s_cbranch_vccnz .LBB273_108
; %bb.107:
	v_lshl_add_u64 v[50:51], v[34:35], 1, v[48:49]
	flat_load_ushort v50, v[50:51]
	s_waitcnt vmcnt(0) lgkmcnt(0)
	v_mul_f16_e32 v50, v52, v50
	s_branch .LBB273_109
.LBB273_108:
	v_mov_b32_e32 v50, 0
.LBB273_109:
	v_pk_add_f16 v51, v18, v30
	v_pk_max_f16 v95, v111, v111
	s_nop 0
	v_pk_min_f16 v51, v95, v51
	v_pk_add_f16 v95, v19, v31
	s_nop 0
	v_pk_min_f16 v51, v51, v95
	s_nop 0
	v_lshrrev_b32_e32 v95, 16, v51
	v_min3_f16 v95, v50, v51, v95
	v_lshl_add_u64 v[50:51], v[34:35], 1, v[28:29]
	global_store_short v[50:51], v95, off
	s_or_b64 exec, exec, s[20:21]
	s_and_b64 s[28:29], s[6:7], s[18:19]
	s_and_saveexec_b64 s[20:21], s[28:29]
	s_cbranch_execz .LBB273_97
.LBB273_110:
	s_and_b64 vcc, exec, s[0:1]
	s_cbranch_vccnz .LBB273_112
; %bb.111:
	v_lshl_add_u64 v[50:51], v[36:37], 1, v[48:49]
	flat_load_ushort v50, v[50:51]
	s_waitcnt vmcnt(0) lgkmcnt(0)
	v_mul_f16_e32 v50, v52, v50
	s_branch .LBB273_113
.LBB273_112:
	v_mov_b32_e32 v50, 0
.LBB273_113:
	v_pk_add_f16 v51, v12, v30
	v_pk_max_f16 v95, v110, v110
	s_nop 0
	v_pk_min_f16 v51, v95, v51
	v_pk_add_f16 v95, v13, v31
	s_nop 0
	v_pk_min_f16 v51, v51, v95
	s_nop 0
	v_lshrrev_b32_e32 v95, 16, v51
	v_min3_f16 v95, v50, v51, v95
	v_lshl_add_u64 v[50:51], v[36:37], 1, v[28:29]
	global_store_short v[50:51], v95, off
	s_or_b64 exec, exec, s[20:21]
	s_and_b64 s[28:29], s[8:9], s[18:19]
	s_and_saveexec_b64 s[20:21], s[28:29]
	s_cbranch_execz .LBB273_98
.LBB273_114:
	s_and_b64 vcc, exec, s[0:1]
	s_cbranch_vccnz .LBB273_116
; %bb.115:
	v_lshl_add_u64 v[50:51], v[38:39], 1, v[48:49]
	flat_load_ushort v50, v[50:51]
	s_waitcnt vmcnt(0) lgkmcnt(0)
	v_mul_f16_e32 v50, v52, v50
	s_branch .LBB273_117
.LBB273_116:
	v_mov_b32_e32 v50, 0
.LBB273_117:
	v_pk_add_f16 v51, v14, v30
	v_pk_max_f16 v95, v109, v109
	s_nop 0
	v_pk_min_f16 v51, v95, v51
	v_pk_add_f16 v95, v15, v31
	s_nop 0
	v_pk_min_f16 v51, v51, v95
	s_nop 0
	v_lshrrev_b32_e32 v95, 16, v51
	v_min3_f16 v95, v50, v51, v95
	v_lshl_add_u64 v[50:51], v[38:39], 1, v[28:29]
	global_store_short v[50:51], v95, off
	s_or_b64 exec, exec, s[20:21]
	s_and_b64 s[28:29], s[10:11], s[18:19]
	s_and_saveexec_b64 s[20:21], s[28:29]
	s_cbranch_execz .LBB273_99
.LBB273_118:
	s_and_b64 vcc, exec, s[0:1]
	s_cbranch_vccnz .LBB273_120
; %bb.119:
	v_lshl_add_u64 v[50:51], v[40:41], 1, v[48:49]
	flat_load_ushort v50, v[50:51]
	s_waitcnt vmcnt(0) lgkmcnt(0)
	v_mul_f16_e32 v50, v52, v50
	s_branch .LBB273_121
.LBB273_120:
	v_mov_b32_e32 v50, 0
.LBB273_121:
	v_pk_add_f16 v51, v8, v30
	v_pk_max_f16 v95, v108, v108
	s_nop 0
	v_pk_min_f16 v51, v95, v51
	v_pk_add_f16 v95, v9, v31
	s_nop 0
	v_pk_min_f16 v51, v51, v95
	s_nop 0
	v_lshrrev_b32_e32 v95, 16, v51
	v_min3_f16 v95, v50, v51, v95
	v_lshl_add_u64 v[50:51], v[40:41], 1, v[28:29]
	global_store_short v[50:51], v95, off
	s_or_b64 exec, exec, s[20:21]
	s_and_b64 s[28:29], s[12:13], s[18:19]
	s_and_saveexec_b64 s[20:21], s[28:29]
	s_cbranch_execz .LBB273_100
.LBB273_122:
	s_and_b64 vcc, exec, s[0:1]
	s_cbranch_vccnz .LBB273_124
; %bb.123:
	v_lshl_add_u64 v[50:51], v[42:43], 1, v[48:49]
	flat_load_ushort v50, v[50:51]
	s_waitcnt vmcnt(0) lgkmcnt(0)
	v_mul_f16_e32 v50, v52, v50
	s_branch .LBB273_125
.LBB273_124:
	v_mov_b32_e32 v50, 0
.LBB273_125:
	v_pk_add_f16 v51, v10, v30
	v_pk_max_f16 v95, v107, v107
	s_nop 0
	v_pk_min_f16 v51, v95, v51
	v_pk_add_f16 v95, v11, v31
	s_nop 0
	v_pk_min_f16 v51, v51, v95
	s_nop 0
	v_lshrrev_b32_e32 v95, 16, v51
	v_min3_f16 v95, v50, v51, v95
	v_lshl_add_u64 v[50:51], v[42:43], 1, v[28:29]
	global_store_short v[50:51], v95, off
	s_or_b64 exec, exec, s[20:21]
	s_and_b64 s[28:29], s[14:15], s[18:19]
	s_and_saveexec_b64 s[20:21], s[28:29]
	s_cbranch_execz .LBB273_101
.LBB273_126:
	s_and_b64 vcc, exec, s[0:1]
	s_cbranch_vccnz .LBB273_128
; %bb.127:
	v_lshl_add_u64 v[50:51], v[44:45], 1, v[48:49]
	flat_load_ushort v50, v[50:51]
	s_waitcnt vmcnt(0) lgkmcnt(0)
	v_mul_f16_e32 v50, v52, v50
	s_branch .LBB273_129
.LBB273_128:
	v_mov_b32_e32 v50, 0
.LBB273_129:
	v_pk_add_f16 v51, v0, v30
	v_pk_max_f16 v95, v106, v106
	s_nop 0
	v_pk_min_f16 v51, v95, v51
	v_pk_add_f16 v95, v1, v31
	s_nop 0
	v_pk_min_f16 v51, v51, v95
	s_nop 0
	v_lshrrev_b32_e32 v95, 16, v51
	v_min3_f16 v95, v50, v51, v95
	v_lshl_add_u64 v[50:51], v[44:45], 1, v[28:29]
	global_store_short v[50:51], v95, off
	s_or_b64 exec, exec, s[20:21]
	s_and_b64 s[20:21], s[16:17], s[18:19]
	s_and_saveexec_b64 s[18:19], s[20:21]
	s_cbranch_execz .LBB273_134
.LBB273_130:
	s_and_b64 vcc, exec, s[0:1]
	s_cbranch_vccnz .LBB273_132
; %bb.131:
	v_lshl_add_u64 v[48:49], v[46:47], 1, v[48:49]
	flat_load_ushort v48, v[48:49]
	s_waitcnt vmcnt(0) lgkmcnt(0)
	v_mul_f16_e32 v48, v52, v48
	s_branch .LBB273_133
.LBB273_132:
	v_mov_b32_e32 v48, 0
.LBB273_133:
	v_pk_add_f16 v30, v2, v30
	v_pk_max_f16 v49, v105, v105
	v_pk_add_f16 v31, v3, v31
	v_pk_min_f16 v30, v49, v30
	v_lshl_add_u64 v[28:29], v[46:47], 1, v[28:29]
	v_pk_min_f16 v30, v30, v31
	s_nop 0
	v_lshrrev_b32_e32 v31, 16, v30
	v_min3_f16 v30, v48, v30, v31
	global_store_short v[28:29], v30, off
.LBB273_134:
	s_or_b64 exec, exec, s[18:19]
	v_add_u32_e32 v48, 64, v94
	v_mad_i64_i32 v[28:29], s[20:21], v48, s31, 0
	v_cmp_gt_i32_e64 s[18:19], s25, v48
	v_lshl_add_u64 v[30:31], v[28:29], 1, s[22:23]
	v_mad_i64_i32 v[28:29], s[20:21], v48, s30, 0
	v_lshl_add_u64 v[28:29], v[28:29], 1, s[26:27]
	s_and_b64 s[28:29], s[4:5], s[18:19]
	s_and_saveexec_b64 s[20:21], s[28:29]
	s_cbranch_execnz .LBB273_142
; %bb.135:
	s_or_b64 exec, exec, s[20:21]
	s_and_b64 s[28:29], s[2:3], s[18:19]
	s_and_saveexec_b64 s[20:21], s[28:29]
	s_cbranch_execnz .LBB273_146
.LBB273_136:
	s_or_b64 exec, exec, s[20:21]
	s_and_b64 s[28:29], s[6:7], s[18:19]
	s_and_saveexec_b64 s[20:21], s[28:29]
	s_cbranch_execnz .LBB273_150
.LBB273_137:
	s_or_b64 exec, exec, s[20:21]
	s_and_b64 s[28:29], s[8:9], s[18:19]
	s_and_saveexec_b64 s[20:21], s[28:29]
	s_cbranch_execnz .LBB273_154
.LBB273_138:
	s_or_b64 exec, exec, s[20:21]
	s_and_b64 s[28:29], s[10:11], s[18:19]
	s_and_saveexec_b64 s[20:21], s[28:29]
	s_cbranch_execnz .LBB273_158
.LBB273_139:
	s_or_b64 exec, exec, s[20:21]
	s_and_b64 s[28:29], s[12:13], s[18:19]
	s_and_saveexec_b64 s[20:21], s[28:29]
	s_cbranch_execnz .LBB273_162
.LBB273_140:
	s_or_b64 exec, exec, s[20:21]
	s_and_b64 s[28:29], s[14:15], s[18:19]
	s_and_saveexec_b64 s[20:21], s[28:29]
	s_cbranch_execnz .LBB273_166
.LBB273_141:
	s_or_b64 exec, exec, s[20:21]
	s_and_b64 s[20:21], s[16:17], s[18:19]
	s_and_saveexec_b64 s[18:19], s[20:21]
	s_cbranch_execnz .LBB273_170
	s_branch .LBB273_174
.LBB273_142:
	s_and_b64 vcc, exec, s[0:1]
	s_cbranch_vccnz .LBB273_144
; %bb.143:
	v_lshl_add_u64 v[48:49], v[32:33], 1, v[30:31]
	flat_load_ushort v48, v[48:49]
	s_waitcnt vmcnt(0) lgkmcnt(0)
	v_mul_f16_e32 v48, v52, v48
	s_branch .LBB273_145
.LBB273_144:
	v_mov_b32_e32 v48, 0
.LBB273_145:
	s_waitcnt lgkmcnt(2)
	v_pk_add_f16 v49, v16, v24
	v_pk_max_f16 v50, v102, v102
	s_nop 0
	v_pk_min_f16 v49, v50, v49
	v_pk_add_f16 v50, v17, v25
	s_nop 0
	v_pk_min_f16 v49, v49, v50
	s_nop 0
	v_lshrrev_b32_e32 v50, 16, v49
	v_min3_f16 v50, v48, v49, v50
	v_lshl_add_u64 v[48:49], v[32:33], 1, v[28:29]
	global_store_short v[48:49], v50, off
	s_or_b64 exec, exec, s[20:21]
	s_and_b64 s[28:29], s[2:3], s[18:19]
	s_and_saveexec_b64 s[20:21], s[28:29]
	s_cbranch_execz .LBB273_136
.LBB273_146:
	s_and_b64 vcc, exec, s[0:1]
	s_cbranch_vccnz .LBB273_148
; %bb.147:
	v_lshl_add_u64 v[48:49], v[34:35], 1, v[30:31]
	flat_load_ushort v48, v[48:49]
	s_waitcnt vmcnt(0) lgkmcnt(0)
	v_mul_f16_e32 v48, v52, v48
	s_branch .LBB273_149
.LBB273_148:
	v_mov_b32_e32 v48, 0
.LBB273_149:
	s_waitcnt lgkmcnt(2)
	v_pk_add_f16 v49, v18, v24
	v_pk_max_f16 v50, v101, v101
	s_nop 0
	v_pk_min_f16 v49, v50, v49
	v_pk_add_f16 v50, v19, v25
	s_nop 0
	v_pk_min_f16 v49, v49, v50
	s_nop 0
	v_lshrrev_b32_e32 v50, 16, v49
	v_min3_f16 v50, v48, v49, v50
	v_lshl_add_u64 v[48:49], v[34:35], 1, v[28:29]
	global_store_short v[48:49], v50, off
	s_or_b64 exec, exec, s[20:21]
	s_and_b64 s[28:29], s[6:7], s[18:19]
	s_and_saveexec_b64 s[20:21], s[28:29]
	s_cbranch_execz .LBB273_137
.LBB273_150:
	s_and_b64 vcc, exec, s[0:1]
	s_cbranch_vccnz .LBB273_152
; %bb.151:
	v_lshl_add_u64 v[48:49], v[36:37], 1, v[30:31]
	flat_load_ushort v48, v[48:49]
	s_waitcnt vmcnt(0) lgkmcnt(0)
	v_mul_f16_e32 v48, v52, v48
	s_branch .LBB273_153
.LBB273_152:
	v_mov_b32_e32 v48, 0
.LBB273_153:
	s_waitcnt lgkmcnt(2)
	v_pk_add_f16 v49, v12, v24
	v_pk_max_f16 v50, v100, v100
	s_nop 0
	v_pk_min_f16 v49, v50, v49
	v_pk_add_f16 v50, v13, v25
	s_nop 0
	v_pk_min_f16 v49, v49, v50
	s_nop 0
	v_lshrrev_b32_e32 v50, 16, v49
	v_min3_f16 v50, v48, v49, v50
	v_lshl_add_u64 v[48:49], v[36:37], 1, v[28:29]
	global_store_short v[48:49], v50, off
	s_or_b64 exec, exec, s[20:21]
	s_and_b64 s[28:29], s[8:9], s[18:19]
	s_and_saveexec_b64 s[20:21], s[28:29]
	s_cbranch_execz .LBB273_138
.LBB273_154:
	s_and_b64 vcc, exec, s[0:1]
	s_cbranch_vccnz .LBB273_156
; %bb.155:
	v_lshl_add_u64 v[48:49], v[38:39], 1, v[30:31]
	flat_load_ushort v48, v[48:49]
	s_waitcnt vmcnt(0) lgkmcnt(0)
	v_mul_f16_e32 v48, v52, v48
	s_branch .LBB273_157
.LBB273_156:
	v_mov_b32_e32 v48, 0
.LBB273_157:
	s_waitcnt lgkmcnt(2)
	v_pk_add_f16 v49, v14, v24
	v_pk_max_f16 v50, v99, v99
	s_nop 0
	v_pk_min_f16 v49, v50, v49
	v_pk_add_f16 v50, v15, v25
	s_nop 0
	v_pk_min_f16 v49, v49, v50
	s_nop 0
	v_lshrrev_b32_e32 v50, 16, v49
	v_min3_f16 v50, v48, v49, v50
	v_lshl_add_u64 v[48:49], v[38:39], 1, v[28:29]
	global_store_short v[48:49], v50, off
	s_or_b64 exec, exec, s[20:21]
	s_and_b64 s[28:29], s[10:11], s[18:19]
	s_and_saveexec_b64 s[20:21], s[28:29]
	s_cbranch_execz .LBB273_139
.LBB273_158:
	s_and_b64 vcc, exec, s[0:1]
	s_cbranch_vccnz .LBB273_160
; %bb.159:
	v_lshl_add_u64 v[48:49], v[40:41], 1, v[30:31]
	flat_load_ushort v48, v[48:49]
	s_waitcnt vmcnt(0) lgkmcnt(0)
	v_mul_f16_e32 v48, v52, v48
	s_branch .LBB273_161
.LBB273_160:
	v_mov_b32_e32 v48, 0
.LBB273_161:
	s_waitcnt lgkmcnt(2)
	v_pk_add_f16 v49, v8, v24
	v_pk_max_f16 v50, v98, v98
	s_nop 0
	v_pk_min_f16 v49, v50, v49
	v_pk_add_f16 v50, v9, v25
	s_nop 0
	v_pk_min_f16 v49, v49, v50
	s_nop 0
	v_lshrrev_b32_e32 v50, 16, v49
	v_min3_f16 v50, v48, v49, v50
	v_lshl_add_u64 v[48:49], v[40:41], 1, v[28:29]
	global_store_short v[48:49], v50, off
	s_or_b64 exec, exec, s[20:21]
	s_and_b64 s[28:29], s[12:13], s[18:19]
	s_and_saveexec_b64 s[20:21], s[28:29]
	s_cbranch_execz .LBB273_140
.LBB273_162:
	s_and_b64 vcc, exec, s[0:1]
	s_cbranch_vccnz .LBB273_164
; %bb.163:
	v_lshl_add_u64 v[48:49], v[42:43], 1, v[30:31]
	flat_load_ushort v48, v[48:49]
	s_waitcnt vmcnt(0) lgkmcnt(0)
	v_mul_f16_e32 v48, v52, v48
	s_branch .LBB273_165
.LBB273_164:
	v_mov_b32_e32 v48, 0
.LBB273_165:
	s_waitcnt lgkmcnt(2)
	v_pk_add_f16 v49, v10, v24
	v_pk_max_f16 v50, v97, v97
	s_nop 0
	v_pk_min_f16 v49, v50, v49
	v_pk_add_f16 v50, v11, v25
	s_nop 0
	v_pk_min_f16 v49, v49, v50
	s_nop 0
	v_lshrrev_b32_e32 v50, 16, v49
	v_min3_f16 v50, v48, v49, v50
	v_lshl_add_u64 v[48:49], v[42:43], 1, v[28:29]
	global_store_short v[48:49], v50, off
	s_or_b64 exec, exec, s[20:21]
	s_and_b64 s[28:29], s[14:15], s[18:19]
	s_and_saveexec_b64 s[20:21], s[28:29]
	s_cbranch_execz .LBB273_141
.LBB273_166:
	s_and_b64 vcc, exec, s[0:1]
	s_cbranch_vccnz .LBB273_168
; %bb.167:
	v_lshl_add_u64 v[48:49], v[44:45], 1, v[30:31]
	flat_load_ushort v48, v[48:49]
	s_waitcnt vmcnt(0) lgkmcnt(0)
	v_mul_f16_e32 v48, v52, v48
	s_branch .LBB273_169
.LBB273_168:
	v_mov_b32_e32 v48, 0
.LBB273_169:
	s_waitcnt lgkmcnt(2)
	v_pk_add_f16 v49, v0, v24
	v_pk_max_f16 v50, v96, v96
	s_nop 0
	v_pk_min_f16 v49, v50, v49
	v_pk_add_f16 v50, v1, v25
	s_nop 0
	v_pk_min_f16 v49, v49, v50
	s_nop 0
	v_lshrrev_b32_e32 v50, 16, v49
	v_min3_f16 v50, v48, v49, v50
	v_lshl_add_u64 v[48:49], v[44:45], 1, v[28:29]
	global_store_short v[48:49], v50, off
	s_or_b64 exec, exec, s[20:21]
	s_and_b64 s[20:21], s[16:17], s[18:19]
	s_and_saveexec_b64 s[18:19], s[20:21]
	s_cbranch_execz .LBB273_174
.LBB273_170:
	s_and_b64 vcc, exec, s[0:1]
	s_cbranch_vccnz .LBB273_172
; %bb.171:
	v_lshl_add_u64 v[30:31], v[46:47], 1, v[30:31]
	flat_load_ushort v30, v[30:31]
	s_waitcnt vmcnt(0) lgkmcnt(0)
	v_mul_f16_e32 v30, v52, v30
	s_branch .LBB273_173
.LBB273_172:
	v_mov_b32_e32 v30, 0
.LBB273_173:
	s_waitcnt lgkmcnt(2)
	v_pk_add_f16 v24, v2, v24
	v_pk_max_f16 v31, v93, v93
	v_pk_add_f16 v25, v3, v25
	v_pk_min_f16 v24, v31, v24
	s_nop 0
	v_pk_min_f16 v24, v24, v25
	s_nop 0
	v_lshrrev_b32_e32 v25, 16, v24
	v_min3_f16 v30, v30, v24, v25
	v_lshl_add_u64 v[24:25], v[46:47], 1, v[28:29]
	global_store_short v[24:25], v30, off
.LBB273_174:
	s_or_b64 exec, exec, s[18:19]
	v_add_u32_e32 v30, 0x60, v94
	s_waitcnt lgkmcnt(2)
	v_mad_i64_i32 v[24:25], s[20:21], v30, s31, 0
	v_cmp_gt_i32_e64 s[18:19], s25, v30
	v_lshl_add_u64 v[28:29], v[24:25], 1, s[22:23]
	v_mad_i64_i32 v[24:25], s[20:21], v30, s30, 0
	v_lshl_add_u64 v[24:25], v[24:25], 1, s[26:27]
	s_and_b64 s[28:29], s[4:5], s[18:19]
	s_and_saveexec_b64 s[20:21], s[28:29]
	s_cbranch_execnz .LBB273_182
; %bb.175:
	s_or_b64 exec, exec, s[20:21]
	s_and_b64 s[28:29], s[2:3], s[18:19]
	s_and_saveexec_b64 s[20:21], s[28:29]
	s_cbranch_execnz .LBB273_186
.LBB273_176:
	s_or_b64 exec, exec, s[20:21]
	s_and_b64 s[28:29], s[6:7], s[18:19]
	s_and_saveexec_b64 s[20:21], s[28:29]
	s_cbranch_execnz .LBB273_190
.LBB273_177:
	s_or_b64 exec, exec, s[20:21]
	s_and_b64 s[28:29], s[8:9], s[18:19]
	s_and_saveexec_b64 s[20:21], s[28:29]
	s_cbranch_execnz .LBB273_194
.LBB273_178:
	s_or_b64 exec, exec, s[20:21]
	s_and_b64 s[28:29], s[10:11], s[18:19]
	s_and_saveexec_b64 s[20:21], s[28:29]
	s_cbranch_execnz .LBB273_198
.LBB273_179:
	s_or_b64 exec, exec, s[20:21]
	s_and_b64 s[28:29], s[12:13], s[18:19]
	s_and_saveexec_b64 s[20:21], s[28:29]
	s_cbranch_execnz .LBB273_202
.LBB273_180:
	s_or_b64 exec, exec, s[20:21]
	s_and_b64 s[28:29], s[14:15], s[18:19]
	s_and_saveexec_b64 s[20:21], s[28:29]
	s_cbranch_execnz .LBB273_206
.LBB273_181:
	s_or_b64 exec, exec, s[20:21]
	s_and_b64 s[20:21], s[16:17], s[18:19]
	s_and_saveexec_b64 s[18:19], s[20:21]
	s_cbranch_execnz .LBB273_210
	s_branch .LBB273_214
.LBB273_182:
	s_and_b64 vcc, exec, s[0:1]
	s_cbranch_vccnz .LBB273_184
; %bb.183:
	v_lshl_add_u64 v[30:31], v[32:33], 1, v[28:29]
	flat_load_ushort v30, v[30:31]
	s_waitcnt vmcnt(0) lgkmcnt(0)
	v_mul_f16_e32 v30, v52, v30
	s_branch .LBB273_185
.LBB273_184:
	v_mov_b32_e32 v30, 0
.LBB273_185:
	v_pk_add_f16 v31, v16, v26
	v_pk_max_f16 v48, v92, v92
	s_nop 0
	v_pk_min_f16 v31, v48, v31
	v_pk_add_f16 v48, v17, v27
	s_nop 0
	v_pk_min_f16 v31, v31, v48
	s_nop 0
	v_lshrrev_b32_e32 v48, 16, v31
	v_min3_f16 v48, v30, v31, v48
	v_lshl_add_u64 v[30:31], v[32:33], 1, v[24:25]
	global_store_short v[30:31], v48, off
	s_or_b64 exec, exec, s[20:21]
	s_and_b64 s[28:29], s[2:3], s[18:19]
	s_and_saveexec_b64 s[20:21], s[28:29]
	s_cbranch_execz .LBB273_176
.LBB273_186:
	s_and_b64 vcc, exec, s[0:1]
	s_cbranch_vccnz .LBB273_188
; %bb.187:
	v_lshl_add_u64 v[30:31], v[34:35], 1, v[28:29]
	flat_load_ushort v30, v[30:31]
	s_waitcnt vmcnt(0) lgkmcnt(0)
	v_mul_f16_e32 v30, v52, v30
	s_branch .LBB273_189
.LBB273_188:
	v_mov_b32_e32 v30, 0
.LBB273_189:
	v_pk_add_f16 v31, v18, v26
	v_pk_max_f16 v48, v91, v91
	s_nop 0
	v_pk_min_f16 v31, v48, v31
	v_pk_add_f16 v48, v19, v27
	s_nop 0
	v_pk_min_f16 v31, v31, v48
	s_nop 0
	v_lshrrev_b32_e32 v48, 16, v31
	v_min3_f16 v48, v30, v31, v48
	v_lshl_add_u64 v[30:31], v[34:35], 1, v[24:25]
	global_store_short v[30:31], v48, off
	s_or_b64 exec, exec, s[20:21]
	s_and_b64 s[28:29], s[6:7], s[18:19]
	s_and_saveexec_b64 s[20:21], s[28:29]
	s_cbranch_execz .LBB273_177
.LBB273_190:
	s_and_b64 vcc, exec, s[0:1]
	s_cbranch_vccnz .LBB273_192
; %bb.191:
	v_lshl_add_u64 v[30:31], v[36:37], 1, v[28:29]
	flat_load_ushort v30, v[30:31]
	s_waitcnt vmcnt(0) lgkmcnt(0)
	v_mul_f16_e32 v30, v52, v30
	s_branch .LBB273_193
.LBB273_192:
	v_mov_b32_e32 v30, 0
.LBB273_193:
	v_pk_add_f16 v31, v12, v26
	v_pk_max_f16 v48, v90, v90
	s_nop 0
	v_pk_min_f16 v31, v48, v31
	v_pk_add_f16 v48, v13, v27
	s_nop 0
	v_pk_min_f16 v31, v31, v48
	s_nop 0
	v_lshrrev_b32_e32 v48, 16, v31
	v_min3_f16 v48, v30, v31, v48
	v_lshl_add_u64 v[30:31], v[36:37], 1, v[24:25]
	global_store_short v[30:31], v48, off
	s_or_b64 exec, exec, s[20:21]
	s_and_b64 s[28:29], s[8:9], s[18:19]
	s_and_saveexec_b64 s[20:21], s[28:29]
	s_cbranch_execz .LBB273_178
.LBB273_194:
	s_and_b64 vcc, exec, s[0:1]
	s_cbranch_vccnz .LBB273_196
; %bb.195:
	v_lshl_add_u64 v[30:31], v[38:39], 1, v[28:29]
	flat_load_ushort v30, v[30:31]
	s_waitcnt vmcnt(0) lgkmcnt(0)
	v_mul_f16_e32 v30, v52, v30
	s_branch .LBB273_197
.LBB273_196:
	v_mov_b32_e32 v30, 0
.LBB273_197:
	v_pk_add_f16 v31, v14, v26
	v_pk_max_f16 v48, v89, v89
	s_nop 0
	v_pk_min_f16 v31, v48, v31
	v_pk_add_f16 v48, v15, v27
	s_nop 0
	v_pk_min_f16 v31, v31, v48
	s_nop 0
	v_lshrrev_b32_e32 v48, 16, v31
	v_min3_f16 v48, v30, v31, v48
	v_lshl_add_u64 v[30:31], v[38:39], 1, v[24:25]
	global_store_short v[30:31], v48, off
	s_or_b64 exec, exec, s[20:21]
	s_and_b64 s[28:29], s[10:11], s[18:19]
	s_and_saveexec_b64 s[20:21], s[28:29]
	s_cbranch_execz .LBB273_179
.LBB273_198:
	s_and_b64 vcc, exec, s[0:1]
	s_cbranch_vccnz .LBB273_200
; %bb.199:
	v_lshl_add_u64 v[30:31], v[40:41], 1, v[28:29]
	flat_load_ushort v30, v[30:31]
	s_waitcnt vmcnt(0) lgkmcnt(0)
	v_mul_f16_e32 v30, v52, v30
	s_branch .LBB273_201
.LBB273_200:
	v_mov_b32_e32 v30, 0
.LBB273_201:
	v_pk_add_f16 v31, v8, v26
	v_pk_max_f16 v48, v88, v88
	s_nop 0
	v_pk_min_f16 v31, v48, v31
	v_pk_add_f16 v48, v9, v27
	s_nop 0
	v_pk_min_f16 v31, v31, v48
	s_nop 0
	v_lshrrev_b32_e32 v48, 16, v31
	v_min3_f16 v48, v30, v31, v48
	v_lshl_add_u64 v[30:31], v[40:41], 1, v[24:25]
	global_store_short v[30:31], v48, off
	s_or_b64 exec, exec, s[20:21]
	s_and_b64 s[28:29], s[12:13], s[18:19]
	s_and_saveexec_b64 s[20:21], s[28:29]
	s_cbranch_execz .LBB273_180
.LBB273_202:
	s_and_b64 vcc, exec, s[0:1]
	s_cbranch_vccnz .LBB273_204
; %bb.203:
	v_lshl_add_u64 v[30:31], v[42:43], 1, v[28:29]
	flat_load_ushort v30, v[30:31]
	s_waitcnt vmcnt(0) lgkmcnt(0)
	v_mul_f16_e32 v30, v52, v30
	s_branch .LBB273_205
.LBB273_204:
	v_mov_b32_e32 v30, 0
.LBB273_205:
	v_pk_add_f16 v31, v10, v26
	v_pk_max_f16 v48, v87, v87
	s_nop 0
	v_pk_min_f16 v31, v48, v31
	v_pk_add_f16 v48, v11, v27
	s_nop 0
	v_pk_min_f16 v31, v31, v48
	s_nop 0
	v_lshrrev_b32_e32 v48, 16, v31
	v_min3_f16 v48, v30, v31, v48
	v_lshl_add_u64 v[30:31], v[42:43], 1, v[24:25]
	global_store_short v[30:31], v48, off
	s_or_b64 exec, exec, s[20:21]
	s_and_b64 s[28:29], s[14:15], s[18:19]
	s_and_saveexec_b64 s[20:21], s[28:29]
	s_cbranch_execz .LBB273_181
.LBB273_206:
	s_and_b64 vcc, exec, s[0:1]
	s_cbranch_vccnz .LBB273_208
; %bb.207:
	v_lshl_add_u64 v[30:31], v[44:45], 1, v[28:29]
	flat_load_ushort v30, v[30:31]
	s_waitcnt vmcnt(0) lgkmcnt(0)
	v_mul_f16_e32 v30, v52, v30
	s_branch .LBB273_209
.LBB273_208:
	v_mov_b32_e32 v30, 0
.LBB273_209:
	v_pk_add_f16 v31, v0, v26
	v_pk_max_f16 v48, v86, v86
	s_nop 0
	v_pk_min_f16 v31, v48, v31
	v_pk_add_f16 v48, v1, v27
	s_nop 0
	v_pk_min_f16 v31, v31, v48
	s_nop 0
	v_lshrrev_b32_e32 v48, 16, v31
	v_min3_f16 v48, v30, v31, v48
	v_lshl_add_u64 v[30:31], v[44:45], 1, v[24:25]
	global_store_short v[30:31], v48, off
	s_or_b64 exec, exec, s[20:21]
	s_and_b64 s[20:21], s[16:17], s[18:19]
	s_and_saveexec_b64 s[18:19], s[20:21]
	s_cbranch_execz .LBB273_214
.LBB273_210:
	s_and_b64 vcc, exec, s[0:1]
	s_cbranch_vccnz .LBB273_212
; %bb.211:
	v_lshl_add_u64 v[28:29], v[46:47], 1, v[28:29]
	flat_load_ushort v28, v[28:29]
	s_waitcnt vmcnt(0) lgkmcnt(0)
	v_mul_f16_e32 v28, v52, v28
	s_branch .LBB273_213
.LBB273_212:
	v_mov_b32_e32 v28, 0
.LBB273_213:
	v_pk_add_f16 v26, v2, v26
	v_pk_max_f16 v29, v85, v85
	v_pk_add_f16 v27, v3, v27
	v_pk_min_f16 v26, v29, v26
	v_lshl_add_u64 v[24:25], v[46:47], 1, v[24:25]
	v_pk_min_f16 v26, v26, v27
	s_nop 0
	v_lshrrev_b32_e32 v27, 16, v26
	v_min3_f16 v26, v28, v26, v27
	global_store_short v[24:25], v26, off
.LBB273_214:
	s_or_b64 exec, exec, s[18:19]
	v_add_u32_e32 v28, 0x80, v94
	v_mad_i64_i32 v[24:25], s[20:21], v28, s31, 0
	v_cmp_gt_i32_e64 s[18:19], s25, v28
	v_lshl_add_u64 v[26:27], v[24:25], 1, s[22:23]
	v_mad_i64_i32 v[24:25], s[20:21], v28, s30, 0
	v_lshl_add_u64 v[24:25], v[24:25], 1, s[26:27]
	s_and_b64 s[28:29], s[4:5], s[18:19]
	s_and_saveexec_b64 s[20:21], s[28:29]
	s_cbranch_execnz .LBB273_222
; %bb.215:
	s_or_b64 exec, exec, s[20:21]
	s_and_b64 s[28:29], s[2:3], s[18:19]
	s_and_saveexec_b64 s[20:21], s[28:29]
	s_cbranch_execnz .LBB273_226
.LBB273_216:
	s_or_b64 exec, exec, s[20:21]
	s_and_b64 s[28:29], s[6:7], s[18:19]
	s_and_saveexec_b64 s[20:21], s[28:29]
	s_cbranch_execnz .LBB273_230
.LBB273_217:
	s_or_b64 exec, exec, s[20:21]
	s_and_b64 s[28:29], s[8:9], s[18:19]
	s_and_saveexec_b64 s[20:21], s[28:29]
	s_cbranch_execnz .LBB273_234
.LBB273_218:
	s_or_b64 exec, exec, s[20:21]
	s_and_b64 s[28:29], s[10:11], s[18:19]
	s_and_saveexec_b64 s[20:21], s[28:29]
	s_cbranch_execnz .LBB273_238
.LBB273_219:
	s_or_b64 exec, exec, s[20:21]
	s_and_b64 s[28:29], s[12:13], s[18:19]
	s_and_saveexec_b64 s[20:21], s[28:29]
	s_cbranch_execnz .LBB273_242
.LBB273_220:
	s_or_b64 exec, exec, s[20:21]
	s_and_b64 s[28:29], s[14:15], s[18:19]
	s_and_saveexec_b64 s[20:21], s[28:29]
	s_cbranch_execnz .LBB273_246
.LBB273_221:
	s_or_b64 exec, exec, s[20:21]
	s_and_b64 s[20:21], s[16:17], s[18:19]
	s_and_saveexec_b64 s[18:19], s[20:21]
	s_cbranch_execnz .LBB273_250
	s_branch .LBB273_254
.LBB273_222:
	s_and_b64 vcc, exec, s[0:1]
	s_cbranch_vccnz .LBB273_224
; %bb.223:
	v_lshl_add_u64 v[28:29], v[32:33], 1, v[26:27]
	flat_load_ushort v28, v[28:29]
	s_waitcnt vmcnt(0) lgkmcnt(0)
	v_mul_f16_e32 v28, v52, v28
	s_branch .LBB273_225
.LBB273_224:
	v_mov_b32_e32 v28, 0
.LBB273_225:
	s_waitcnt lgkmcnt(1)
	v_pk_add_f16 v29, v16, v20
	v_pk_max_f16 v30, v84, v84
	s_nop 0
	v_pk_min_f16 v29, v30, v29
	v_pk_add_f16 v30, v17, v21
	s_nop 0
	v_pk_min_f16 v29, v29, v30
	s_nop 0
	v_lshrrev_b32_e32 v30, 16, v29
	v_min3_f16 v30, v28, v29, v30
	v_lshl_add_u64 v[28:29], v[32:33], 1, v[24:25]
	global_store_short v[28:29], v30, off
	s_or_b64 exec, exec, s[20:21]
	s_and_b64 s[28:29], s[2:3], s[18:19]
	s_and_saveexec_b64 s[20:21], s[28:29]
	s_cbranch_execz .LBB273_216
.LBB273_226:
	s_and_b64 vcc, exec, s[0:1]
	s_cbranch_vccnz .LBB273_228
; %bb.227:
	v_lshl_add_u64 v[28:29], v[34:35], 1, v[26:27]
	flat_load_ushort v28, v[28:29]
	s_waitcnt vmcnt(0) lgkmcnt(0)
	v_mul_f16_e32 v28, v52, v28
	s_branch .LBB273_229
.LBB273_228:
	v_mov_b32_e32 v28, 0
.LBB273_229:
	s_waitcnt lgkmcnt(1)
	v_pk_add_f16 v29, v18, v20
	v_pk_max_f16 v30, v83, v83
	s_nop 0
	v_pk_min_f16 v29, v30, v29
	v_pk_add_f16 v30, v19, v21
	s_nop 0
	v_pk_min_f16 v29, v29, v30
	s_nop 0
	v_lshrrev_b32_e32 v30, 16, v29
	v_min3_f16 v30, v28, v29, v30
	v_lshl_add_u64 v[28:29], v[34:35], 1, v[24:25]
	global_store_short v[28:29], v30, off
	s_or_b64 exec, exec, s[20:21]
	s_and_b64 s[28:29], s[6:7], s[18:19]
	s_and_saveexec_b64 s[20:21], s[28:29]
	s_cbranch_execz .LBB273_217
.LBB273_230:
	s_and_b64 vcc, exec, s[0:1]
	s_cbranch_vccnz .LBB273_232
; %bb.231:
	v_lshl_add_u64 v[28:29], v[36:37], 1, v[26:27]
	flat_load_ushort v28, v[28:29]
	s_waitcnt vmcnt(0) lgkmcnt(0)
	v_mul_f16_e32 v28, v52, v28
	s_branch .LBB273_233
.LBB273_232:
	v_mov_b32_e32 v28, 0
.LBB273_233:
	s_waitcnt lgkmcnt(1)
	v_pk_add_f16 v29, v12, v20
	v_pk_max_f16 v30, v82, v82
	s_nop 0
	v_pk_min_f16 v29, v30, v29
	v_pk_add_f16 v30, v13, v21
	s_nop 0
	v_pk_min_f16 v29, v29, v30
	s_nop 0
	v_lshrrev_b32_e32 v30, 16, v29
	v_min3_f16 v30, v28, v29, v30
	v_lshl_add_u64 v[28:29], v[36:37], 1, v[24:25]
	global_store_short v[28:29], v30, off
	s_or_b64 exec, exec, s[20:21]
	s_and_b64 s[28:29], s[8:9], s[18:19]
	s_and_saveexec_b64 s[20:21], s[28:29]
	s_cbranch_execz .LBB273_218
.LBB273_234:
	s_and_b64 vcc, exec, s[0:1]
	s_cbranch_vccnz .LBB273_236
; %bb.235:
	v_lshl_add_u64 v[28:29], v[38:39], 1, v[26:27]
	flat_load_ushort v28, v[28:29]
	s_waitcnt vmcnt(0) lgkmcnt(0)
	v_mul_f16_e32 v28, v52, v28
	s_branch .LBB273_237
.LBB273_236:
	v_mov_b32_e32 v28, 0
.LBB273_237:
	s_waitcnt lgkmcnt(1)
	v_pk_add_f16 v29, v14, v20
	v_pk_max_f16 v30, v81, v81
	s_nop 0
	v_pk_min_f16 v29, v30, v29
	v_pk_add_f16 v30, v15, v21
	s_nop 0
	v_pk_min_f16 v29, v29, v30
	s_nop 0
	v_lshrrev_b32_e32 v30, 16, v29
	v_min3_f16 v30, v28, v29, v30
	v_lshl_add_u64 v[28:29], v[38:39], 1, v[24:25]
	global_store_short v[28:29], v30, off
	s_or_b64 exec, exec, s[20:21]
	s_and_b64 s[28:29], s[10:11], s[18:19]
	s_and_saveexec_b64 s[20:21], s[28:29]
	s_cbranch_execz .LBB273_219
.LBB273_238:
	s_and_b64 vcc, exec, s[0:1]
	s_cbranch_vccnz .LBB273_240
; %bb.239:
	v_lshl_add_u64 v[28:29], v[40:41], 1, v[26:27]
	flat_load_ushort v28, v[28:29]
	s_waitcnt vmcnt(0) lgkmcnt(0)
	v_mul_f16_e32 v28, v52, v28
	s_branch .LBB273_241
.LBB273_240:
	v_mov_b32_e32 v28, 0
.LBB273_241:
	s_waitcnt lgkmcnt(1)
	v_pk_add_f16 v29, v8, v20
	v_pk_max_f16 v30, v80, v80
	s_nop 0
	v_pk_min_f16 v29, v30, v29
	v_pk_add_f16 v30, v9, v21
	s_nop 0
	v_pk_min_f16 v29, v29, v30
	s_nop 0
	v_lshrrev_b32_e32 v30, 16, v29
	v_min3_f16 v30, v28, v29, v30
	v_lshl_add_u64 v[28:29], v[40:41], 1, v[24:25]
	global_store_short v[28:29], v30, off
	s_or_b64 exec, exec, s[20:21]
	s_and_b64 s[28:29], s[12:13], s[18:19]
	s_and_saveexec_b64 s[20:21], s[28:29]
	s_cbranch_execz .LBB273_220
.LBB273_242:
	s_and_b64 vcc, exec, s[0:1]
	s_cbranch_vccnz .LBB273_244
; %bb.243:
	v_lshl_add_u64 v[28:29], v[42:43], 1, v[26:27]
	flat_load_ushort v28, v[28:29]
	s_waitcnt vmcnt(0) lgkmcnt(0)
	v_mul_f16_e32 v28, v52, v28
	s_branch .LBB273_245
.LBB273_244:
	v_mov_b32_e32 v28, 0
.LBB273_245:
	s_waitcnt lgkmcnt(1)
	v_pk_add_f16 v29, v10, v20
	v_pk_max_f16 v30, v79, v79
	s_nop 0
	v_pk_min_f16 v29, v30, v29
	v_pk_add_f16 v30, v11, v21
	s_nop 0
	v_pk_min_f16 v29, v29, v30
	s_nop 0
	v_lshrrev_b32_e32 v30, 16, v29
	v_min3_f16 v30, v28, v29, v30
	v_lshl_add_u64 v[28:29], v[42:43], 1, v[24:25]
	global_store_short v[28:29], v30, off
	s_or_b64 exec, exec, s[20:21]
	s_and_b64 s[28:29], s[14:15], s[18:19]
	s_and_saveexec_b64 s[20:21], s[28:29]
	s_cbranch_execz .LBB273_221
.LBB273_246:
	s_and_b64 vcc, exec, s[0:1]
	s_cbranch_vccnz .LBB273_248
; %bb.247:
	v_lshl_add_u64 v[28:29], v[44:45], 1, v[26:27]
	flat_load_ushort v28, v[28:29]
	s_waitcnt vmcnt(0) lgkmcnt(0)
	v_mul_f16_e32 v28, v52, v28
	s_branch .LBB273_249
.LBB273_248:
	v_mov_b32_e32 v28, 0
.LBB273_249:
	s_waitcnt lgkmcnt(1)
	v_pk_add_f16 v29, v0, v20
	v_pk_max_f16 v30, v78, v78
	s_nop 0
	v_pk_min_f16 v29, v30, v29
	v_pk_add_f16 v30, v1, v21
	s_nop 0
	v_pk_min_f16 v29, v29, v30
	s_nop 0
	v_lshrrev_b32_e32 v30, 16, v29
	v_min3_f16 v30, v28, v29, v30
	v_lshl_add_u64 v[28:29], v[44:45], 1, v[24:25]
	global_store_short v[28:29], v30, off
	s_or_b64 exec, exec, s[20:21]
	s_and_b64 s[20:21], s[16:17], s[18:19]
	s_and_saveexec_b64 s[18:19], s[20:21]
	s_cbranch_execz .LBB273_254
.LBB273_250:
	s_and_b64 vcc, exec, s[0:1]
	s_cbranch_vccnz .LBB273_252
; %bb.251:
	v_lshl_add_u64 v[26:27], v[46:47], 1, v[26:27]
	flat_load_ushort v26, v[26:27]
	s_waitcnt vmcnt(0) lgkmcnt(0)
	v_mul_f16_e32 v26, v52, v26
	s_branch .LBB273_253
.LBB273_252:
	v_mov_b32_e32 v26, 0
.LBB273_253:
	s_waitcnt lgkmcnt(1)
	v_pk_add_f16 v20, v2, v20
	v_pk_max_f16 v27, v77, v77
	v_pk_add_f16 v21, v3, v21
	v_pk_min_f16 v20, v27, v20
	s_nop 0
	v_pk_min_f16 v20, v20, v21
	s_nop 0
	v_lshrrev_b32_e32 v21, 16, v20
	v_min3_f16 v26, v26, v20, v21
	v_lshl_add_u64 v[20:21], v[46:47], 1, v[24:25]
	global_store_short v[20:21], v26, off
.LBB273_254:
	s_or_b64 exec, exec, s[18:19]
	v_add_u32_e32 v26, 0xa0, v94
	s_waitcnt lgkmcnt(1)
	v_mad_i64_i32 v[20:21], s[20:21], v26, s31, 0
	v_cmp_gt_i32_e64 s[18:19], s25, v26
	v_lshl_add_u64 v[24:25], v[20:21], 1, s[22:23]
	v_mad_i64_i32 v[20:21], s[20:21], v26, s30, 0
	v_lshl_add_u64 v[20:21], v[20:21], 1, s[26:27]
	s_and_b64 s[28:29], s[4:5], s[18:19]
	s_and_saveexec_b64 s[20:21], s[28:29]
	s_cbranch_execnz .LBB273_262
; %bb.255:
	s_or_b64 exec, exec, s[20:21]
	s_and_b64 s[28:29], s[2:3], s[18:19]
	s_and_saveexec_b64 s[20:21], s[28:29]
	s_cbranch_execnz .LBB273_266
.LBB273_256:
	s_or_b64 exec, exec, s[20:21]
	s_and_b64 s[28:29], s[6:7], s[18:19]
	s_and_saveexec_b64 s[20:21], s[28:29]
	s_cbranch_execnz .LBB273_270
.LBB273_257:
	s_or_b64 exec, exec, s[20:21]
	s_and_b64 s[28:29], s[8:9], s[18:19]
	s_and_saveexec_b64 s[20:21], s[28:29]
	s_cbranch_execnz .LBB273_274
.LBB273_258:
	s_or_b64 exec, exec, s[20:21]
	s_and_b64 s[28:29], s[10:11], s[18:19]
	s_and_saveexec_b64 s[20:21], s[28:29]
	s_cbranch_execnz .LBB273_278
.LBB273_259:
	s_or_b64 exec, exec, s[20:21]
	s_and_b64 s[28:29], s[12:13], s[18:19]
	s_and_saveexec_b64 s[20:21], s[28:29]
	s_cbranch_execnz .LBB273_282
.LBB273_260:
	s_or_b64 exec, exec, s[20:21]
	s_and_b64 s[28:29], s[14:15], s[18:19]
	s_and_saveexec_b64 s[20:21], s[28:29]
	s_cbranch_execnz .LBB273_286
.LBB273_261:
	s_or_b64 exec, exec, s[20:21]
	s_and_b64 s[20:21], s[16:17], s[18:19]
	s_and_saveexec_b64 s[18:19], s[20:21]
	s_cbranch_execnz .LBB273_290
	s_branch .LBB273_294
.LBB273_262:
	s_and_b64 vcc, exec, s[0:1]
	s_cbranch_vccnz .LBB273_264
; %bb.263:
	v_lshl_add_u64 v[26:27], v[32:33], 1, v[24:25]
	flat_load_ushort v26, v[26:27]
	s_waitcnt vmcnt(0) lgkmcnt(0)
	v_mul_f16_e32 v26, v52, v26
	s_branch .LBB273_265
.LBB273_264:
	v_mov_b32_e32 v26, 0
.LBB273_265:
	v_pk_add_f16 v27, v16, v22
	v_pk_max_f16 v28, v76, v76
	s_nop 0
	v_pk_min_f16 v27, v28, v27
	v_pk_add_f16 v28, v17, v23
	s_nop 0
	v_pk_min_f16 v27, v27, v28
	s_nop 0
	v_lshrrev_b32_e32 v28, 16, v27
	v_min3_f16 v28, v26, v27, v28
	v_lshl_add_u64 v[26:27], v[32:33], 1, v[20:21]
	global_store_short v[26:27], v28, off
	s_or_b64 exec, exec, s[20:21]
	s_and_b64 s[28:29], s[2:3], s[18:19]
	s_and_saveexec_b64 s[20:21], s[28:29]
	s_cbranch_execz .LBB273_256
.LBB273_266:
	s_and_b64 vcc, exec, s[0:1]
	s_cbranch_vccnz .LBB273_268
; %bb.267:
	v_lshl_add_u64 v[26:27], v[34:35], 1, v[24:25]
	flat_load_ushort v26, v[26:27]
	s_waitcnt vmcnt(0) lgkmcnt(0)
	v_mul_f16_e32 v26, v52, v26
	s_branch .LBB273_269
.LBB273_268:
	v_mov_b32_e32 v26, 0
.LBB273_269:
	v_pk_add_f16 v27, v18, v22
	v_pk_max_f16 v28, v75, v75
	s_nop 0
	v_pk_min_f16 v27, v28, v27
	v_pk_add_f16 v28, v19, v23
	s_nop 0
	v_pk_min_f16 v27, v27, v28
	s_nop 0
	v_lshrrev_b32_e32 v28, 16, v27
	v_min3_f16 v28, v26, v27, v28
	v_lshl_add_u64 v[26:27], v[34:35], 1, v[20:21]
	global_store_short v[26:27], v28, off
	s_or_b64 exec, exec, s[20:21]
	s_and_b64 s[28:29], s[6:7], s[18:19]
	s_and_saveexec_b64 s[20:21], s[28:29]
	s_cbranch_execz .LBB273_257
.LBB273_270:
	s_and_b64 vcc, exec, s[0:1]
	s_cbranch_vccnz .LBB273_272
; %bb.271:
	v_lshl_add_u64 v[26:27], v[36:37], 1, v[24:25]
	flat_load_ushort v26, v[26:27]
	s_waitcnt vmcnt(0) lgkmcnt(0)
	v_mul_f16_e32 v26, v52, v26
	s_branch .LBB273_273
.LBB273_272:
	v_mov_b32_e32 v26, 0
.LBB273_273:
	v_pk_add_f16 v27, v12, v22
	v_pk_max_f16 v28, v74, v74
	s_nop 0
	v_pk_min_f16 v27, v28, v27
	v_pk_add_f16 v28, v13, v23
	s_nop 0
	v_pk_min_f16 v27, v27, v28
	s_nop 0
	v_lshrrev_b32_e32 v28, 16, v27
	v_min3_f16 v28, v26, v27, v28
	v_lshl_add_u64 v[26:27], v[36:37], 1, v[20:21]
	global_store_short v[26:27], v28, off
	s_or_b64 exec, exec, s[20:21]
	s_and_b64 s[28:29], s[8:9], s[18:19]
	s_and_saveexec_b64 s[20:21], s[28:29]
	s_cbranch_execz .LBB273_258
.LBB273_274:
	s_and_b64 vcc, exec, s[0:1]
	s_cbranch_vccnz .LBB273_276
; %bb.275:
	v_lshl_add_u64 v[26:27], v[38:39], 1, v[24:25]
	flat_load_ushort v26, v[26:27]
	s_waitcnt vmcnt(0) lgkmcnt(0)
	v_mul_f16_e32 v26, v52, v26
	s_branch .LBB273_277
.LBB273_276:
	v_mov_b32_e32 v26, 0
.LBB273_277:
	v_pk_add_f16 v27, v14, v22
	v_pk_max_f16 v28, v73, v73
	s_nop 0
	v_pk_min_f16 v27, v28, v27
	v_pk_add_f16 v28, v15, v23
	s_nop 0
	v_pk_min_f16 v27, v27, v28
	s_nop 0
	v_lshrrev_b32_e32 v28, 16, v27
	v_min3_f16 v28, v26, v27, v28
	v_lshl_add_u64 v[26:27], v[38:39], 1, v[20:21]
	global_store_short v[26:27], v28, off
	s_or_b64 exec, exec, s[20:21]
	s_and_b64 s[28:29], s[10:11], s[18:19]
	s_and_saveexec_b64 s[20:21], s[28:29]
	s_cbranch_execz .LBB273_259
.LBB273_278:
	s_and_b64 vcc, exec, s[0:1]
	s_cbranch_vccnz .LBB273_280
; %bb.279:
	v_lshl_add_u64 v[26:27], v[40:41], 1, v[24:25]
	flat_load_ushort v26, v[26:27]
	s_waitcnt vmcnt(0) lgkmcnt(0)
	v_mul_f16_e32 v26, v52, v26
	s_branch .LBB273_281
.LBB273_280:
	v_mov_b32_e32 v26, 0
.LBB273_281:
	v_pk_add_f16 v27, v8, v22
	v_pk_max_f16 v28, v72, v72
	s_nop 0
	v_pk_min_f16 v27, v28, v27
	v_pk_add_f16 v28, v9, v23
	s_nop 0
	v_pk_min_f16 v27, v27, v28
	s_nop 0
	v_lshrrev_b32_e32 v28, 16, v27
	v_min3_f16 v28, v26, v27, v28
	v_lshl_add_u64 v[26:27], v[40:41], 1, v[20:21]
	global_store_short v[26:27], v28, off
	s_or_b64 exec, exec, s[20:21]
	s_and_b64 s[28:29], s[12:13], s[18:19]
	s_and_saveexec_b64 s[20:21], s[28:29]
	s_cbranch_execz .LBB273_260
.LBB273_282:
	s_and_b64 vcc, exec, s[0:1]
	s_cbranch_vccnz .LBB273_284
; %bb.283:
	v_lshl_add_u64 v[26:27], v[42:43], 1, v[24:25]
	flat_load_ushort v26, v[26:27]
	s_waitcnt vmcnt(0) lgkmcnt(0)
	v_mul_f16_e32 v26, v52, v26
	s_branch .LBB273_285
.LBB273_284:
	v_mov_b32_e32 v26, 0
.LBB273_285:
	v_pk_add_f16 v27, v10, v22
	v_pk_max_f16 v28, v71, v71
	s_nop 0
	v_pk_min_f16 v27, v28, v27
	v_pk_add_f16 v28, v11, v23
	s_nop 0
	v_pk_min_f16 v27, v27, v28
	s_nop 0
	v_lshrrev_b32_e32 v28, 16, v27
	v_min3_f16 v28, v26, v27, v28
	v_lshl_add_u64 v[26:27], v[42:43], 1, v[20:21]
	global_store_short v[26:27], v28, off
	s_or_b64 exec, exec, s[20:21]
	s_and_b64 s[28:29], s[14:15], s[18:19]
	s_and_saveexec_b64 s[20:21], s[28:29]
	s_cbranch_execz .LBB273_261
.LBB273_286:
	s_and_b64 vcc, exec, s[0:1]
	s_cbranch_vccnz .LBB273_288
; %bb.287:
	v_lshl_add_u64 v[26:27], v[44:45], 1, v[24:25]
	flat_load_ushort v26, v[26:27]
	s_waitcnt vmcnt(0) lgkmcnt(0)
	v_mul_f16_e32 v26, v52, v26
	s_branch .LBB273_289
.LBB273_288:
	v_mov_b32_e32 v26, 0
.LBB273_289:
	v_pk_add_f16 v27, v0, v22
	v_pk_max_f16 v28, v70, v70
	s_nop 0
	v_pk_min_f16 v27, v28, v27
	v_pk_add_f16 v28, v1, v23
	s_nop 0
	v_pk_min_f16 v27, v27, v28
	s_nop 0
	v_lshrrev_b32_e32 v28, 16, v27
	v_min3_f16 v28, v26, v27, v28
	v_lshl_add_u64 v[26:27], v[44:45], 1, v[20:21]
	global_store_short v[26:27], v28, off
	s_or_b64 exec, exec, s[20:21]
	s_and_b64 s[20:21], s[16:17], s[18:19]
	s_and_saveexec_b64 s[18:19], s[20:21]
	s_cbranch_execz .LBB273_294
.LBB273_290:
	s_and_b64 vcc, exec, s[0:1]
	s_cbranch_vccnz .LBB273_292
; %bb.291:
	v_lshl_add_u64 v[24:25], v[46:47], 1, v[24:25]
	flat_load_ushort v24, v[24:25]
	s_waitcnt vmcnt(0) lgkmcnt(0)
	v_mul_f16_e32 v24, v52, v24
	s_branch .LBB273_293
.LBB273_292:
	v_mov_b32_e32 v24, 0
.LBB273_293:
	v_pk_add_f16 v22, v2, v22
	v_pk_max_f16 v25, v69, v69
	v_pk_add_f16 v23, v3, v23
	v_pk_min_f16 v22, v25, v22
	v_lshl_add_u64 v[20:21], v[46:47], 1, v[20:21]
	v_pk_min_f16 v22, v22, v23
	s_nop 0
	v_lshrrev_b32_e32 v23, 16, v22
	v_min3_f16 v22, v24, v22, v23
	global_store_short v[20:21], v22, off
.LBB273_294:
	s_or_b64 exec, exec, s[18:19]
	v_add_u32_e32 v24, 0xc0, v94
	v_mad_i64_i32 v[20:21], s[20:21], v24, s31, 0
	v_cmp_gt_i32_e64 s[18:19], s25, v24
	v_lshl_add_u64 v[22:23], v[20:21], 1, s[22:23]
	v_mad_i64_i32 v[20:21], s[20:21], v24, s30, 0
	v_lshl_add_u64 v[20:21], v[20:21], 1, s[26:27]
	s_and_b64 s[28:29], s[4:5], s[18:19]
	s_and_saveexec_b64 s[20:21], s[28:29]
	s_cbranch_execnz .LBB273_302
; %bb.295:
	s_or_b64 exec, exec, s[20:21]
	s_and_b64 s[28:29], s[2:3], s[18:19]
	s_and_saveexec_b64 s[20:21], s[28:29]
	s_cbranch_execnz .LBB273_306
.LBB273_296:
	s_or_b64 exec, exec, s[20:21]
	s_and_b64 s[28:29], s[6:7], s[18:19]
	s_and_saveexec_b64 s[20:21], s[28:29]
	s_cbranch_execnz .LBB273_310
.LBB273_297:
	s_or_b64 exec, exec, s[20:21]
	s_and_b64 s[28:29], s[8:9], s[18:19]
	s_and_saveexec_b64 s[20:21], s[28:29]
	s_cbranch_execnz .LBB273_314
.LBB273_298:
	s_or_b64 exec, exec, s[20:21]
	s_and_b64 s[28:29], s[10:11], s[18:19]
	s_and_saveexec_b64 s[20:21], s[28:29]
	s_cbranch_execnz .LBB273_318
.LBB273_299:
	s_or_b64 exec, exec, s[20:21]
	s_and_b64 s[28:29], s[12:13], s[18:19]
	s_and_saveexec_b64 s[20:21], s[28:29]
	s_cbranch_execnz .LBB273_322
.LBB273_300:
	s_or_b64 exec, exec, s[20:21]
	s_and_b64 s[28:29], s[14:15], s[18:19]
	s_and_saveexec_b64 s[20:21], s[28:29]
	s_cbranch_execnz .LBB273_326
.LBB273_301:
	s_or_b64 exec, exec, s[20:21]
	s_and_b64 s[20:21], s[16:17], s[18:19]
	s_and_saveexec_b64 s[18:19], s[20:21]
	s_cbranch_execnz .LBB273_330
	s_branch .LBB273_334
.LBB273_302:
	s_and_b64 vcc, exec, s[0:1]
	s_cbranch_vccnz .LBB273_304
; %bb.303:
	v_lshl_add_u64 v[24:25], v[32:33], 1, v[22:23]
	flat_load_ushort v24, v[24:25]
	s_waitcnt vmcnt(0) lgkmcnt(0)
	v_mul_f16_e32 v24, v52, v24
	s_branch .LBB273_305
.LBB273_304:
	v_mov_b32_e32 v24, 0
.LBB273_305:
	s_waitcnt lgkmcnt(0)
	v_pk_add_f16 v25, v16, v4
	v_pk_max_f16 v26, v68, v68
	s_nop 0
	v_pk_min_f16 v25, v26, v25
	v_pk_add_f16 v26, v17, v5
	s_nop 0
	v_pk_min_f16 v25, v25, v26
	s_nop 0
	v_lshrrev_b32_e32 v26, 16, v25
	v_min3_f16 v26, v24, v25, v26
	v_lshl_add_u64 v[24:25], v[32:33], 1, v[20:21]
	global_store_short v[24:25], v26, off
	s_or_b64 exec, exec, s[20:21]
	s_and_b64 s[28:29], s[2:3], s[18:19]
	s_and_saveexec_b64 s[20:21], s[28:29]
	s_cbranch_execz .LBB273_296
.LBB273_306:
	s_and_b64 vcc, exec, s[0:1]
	s_cbranch_vccnz .LBB273_308
; %bb.307:
	v_lshl_add_u64 v[24:25], v[34:35], 1, v[22:23]
	flat_load_ushort v24, v[24:25]
	s_waitcnt vmcnt(0) lgkmcnt(0)
	v_mul_f16_e32 v24, v52, v24
	s_branch .LBB273_309
.LBB273_308:
	v_mov_b32_e32 v24, 0
.LBB273_309:
	s_waitcnt lgkmcnt(0)
	v_pk_add_f16 v25, v18, v4
	v_pk_max_f16 v26, v67, v67
	s_nop 0
	v_pk_min_f16 v25, v26, v25
	v_pk_add_f16 v26, v19, v5
	s_nop 0
	v_pk_min_f16 v25, v25, v26
	s_nop 0
	v_lshrrev_b32_e32 v26, 16, v25
	v_min3_f16 v26, v24, v25, v26
	v_lshl_add_u64 v[24:25], v[34:35], 1, v[20:21]
	global_store_short v[24:25], v26, off
	s_or_b64 exec, exec, s[20:21]
	s_and_b64 s[28:29], s[6:7], s[18:19]
	s_and_saveexec_b64 s[20:21], s[28:29]
	s_cbranch_execz .LBB273_297
.LBB273_310:
	s_and_b64 vcc, exec, s[0:1]
	s_cbranch_vccnz .LBB273_312
; %bb.311:
	v_lshl_add_u64 v[24:25], v[36:37], 1, v[22:23]
	flat_load_ushort v24, v[24:25]
	s_waitcnt vmcnt(0) lgkmcnt(0)
	v_mul_f16_e32 v24, v52, v24
	s_branch .LBB273_313
.LBB273_312:
	v_mov_b32_e32 v24, 0
.LBB273_313:
	s_waitcnt lgkmcnt(0)
	v_pk_add_f16 v25, v12, v4
	v_pk_max_f16 v26, v66, v66
	s_nop 0
	v_pk_min_f16 v25, v26, v25
	v_pk_add_f16 v26, v13, v5
	s_nop 0
	v_pk_min_f16 v25, v25, v26
	s_nop 0
	v_lshrrev_b32_e32 v26, 16, v25
	v_min3_f16 v26, v24, v25, v26
	v_lshl_add_u64 v[24:25], v[36:37], 1, v[20:21]
	global_store_short v[24:25], v26, off
	s_or_b64 exec, exec, s[20:21]
	s_and_b64 s[28:29], s[8:9], s[18:19]
	s_and_saveexec_b64 s[20:21], s[28:29]
	s_cbranch_execz .LBB273_298
.LBB273_314:
	s_and_b64 vcc, exec, s[0:1]
	s_cbranch_vccnz .LBB273_316
; %bb.315:
	v_lshl_add_u64 v[24:25], v[38:39], 1, v[22:23]
	flat_load_ushort v24, v[24:25]
	s_waitcnt vmcnt(0) lgkmcnt(0)
	v_mul_f16_e32 v24, v52, v24
	s_branch .LBB273_317
.LBB273_316:
	v_mov_b32_e32 v24, 0
.LBB273_317:
	s_waitcnt lgkmcnt(0)
	v_pk_add_f16 v25, v14, v4
	v_pk_max_f16 v26, v65, v65
	s_nop 0
	v_pk_min_f16 v25, v26, v25
	v_pk_add_f16 v26, v15, v5
	s_nop 0
	v_pk_min_f16 v25, v25, v26
	s_nop 0
	v_lshrrev_b32_e32 v26, 16, v25
	v_min3_f16 v26, v24, v25, v26
	v_lshl_add_u64 v[24:25], v[38:39], 1, v[20:21]
	global_store_short v[24:25], v26, off
	s_or_b64 exec, exec, s[20:21]
	s_and_b64 s[28:29], s[10:11], s[18:19]
	s_and_saveexec_b64 s[20:21], s[28:29]
	s_cbranch_execz .LBB273_299
.LBB273_318:
	s_and_b64 vcc, exec, s[0:1]
	s_cbranch_vccnz .LBB273_320
; %bb.319:
	v_lshl_add_u64 v[24:25], v[40:41], 1, v[22:23]
	flat_load_ushort v24, v[24:25]
	s_waitcnt vmcnt(0) lgkmcnt(0)
	v_mul_f16_e32 v24, v52, v24
	s_branch .LBB273_321
.LBB273_320:
	v_mov_b32_e32 v24, 0
.LBB273_321:
	s_waitcnt lgkmcnt(0)
	v_pk_add_f16 v25, v8, v4
	v_pk_max_f16 v26, v64, v64
	s_nop 0
	v_pk_min_f16 v25, v26, v25
	v_pk_add_f16 v26, v9, v5
	s_nop 0
	v_pk_min_f16 v25, v25, v26
	s_nop 0
	v_lshrrev_b32_e32 v26, 16, v25
	v_min3_f16 v26, v24, v25, v26
	v_lshl_add_u64 v[24:25], v[40:41], 1, v[20:21]
	global_store_short v[24:25], v26, off
	s_or_b64 exec, exec, s[20:21]
	s_and_b64 s[28:29], s[12:13], s[18:19]
	s_and_saveexec_b64 s[20:21], s[28:29]
	s_cbranch_execz .LBB273_300
.LBB273_322:
	s_and_b64 vcc, exec, s[0:1]
	s_cbranch_vccnz .LBB273_324
; %bb.323:
	v_lshl_add_u64 v[24:25], v[42:43], 1, v[22:23]
	flat_load_ushort v24, v[24:25]
	s_waitcnt vmcnt(0) lgkmcnt(0)
	v_mul_f16_e32 v24, v52, v24
	s_branch .LBB273_325
.LBB273_324:
	v_mov_b32_e32 v24, 0
.LBB273_325:
	s_waitcnt lgkmcnt(0)
	v_pk_add_f16 v25, v10, v4
	v_pk_max_f16 v26, v63, v63
	s_nop 0
	v_pk_min_f16 v25, v26, v25
	v_pk_add_f16 v26, v11, v5
	s_nop 0
	v_pk_min_f16 v25, v25, v26
	s_nop 0
	v_lshrrev_b32_e32 v26, 16, v25
	v_min3_f16 v26, v24, v25, v26
	v_lshl_add_u64 v[24:25], v[42:43], 1, v[20:21]
	global_store_short v[24:25], v26, off
	s_or_b64 exec, exec, s[20:21]
	s_and_b64 s[28:29], s[14:15], s[18:19]
	s_and_saveexec_b64 s[20:21], s[28:29]
	s_cbranch_execz .LBB273_301
.LBB273_326:
	s_and_b64 vcc, exec, s[0:1]
	s_cbranch_vccnz .LBB273_328
; %bb.327:
	v_lshl_add_u64 v[24:25], v[44:45], 1, v[22:23]
	flat_load_ushort v24, v[24:25]
	s_waitcnt vmcnt(0) lgkmcnt(0)
	v_mul_f16_e32 v24, v52, v24
	s_branch .LBB273_329
.LBB273_328:
	v_mov_b32_e32 v24, 0
.LBB273_329:
	s_waitcnt lgkmcnt(0)
	v_pk_add_f16 v25, v0, v4
	v_pk_max_f16 v26, v62, v62
	s_nop 0
	v_pk_min_f16 v25, v26, v25
	v_pk_add_f16 v26, v1, v5
	s_nop 0
	v_pk_min_f16 v25, v25, v26
	s_nop 0
	v_lshrrev_b32_e32 v26, 16, v25
	v_min3_f16 v26, v24, v25, v26
	v_lshl_add_u64 v[24:25], v[44:45], 1, v[20:21]
	global_store_short v[24:25], v26, off
	s_or_b64 exec, exec, s[20:21]
	s_and_b64 s[20:21], s[16:17], s[18:19]
	s_and_saveexec_b64 s[18:19], s[20:21]
	s_cbranch_execz .LBB273_334
.LBB273_330:
	s_and_b64 vcc, exec, s[0:1]
	s_cbranch_vccnz .LBB273_332
; %bb.331:
	v_lshl_add_u64 v[22:23], v[46:47], 1, v[22:23]
	flat_load_ushort v22, v[22:23]
	s_waitcnt vmcnt(0) lgkmcnt(0)
	v_mul_f16_e32 v22, v52, v22
	s_branch .LBB273_333
.LBB273_332:
	v_mov_b32_e32 v22, 0
.LBB273_333:
	s_waitcnt lgkmcnt(0)
	v_pk_add_f16 v4, v2, v4
	v_pk_max_f16 v23, v61, v61
	v_pk_add_f16 v5, v3, v5
	v_pk_min_f16 v4, v23, v4
	s_nop 0
	v_pk_min_f16 v4, v4, v5
	s_nop 0
	v_lshrrev_b32_e32 v5, 16, v4
	v_min3_f16 v22, v22, v4, v5
	v_lshl_add_u64 v[4:5], v[46:47], 1, v[20:21]
	global_store_short v[4:5], v22, off
.LBB273_334:
	s_or_b64 exec, exec, s[18:19]
	v_add_u32_e32 v22, 0xe0, v94
	s_waitcnt lgkmcnt(0)
	v_mad_i64_i32 v[4:5], s[20:21], v22, s31, 0
	v_cmp_gt_i32_e64 s[18:19], s25, v22
	v_lshl_add_u64 v[20:21], v[4:5], 1, s[22:23]
	v_mad_i64_i32 v[4:5], s[20:21], v22, s30, 0
	v_lshl_add_u64 v[4:5], v[4:5], 1, s[26:27]
	s_and_b64 s[20:21], s[4:5], s[18:19]
	s_and_saveexec_b64 s[4:5], s[20:21]
	s_cbranch_execnz .LBB273_343
; %bb.335:
	s_or_b64 exec, exec, s[4:5]
	s_and_b64 s[4:5], s[2:3], s[18:19]
	s_and_saveexec_b64 s[2:3], s[4:5]
	s_cbranch_execnz .LBB273_347
.LBB273_336:
	s_or_b64 exec, exec, s[2:3]
	s_and_b64 s[4:5], s[6:7], s[18:19]
	s_and_saveexec_b64 s[2:3], s[4:5]
	s_cbranch_execnz .LBB273_351
.LBB273_337:
	s_or_b64 exec, exec, s[2:3]
	s_and_b64 s[4:5], s[8:9], s[18:19]
	s_and_saveexec_b64 s[2:3], s[4:5]
	s_cbranch_execnz .LBB273_355
.LBB273_338:
	s_or_b64 exec, exec, s[2:3]
	s_and_b64 s[4:5], s[10:11], s[18:19]
	s_and_saveexec_b64 s[2:3], s[4:5]
	s_cbranch_execnz .LBB273_359
.LBB273_339:
	s_or_b64 exec, exec, s[2:3]
	s_and_b64 s[4:5], s[12:13], s[18:19]
	s_and_saveexec_b64 s[2:3], s[4:5]
	s_cbranch_execnz .LBB273_363
.LBB273_340:
	s_or_b64 exec, exec, s[2:3]
	s_and_b64 s[4:5], s[14:15], s[18:19]
	s_and_saveexec_b64 s[2:3], s[4:5]
	s_cbranch_execnz .LBB273_367
.LBB273_341:
	s_or_b64 exec, exec, s[2:3]
	s_and_b64 s[2:3], s[16:17], s[18:19]
	s_and_saveexec_b64 s[4:5], s[2:3]
	s_cbranch_execnz .LBB273_371
.LBB273_342:
	s_endpgm
.LBB273_343:
	s_and_b64 vcc, exec, s[0:1]
	s_cbranch_vccnz .LBB273_345
; %bb.344:
	v_lshl_add_u64 v[22:23], v[32:33], 1, v[20:21]
	flat_load_ushort v22, v[22:23]
	s_waitcnt vmcnt(0) lgkmcnt(0)
	v_mul_f16_e32 v22, v52, v22
	s_branch .LBB273_346
.LBB273_345:
	v_mov_b32_e32 v22, 0
.LBB273_346:
	v_pk_add_f16 v16, v16, v6
	v_pk_max_f16 v23, v60, v60
	v_pk_add_f16 v17, v17, v7
	v_pk_min_f16 v16, v23, v16
	s_nop 0
	v_pk_min_f16 v16, v16, v17
	s_nop 0
	v_lshrrev_b32_e32 v17, 16, v16
	v_min3_f16 v22, v22, v16, v17
	v_lshl_add_u64 v[16:17], v[32:33], 1, v[4:5]
	global_store_short v[16:17], v22, off
	s_or_b64 exec, exec, s[4:5]
	s_and_b64 s[4:5], s[2:3], s[18:19]
	s_and_saveexec_b64 s[2:3], s[4:5]
	s_cbranch_execz .LBB273_336
.LBB273_347:
	s_and_b64 vcc, exec, s[0:1]
	s_cbranch_vccnz .LBB273_349
; %bb.348:
	v_lshl_add_u64 v[16:17], v[34:35], 1, v[20:21]
	flat_load_ushort v16, v[16:17]
	s_waitcnt vmcnt(0) lgkmcnt(0)
	v_mul_f16_e32 v16, v52, v16
	s_branch .LBB273_350
.LBB273_349:
	v_mov_b32_e32 v16, 0
.LBB273_350:
	v_pk_add_f16 v17, v18, v6
	v_pk_max_f16 v18, v59, v59
	s_nop 0
	v_pk_min_f16 v17, v18, v17
	v_pk_add_f16 v18, v19, v7
	s_nop 0
	v_pk_min_f16 v17, v17, v18
	s_nop 0
	v_lshrrev_b32_e32 v18, 16, v17
	v_min3_f16 v18, v16, v17, v18
	v_lshl_add_u64 v[16:17], v[34:35], 1, v[4:5]
	global_store_short v[16:17], v18, off
	s_or_b64 exec, exec, s[2:3]
	s_and_b64 s[4:5], s[6:7], s[18:19]
	s_and_saveexec_b64 s[2:3], s[4:5]
	s_cbranch_execz .LBB273_337
.LBB273_351:
	s_and_b64 vcc, exec, s[0:1]
	s_cbranch_vccnz .LBB273_353
; %bb.352:
	v_lshl_add_u64 v[16:17], v[36:37], 1, v[20:21]
	flat_load_ushort v16, v[16:17]
	s_waitcnt vmcnt(0) lgkmcnt(0)
	v_mul_f16_e32 v16, v52, v16
	s_branch .LBB273_354
.LBB273_353:
	v_mov_b32_e32 v16, 0
.LBB273_354:
	v_pk_add_f16 v12, v12, v6
	v_pk_max_f16 v17, v58, v58
	v_pk_add_f16 v13, v13, v7
	v_pk_min_f16 v12, v17, v12
	s_nop 0
	v_pk_min_f16 v12, v12, v13
	s_nop 0
	v_lshrrev_b32_e32 v13, 16, v12
	v_min3_f16 v16, v16, v12, v13
	v_lshl_add_u64 v[12:13], v[36:37], 1, v[4:5]
	global_store_short v[12:13], v16, off
	s_or_b64 exec, exec, s[2:3]
	s_and_b64 s[4:5], s[8:9], s[18:19]
	s_and_saveexec_b64 s[2:3], s[4:5]
	s_cbranch_execz .LBB273_338
.LBB273_355:
	s_and_b64 vcc, exec, s[0:1]
	s_cbranch_vccnz .LBB273_357
; %bb.356:
	v_lshl_add_u64 v[12:13], v[38:39], 1, v[20:21]
	flat_load_ushort v12, v[12:13]
	s_waitcnt vmcnt(0) lgkmcnt(0)
	v_mul_f16_e32 v12, v52, v12
	s_branch .LBB273_358
.LBB273_357:
	v_mov_b32_e32 v12, 0
.LBB273_358:
	v_pk_add_f16 v13, v14, v6
	v_pk_max_f16 v14, v56, v56
	s_nop 0
	v_pk_min_f16 v13, v14, v13
	v_pk_add_f16 v14, v15, v7
	s_nop 0
	v_pk_min_f16 v13, v13, v14
	s_nop 0
	v_lshrrev_b32_e32 v14, 16, v13
	v_min3_f16 v14, v12, v13, v14
	v_lshl_add_u64 v[12:13], v[38:39], 1, v[4:5]
	global_store_short v[12:13], v14, off
	s_or_b64 exec, exec, s[2:3]
	s_and_b64 s[4:5], s[10:11], s[18:19]
	s_and_saveexec_b64 s[2:3], s[4:5]
	s_cbranch_execz .LBB273_339
.LBB273_359:
	s_and_b64 vcc, exec, s[0:1]
	s_cbranch_vccnz .LBB273_361
; %bb.360:
	v_lshl_add_u64 v[12:13], v[40:41], 1, v[20:21]
	flat_load_ushort v12, v[12:13]
	s_waitcnt vmcnt(0) lgkmcnt(0)
	v_mul_f16_e32 v12, v52, v12
	s_branch .LBB273_362
.LBB273_361:
	v_mov_b32_e32 v12, 0
.LBB273_362:
	v_pk_add_f16 v8, v8, v6
	v_pk_max_f16 v13, v55, v55
	v_pk_add_f16 v9, v9, v7
	v_pk_min_f16 v8, v13, v8
	s_nop 0
	v_pk_min_f16 v8, v8, v9
	s_nop 0
	v_lshrrev_b32_e32 v9, 16, v8
	v_min3_f16 v12, v12, v8, v9
	v_lshl_add_u64 v[8:9], v[40:41], 1, v[4:5]
	global_store_short v[8:9], v12, off
	s_or_b64 exec, exec, s[2:3]
	s_and_b64 s[4:5], s[12:13], s[18:19]
	s_and_saveexec_b64 s[2:3], s[4:5]
	s_cbranch_execz .LBB273_340
.LBB273_363:
	s_and_b64 vcc, exec, s[0:1]
	s_cbranch_vccnz .LBB273_365
; %bb.364:
	v_lshl_add_u64 v[8:9], v[42:43], 1, v[20:21]
	flat_load_ushort v8, v[8:9]
	s_waitcnt vmcnt(0) lgkmcnt(0)
	v_mul_f16_e32 v8, v52, v8
	s_branch .LBB273_366
.LBB273_365:
	v_mov_b32_e32 v8, 0
.LBB273_366:
	v_pk_add_f16 v9, v10, v6
	v_pk_max_f16 v10, v54, v54
	s_nop 0
	v_pk_min_f16 v9, v10, v9
	v_pk_add_f16 v10, v11, v7
	s_nop 0
	v_pk_min_f16 v9, v9, v10
	s_nop 0
	v_lshrrev_b32_e32 v10, 16, v9
	v_min3_f16 v10, v8, v9, v10
	v_lshl_add_u64 v[8:9], v[42:43], 1, v[4:5]
	global_store_short v[8:9], v10, off
	s_or_b64 exec, exec, s[2:3]
	s_and_b64 s[4:5], s[14:15], s[18:19]
	s_and_saveexec_b64 s[2:3], s[4:5]
	s_cbranch_execz .LBB273_341
.LBB273_367:
	s_and_b64 vcc, exec, s[0:1]
	s_cbranch_vccnz .LBB273_369
; %bb.368:
	v_lshl_add_u64 v[8:9], v[44:45], 1, v[20:21]
	flat_load_ushort v8, v[8:9]
	s_waitcnt vmcnt(0) lgkmcnt(0)
	v_mul_f16_e32 v8, v52, v8
	s_branch .LBB273_370
.LBB273_369:
	v_mov_b32_e32 v8, 0
.LBB273_370:
	v_pk_add_f16 v0, v0, v6
	v_pk_max_f16 v9, v53, v53
	v_pk_add_f16 v1, v1, v7
	v_pk_min_f16 v0, v9, v0
	s_nop 0
	v_pk_min_f16 v0, v0, v1
	s_nop 0
	v_lshrrev_b32_e32 v1, 16, v0
	v_min3_f16 v8, v8, v0, v1
	v_lshl_add_u64 v[0:1], v[44:45], 1, v[4:5]
	global_store_short v[0:1], v8, off
	s_or_b64 exec, exec, s[2:3]
	s_and_b64 s[2:3], s[16:17], s[18:19]
	s_and_saveexec_b64 s[4:5], s[2:3]
	s_cbranch_execz .LBB273_342
.LBB273_371:
	s_and_b64 vcc, exec, s[0:1]
	s_cbranch_vccnz .LBB273_373
; %bb.372:
	v_lshl_add_u64 v[0:1], v[46:47], 1, v[20:21]
	flat_load_ushort v0, v[0:1]
	s_waitcnt vmcnt(0) lgkmcnt(0)
	v_mul_f16_e32 v0, v52, v0
	s_branch .LBB273_374
.LBB273_373:
	v_mov_b32_e32 v0, 0
.LBB273_374:
	v_pk_add_f16 v1, v2, v6
	v_pk_max_f16 v2, v57, v57
	s_nop 0
	v_pk_min_f16 v1, v2, v1
	v_pk_add_f16 v2, v3, v7
	s_nop 0
	v_pk_min_f16 v1, v1, v2
	s_nop 0
	v_lshrrev_b32_e32 v2, 16, v1
	v_min3_f16 v2, v0, v1, v2
	v_lshl_add_u64 v[0:1], v[46:47], 1, v[4:5]
	global_store_short v[0:1], v2, off
	s_endpgm
	.section	.rodata,"a",@progbits
	.p2align	6, 0x0
	.amdhsa_kernel _ZN12_GLOBAL__N_120geam_min_plus_kernelIDF16_Dv2_DF16_S1_Li8ELi32ELi64ELi256ELi4ELi64ELi4ELi64ELi4ELc78ELc84ELb0ELb1ELb1EPKDF16_S2_DF16_EEviiiT16_PT17_ilS6_ilS4_S6_ilPT18_ili26rocblas_geam_ex_operation_
		.amdhsa_group_segment_fixed_size 5120
		.amdhsa_private_segment_fixed_size 0
		.amdhsa_kernarg_size 136
		.amdhsa_user_sgpr_count 2
		.amdhsa_user_sgpr_dispatch_ptr 0
		.amdhsa_user_sgpr_queue_ptr 0
		.amdhsa_user_sgpr_kernarg_segment_ptr 1
		.amdhsa_user_sgpr_dispatch_id 0
		.amdhsa_user_sgpr_kernarg_preload_length 0
		.amdhsa_user_sgpr_kernarg_preload_offset 0
		.amdhsa_user_sgpr_private_segment_size 0
		.amdhsa_uses_dynamic_stack 0
		.amdhsa_enable_private_segment 0
		.amdhsa_system_sgpr_workgroup_id_x 1
		.amdhsa_system_sgpr_workgroup_id_y 0
		.amdhsa_system_sgpr_workgroup_id_z 1
		.amdhsa_system_sgpr_workgroup_info 0
		.amdhsa_system_vgpr_workitem_id 1
		.amdhsa_next_free_vgpr 177
		.amdhsa_next_free_sgpr 42
		.amdhsa_accum_offset 180
		.amdhsa_reserve_vcc 1
		.amdhsa_float_round_mode_32 0
		.amdhsa_float_round_mode_16_64 0
		.amdhsa_float_denorm_mode_32 3
		.amdhsa_float_denorm_mode_16_64 3
		.amdhsa_dx10_clamp 1
		.amdhsa_ieee_mode 1
		.amdhsa_fp16_overflow 0
		.amdhsa_tg_split 0
		.amdhsa_exception_fp_ieee_invalid_op 0
		.amdhsa_exception_fp_denorm_src 0
		.amdhsa_exception_fp_ieee_div_zero 0
		.amdhsa_exception_fp_ieee_overflow 0
		.amdhsa_exception_fp_ieee_underflow 0
		.amdhsa_exception_fp_ieee_inexact 0
		.amdhsa_exception_int_div_zero 0
	.end_amdhsa_kernel
	.section	.text._ZN12_GLOBAL__N_120geam_min_plus_kernelIDF16_Dv2_DF16_S1_Li8ELi32ELi64ELi256ELi4ELi64ELi4ELi64ELi4ELc78ELc84ELb0ELb1ELb1EPKDF16_S2_DF16_EEviiiT16_PT17_ilS6_ilS4_S6_ilPT18_ili26rocblas_geam_ex_operation_,"axG",@progbits,_ZN12_GLOBAL__N_120geam_min_plus_kernelIDF16_Dv2_DF16_S1_Li8ELi32ELi64ELi256ELi4ELi64ELi4ELi64ELi4ELc78ELc84ELb0ELb1ELb1EPKDF16_S2_DF16_EEviiiT16_PT17_ilS6_ilS4_S6_ilPT18_ili26rocblas_geam_ex_operation_,comdat
.Lfunc_end273:
	.size	_ZN12_GLOBAL__N_120geam_min_plus_kernelIDF16_Dv2_DF16_S1_Li8ELi32ELi64ELi256ELi4ELi64ELi4ELi64ELi4ELc78ELc84ELb0ELb1ELb1EPKDF16_S2_DF16_EEviiiT16_PT17_ilS6_ilS4_S6_ilPT18_ili26rocblas_geam_ex_operation_, .Lfunc_end273-_ZN12_GLOBAL__N_120geam_min_plus_kernelIDF16_Dv2_DF16_S1_Li8ELi32ELi64ELi256ELi4ELi64ELi4ELi64ELi4ELc78ELc84ELb0ELb1ELb1EPKDF16_S2_DF16_EEviiiT16_PT17_ilS6_ilS4_S6_ilPT18_ili26rocblas_geam_ex_operation_
                                        ; -- End function
	.section	.AMDGPU.csdata,"",@progbits
; Kernel info:
; codeLenInByte = 20152
; NumSgprs: 48
; NumVgprs: 177
; NumAgprs: 0
; TotalNumVgprs: 177
; ScratchSize: 0
; MemoryBound: 0
; FloatMode: 240
; IeeeMode: 1
; LDSByteSize: 5120 bytes/workgroup (compile time only)
; SGPRBlocks: 5
; VGPRBlocks: 22
; NumSGPRsForWavesPerEU: 48
; NumVGPRsForWavesPerEU: 177
; AccumOffset: 180
; Occupancy: 2
; WaveLimiterHint : 0
; COMPUTE_PGM_RSRC2:SCRATCH_EN: 0
; COMPUTE_PGM_RSRC2:USER_SGPR: 2
; COMPUTE_PGM_RSRC2:TRAP_HANDLER: 0
; COMPUTE_PGM_RSRC2:TGID_X_EN: 1
; COMPUTE_PGM_RSRC2:TGID_Y_EN: 0
; COMPUTE_PGM_RSRC2:TGID_Z_EN: 1
; COMPUTE_PGM_RSRC2:TIDIG_COMP_CNT: 1
; COMPUTE_PGM_RSRC3_GFX90A:ACCUM_OFFSET: 44
; COMPUTE_PGM_RSRC3_GFX90A:TG_SPLIT: 0
	.section	.text._ZN12_GLOBAL__N_120geam_min_plus_kernelIDF16_Dv2_DF16_S1_Li8ELi32ELi64ELi256ELi4ELi64ELi4ELi64ELi4ELc78ELc84ELb1ELb1ELb1EDF16_KDF16_DF16_EEviiiT16_PT17_ilS5_ilS3_S5_ilPT18_ili26rocblas_geam_ex_operation_,"axG",@progbits,_ZN12_GLOBAL__N_120geam_min_plus_kernelIDF16_Dv2_DF16_S1_Li8ELi32ELi64ELi256ELi4ELi64ELi4ELi64ELi4ELc78ELc84ELb1ELb1ELb1EDF16_KDF16_DF16_EEviiiT16_PT17_ilS5_ilS3_S5_ilPT18_ili26rocblas_geam_ex_operation_,comdat
	.globl	_ZN12_GLOBAL__N_120geam_min_plus_kernelIDF16_Dv2_DF16_S1_Li8ELi32ELi64ELi256ELi4ELi64ELi4ELi64ELi4ELc78ELc84ELb1ELb1ELb1EDF16_KDF16_DF16_EEviiiT16_PT17_ilS5_ilS3_S5_ilPT18_ili26rocblas_geam_ex_operation_ ; -- Begin function _ZN12_GLOBAL__N_120geam_min_plus_kernelIDF16_Dv2_DF16_S1_Li8ELi32ELi64ELi256ELi4ELi64ELi4ELi64ELi4ELc78ELc84ELb1ELb1ELb1EDF16_KDF16_DF16_EEviiiT16_PT17_ilS5_ilS3_S5_ilPT18_ili26rocblas_geam_ex_operation_
	.p2align	8
	.type	_ZN12_GLOBAL__N_120geam_min_plus_kernelIDF16_Dv2_DF16_S1_Li8ELi32ELi64ELi256ELi4ELi64ELi4ELi64ELi4ELc78ELc84ELb1ELb1ELb1EDF16_KDF16_DF16_EEviiiT16_PT17_ilS5_ilS3_S5_ilPT18_ili26rocblas_geam_ex_operation_,@function
_ZN12_GLOBAL__N_120geam_min_plus_kernelIDF16_Dv2_DF16_S1_Li8ELi32ELi64ELi256ELi4ELi64ELi4ELi64ELi4ELc78ELc84ELb1ELb1ELb1EDF16_KDF16_DF16_EEviiiT16_PT17_ilS5_ilS3_S5_ilPT18_ili26rocblas_geam_ex_operation_: ; @_ZN12_GLOBAL__N_120geam_min_plus_kernelIDF16_Dv2_DF16_S1_Li8ELi32ELi64ELi256ELi4ELi64ELi4ELi64ELi4ELc78ELc84ELb1ELb1ELb1EDF16_KDF16_DF16_EEviiiT16_PT17_ilS5_ilS3_S5_ilPT18_ili26rocblas_geam_ex_operation_
; %bb.0:
	s_load_dwordx4 s[20:23], s[0:1], 0x0
	s_load_dwordx4 s[4:7], s[0:1], 0x20
	s_waitcnt lgkmcnt(0)
	v_cmp_eq_f16_e64 s[8:9], s23, 0
	s_and_b64 vcc, exec, s[8:9]
	s_cbranch_vccnz .LBB274_3
; %bb.1:
	s_load_dwordx2 s[10:11], s[0:1], 0x10
	s_mul_i32 s5, s3, s5
	s_mul_hi_u32 s12, s3, s4
	s_add_i32 s5, s12, s5
	s_mul_i32 s4, s3, s4
	s_lshl_b64 s[4:5], s[4:5], 1
	s_waitcnt lgkmcnt(0)
	s_add_u32 s26, s10, s4
	s_addc_u32 s27, s11, s5
	s_andn2_b64 vcc, exec, s[8:9]
	s_cbranch_vccnz .LBB274_4
.LBB274_2:
	s_mov_b32 s19, 0
	s_mov_b64 s[28:29], 0
	s_cbranch_execz .LBB274_5
	s_branch .LBB274_6
.LBB274_3:
	s_mov_b64 s[26:27], 0
	s_andn2_b64 vcc, exec, s[8:9]
	s_cbranch_vccz .LBB274_2
.LBB274_4:
                                        ; implicit-def: $sgpr28_sgpr29
                                        ; implicit-def: $sgpr18_sgpr19
.LBB274_5:
	s_load_dwordx2 s[4:5], s[0:1], 0x38
	s_mov_b32 s19, 0
	s_waitcnt lgkmcnt(0)
	s_mul_i32 s5, s3, s5
	s_mul_hi_u32 s8, s3, s4
	s_add_i32 s5, s8, s5
	s_mul_i32 s4, s3, s4
	s_lshl_b64 s[4:5], s[4:5], 1
	s_add_u32 s28, s6, s4
	s_addc_u32 s29, s7, s5
.LBB274_6:
	s_load_dword s33, s[0:1], 0x40
	s_load_dwordx4 s[12:15], s[0:1], 0x58
	s_waitcnt lgkmcnt(0)
	v_cmp_eq_f16_e64 s[4:5], s33, 0
	v_cmp_neq_f16_e64 s[16:17], s33, 0
	s_and_b64 vcc, exec, s[4:5]
	s_cbranch_vccnz .LBB274_8
; %bb.7:
	s_load_dwordx2 s[4:5], s[0:1], 0x48
	s_mul_i32 s6, s3, s13
	s_mul_hi_u32 s7, s3, s12
	s_add_i32 s6, s7, s6
	s_mul_i32 s7, s19, s12
	s_add_i32 s7, s6, s7
	s_mul_i32 s6, s3, s12
	s_lshl_b64 s[6:7], s[6:7], 1
	s_waitcnt lgkmcnt(0)
	s_add_u32 s24, s4, s6
	s_addc_u32 s25, s5, s7
	s_branch .LBB274_9
.LBB274_8:
	s_mov_b64 s[24:25], 0
.LBB274_9:
	s_add_i32 s4, s20, -1
	s_ashr_i32 s5, s4, 31
	s_lshr_b32 s5, s5, 26
	s_add_i32 s4, s4, s5
	s_ashr_i32 s4, s4, 6
	s_add_i32 s5, s4, 1
	v_cvt_f32_u32_e32 v1, s5
	s_not_b32 s4, s4
	s_load_dword s30, s[0:1], 0x18
	v_and_b32_e32 v46, 0x3ff, v0
	v_rcp_iflag_f32_e32 v1, v1
	v_bfe_u32 v47, v0, 10, 10
	v_lshl_add_u32 v0, v47, 3, v46
	s_waitcnt lgkmcnt(0)
	s_ashr_i32 s31, s30, 31
	v_mul_f32_e32 v1, 0x4f7ffffe, v1
	v_cvt_u32_f32_e32 v1, v1
	v_and_b32_e32 v2, 63, v0
	v_lshrrev_b32_e32 v48, 6, v0
	v_cmp_le_i32_e64 s[10:11], s22, v48
	v_readfirstlane_b32 s6, v1
	s_mul_i32 s4, s4, s6
	s_mul_hi_u32 s4, s6, s4
	s_add_i32 s6, s6, s4
	s_mul_hi_u32 s4, s2, s6
	s_mul_i32 s6, s4, s5
	s_sub_i32 s6, s2, s6
	s_add_i32 s7, s4, 1
	s_sub_i32 s8, s6, s5
	s_cmp_ge_u32 s6, s5
	s_cselect_b32 s4, s7, s4
	s_cselect_b32 s6, s8, s6
	s_add_i32 s7, s4, 1
	s_cmp_ge_u32 s6, s5
	s_cselect_b32 s6, s7, s4
	s_mul_i32 s4, s6, s5
	s_sub_i32 s2, s2, s4
	s_lshl_b32 s2, s2, 6
	v_or_b32_e32 v32, s2, v2
	v_cmp_le_i32_e32 vcc, s20, v32
	s_or_b64 s[4:5], vcc, s[10:11]
	s_xor_b64 s[8:9], s[4:5], -1
	v_mov_b32_e32 v3, 0x7c00
	v_ashrrev_i32_e32 v33, 31, v32
	v_mov_b32_e32 v4, 0x7c00
	s_and_saveexec_b64 s[4:5], s[8:9]
	s_cbranch_execz .LBB274_11
; %bb.10:
	v_mad_i64_i32 v[0:1], s[8:9], s30, v48, 0
	v_lshl_add_u64 v[0:1], v[0:1], 1, s[26:27]
	v_lshl_add_u64 v[0:1], v[32:33], 1, v[0:1]
	flat_load_ushort v4, v[0:1]
.LBB274_11:
	s_or_b64 exec, exec, s[4:5]
	s_load_dword s34, s[0:1], 0x30
	s_lshl_b32 s18, s6, 8
	v_or_b32_e32 v38, s18, v2
	v_cmp_le_i32_e64 s[12:13], s21, v38
	v_ashrrev_i32_e32 v39, 31, v38
	s_waitcnt lgkmcnt(0)
	v_mad_i64_i32 v[0:1], s[4:5], v48, s34, 0
	s_or_b64 s[4:5], s[12:13], s[10:11]
	v_lshl_add_u64 v[0:1], v[0:1], 1, s[28:29]
	s_xor_b64 s[6:7], s[4:5], -1
	s_and_saveexec_b64 s[4:5], s[6:7]
	s_cbranch_execz .LBB274_13
; %bb.12:
	v_lshl_add_u64 v[6:7], v[38:39], 1, v[0:1]
	flat_load_ushort v3, v[6:7]
.LBB274_13:
	s_or_b64 exec, exec, s[4:5]
	v_or_b32_e32 v5, 64, v38
	v_cmp_le_i32_e64 s[4:5], s21, v5
	s_or_b64 s[6:7], s[4:5], s[10:11]
	s_xor_b64 s[8:9], s[6:7], -1
	v_mov_b32_e32 v5, 0x7c00
	v_mov_b32_e32 v6, 0x7c00
	s_and_saveexec_b64 s[6:7], s[8:9]
	s_cbranch_execz .LBB274_15
; %bb.14:
	v_lshl_add_u64 v[6:7], v[38:39], 1, v[0:1]
	flat_load_ushort v6, v[6:7] offset:128
.LBB274_15:
	s_or_b64 exec, exec, s[6:7]
	v_or_b32_e32 v7, 0x80, v38
	v_cmp_le_i32_e64 s[6:7], s21, v7
	s_or_b64 s[8:9], s[6:7], s[10:11]
	s_ashr_i32 s35, s34, 31
	s_xor_b64 s[36:37], s[8:9], -1
	s_and_saveexec_b64 s[8:9], s[36:37]
	s_cbranch_execz .LBB274_17
; %bb.16:
	v_lshl_add_u64 v[8:9], v[38:39], 1, v[0:1]
	flat_load_ushort v5, v[8:9] offset:256
.LBB274_17:
	s_or_b64 exec, exec, s[8:9]
	v_or_b32_e32 v7, 0xc0, v38
	v_cmp_le_i32_e64 s[8:9], s21, v7
	s_or_b64 s[10:11], s[8:9], s[10:11]
	s_xor_b64 s[36:37], s[10:11], -1
	v_mov_b32_e32 v34, 0x7c00
	v_mov_b32_e32 v7, 0x7c00
	s_and_saveexec_b64 s[10:11], s[36:37]
	s_cbranch_execz .LBB274_19
; %bb.18:
	v_lshl_add_u64 v[0:1], v[38:39], 1, v[0:1]
	flat_load_ushort v7, v[0:1] offset:384
.LBB274_19:
	s_or_b64 exec, exec, s[10:11]
	v_add_u32_e32 v0, 4, v48
	v_cmp_le_i32_e64 s[10:11], s22, v0
	s_or_b64 s[36:37], vcc, s[10:11]
	s_xor_b64 s[38:39], s[36:37], -1
	s_and_saveexec_b64 s[36:37], s[38:39]
	s_cbranch_execz .LBB274_21
; %bb.20:
	v_mad_i64_i32 v[8:9], s[38:39], s30, v0, 0
	v_lshl_add_u64 v[8:9], v[8:9], 1, s[26:27]
	v_lshl_add_u64 v[8:9], v[32:33], 1, v[8:9]
	flat_load_ushort v34, v[8:9]
.LBB274_21:
	s_or_b64 exec, exec, s[36:37]
	v_mad_i64_i32 v[0:1], s[36:37], v0, s34, 0
	s_or_b64 s[36:37], s[12:13], s[10:11]
	v_lshl_add_u64 v[0:1], v[0:1], 1, s[28:29]
	s_xor_b64 s[38:39], s[36:37], -1
	v_mov_b32_e32 v35, 0x7c00
	v_mov_b32_e32 v36, 0x7c00
	s_and_saveexec_b64 s[36:37], s[38:39]
	s_cbranch_execz .LBB274_23
; %bb.22:
	v_lshl_add_u64 v[8:9], v[38:39], 1, v[0:1]
	flat_load_ushort v36, v[8:9]
.LBB274_23:
	s_or_b64 exec, exec, s[36:37]
	s_or_b64 s[36:37], s[4:5], s[10:11]
	s_xor_b64 s[38:39], s[36:37], -1
	s_and_saveexec_b64 s[36:37], s[38:39]
	s_cbranch_execz .LBB274_25
; %bb.24:
	v_lshl_add_u64 v[8:9], v[38:39], 1, v[0:1]
	flat_load_ushort v35, v[8:9] offset:128
.LBB274_25:
	s_or_b64 exec, exec, s[36:37]
	s_or_b64 s[36:37], s[6:7], s[10:11]
	s_xor_b64 s[38:39], s[36:37], -1
	v_mov_b32_e32 v37, 0x7c00
	v_mov_b32_e32 v40, 0x7c00
	s_and_saveexec_b64 s[36:37], s[38:39]
	s_cbranch_execz .LBB274_27
; %bb.26:
	v_lshl_add_u64 v[8:9], v[38:39], 1, v[0:1]
	flat_load_ushort v40, v[8:9] offset:256
.LBB274_27:
	s_or_b64 exec, exec, s[36:37]
	s_or_b64 s[10:11], s[8:9], s[10:11]
	s_xor_b64 s[36:37], s[10:11], -1
	s_and_saveexec_b64 s[10:11], s[36:37]
	s_cbranch_execz .LBB274_29
; %bb.28:
	v_lshl_add_u64 v[0:1], v[38:39], 1, v[0:1]
	flat_load_ushort v37, v[0:1] offset:384
.LBB274_29:
	s_or_b64 exec, exec, s[10:11]
	v_lshlrev_b32_e32 v0, 1, v48
	v_lshlrev_b32_e32 v49, 3, v46
	v_lshl_add_u32 v51, v2, 3, v0
	v_add_u32_e32 v92, 0x1000, v49
	s_waitcnt vmcnt(0)
	ds_write_b16 v51, v4 offset:4096
	s_waitcnt lgkmcnt(0)
	ds_write_b16 v51, v3
	ds_write_b16 v51, v6 offset:512
	ds_write_b16 v51, v5 offset:1024
	;; [unrolled: 1-line block ×3, first 2 shown]
	s_waitcnt lgkmcnt(0)
	s_barrier
	ds_read2_b64 v[16:19], v92 offset1:8
	ds_read2_b64 v[12:15], v92 offset0:16 offset1:24
	ds_read2_b64 v[0:3], v92 offset0:32 offset1:40
	v_lshlrev_b32_e32 v50, 3, v47
	ds_read2_b64 v[28:31], v50 offset1:32
	ds_read2_b64 v[4:7], v92 offset0:48 offset1:56
	ds_read2_b64 v[24:27], v50 offset0:64 offset1:96
	;; [unrolled: 1-line block ×4, first 2 shown]
	s_movk_i32 s10, 0x7c00
	s_waitcnt lgkmcnt(4)
	v_pk_add_f16 v41, v16, v28
	v_pk_add_f16 v42, v18, v28
	s_waitcnt lgkmcnt(1)
	v_pk_add_f16 v80, v2, v20
	v_pk_min_f16 v41, v41, s10 op_sel_hi:[1,0]
	v_pk_min_f16 v117, v80, s10 op_sel_hi:[1,0]
	v_pk_add_f16 v80, v4, v20
	v_pk_add_f16 v43, v12, v28
	v_pk_min_f16 v118, v80, s10 op_sel_hi:[1,0]
	v_pk_add_f16 v80, v16, v22
	v_pk_add_f16 v44, v14, v28
	;; [unrolled: 3-line block ×8, first 2 shown]
	v_pk_min_f16 v125, v80, s10 op_sel_hi:[1,0]
	s_waitcnt lgkmcnt(0)
	v_pk_add_f16 v80, v16, v8
	v_pk_add_f16 v56, v12, v30
	v_pk_min_f16 v126, v80, s10 op_sel_hi:[1,0]
	v_pk_add_f16 v80, v18, v8
	v_pk_add_f16 v57, v14, v30
	v_pk_min_f16 v127, v80, s10 op_sel_hi:[1,0]
	;; [unrolled: 3-line block ×5, first 2 shown]
	v_pk_add_f16 v80, v2, v8
	v_pk_add_f16 v30, v6, v30
	;; [unrolled: 1-line block ×25, first 2 shown]
	v_pk_min_f16 v131, v80, s10 op_sel_hi:[1,0]
	v_pk_add_f16 v80, v4, v8
	v_pk_add_f16 v8, v6, v8
	;; [unrolled: 1-line block ×11, first 2 shown]
	v_pk_min_f16 v42, v42, s10 op_sel_hi:[1,0]
	v_pk_min_f16 v116, v41, v10
	v_pk_add_f16 v10, v19, v29
	v_pk_min_f16 v43, v43, s10 op_sel_hi:[1,0]
	v_pk_min_f16 v115, v42, v10
	v_pk_add_f16 v10, v13, v29
	;; [unrolled: 3-line block ×35, first 2 shown]
	v_pk_min_f16 v79, v79, s10 op_sel_hi:[1,0]
	v_pk_min_f16 v132, v80, s10 op_sel_hi:[1,0]
	v_pk_min_f16 v80, v78, v10
	v_pk_add_f16 v10, v1, v21
	v_pk_min_f16 v20, v20, s10 op_sel_hi:[1,0]
	v_pk_min_f16 v79, v79, v10
	v_pk_add_f16 v10, v3, v21
	;; [unrolled: 3-line block ×12, first 2 shown]
	s_cmp_lt_i32 s22, 9
	v_pk_min_f16 v68, v22, v10
	v_pk_add_f16 v10, v17, v9
	ds_write_b16 v51, v34 offset:4608
	ds_write_b16 v51, v36 offset:2048
	;; [unrolled: 1-line block ×5, first 2 shown]
	v_pk_min_f16 v67, v126, v10
	v_pk_add_f16 v10, v19, v9
	s_waitcnt lgkmcnt(0)
	v_pk_min_f16 v66, v127, v10
	v_pk_add_f16 v10, v13, v9
	s_barrier
	v_pk_min_f16 v65, v128, v10
	v_pk_add_f16 v10, v15, v9
	s_nop 0
	v_pk_min_f16 v64, v129, v10
	v_pk_add_f16 v10, v1, v9
	v_pk_add_f16 v1, v1, v11
	v_pk_min_f16 v63, v130, v10
	v_pk_add_f16 v10, v3, v9
	v_pk_min_f16 v54, v0, v1
	v_pk_min_f16 v62, v131, v10
	v_pk_add_f16 v10, v5, v9
	v_pk_add_f16 v9, v7, v9
	;; [unrolled: 1-line block ×3, first 2 shown]
	v_pk_min_f16 v60, v8, v9
	v_pk_add_f16 v8, v17, v11
	v_pk_min_f16 v53, v2, v0
	v_pk_min_f16 v59, v16, v8
	v_pk_add_f16 v8, v19, v11
	v_pk_add_f16 v0, v5, v11
	v_pk_min_f16 v58, v18, v8
	v_pk_add_f16 v8, v13, v11
	v_pk_min_f16 v52, v4, v0
	v_pk_min_f16 v57, v12, v8
	v_pk_add_f16 v8, v15, v11
	v_pk_add_f16 v0, v7, v11
	v_pk_min_f16 v61, v132, v10
	v_pk_min_f16 v55, v14, v8
	;; [unrolled: 1-line block ×3, first 2 shown]
	s_cbranch_scc1 .LBB274_52
; %bb.30:
	v_mov_b32_e32 v0, 0x1200
	v_lshl_add_u32 v120, v46, 3, v0
	v_add_u32_e32 v0, v50, v46
	v_lshrrev_b32_e32 v2, 6, v0
	v_add_u32_e32 v3, 8, v2
	v_mad_i64_i32 v[0:1], s[10:11], v3, s30, 0
	v_lshlrev_b64 v[34:35], 1, v[0:1]
	v_mad_i64_i32 v[0:1], s[10:11], v3, s34, 0
	v_add_u32_e32 v2, 12, v2
	v_lshlrev_b64 v[36:37], 1, v[0:1]
	v_mad_i64_i32 v[0:1], s[10:11], v2, s34, 0
	v_lshlrev_b64 v[40:41], 1, v[0:1]
	v_mad_i64_i32 v[0:1], s[10:11], v2, s30, 0
	v_or_b32_e32 v117, 0x1000, v51
	v_add_u32_e32 v118, 0x1200, v51
	v_or_b32_e32 v119, 0x800, v51
	s_add_i32 s23, s22, -8
	v_lshl_add_u64 v[32:33], v[32:33], 1, s[26:27]
	v_add_u32_e32 v121, 0x800, v50
	s_lshl_b64 s[26:27], s[30:31], 4
	v_lshl_add_u64 v[38:39], v[38:39], 1, s[28:29]
	s_lshl_b64 s[28:29], s[34:35], 4
	v_lshlrev_b64 v[42:43], 1, v[0:1]
	s_mov_b32 s34, 0
	s_branch .LBB274_32
.LBB274_31:                             ;   in Loop: Header=BB274_32 Depth=1
	s_or_b64 exec, exec, s[10:11]
	ds_read2_b64 v[8:11], v92 offset1:8
	ds_read2_b64 v[4:7], v92 offset0:16 offset1:24
	ds_read2_b64 v[0:3], v92 offset0:32 offset1:40
	ds_read2_b64 v[128:131], v50 offset1:32
	ds_read2_b64 v[12:15], v92 offset0:48 offset1:56
	ds_read2_b64 v[24:27], v50 offset0:64 offset1:96
	ds_read2_b64 v[20:23], v50 offset0:128 offset1:160
	ds_read2_b64 v[16:19], v50 offset0:192 offset1:224
	s_waitcnt lgkmcnt(0)
	v_pk_add_f16 v44, v8, v128
	v_pk_max_f16 v45, v112, v112
	v_pk_max_f16 v111, v111, v111
	v_pk_min_f16 v44, v45, v44
	v_pk_add_f16 v45, v10, v128
	v_pk_max_f16 v110, v110, v110
	v_pk_min_f16 v45, v111, v45
	v_pk_add_f16 v111, v4, v128
	;; [unrolled: 3-line block ×22, first 2 shown]
	v_pk_add_f16 v24, v14, v24
	v_pk_max_f16 v87, v87, v87
	v_pk_min_f16 v24, v88, v24
	v_pk_add_f16 v88, v8, v26
	v_pk_max_f16 v86, v86, v86
	v_pk_min_f16 v87, v87, v88
	v_pk_add_f16 v88, v10, v26
	v_pk_max_f16 v85, v85, v85
	v_pk_min_f16 v86, v86, v88
	v_pk_add_f16 v88, v4, v26
	v_pk_max_f16 v84, v84, v84
	v_pk_min_f16 v85, v85, v88
	v_pk_add_f16 v88, v6, v26
	v_pk_max_f16 v83, v83, v83
	v_pk_min_f16 v84, v84, v88
	v_pk_add_f16 v88, v0, v26
	v_pk_max_f16 v82, v82, v82
	v_pk_min_f16 v83, v83, v88
	v_pk_add_f16 v88, v2, v26
	v_pk_max_f16 v80, v80, v80
	v_pk_min_f16 v82, v82, v88
	v_pk_add_f16 v88, v12, v26
	v_pk_add_f16 v26, v14, v26
	v_pk_max_f16 v79, v79, v79
	v_pk_min_f16 v26, v80, v26
	v_pk_add_f16 v80, v8, v20
	v_pk_max_f16 v78, v78, v78
	v_pk_min_f16 v79, v79, v80
	v_pk_add_f16 v80, v10, v20
	v_pk_max_f16 v77, v77, v77
	v_pk_min_f16 v78, v78, v80
	v_pk_add_f16 v80, v4, v20
	v_pk_max_f16 v76, v76, v76
	v_pk_min_f16 v77, v77, v80
	v_pk_add_f16 v80, v6, v20
	v_pk_max_f16 v75, v75, v75
	v_pk_min_f16 v76, v76, v80
	v_pk_add_f16 v80, v0, v20
	v_pk_max_f16 v74, v74, v74
	v_pk_min_f16 v75, v75, v80
	v_pk_add_f16 v80, v2, v20
	v_pk_max_f16 v72, v72, v72
	v_pk_min_f16 v74, v74, v80
	v_pk_add_f16 v80, v12, v20
	;; [unrolled: 22-line block ×3, first 2 shown]
	v_pk_add_f16 v22, v14, v22
	v_pk_max_f16 v63, v63, v63
	v_pk_min_f16 v22, v64, v22
	v_pk_add_f16 v64, v8, v16
	v_pk_max_f16 v62, v62, v62
	v_pk_min_f16 v63, v63, v64
	;; [unrolled: 3-line block ×6, first 2 shown]
	v_pk_add_f16 v64, v2, v16
	v_pk_add_f16 v8, v8, v18
	v_pk_min_f16 v58, v58, v64
	v_pk_add_f16 v64, v12, v16
	v_pk_add_f16 v16, v14, v16
	;; [unrolled: 1-line block ×9, first 2 shown]
	v_pk_max_f16 v18, v28, v28
	v_pk_max_f16 v89, v89, v89
	v_pk_min_f16 v14, v18, v14
	v_pk_add_f16 v18, v9, v129
	v_pk_min_f16 v89, v89, v111
	v_pk_min_f16 v116, v44, v18
	v_pk_add_f16 v18, v11, v129
	v_pk_max_f16 v81, v81, v81
	v_pk_min_f16 v115, v45, v18
	v_pk_add_f16 v18, v5, v129
	v_pk_min_f16 v81, v81, v88
	v_pk_min_f16 v114, v110, v18
	v_pk_add_f16 v18, v7, v129
	;; [unrolled: 6-line block ×4, first 2 shown]
	v_pk_max_f16 v57, v57, v57
	v_pk_min_f16 v109, v105, v18
	v_pk_add_f16 v18, v9, v131
	v_pk_max_f16 v31, v31, v31
	v_pk_min_f16 v108, v104, v18
	v_pk_add_f16 v18, v11, v131
	v_pk_min_f16 v57, v57, v64
	v_pk_min_f16 v107, v103, v18
	v_pk_add_f16 v18, v5, v131
	v_pk_max_f16 v54, v54, v54
	v_pk_min_f16 v106, v102, v18
	v_pk_add_f16 v18, v7, v131
	v_pk_min_f16 v0, v31, v0
	v_pk_min_f16 v105, v101, v18
	v_pk_add_f16 v18, v1, v131
	v_pk_max_f16 v30, v30, v30
	v_pk_min_f16 v104, v100, v18
	v_pk_add_f16 v18, v3, v131
	v_pk_max_f16 v55, v55, v55
	v_pk_min_f16 v103, v99, v18
	v_pk_add_f16 v18, v13, v131
	v_pk_min_f16 v10, v54, v10
	v_pk_min_f16 v102, v98, v18
	v_pk_add_f16 v18, v15, v131
	v_pk_max_f16 v53, v53, v53
	v_pk_min_f16 v101, v97, v18
	v_pk_add_f16 v18, v9, v25
	v_pk_min_f16 v2, v30, v2
	v_pk_min_f16 v100, v96, v18
	v_pk_add_f16 v18, v11, v25
	v_pk_max_f16 v29, v29, v29
	v_pk_min_f16 v99, v95, v18
	v_pk_add_f16 v18, v5, v25
	v_pk_max_f16 v56, v56, v56
	v_pk_min_f16 v98, v94, v18
	v_pk_add_f16 v18, v7, v25
	v_pk_min_f16 v8, v55, v8
	v_pk_min_f16 v97, v93, v18
	v_pk_add_f16 v18, v1, v25
	v_pk_min_f16 v4, v53, v4
	v_pk_min_f16 v96, v91, v18
	v_pk_add_f16 v18, v3, v25
	v_pk_max_f16 v52, v52, v52
	v_pk_min_f16 v95, v90, v18
	v_pk_add_f16 v18, v13, v25
	v_pk_min_f16 v12, v29, v12
	v_pk_min_f16 v94, v89, v18
	v_pk_add_f16 v18, v15, v25
	v_pk_min_f16 v16, v56, v16
	;; [unrolled: 3-line block ×3, first 2 shown]
	v_pk_min_f16 v91, v87, v18
	v_pk_add_f16 v18, v11, v27
	s_add_i32 s34, s34, 8
	v_pk_min_f16 v90, v86, v18
	v_pk_add_f16 v18, v5, v27
	v_lshl_add_u64 v[32:33], v[32:33], 0, s[26:27]
	v_pk_min_f16 v89, v85, v18
	v_pk_add_f16 v18, v7, v27
	s_cmp_ge_i32 s34, s23
	v_pk_min_f16 v88, v84, v18
	v_pk_add_f16 v18, v1, v27
	v_lshl_add_u64 v[38:39], v[38:39], 0, s[28:29]
	v_pk_min_f16 v87, v83, v18
	v_pk_add_f16 v18, v3, v27
	s_waitcnt vmcnt(0)
	ds_write_b16 v118, v122
	ds_write_b16 v119, v124
	ds_write_b16 v119, v123 offset:512
	ds_write_b16 v119, v126 offset:1024
	;; [unrolled: 1-line block ×3, first 2 shown]
	v_pk_min_f16 v86, v82, v18
	v_pk_add_f16 v18, v13, v27
	s_waitcnt lgkmcnt(0)
	v_pk_min_f16 v85, v81, v18
	v_pk_add_f16 v18, v15, v27
	s_barrier
	v_pk_min_f16 v84, v26, v18
	v_pk_add_f16 v18, v9, v21
	s_nop 0
	v_pk_min_f16 v83, v79, v18
	v_pk_add_f16 v18, v11, v21
	s_nop 0
	;; [unrolled: 3-line block ×16, first 2 shown]
	v_pk_min_f16 v68, v22, v18
	v_pk_add_f16 v18, v9, v17
	v_pk_add_f16 v9, v9, v19
	v_pk_min_f16 v67, v63, v18
	v_pk_add_f16 v18, v11, v17
	s_nop 0
	v_pk_min_f16 v66, v62, v18
	v_pk_add_f16 v18, v5, v17
	v_pk_add_f16 v5, v5, v19
	v_pk_min_f16 v65, v61, v18
	v_pk_add_f16 v18, v7, v17
	s_nop 0
	v_pk_min_f16 v64, v60, v18
	v_pk_add_f16 v18, v1, v17
	v_pk_add_f16 v1, v1, v19
	v_pk_min_f16 v63, v59, v18
	v_pk_add_f16 v18, v3, v17
	v_pk_min_f16 v54, v0, v1
	;; [unrolled: 2-line block ×9, first 2 shown]
	v_pk_min_f16 v58, v10, v8
	v_pk_min_f16 v55, v6, v4
	;; [unrolled: 1-line block ×3, first 2 shown]
	s_cbranch_scc1 .LBB274_52
.LBB274_32:                             ; =>This Inner Loop Header: Depth=1
	v_add_u32_e32 v44, s34, v48
	v_add_u32_e32 v0, 8, v44
	v_cmp_le_i32_e64 s[10:11], s22, v0
	s_or_b64 s[30:31], vcc, s[10:11]
	s_xor_b64 s[36:37], s[30:31], -1
	v_mov_b32_e32 v45, 0x7c00
	v_mov_b32_e32 v123, 0x7c00
	s_and_saveexec_b64 s[30:31], s[36:37]
	s_cbranch_execz .LBB274_34
; %bb.33:                               ;   in Loop: Header=BB274_32 Depth=1
	v_lshl_add_u64 v[0:1], v[32:33], 0, v[34:35]
	flat_load_ushort v123, v[0:1]
.LBB274_34:                             ;   in Loop: Header=BB274_32 Depth=1
	s_or_b64 exec, exec, s[30:31]
	s_or_b64 s[30:31], s[12:13], s[10:11]
	s_xor_b64 s[36:37], s[30:31], -1
	v_lshl_add_u64 v[0:1], v[38:39], 0, v[36:37]
	s_and_saveexec_b64 s[30:31], s[36:37]
	s_cbranch_execz .LBB274_36
; %bb.35:                               ;   in Loop: Header=BB274_32 Depth=1
	flat_load_ushort v45, v[0:1]
.LBB274_36:                             ;   in Loop: Header=BB274_32 Depth=1
	s_or_b64 exec, exec, s[30:31]
	s_or_b64 s[30:31], s[4:5], s[10:11]
	s_xor_b64 s[36:37], s[30:31], -1
	v_mov_b32_e32 v124, 0x7c00
	v_mov_b32_e32 v125, 0x7c00
	s_and_saveexec_b64 s[30:31], s[36:37]
	s_cbranch_execz .LBB274_38
; %bb.37:                               ;   in Loop: Header=BB274_32 Depth=1
	flat_load_ushort v125, v[0:1] offset:128
.LBB274_38:                             ;   in Loop: Header=BB274_32 Depth=1
	s_or_b64 exec, exec, s[30:31]
	s_or_b64 s[30:31], s[6:7], s[10:11]
	s_xor_b64 s[36:37], s[30:31], -1
	s_and_saveexec_b64 s[30:31], s[36:37]
	s_cbranch_execz .LBB274_40
; %bb.39:                               ;   in Loop: Header=BB274_32 Depth=1
	flat_load_ushort v124, v[0:1] offset:256
.LBB274_40:                             ;   in Loop: Header=BB274_32 Depth=1
	s_or_b64 exec, exec, s[30:31]
	s_or_b64 s[10:11], s[8:9], s[10:11]
	s_xor_b64 s[30:31], s[10:11], -1
	v_mov_b32_e32 v122, 0x7c00
	v_mov_b32_e32 v126, 0x7c00
	s_and_saveexec_b64 s[10:11], s[30:31]
	s_cbranch_execz .LBB274_42
; %bb.41:                               ;   in Loop: Header=BB274_32 Depth=1
	flat_load_ushort v126, v[0:1] offset:384
.LBB274_42:                             ;   in Loop: Header=BB274_32 Depth=1
	s_or_b64 exec, exec, s[10:11]
	ds_read2_b64 v[12:15], v120 offset1:8
	ds_read2_b64 v[8:11], v120 offset0:16 offset1:24
	ds_read2_b64 v[4:7], v120 offset0:32 offset1:40
	;; [unrolled: 1-line block ×3, first 2 shown]
	ds_read2_b64 v[28:31], v121 offset1:32
	ds_read2_b64 v[24:27], v121 offset0:64 offset1:96
	ds_read2_b64 v[20:23], v121 offset0:128 offset1:160
	;; [unrolled: 1-line block ×3, first 2 shown]
	v_add_u32_e32 v44, 12, v44
	v_cmp_le_i32_e64 s[10:11], s22, v44
	s_or_b64 s[30:31], vcc, s[10:11]
	s_xor_b64 s[30:31], s[30:31], -1
	s_waitcnt vmcnt(0) lgkmcnt(0)
	ds_write_b16 v117, v123
	ds_write_b16 v51, v45
	ds_write_b16 v51, v125 offset:512
	ds_write_b16 v51, v124 offset:1024
	;; [unrolled: 1-line block ×3, first 2 shown]
	s_waitcnt lgkmcnt(0)
	s_barrier
	s_and_saveexec_b64 s[36:37], s[30:31]
	s_xor_b64 s[30:31], exec, s[36:37]
	s_cbranch_execz .LBB274_44
; %bb.43:                               ;   in Loop: Header=BB274_32 Depth=1
	v_lshl_add_u64 v[44:45], v[32:33], 0, v[42:43]
	flat_load_ushort v122, v[44:45]
.LBB274_44:                             ;   in Loop: Header=BB274_32 Depth=1
	s_or_b64 exec, exec, s[30:31]
	s_or_b64 s[30:31], s[12:13], s[10:11]
	s_xor_b64 s[36:37], s[30:31], -1
	v_mov_b32_e32 v123, 0x7c00
	v_lshl_add_u64 v[44:45], v[38:39], 0, v[40:41]
	v_mov_b32_e32 v124, 0x7c00
	s_and_saveexec_b64 s[30:31], s[36:37]
	s_cbranch_execz .LBB274_46
; %bb.45:                               ;   in Loop: Header=BB274_32 Depth=1
	flat_load_ushort v124, v[44:45]
.LBB274_46:                             ;   in Loop: Header=BB274_32 Depth=1
	s_or_b64 exec, exec, s[30:31]
	s_or_b64 s[30:31], s[4:5], s[10:11]
	s_xor_b64 s[36:37], s[30:31], -1
	s_and_saveexec_b64 s[30:31], s[36:37]
	s_cbranch_execz .LBB274_48
; %bb.47:                               ;   in Loop: Header=BB274_32 Depth=1
	flat_load_ushort v123, v[44:45] offset:128
.LBB274_48:                             ;   in Loop: Header=BB274_32 Depth=1
	s_or_b64 exec, exec, s[30:31]
	s_or_b64 s[30:31], s[6:7], s[10:11]
	s_xor_b64 s[36:37], s[30:31], -1
	v_mov_b32_e32 v125, 0x7c00
	v_mov_b32_e32 v126, 0x7c00
	s_and_saveexec_b64 s[30:31], s[36:37]
	s_cbranch_execz .LBB274_50
; %bb.49:                               ;   in Loop: Header=BB274_32 Depth=1
	flat_load_ushort v126, v[44:45] offset:256
.LBB274_50:                             ;   in Loop: Header=BB274_32 Depth=1
	s_or_b64 exec, exec, s[30:31]
	v_pk_add_f16 v127, v12, v28
	v_pk_max_f16 v116, v116, v116
	v_pk_max_f16 v115, v115, v115
	v_pk_min_f16 v116, v116, v127
	v_pk_add_f16 v127, v14, v28
	v_pk_max_f16 v114, v114, v114
	v_pk_min_f16 v115, v115, v127
	v_pk_add_f16 v127, v8, v28
	v_pk_max_f16 v113, v113, v113
	v_pk_min_f16 v114, v114, v127
	v_pk_add_f16 v127, v10, v28
	v_pk_max_f16 v112, v112, v112
	v_pk_min_f16 v113, v113, v127
	v_pk_add_f16 v127, v4, v28
	v_pk_max_f16 v111, v111, v111
	v_pk_min_f16 v127, v112, v127
	v_pk_add_f16 v112, v6, v28
	v_pk_max_f16 v109, v109, v109
	v_pk_min_f16 v128, v111, v112
	v_pk_add_f16 v111, v0, v28
	v_pk_add_f16 v28, v2, v28
	v_pk_max_f16 v108, v108, v108
	v_pk_min_f16 v28, v109, v28
	v_pk_add_f16 v109, v12, v30
	v_pk_max_f16 v107, v107, v107
	v_pk_min_f16 v130, v108, v109
	v_pk_add_f16 v108, v14, v30
	v_pk_max_f16 v106, v106, v106
	v_pk_min_f16 v131, v107, v108
	v_pk_add_f16 v107, v8, v30
	v_pk_max_f16 v105, v105, v105
	v_pk_min_f16 v132, v106, v107
	v_pk_add_f16 v106, v10, v30
	v_pk_max_f16 v104, v104, v104
	v_pk_min_f16 v133, v105, v106
	v_pk_add_f16 v105, v4, v30
	v_pk_max_f16 v103, v103, v103
	v_pk_min_f16 v134, v104, v105
	v_pk_add_f16 v104, v6, v30
	v_pk_max_f16 v101, v101, v101
	v_pk_min_f16 v135, v103, v104
	v_pk_add_f16 v103, v0, v30
	v_pk_add_f16 v30, v2, v30
	v_pk_max_f16 v100, v100, v100
	v_pk_min_f16 v30, v101, v30
	v_pk_add_f16 v101, v12, v24
	;; [unrolled: 22-line block ×6, first 2 shown]
	v_pk_max_f16 v66, v66, v66
	v_pk_min_f16 v165, v67, v68
	v_pk_add_f16 v67, v14, v16
	v_pk_max_f16 v65, v65, v65
	v_pk_min_f16 v166, v66, v67
	v_pk_add_f16 v66, v8, v16
	;; [unrolled: 3-line block ×5, first 2 shown]
	v_pk_add_f16 v12, v12, v18
	v_pk_min_f16 v170, v62, v63
	v_pk_add_f16 v62, v0, v16
	v_pk_add_f16 v16, v2, v16
	;; [unrolled: 1-line block ×9, first 2 shown]
	v_pk_max_f16 v18, v56, v56
	v_pk_max_f16 v110, v110, v110
	v_pk_min_f16 v2, v18, v2
	v_pk_add_f16 v18, v13, v29
	v_pk_min_f16 v129, v110, v111
	v_pk_min_f16 v112, v116, v18
	v_pk_add_f16 v18, v15, v29
	v_pk_max_f16 v102, v102, v102
	v_pk_min_f16 v111, v115, v18
	v_pk_add_f16 v18, v9, v29
	v_pk_min_f16 v136, v102, v103
	v_pk_min_f16 v110, v114, v18
	v_pk_add_f16 v18, v11, v29
	;; [unrolled: 6-line block ×9, first 2 shown]
	v_pk_max_f16 v58, v58, v58
	v_pk_min_f16 v95, v138, v18
	v_pk_add_f16 v18, v9, v25
	v_pk_max_f16 v57, v57, v57
	v_pk_min_f16 v94, v139, v18
	v_pk_add_f16 v18, v11, v25
	;; [unrolled: 3-line block ×4, first 2 shown]
	v_pk_min_f16 v14, v58, v14
	v_pk_min_f16 v90, v142, v18
	v_pk_add_f16 v18, v1, v25
	v_pk_min_f16 v8, v57, v8
	v_pk_min_f16 v89, v143, v18
	v_pk_add_f16 v18, v3, v25
	v_pk_max_f16 v55, v55, v55
	v_pk_min_f16 v88, v24, v18
	v_pk_add_f16 v18, v13, v27
	v_pk_min_f16 v4, v54, v4
	v_pk_min_f16 v87, v144, v18
	v_pk_add_f16 v18, v15, v27
	v_pk_max_f16 v53, v53, v53
	v_pk_min_f16 v86, v145, v18
	v_pk_add_f16 v18, v9, v27
	v_pk_min_f16 v0, v52, v0
	v_pk_min_f16 v85, v146, v18
	v_pk_add_f16 v18, v11, v27
	v_pk_min_f16 v10, v55, v10
	v_pk_min_f16 v84, v147, v18
	v_pk_add_f16 v18, v5, v27
	v_pk_min_f16 v6, v53, v6
	v_pk_min_f16 v83, v148, v18
	v_pk_add_f16 v18, v7, v27
	s_or_b64 s[10:11], s[8:9], s[10:11]
	v_pk_min_f16 v82, v149, v18
	v_pk_add_f16 v18, v1, v27
	s_xor_b64 s[30:31], s[10:11], -1
	v_pk_min_f16 v81, v150, v18
	v_pk_add_f16 v18, v3, v27
	s_nop 0
	v_pk_min_f16 v80, v26, v18
	v_pk_add_f16 v18, v13, v21
	s_nop 0
	v_pk_min_f16 v79, v151, v18
	v_pk_add_f16 v18, v15, v21
	s_nop 0
	v_pk_min_f16 v78, v152, v18
	v_pk_add_f16 v18, v9, v21
	s_nop 0
	v_pk_min_f16 v77, v153, v18
	v_pk_add_f16 v18, v11, v21
	s_nop 0
	v_pk_min_f16 v76, v154, v18
	v_pk_add_f16 v18, v5, v21
	s_nop 0
	v_pk_min_f16 v75, v155, v18
	v_pk_add_f16 v18, v7, v21
	s_nop 0
	v_pk_min_f16 v74, v156, v18
	v_pk_add_f16 v18, v1, v21
	s_nop 0
	v_pk_min_f16 v73, v157, v18
	v_pk_add_f16 v18, v3, v21
	s_nop 0
	v_pk_min_f16 v72, v20, v18
	v_pk_add_f16 v18, v13, v23
	s_nop 0
	v_pk_min_f16 v71, v158, v18
	v_pk_add_f16 v18, v15, v23
	s_nop 0
	v_pk_min_f16 v70, v159, v18
	v_pk_add_f16 v18, v9, v23
	s_nop 0
	v_pk_min_f16 v69, v160, v18
	v_pk_add_f16 v18, v11, v23
	s_nop 0
	v_pk_min_f16 v68, v161, v18
	v_pk_add_f16 v18, v5, v23
	s_nop 0
	v_pk_min_f16 v67, v162, v18
	v_pk_add_f16 v18, v7, v23
	s_nop 0
	v_pk_min_f16 v66, v163, v18
	v_pk_add_f16 v18, v1, v23
	s_nop 0
	v_pk_min_f16 v65, v164, v18
	v_pk_add_f16 v18, v3, v23
	s_nop 0
	v_pk_min_f16 v64, v22, v18
	v_pk_add_f16 v18, v13, v17
	v_pk_add_f16 v13, v13, v19
	v_pk_min_f16 v63, v165, v18
	v_pk_add_f16 v18, v15, v17
	v_pk_min_f16 v55, v12, v13
	v_pk_min_f16 v62, v166, v18
	v_pk_add_f16 v18, v9, v17
	v_pk_add_f16 v9, v9, v19
	v_pk_min_f16 v61, v167, v18
	v_pk_add_f16 v18, v11, v17
	v_pk_add_f16 v12, v15, v19
	;; [unrolled: 3-line block ×3, first 2 shown]
	v_pk_min_f16 v59, v169, v18
	v_pk_add_f16 v18, v7, v17
	v_pk_min_f16 v53, v8, v9
	v_pk_min_f16 v58, v170, v18
	v_pk_add_f16 v18, v1, v17
	v_pk_add_f16 v1, v1, v19
	;; [unrolled: 1-line block ×4, first 2 shown]
	v_pk_min_f16 v31, v4, v5
	v_pk_add_f16 v4, v7, v19
	v_pk_min_f16 v29, v0, v1
	v_pk_add_f16 v0, v3, v19
	v_pk_min_f16 v57, v171, v18
	v_pk_min_f16 v56, v16, v17
	;; [unrolled: 1-line block ×6, first 2 shown]
	s_and_saveexec_b64 s[10:11], s[30:31]
	s_cbranch_execz .LBB274_31
; %bb.51:                               ;   in Loop: Header=BB274_32 Depth=1
	flat_load_ushort v125, v[44:45] offset:384
	s_branch .LBB274_31
.LBB274_52:
	s_load_dwordx2 s[4:5], s[0:1], 0x70
	s_load_dword s29, s[0:1], 0x50
	s_load_dword s28, s[0:1], 0x68
	v_add_u32_e32 v0, 0x1000, v49
	v_add_u32_e32 v4, 0x800, v50
	s_waitcnt lgkmcnt(0)
	s_mul_i32 s0, s3, s5
	s_mul_hi_u32 s1, s3, s4
	s_mul_i32 s5, s19, s4
	s_add_i32 s0, s1, s0
	s_add_i32 s1, s0, s5
	s_mul_i32 s0, s3, s4
	ds_read2_b64 v[16:19], v0 offset0:64 offset1:72
	ds_read2_b64 v[12:15], v0 offset0:80 offset1:88
	;; [unrolled: 1-line block ×4, first 2 shown]
	ds_read2_b64 v[28:31], v4 offset1:32
	ds_read2_b64 v[24:27], v4 offset0:64 offset1:96
	ds_read2_b64 v[20:23], v4 offset0:128 offset1:160
	;; [unrolled: 1-line block ×3, first 2 shown]
	s_lshl_b64 s[0:1], s[0:1], 1
	s_add_u32 s22, s14, s0
	v_add_u32_e32 v92, s18, v47
	s_addc_u32 s23, s15, s1
	v_mad_i64_i32 v[34:35], s[0:1], v92, s29, 0
	v_add_u32_e32 v32, s2, v46
	v_lshl_add_u64 v[50:51], v[34:35], 1, s[24:25]
	v_mad_i64_i32 v[34:35], s[0:1], v92, s28, 0
	v_cmp_gt_i32_e64 s[2:3], s20, v32
	v_cmp_gt_i32_e64 s[18:19], s21, v92
	v_lshl_add_u64 v[48:49], v[34:35], 1, s[22:23]
	v_cndmask_b32_e64 v34, 0, 1, s[16:17]
	v_ashrrev_i32_e32 v33, 31, v32
	s_and_b64 s[4:5], s[2:3], s[18:19]
	v_cmp_ne_u32_e64 s[0:1], 1, v34
	s_and_saveexec_b64 s[6:7], s[4:5]
	s_xor_b64 s[4:5], exec, s[6:7]
	s_cbranch_execz .LBB274_57
; %bb.53:
	s_and_b64 vcc, exec, s[0:1]
	s_cbranch_vccnz .LBB274_55
; %bb.54:
	v_lshl_add_u64 v[34:35], v[32:33], 1, v[50:51]
	flat_load_ushort v34, v[34:35]
	s_waitcnt vmcnt(0) lgkmcnt(0)
	v_mul_f16_e32 v34, s33, v34
	s_branch .LBB274_56
.LBB274_55:
	v_mov_b32_e32 v34, 0
.LBB274_56:
	s_waitcnt lgkmcnt(3)
	v_pk_add_f16 v35, v16, v28
	v_pk_max_f16 v36, v116, v116
	s_nop 0
	v_pk_min_f16 v35, v36, v35
	v_pk_add_f16 v36, v17, v29
	s_nop 0
	v_pk_min_f16 v35, v35, v36
	s_nop 0
	v_lshrrev_b32_e32 v36, 16, v35
	v_min3_f16 v36, v34, v35, v36
	v_lshl_add_u64 v[34:35], v[32:33], 1, v[48:49]
	global_store_short v[34:35], v36, off
.LBB274_57:
	s_or_b64 exec, exec, s[4:5]
	v_add_u32_e32 v34, 8, v32
	v_cmp_gt_i32_e64 s[4:5], s20, v34
	v_ashrrev_i32_e32 v35, 31, v34
	s_and_b64 s[8:9], s[4:5], s[18:19]
	s_and_saveexec_b64 s[6:7], s[8:9]
	s_cbranch_execz .LBB274_62
; %bb.58:
	s_and_b64 vcc, exec, s[0:1]
	s_cbranch_vccnz .LBB274_60
; %bb.59:
	v_lshl_add_u64 v[36:37], v[34:35], 1, v[50:51]
	flat_load_ushort v36, v[36:37]
	s_waitcnt vmcnt(0) lgkmcnt(0)
	v_mul_f16_e32 v36, s33, v36
	s_branch .LBB274_61
.LBB274_60:
	v_mov_b32_e32 v36, 0
.LBB274_61:
	s_waitcnt lgkmcnt(3)
	v_pk_add_f16 v37, v18, v28
	v_pk_max_f16 v38, v115, v115
	s_nop 0
	v_pk_min_f16 v37, v38, v37
	v_pk_add_f16 v38, v19, v29
	s_nop 0
	v_pk_min_f16 v37, v37, v38
	s_nop 0
	v_lshrrev_b32_e32 v38, 16, v37
	v_min3_f16 v38, v36, v37, v38
	v_lshl_add_u64 v[36:37], v[34:35], 1, v[48:49]
	global_store_short v[36:37], v38, off
.LBB274_62:
	s_or_b64 exec, exec, s[6:7]
	v_add_u32_e32 v36, 16, v32
	v_cmp_gt_i32_e64 s[6:7], s20, v36
	v_ashrrev_i32_e32 v37, 31, v36
	s_and_b64 s[10:11], s[6:7], s[18:19]
	s_and_saveexec_b64 s[8:9], s[10:11]
	s_cbranch_execz .LBB274_67
; %bb.63:
	s_and_b64 vcc, exec, s[0:1]
	s_cbranch_vccnz .LBB274_65
; %bb.64:
	v_lshl_add_u64 v[38:39], v[36:37], 1, v[50:51]
	flat_load_ushort v38, v[38:39]
	s_waitcnt vmcnt(0) lgkmcnt(0)
	v_mul_f16_e32 v38, s33, v38
	s_branch .LBB274_66
.LBB274_65:
	v_mov_b32_e32 v38, 0
.LBB274_66:
	s_waitcnt lgkmcnt(3)
	v_pk_add_f16 v39, v12, v28
	v_pk_max_f16 v40, v114, v114
	s_nop 0
	v_pk_min_f16 v39, v40, v39
	v_pk_add_f16 v40, v13, v29
	s_nop 0
	v_pk_min_f16 v39, v39, v40
	s_nop 0
	v_lshrrev_b32_e32 v40, 16, v39
	v_min3_f16 v40, v38, v39, v40
	v_lshl_add_u64 v[38:39], v[36:37], 1, v[48:49]
	global_store_short v[38:39], v40, off
.LBB274_67:
	s_or_b64 exec, exec, s[8:9]
	v_add_u32_e32 v38, 24, v32
	v_cmp_gt_i32_e64 s[8:9], s20, v38
	v_ashrrev_i32_e32 v39, 31, v38
	s_and_b64 s[12:13], s[8:9], s[18:19]
	s_and_saveexec_b64 s[10:11], s[12:13]
	s_cbranch_execz .LBB274_72
; %bb.68:
	s_and_b64 vcc, exec, s[0:1]
	s_cbranch_vccnz .LBB274_70
; %bb.69:
	v_lshl_add_u64 v[40:41], v[38:39], 1, v[50:51]
	flat_load_ushort v40, v[40:41]
	s_waitcnt vmcnt(0) lgkmcnt(0)
	v_mul_f16_e32 v40, s33, v40
	s_branch .LBB274_71
.LBB274_70:
	v_mov_b32_e32 v40, 0
.LBB274_71:
	s_waitcnt lgkmcnt(3)
	v_pk_add_f16 v41, v14, v28
	v_pk_max_f16 v42, v113, v113
	s_nop 0
	v_pk_min_f16 v41, v42, v41
	v_pk_add_f16 v42, v15, v29
	s_nop 0
	v_pk_min_f16 v41, v41, v42
	s_nop 0
	v_lshrrev_b32_e32 v42, 16, v41
	v_min3_f16 v42, v40, v41, v42
	v_lshl_add_u64 v[40:41], v[38:39], 1, v[48:49]
	global_store_short v[40:41], v42, off
.LBB274_72:
	s_or_b64 exec, exec, s[10:11]
	v_add_u32_e32 v40, 32, v32
	v_cmp_gt_i32_e64 s[10:11], s20, v40
	v_ashrrev_i32_e32 v41, 31, v40
	s_and_b64 s[14:15], s[10:11], s[18:19]
	s_and_saveexec_b64 s[12:13], s[14:15]
	s_cbranch_execz .LBB274_77
; %bb.73:
	s_and_b64 vcc, exec, s[0:1]
	s_cbranch_vccnz .LBB274_75
; %bb.74:
	v_lshl_add_u64 v[42:43], v[40:41], 1, v[50:51]
	flat_load_ushort v42, v[42:43]
	s_waitcnt vmcnt(0) lgkmcnt(0)
	v_mul_f16_e32 v42, s33, v42
	s_branch .LBB274_76
.LBB274_75:
	v_mov_b32_e32 v42, 0
.LBB274_76:
	s_waitcnt lgkmcnt(3)
	v_pk_add_f16 v43, v8, v28
	v_pk_max_f16 v44, v112, v112
	s_nop 0
	v_pk_min_f16 v43, v44, v43
	v_pk_add_f16 v44, v9, v29
	s_nop 0
	v_pk_min_f16 v43, v43, v44
	s_nop 0
	v_lshrrev_b32_e32 v44, 16, v43
	v_min3_f16 v44, v42, v43, v44
	v_lshl_add_u64 v[42:43], v[40:41], 1, v[48:49]
	global_store_short v[42:43], v44, off
.LBB274_77:
	s_or_b64 exec, exec, s[12:13]
	v_add_u32_e32 v42, 40, v32
	v_cmp_gt_i32_e64 s[12:13], s20, v42
	v_ashrrev_i32_e32 v43, 31, v42
	s_and_b64 s[16:17], s[12:13], s[18:19]
	s_and_saveexec_b64 s[14:15], s[16:17]
	s_cbranch_execz .LBB274_82
; %bb.78:
	s_and_b64 vcc, exec, s[0:1]
	s_cbranch_vccnz .LBB274_80
; %bb.79:
	v_lshl_add_u64 v[44:45], v[42:43], 1, v[50:51]
	flat_load_ushort v44, v[44:45]
	s_waitcnt vmcnt(0) lgkmcnt(0)
	v_mul_f16_e32 v44, s33, v44
	s_branch .LBB274_81
.LBB274_80:
	v_mov_b32_e32 v44, 0
.LBB274_81:
	s_waitcnt lgkmcnt(3)
	v_pk_add_f16 v45, v10, v28
	v_pk_max_f16 v46, v111, v111
	s_nop 0
	v_pk_min_f16 v45, v46, v45
	v_pk_add_f16 v46, v11, v29
	s_nop 0
	v_pk_min_f16 v45, v45, v46
	s_nop 0
	v_lshrrev_b32_e32 v46, 16, v45
	v_min3_f16 v46, v44, v45, v46
	v_lshl_add_u64 v[44:45], v[42:43], 1, v[48:49]
	global_store_short v[44:45], v46, off
.LBB274_82:
	s_or_b64 exec, exec, s[14:15]
	v_add_u32_e32 v44, 48, v32
	v_cmp_gt_i32_e64 s[14:15], s20, v44
	v_ashrrev_i32_e32 v45, 31, v44
	s_and_b64 s[26:27], s[14:15], s[18:19]
	s_and_saveexec_b64 s[16:17], s[26:27]
	s_cbranch_execz .LBB274_87
; %bb.83:
	s_and_b64 vcc, exec, s[0:1]
	s_cbranch_vccnz .LBB274_85
; %bb.84:
	v_lshl_add_u64 v[46:47], v[44:45], 1, v[50:51]
	flat_load_ushort v46, v[46:47]
	s_waitcnt vmcnt(0) lgkmcnt(0)
	v_mul_f16_e32 v46, s33, v46
	s_branch .LBB274_86
.LBB274_85:
	v_mov_b32_e32 v46, 0
.LBB274_86:
	s_waitcnt lgkmcnt(3)
	v_pk_add_f16 v47, v0, v28
	v_pk_max_f16 v110, v110, v110
	s_nop 0
	v_pk_min_f16 v47, v110, v47
	v_pk_add_f16 v110, v1, v29
	s_nop 0
	v_pk_min_f16 v47, v47, v110
	s_nop 0
	v_lshrrev_b32_e32 v110, 16, v47
	v_min3_f16 v110, v46, v47, v110
	v_lshl_add_u64 v[46:47], v[44:45], 1, v[48:49]
	global_store_short v[46:47], v110, off
.LBB274_87:
	s_or_b64 exec, exec, s[16:17]
	v_add_u32_e32 v46, 56, v32
	v_cmp_gt_i32_e64 s[16:17], s20, v46
	v_ashrrev_i32_e32 v47, 31, v46
	s_and_b64 s[26:27], s[16:17], s[18:19]
	s_and_saveexec_b64 s[18:19], s[26:27]
	s_cbranch_execz .LBB274_92
; %bb.88:
	s_and_b64 vcc, exec, s[0:1]
	s_cbranch_vccnz .LBB274_90
; %bb.89:
	v_lshl_add_u64 v[50:51], v[46:47], 1, v[50:51]
	flat_load_ushort v50, v[50:51]
	s_waitcnt vmcnt(0) lgkmcnt(0)
	v_mul_f16_e32 v50, s33, v50
	s_branch .LBB274_91
.LBB274_90:
	v_mov_b32_e32 v50, 0
.LBB274_91:
	s_waitcnt lgkmcnt(3)
	v_pk_add_f16 v28, v2, v28
	v_pk_max_f16 v51, v109, v109
	v_pk_add_f16 v29, v3, v29
	v_pk_min_f16 v28, v51, v28
	s_nop 0
	v_pk_min_f16 v28, v28, v29
	s_nop 0
	v_lshrrev_b32_e32 v29, 16, v28
	v_min3_f16 v50, v50, v28, v29
	v_lshl_add_u64 v[28:29], v[46:47], 1, v[48:49]
	global_store_short v[28:29], v50, off
.LBB274_92:
	s_or_b64 exec, exec, s[18:19]
	v_add_u32_e32 v50, 32, v92
	s_waitcnt lgkmcnt(3)
	v_mad_i64_i32 v[28:29], s[26:27], v50, s29, 0
	v_cmp_gt_i32_e64 s[18:19], s21, v50
	v_lshl_add_u64 v[48:49], v[28:29], 1, s[24:25]
	v_mad_i64_i32 v[28:29], s[26:27], v50, s28, 0
	v_lshl_add_u64 v[28:29], v[28:29], 1, s[22:23]
	s_and_b64 s[30:31], s[2:3], s[18:19]
	s_and_saveexec_b64 s[26:27], s[30:31]
	s_cbranch_execnz .LBB274_100
; %bb.93:
	s_or_b64 exec, exec, s[26:27]
	s_and_b64 s[30:31], s[4:5], s[18:19]
	s_and_saveexec_b64 s[26:27], s[30:31]
	s_cbranch_execnz .LBB274_104
.LBB274_94:
	s_or_b64 exec, exec, s[26:27]
	s_and_b64 s[30:31], s[6:7], s[18:19]
	s_and_saveexec_b64 s[26:27], s[30:31]
	s_cbranch_execnz .LBB274_108
.LBB274_95:
	s_or_b64 exec, exec, s[26:27]
	s_and_b64 s[30:31], s[8:9], s[18:19]
	s_and_saveexec_b64 s[26:27], s[30:31]
	s_cbranch_execnz .LBB274_112
.LBB274_96:
	s_or_b64 exec, exec, s[26:27]
	s_and_b64 s[30:31], s[10:11], s[18:19]
	s_and_saveexec_b64 s[26:27], s[30:31]
	s_cbranch_execnz .LBB274_116
.LBB274_97:
	s_or_b64 exec, exec, s[26:27]
	s_and_b64 s[30:31], s[12:13], s[18:19]
	s_and_saveexec_b64 s[26:27], s[30:31]
	s_cbranch_execnz .LBB274_120
.LBB274_98:
	s_or_b64 exec, exec, s[26:27]
	s_and_b64 s[30:31], s[14:15], s[18:19]
	s_and_saveexec_b64 s[26:27], s[30:31]
	s_cbranch_execnz .LBB274_124
.LBB274_99:
	s_or_b64 exec, exec, s[26:27]
	s_and_b64 s[26:27], s[16:17], s[18:19]
	s_and_saveexec_b64 s[18:19], s[26:27]
	s_cbranch_execnz .LBB274_128
	s_branch .LBB274_132
.LBB274_100:
	s_and_b64 vcc, exec, s[0:1]
	s_cbranch_vccnz .LBB274_102
; %bb.101:
	v_lshl_add_u64 v[50:51], v[32:33], 1, v[48:49]
	flat_load_ushort v50, v[50:51]
	s_waitcnt vmcnt(0) lgkmcnt(0)
	v_mul_f16_e32 v50, s33, v50
	s_branch .LBB274_103
.LBB274_102:
	v_mov_b32_e32 v50, 0
.LBB274_103:
	v_pk_add_f16 v51, v16, v30
	v_pk_max_f16 v108, v108, v108
	s_nop 0
	v_pk_min_f16 v51, v108, v51
	v_pk_add_f16 v108, v17, v31
	s_nop 0
	v_pk_min_f16 v51, v51, v108
	s_nop 0
	v_lshrrev_b32_e32 v108, 16, v51
	v_min3_f16 v108, v50, v51, v108
	v_lshl_add_u64 v[50:51], v[32:33], 1, v[28:29]
	global_store_short v[50:51], v108, off
	s_or_b64 exec, exec, s[26:27]
	s_and_b64 s[30:31], s[4:5], s[18:19]
	s_and_saveexec_b64 s[26:27], s[30:31]
	s_cbranch_execz .LBB274_94
.LBB274_104:
	s_and_b64 vcc, exec, s[0:1]
	s_cbranch_vccnz .LBB274_106
; %bb.105:
	v_lshl_add_u64 v[50:51], v[34:35], 1, v[48:49]
	flat_load_ushort v50, v[50:51]
	s_waitcnt vmcnt(0) lgkmcnt(0)
	v_mul_f16_e32 v50, s33, v50
	s_branch .LBB274_107
.LBB274_106:
	v_mov_b32_e32 v50, 0
.LBB274_107:
	v_pk_add_f16 v51, v18, v30
	v_pk_max_f16 v107, v107, v107
	s_nop 0
	v_pk_min_f16 v51, v107, v51
	v_pk_add_f16 v107, v19, v31
	s_nop 0
	v_pk_min_f16 v51, v51, v107
	s_nop 0
	v_lshrrev_b32_e32 v107, 16, v51
	v_min3_f16 v107, v50, v51, v107
	v_lshl_add_u64 v[50:51], v[34:35], 1, v[28:29]
	global_store_short v[50:51], v107, off
	s_or_b64 exec, exec, s[26:27]
	s_and_b64 s[30:31], s[6:7], s[18:19]
	s_and_saveexec_b64 s[26:27], s[30:31]
	s_cbranch_execz .LBB274_95
.LBB274_108:
	s_and_b64 vcc, exec, s[0:1]
	s_cbranch_vccnz .LBB274_110
; %bb.109:
	v_lshl_add_u64 v[50:51], v[36:37], 1, v[48:49]
	flat_load_ushort v50, v[50:51]
	s_waitcnt vmcnt(0) lgkmcnt(0)
	v_mul_f16_e32 v50, s33, v50
	s_branch .LBB274_111
.LBB274_110:
	v_mov_b32_e32 v50, 0
.LBB274_111:
	v_pk_add_f16 v51, v12, v30
	v_pk_max_f16 v106, v106, v106
	s_nop 0
	v_pk_min_f16 v51, v106, v51
	v_pk_add_f16 v106, v13, v31
	s_nop 0
	v_pk_min_f16 v51, v51, v106
	s_nop 0
	v_lshrrev_b32_e32 v106, 16, v51
	v_min3_f16 v106, v50, v51, v106
	v_lshl_add_u64 v[50:51], v[36:37], 1, v[28:29]
	global_store_short v[50:51], v106, off
	s_or_b64 exec, exec, s[26:27]
	s_and_b64 s[30:31], s[8:9], s[18:19]
	s_and_saveexec_b64 s[26:27], s[30:31]
	s_cbranch_execz .LBB274_96
.LBB274_112:
	s_and_b64 vcc, exec, s[0:1]
	s_cbranch_vccnz .LBB274_114
; %bb.113:
	v_lshl_add_u64 v[50:51], v[38:39], 1, v[48:49]
	flat_load_ushort v50, v[50:51]
	s_waitcnt vmcnt(0) lgkmcnt(0)
	v_mul_f16_e32 v50, s33, v50
	s_branch .LBB274_115
.LBB274_114:
	v_mov_b32_e32 v50, 0
.LBB274_115:
	v_pk_add_f16 v51, v14, v30
	v_pk_max_f16 v105, v105, v105
	s_nop 0
	v_pk_min_f16 v51, v105, v51
	v_pk_add_f16 v105, v15, v31
	s_nop 0
	v_pk_min_f16 v51, v51, v105
	s_nop 0
	v_lshrrev_b32_e32 v105, 16, v51
	v_min3_f16 v105, v50, v51, v105
	v_lshl_add_u64 v[50:51], v[38:39], 1, v[28:29]
	global_store_short v[50:51], v105, off
	s_or_b64 exec, exec, s[26:27]
	s_and_b64 s[30:31], s[10:11], s[18:19]
	s_and_saveexec_b64 s[26:27], s[30:31]
	s_cbranch_execz .LBB274_97
.LBB274_116:
	s_and_b64 vcc, exec, s[0:1]
	s_cbranch_vccnz .LBB274_118
; %bb.117:
	v_lshl_add_u64 v[50:51], v[40:41], 1, v[48:49]
	flat_load_ushort v50, v[50:51]
	s_waitcnt vmcnt(0) lgkmcnt(0)
	v_mul_f16_e32 v50, s33, v50
	s_branch .LBB274_119
.LBB274_118:
	v_mov_b32_e32 v50, 0
.LBB274_119:
	v_pk_add_f16 v51, v8, v30
	v_pk_max_f16 v104, v104, v104
	s_nop 0
	v_pk_min_f16 v51, v104, v51
	v_pk_add_f16 v104, v9, v31
	s_nop 0
	v_pk_min_f16 v51, v51, v104
	s_nop 0
	v_lshrrev_b32_e32 v104, 16, v51
	v_min3_f16 v104, v50, v51, v104
	v_lshl_add_u64 v[50:51], v[40:41], 1, v[28:29]
	global_store_short v[50:51], v104, off
	s_or_b64 exec, exec, s[26:27]
	s_and_b64 s[30:31], s[12:13], s[18:19]
	s_and_saveexec_b64 s[26:27], s[30:31]
	s_cbranch_execz .LBB274_98
.LBB274_120:
	s_and_b64 vcc, exec, s[0:1]
	s_cbranch_vccnz .LBB274_122
; %bb.121:
	v_lshl_add_u64 v[50:51], v[42:43], 1, v[48:49]
	flat_load_ushort v50, v[50:51]
	s_waitcnt vmcnt(0) lgkmcnt(0)
	v_mul_f16_e32 v50, s33, v50
	s_branch .LBB274_123
.LBB274_122:
	v_mov_b32_e32 v50, 0
.LBB274_123:
	v_pk_add_f16 v51, v10, v30
	v_pk_max_f16 v103, v103, v103
	s_nop 0
	v_pk_min_f16 v51, v103, v51
	v_pk_add_f16 v103, v11, v31
	s_nop 0
	v_pk_min_f16 v51, v51, v103
	s_nop 0
	v_lshrrev_b32_e32 v103, 16, v51
	v_min3_f16 v103, v50, v51, v103
	v_lshl_add_u64 v[50:51], v[42:43], 1, v[28:29]
	global_store_short v[50:51], v103, off
	s_or_b64 exec, exec, s[26:27]
	s_and_b64 s[30:31], s[14:15], s[18:19]
	s_and_saveexec_b64 s[26:27], s[30:31]
	s_cbranch_execz .LBB274_99
.LBB274_124:
	s_and_b64 vcc, exec, s[0:1]
	s_cbranch_vccnz .LBB274_126
; %bb.125:
	v_lshl_add_u64 v[50:51], v[44:45], 1, v[48:49]
	flat_load_ushort v50, v[50:51]
	s_waitcnt vmcnt(0) lgkmcnt(0)
	v_mul_f16_e32 v50, s33, v50
	s_branch .LBB274_127
.LBB274_126:
	v_mov_b32_e32 v50, 0
.LBB274_127:
	v_pk_add_f16 v51, v0, v30
	v_pk_max_f16 v102, v102, v102
	s_nop 0
	v_pk_min_f16 v51, v102, v51
	v_pk_add_f16 v102, v1, v31
	s_nop 0
	v_pk_min_f16 v51, v51, v102
	s_nop 0
	v_lshrrev_b32_e32 v102, 16, v51
	v_min3_f16 v102, v50, v51, v102
	v_lshl_add_u64 v[50:51], v[44:45], 1, v[28:29]
	global_store_short v[50:51], v102, off
	s_or_b64 exec, exec, s[26:27]
	s_and_b64 s[26:27], s[16:17], s[18:19]
	s_and_saveexec_b64 s[18:19], s[26:27]
	s_cbranch_execz .LBB274_132
.LBB274_128:
	s_and_b64 vcc, exec, s[0:1]
	s_cbranch_vccnz .LBB274_130
; %bb.129:
	v_lshl_add_u64 v[48:49], v[46:47], 1, v[48:49]
	flat_load_ushort v48, v[48:49]
	s_waitcnt vmcnt(0) lgkmcnt(0)
	v_mul_f16_e32 v48, s33, v48
	s_branch .LBB274_131
.LBB274_130:
	v_mov_b32_e32 v48, 0
.LBB274_131:
	v_pk_add_f16 v30, v2, v30
	v_pk_max_f16 v49, v101, v101
	v_pk_add_f16 v31, v3, v31
	v_pk_min_f16 v30, v49, v30
	v_lshl_add_u64 v[28:29], v[46:47], 1, v[28:29]
	v_pk_min_f16 v30, v30, v31
	s_nop 0
	v_lshrrev_b32_e32 v31, 16, v30
	v_min3_f16 v30, v48, v30, v31
	global_store_short v[28:29], v30, off
.LBB274_132:
	s_or_b64 exec, exec, s[18:19]
	v_add_u32_e32 v48, 64, v92
	v_mad_i64_i32 v[28:29], s[26:27], v48, s29, 0
	v_cmp_gt_i32_e64 s[18:19], s21, v48
	v_lshl_add_u64 v[30:31], v[28:29], 1, s[24:25]
	v_mad_i64_i32 v[28:29], s[26:27], v48, s28, 0
	v_lshl_add_u64 v[28:29], v[28:29], 1, s[22:23]
	s_and_b64 s[30:31], s[2:3], s[18:19]
	s_and_saveexec_b64 s[26:27], s[30:31]
	s_cbranch_execnz .LBB274_140
; %bb.133:
	s_or_b64 exec, exec, s[26:27]
	s_and_b64 s[30:31], s[4:5], s[18:19]
	s_and_saveexec_b64 s[26:27], s[30:31]
	s_cbranch_execnz .LBB274_144
.LBB274_134:
	s_or_b64 exec, exec, s[26:27]
	s_and_b64 s[30:31], s[6:7], s[18:19]
	s_and_saveexec_b64 s[26:27], s[30:31]
	s_cbranch_execnz .LBB274_148
.LBB274_135:
	s_or_b64 exec, exec, s[26:27]
	s_and_b64 s[30:31], s[8:9], s[18:19]
	s_and_saveexec_b64 s[26:27], s[30:31]
	s_cbranch_execnz .LBB274_152
.LBB274_136:
	s_or_b64 exec, exec, s[26:27]
	s_and_b64 s[30:31], s[10:11], s[18:19]
	s_and_saveexec_b64 s[26:27], s[30:31]
	s_cbranch_execnz .LBB274_156
.LBB274_137:
	s_or_b64 exec, exec, s[26:27]
	s_and_b64 s[30:31], s[12:13], s[18:19]
	s_and_saveexec_b64 s[26:27], s[30:31]
	s_cbranch_execnz .LBB274_160
.LBB274_138:
	s_or_b64 exec, exec, s[26:27]
	s_and_b64 s[30:31], s[14:15], s[18:19]
	s_and_saveexec_b64 s[26:27], s[30:31]
	s_cbranch_execnz .LBB274_164
.LBB274_139:
	s_or_b64 exec, exec, s[26:27]
	s_and_b64 s[26:27], s[16:17], s[18:19]
	s_and_saveexec_b64 s[18:19], s[26:27]
	s_cbranch_execnz .LBB274_168
	s_branch .LBB274_172
.LBB274_140:
	s_and_b64 vcc, exec, s[0:1]
	s_cbranch_vccnz .LBB274_142
; %bb.141:
	v_lshl_add_u64 v[48:49], v[32:33], 1, v[30:31]
	flat_load_ushort v48, v[48:49]
	s_waitcnt vmcnt(0) lgkmcnt(0)
	v_mul_f16_e32 v48, s33, v48
	s_branch .LBB274_143
.LBB274_142:
	v_mov_b32_e32 v48, 0
.LBB274_143:
	s_waitcnt lgkmcnt(2)
	v_pk_add_f16 v49, v16, v24
	v_pk_max_f16 v50, v100, v100
	s_nop 0
	v_pk_min_f16 v49, v50, v49
	v_pk_add_f16 v50, v17, v25
	s_nop 0
	v_pk_min_f16 v49, v49, v50
	s_nop 0
	v_lshrrev_b32_e32 v50, 16, v49
	v_min3_f16 v50, v48, v49, v50
	v_lshl_add_u64 v[48:49], v[32:33], 1, v[28:29]
	global_store_short v[48:49], v50, off
	s_or_b64 exec, exec, s[26:27]
	s_and_b64 s[30:31], s[4:5], s[18:19]
	s_and_saveexec_b64 s[26:27], s[30:31]
	s_cbranch_execz .LBB274_134
.LBB274_144:
	s_and_b64 vcc, exec, s[0:1]
	s_cbranch_vccnz .LBB274_146
; %bb.145:
	v_lshl_add_u64 v[48:49], v[34:35], 1, v[30:31]
	flat_load_ushort v48, v[48:49]
	s_waitcnt vmcnt(0) lgkmcnt(0)
	v_mul_f16_e32 v48, s33, v48
	s_branch .LBB274_147
.LBB274_146:
	v_mov_b32_e32 v48, 0
.LBB274_147:
	s_waitcnt lgkmcnt(2)
	v_pk_add_f16 v49, v18, v24
	v_pk_max_f16 v50, v99, v99
	s_nop 0
	v_pk_min_f16 v49, v50, v49
	v_pk_add_f16 v50, v19, v25
	s_nop 0
	v_pk_min_f16 v49, v49, v50
	s_nop 0
	v_lshrrev_b32_e32 v50, 16, v49
	v_min3_f16 v50, v48, v49, v50
	v_lshl_add_u64 v[48:49], v[34:35], 1, v[28:29]
	global_store_short v[48:49], v50, off
	s_or_b64 exec, exec, s[26:27]
	s_and_b64 s[30:31], s[6:7], s[18:19]
	s_and_saveexec_b64 s[26:27], s[30:31]
	s_cbranch_execz .LBB274_135
.LBB274_148:
	s_and_b64 vcc, exec, s[0:1]
	s_cbranch_vccnz .LBB274_150
; %bb.149:
	v_lshl_add_u64 v[48:49], v[36:37], 1, v[30:31]
	flat_load_ushort v48, v[48:49]
	s_waitcnt vmcnt(0) lgkmcnt(0)
	v_mul_f16_e32 v48, s33, v48
	s_branch .LBB274_151
.LBB274_150:
	v_mov_b32_e32 v48, 0
.LBB274_151:
	s_waitcnt lgkmcnt(2)
	v_pk_add_f16 v49, v12, v24
	v_pk_max_f16 v50, v98, v98
	s_nop 0
	v_pk_min_f16 v49, v50, v49
	v_pk_add_f16 v50, v13, v25
	s_nop 0
	v_pk_min_f16 v49, v49, v50
	s_nop 0
	v_lshrrev_b32_e32 v50, 16, v49
	v_min3_f16 v50, v48, v49, v50
	v_lshl_add_u64 v[48:49], v[36:37], 1, v[28:29]
	global_store_short v[48:49], v50, off
	s_or_b64 exec, exec, s[26:27]
	s_and_b64 s[30:31], s[8:9], s[18:19]
	s_and_saveexec_b64 s[26:27], s[30:31]
	s_cbranch_execz .LBB274_136
.LBB274_152:
	s_and_b64 vcc, exec, s[0:1]
	s_cbranch_vccnz .LBB274_154
; %bb.153:
	v_lshl_add_u64 v[48:49], v[38:39], 1, v[30:31]
	flat_load_ushort v48, v[48:49]
	s_waitcnt vmcnt(0) lgkmcnt(0)
	v_mul_f16_e32 v48, s33, v48
	s_branch .LBB274_155
.LBB274_154:
	v_mov_b32_e32 v48, 0
.LBB274_155:
	s_waitcnt lgkmcnt(2)
	v_pk_add_f16 v49, v14, v24
	v_pk_max_f16 v50, v97, v97
	s_nop 0
	v_pk_min_f16 v49, v50, v49
	v_pk_add_f16 v50, v15, v25
	s_nop 0
	v_pk_min_f16 v49, v49, v50
	s_nop 0
	v_lshrrev_b32_e32 v50, 16, v49
	v_min3_f16 v50, v48, v49, v50
	v_lshl_add_u64 v[48:49], v[38:39], 1, v[28:29]
	global_store_short v[48:49], v50, off
	s_or_b64 exec, exec, s[26:27]
	s_and_b64 s[30:31], s[10:11], s[18:19]
	s_and_saveexec_b64 s[26:27], s[30:31]
	s_cbranch_execz .LBB274_137
.LBB274_156:
	s_and_b64 vcc, exec, s[0:1]
	s_cbranch_vccnz .LBB274_158
; %bb.157:
	v_lshl_add_u64 v[48:49], v[40:41], 1, v[30:31]
	flat_load_ushort v48, v[48:49]
	s_waitcnt vmcnt(0) lgkmcnt(0)
	v_mul_f16_e32 v48, s33, v48
	s_branch .LBB274_159
.LBB274_158:
	v_mov_b32_e32 v48, 0
.LBB274_159:
	s_waitcnt lgkmcnt(2)
	v_pk_add_f16 v49, v8, v24
	v_pk_max_f16 v50, v96, v96
	s_nop 0
	v_pk_min_f16 v49, v50, v49
	v_pk_add_f16 v50, v9, v25
	s_nop 0
	v_pk_min_f16 v49, v49, v50
	s_nop 0
	v_lshrrev_b32_e32 v50, 16, v49
	v_min3_f16 v50, v48, v49, v50
	v_lshl_add_u64 v[48:49], v[40:41], 1, v[28:29]
	global_store_short v[48:49], v50, off
	s_or_b64 exec, exec, s[26:27]
	s_and_b64 s[30:31], s[12:13], s[18:19]
	s_and_saveexec_b64 s[26:27], s[30:31]
	s_cbranch_execz .LBB274_138
.LBB274_160:
	s_and_b64 vcc, exec, s[0:1]
	s_cbranch_vccnz .LBB274_162
; %bb.161:
	v_lshl_add_u64 v[48:49], v[42:43], 1, v[30:31]
	flat_load_ushort v48, v[48:49]
	s_waitcnt vmcnt(0) lgkmcnt(0)
	v_mul_f16_e32 v48, s33, v48
	s_branch .LBB274_163
.LBB274_162:
	v_mov_b32_e32 v48, 0
.LBB274_163:
	s_waitcnt lgkmcnt(2)
	v_pk_add_f16 v49, v10, v24
	v_pk_max_f16 v50, v95, v95
	s_nop 0
	v_pk_min_f16 v49, v50, v49
	v_pk_add_f16 v50, v11, v25
	s_nop 0
	v_pk_min_f16 v49, v49, v50
	s_nop 0
	v_lshrrev_b32_e32 v50, 16, v49
	v_min3_f16 v50, v48, v49, v50
	v_lshl_add_u64 v[48:49], v[42:43], 1, v[28:29]
	global_store_short v[48:49], v50, off
	s_or_b64 exec, exec, s[26:27]
	s_and_b64 s[30:31], s[14:15], s[18:19]
	s_and_saveexec_b64 s[26:27], s[30:31]
	s_cbranch_execz .LBB274_139
.LBB274_164:
	s_and_b64 vcc, exec, s[0:1]
	s_cbranch_vccnz .LBB274_166
; %bb.165:
	v_lshl_add_u64 v[48:49], v[44:45], 1, v[30:31]
	flat_load_ushort v48, v[48:49]
	s_waitcnt vmcnt(0) lgkmcnt(0)
	v_mul_f16_e32 v48, s33, v48
	s_branch .LBB274_167
.LBB274_166:
	v_mov_b32_e32 v48, 0
.LBB274_167:
	s_waitcnt lgkmcnt(2)
	v_pk_add_f16 v49, v0, v24
	v_pk_max_f16 v50, v94, v94
	s_nop 0
	v_pk_min_f16 v49, v50, v49
	v_pk_add_f16 v50, v1, v25
	s_nop 0
	v_pk_min_f16 v49, v49, v50
	s_nop 0
	v_lshrrev_b32_e32 v50, 16, v49
	v_min3_f16 v50, v48, v49, v50
	v_lshl_add_u64 v[48:49], v[44:45], 1, v[28:29]
	global_store_short v[48:49], v50, off
	s_or_b64 exec, exec, s[26:27]
	s_and_b64 s[26:27], s[16:17], s[18:19]
	s_and_saveexec_b64 s[18:19], s[26:27]
	s_cbranch_execz .LBB274_172
.LBB274_168:
	s_and_b64 vcc, exec, s[0:1]
	s_cbranch_vccnz .LBB274_170
; %bb.169:
	v_lshl_add_u64 v[30:31], v[46:47], 1, v[30:31]
	flat_load_ushort v30, v[30:31]
	s_waitcnt vmcnt(0) lgkmcnt(0)
	v_mul_f16_e32 v30, s33, v30
	s_branch .LBB274_171
.LBB274_170:
	v_mov_b32_e32 v30, 0
.LBB274_171:
	s_waitcnt lgkmcnt(2)
	v_pk_add_f16 v24, v2, v24
	v_pk_max_f16 v31, v93, v93
	v_pk_add_f16 v25, v3, v25
	v_pk_min_f16 v24, v31, v24
	s_nop 0
	v_pk_min_f16 v24, v24, v25
	s_nop 0
	v_lshrrev_b32_e32 v25, 16, v24
	v_min3_f16 v30, v30, v24, v25
	v_lshl_add_u64 v[24:25], v[46:47], 1, v[28:29]
	global_store_short v[24:25], v30, off
.LBB274_172:
	s_or_b64 exec, exec, s[18:19]
	v_add_u32_e32 v30, 0x60, v92
	s_waitcnt lgkmcnt(2)
	v_mad_i64_i32 v[24:25], s[26:27], v30, s29, 0
	v_cmp_gt_i32_e64 s[18:19], s21, v30
	v_lshl_add_u64 v[28:29], v[24:25], 1, s[24:25]
	v_mad_i64_i32 v[24:25], s[26:27], v30, s28, 0
	v_lshl_add_u64 v[24:25], v[24:25], 1, s[22:23]
	s_and_b64 s[30:31], s[2:3], s[18:19]
	s_and_saveexec_b64 s[26:27], s[30:31]
	s_cbranch_execnz .LBB274_180
; %bb.173:
	s_or_b64 exec, exec, s[26:27]
	s_and_b64 s[30:31], s[4:5], s[18:19]
	s_and_saveexec_b64 s[26:27], s[30:31]
	s_cbranch_execnz .LBB274_184
.LBB274_174:
	s_or_b64 exec, exec, s[26:27]
	s_and_b64 s[30:31], s[6:7], s[18:19]
	s_and_saveexec_b64 s[26:27], s[30:31]
	s_cbranch_execnz .LBB274_188
.LBB274_175:
	s_or_b64 exec, exec, s[26:27]
	s_and_b64 s[30:31], s[8:9], s[18:19]
	s_and_saveexec_b64 s[26:27], s[30:31]
	s_cbranch_execnz .LBB274_192
.LBB274_176:
	s_or_b64 exec, exec, s[26:27]
	s_and_b64 s[30:31], s[10:11], s[18:19]
	s_and_saveexec_b64 s[26:27], s[30:31]
	s_cbranch_execnz .LBB274_196
.LBB274_177:
	s_or_b64 exec, exec, s[26:27]
	s_and_b64 s[30:31], s[12:13], s[18:19]
	s_and_saveexec_b64 s[26:27], s[30:31]
	s_cbranch_execnz .LBB274_200
.LBB274_178:
	s_or_b64 exec, exec, s[26:27]
	s_and_b64 s[30:31], s[14:15], s[18:19]
	s_and_saveexec_b64 s[26:27], s[30:31]
	s_cbranch_execnz .LBB274_204
.LBB274_179:
	s_or_b64 exec, exec, s[26:27]
	s_and_b64 s[26:27], s[16:17], s[18:19]
	s_and_saveexec_b64 s[18:19], s[26:27]
	s_cbranch_execnz .LBB274_208
	s_branch .LBB274_212
.LBB274_180:
	s_and_b64 vcc, exec, s[0:1]
	s_cbranch_vccnz .LBB274_182
; %bb.181:
	v_lshl_add_u64 v[30:31], v[32:33], 1, v[28:29]
	flat_load_ushort v30, v[30:31]
	s_waitcnt vmcnt(0) lgkmcnt(0)
	v_mul_f16_e32 v30, s33, v30
	s_branch .LBB274_183
.LBB274_182:
	v_mov_b32_e32 v30, 0
.LBB274_183:
	v_pk_add_f16 v31, v16, v26
	v_pk_max_f16 v48, v91, v91
	s_nop 0
	v_pk_min_f16 v31, v48, v31
	v_pk_add_f16 v48, v17, v27
	s_nop 0
	v_pk_min_f16 v31, v31, v48
	s_nop 0
	v_lshrrev_b32_e32 v48, 16, v31
	v_min3_f16 v48, v30, v31, v48
	v_lshl_add_u64 v[30:31], v[32:33], 1, v[24:25]
	global_store_short v[30:31], v48, off
	s_or_b64 exec, exec, s[26:27]
	s_and_b64 s[30:31], s[4:5], s[18:19]
	s_and_saveexec_b64 s[26:27], s[30:31]
	s_cbranch_execz .LBB274_174
.LBB274_184:
	s_and_b64 vcc, exec, s[0:1]
	s_cbranch_vccnz .LBB274_186
; %bb.185:
	v_lshl_add_u64 v[30:31], v[34:35], 1, v[28:29]
	flat_load_ushort v30, v[30:31]
	s_waitcnt vmcnt(0) lgkmcnt(0)
	v_mul_f16_e32 v30, s33, v30
	s_branch .LBB274_187
.LBB274_186:
	v_mov_b32_e32 v30, 0
.LBB274_187:
	v_pk_add_f16 v31, v18, v26
	v_pk_max_f16 v48, v90, v90
	s_nop 0
	v_pk_min_f16 v31, v48, v31
	v_pk_add_f16 v48, v19, v27
	s_nop 0
	v_pk_min_f16 v31, v31, v48
	s_nop 0
	v_lshrrev_b32_e32 v48, 16, v31
	v_min3_f16 v48, v30, v31, v48
	v_lshl_add_u64 v[30:31], v[34:35], 1, v[24:25]
	global_store_short v[30:31], v48, off
	s_or_b64 exec, exec, s[26:27]
	s_and_b64 s[30:31], s[6:7], s[18:19]
	s_and_saveexec_b64 s[26:27], s[30:31]
	s_cbranch_execz .LBB274_175
.LBB274_188:
	s_and_b64 vcc, exec, s[0:1]
	s_cbranch_vccnz .LBB274_190
; %bb.189:
	v_lshl_add_u64 v[30:31], v[36:37], 1, v[28:29]
	flat_load_ushort v30, v[30:31]
	s_waitcnt vmcnt(0) lgkmcnt(0)
	v_mul_f16_e32 v30, s33, v30
	s_branch .LBB274_191
.LBB274_190:
	v_mov_b32_e32 v30, 0
.LBB274_191:
	v_pk_add_f16 v31, v12, v26
	v_pk_max_f16 v48, v89, v89
	s_nop 0
	v_pk_min_f16 v31, v48, v31
	v_pk_add_f16 v48, v13, v27
	s_nop 0
	v_pk_min_f16 v31, v31, v48
	s_nop 0
	v_lshrrev_b32_e32 v48, 16, v31
	v_min3_f16 v48, v30, v31, v48
	v_lshl_add_u64 v[30:31], v[36:37], 1, v[24:25]
	global_store_short v[30:31], v48, off
	s_or_b64 exec, exec, s[26:27]
	s_and_b64 s[30:31], s[8:9], s[18:19]
	s_and_saveexec_b64 s[26:27], s[30:31]
	s_cbranch_execz .LBB274_176
.LBB274_192:
	s_and_b64 vcc, exec, s[0:1]
	s_cbranch_vccnz .LBB274_194
; %bb.193:
	v_lshl_add_u64 v[30:31], v[38:39], 1, v[28:29]
	flat_load_ushort v30, v[30:31]
	s_waitcnt vmcnt(0) lgkmcnt(0)
	v_mul_f16_e32 v30, s33, v30
	s_branch .LBB274_195
.LBB274_194:
	v_mov_b32_e32 v30, 0
.LBB274_195:
	v_pk_add_f16 v31, v14, v26
	v_pk_max_f16 v48, v88, v88
	s_nop 0
	v_pk_min_f16 v31, v48, v31
	v_pk_add_f16 v48, v15, v27
	s_nop 0
	v_pk_min_f16 v31, v31, v48
	s_nop 0
	v_lshrrev_b32_e32 v48, 16, v31
	v_min3_f16 v48, v30, v31, v48
	v_lshl_add_u64 v[30:31], v[38:39], 1, v[24:25]
	global_store_short v[30:31], v48, off
	s_or_b64 exec, exec, s[26:27]
	s_and_b64 s[30:31], s[10:11], s[18:19]
	s_and_saveexec_b64 s[26:27], s[30:31]
	s_cbranch_execz .LBB274_177
.LBB274_196:
	s_and_b64 vcc, exec, s[0:1]
	s_cbranch_vccnz .LBB274_198
; %bb.197:
	v_lshl_add_u64 v[30:31], v[40:41], 1, v[28:29]
	flat_load_ushort v30, v[30:31]
	s_waitcnt vmcnt(0) lgkmcnt(0)
	v_mul_f16_e32 v30, s33, v30
	s_branch .LBB274_199
.LBB274_198:
	v_mov_b32_e32 v30, 0
.LBB274_199:
	v_pk_add_f16 v31, v8, v26
	v_pk_max_f16 v48, v87, v87
	s_nop 0
	v_pk_min_f16 v31, v48, v31
	v_pk_add_f16 v48, v9, v27
	s_nop 0
	v_pk_min_f16 v31, v31, v48
	s_nop 0
	v_lshrrev_b32_e32 v48, 16, v31
	v_min3_f16 v48, v30, v31, v48
	v_lshl_add_u64 v[30:31], v[40:41], 1, v[24:25]
	global_store_short v[30:31], v48, off
	s_or_b64 exec, exec, s[26:27]
	s_and_b64 s[30:31], s[12:13], s[18:19]
	s_and_saveexec_b64 s[26:27], s[30:31]
	s_cbranch_execz .LBB274_178
.LBB274_200:
	s_and_b64 vcc, exec, s[0:1]
	s_cbranch_vccnz .LBB274_202
; %bb.201:
	v_lshl_add_u64 v[30:31], v[42:43], 1, v[28:29]
	flat_load_ushort v30, v[30:31]
	s_waitcnt vmcnt(0) lgkmcnt(0)
	v_mul_f16_e32 v30, s33, v30
	s_branch .LBB274_203
.LBB274_202:
	v_mov_b32_e32 v30, 0
.LBB274_203:
	v_pk_add_f16 v31, v10, v26
	v_pk_max_f16 v48, v86, v86
	s_nop 0
	v_pk_min_f16 v31, v48, v31
	v_pk_add_f16 v48, v11, v27
	s_nop 0
	v_pk_min_f16 v31, v31, v48
	s_nop 0
	v_lshrrev_b32_e32 v48, 16, v31
	v_min3_f16 v48, v30, v31, v48
	v_lshl_add_u64 v[30:31], v[42:43], 1, v[24:25]
	global_store_short v[30:31], v48, off
	s_or_b64 exec, exec, s[26:27]
	s_and_b64 s[30:31], s[14:15], s[18:19]
	s_and_saveexec_b64 s[26:27], s[30:31]
	s_cbranch_execz .LBB274_179
.LBB274_204:
	s_and_b64 vcc, exec, s[0:1]
	s_cbranch_vccnz .LBB274_206
; %bb.205:
	v_lshl_add_u64 v[30:31], v[44:45], 1, v[28:29]
	flat_load_ushort v30, v[30:31]
	s_waitcnt vmcnt(0) lgkmcnt(0)
	v_mul_f16_e32 v30, s33, v30
	s_branch .LBB274_207
.LBB274_206:
	v_mov_b32_e32 v30, 0
.LBB274_207:
	v_pk_add_f16 v31, v0, v26
	v_pk_max_f16 v48, v85, v85
	s_nop 0
	v_pk_min_f16 v31, v48, v31
	v_pk_add_f16 v48, v1, v27
	s_nop 0
	v_pk_min_f16 v31, v31, v48
	s_nop 0
	v_lshrrev_b32_e32 v48, 16, v31
	v_min3_f16 v48, v30, v31, v48
	v_lshl_add_u64 v[30:31], v[44:45], 1, v[24:25]
	global_store_short v[30:31], v48, off
	s_or_b64 exec, exec, s[26:27]
	s_and_b64 s[26:27], s[16:17], s[18:19]
	s_and_saveexec_b64 s[18:19], s[26:27]
	s_cbranch_execz .LBB274_212
.LBB274_208:
	s_and_b64 vcc, exec, s[0:1]
	s_cbranch_vccnz .LBB274_210
; %bb.209:
	v_lshl_add_u64 v[28:29], v[46:47], 1, v[28:29]
	flat_load_ushort v28, v[28:29]
	s_waitcnt vmcnt(0) lgkmcnt(0)
	v_mul_f16_e32 v28, s33, v28
	s_branch .LBB274_211
.LBB274_210:
	v_mov_b32_e32 v28, 0
.LBB274_211:
	v_pk_add_f16 v26, v2, v26
	v_pk_max_f16 v29, v84, v84
	v_pk_add_f16 v27, v3, v27
	v_pk_min_f16 v26, v29, v26
	v_lshl_add_u64 v[24:25], v[46:47], 1, v[24:25]
	v_pk_min_f16 v26, v26, v27
	s_nop 0
	v_lshrrev_b32_e32 v27, 16, v26
	v_min3_f16 v26, v28, v26, v27
	global_store_short v[24:25], v26, off
.LBB274_212:
	s_or_b64 exec, exec, s[18:19]
	v_add_u32_e32 v28, 0x80, v92
	v_mad_i64_i32 v[24:25], s[26:27], v28, s29, 0
	v_cmp_gt_i32_e64 s[18:19], s21, v28
	v_lshl_add_u64 v[26:27], v[24:25], 1, s[24:25]
	v_mad_i64_i32 v[24:25], s[26:27], v28, s28, 0
	v_lshl_add_u64 v[24:25], v[24:25], 1, s[22:23]
	s_and_b64 s[30:31], s[2:3], s[18:19]
	s_and_saveexec_b64 s[26:27], s[30:31]
	s_cbranch_execnz .LBB274_220
; %bb.213:
	s_or_b64 exec, exec, s[26:27]
	s_and_b64 s[30:31], s[4:5], s[18:19]
	s_and_saveexec_b64 s[26:27], s[30:31]
	s_cbranch_execnz .LBB274_224
.LBB274_214:
	s_or_b64 exec, exec, s[26:27]
	s_and_b64 s[30:31], s[6:7], s[18:19]
	s_and_saveexec_b64 s[26:27], s[30:31]
	s_cbranch_execnz .LBB274_228
.LBB274_215:
	s_or_b64 exec, exec, s[26:27]
	s_and_b64 s[30:31], s[8:9], s[18:19]
	s_and_saveexec_b64 s[26:27], s[30:31]
	s_cbranch_execnz .LBB274_232
.LBB274_216:
	s_or_b64 exec, exec, s[26:27]
	s_and_b64 s[30:31], s[10:11], s[18:19]
	s_and_saveexec_b64 s[26:27], s[30:31]
	s_cbranch_execnz .LBB274_236
.LBB274_217:
	s_or_b64 exec, exec, s[26:27]
	s_and_b64 s[30:31], s[12:13], s[18:19]
	s_and_saveexec_b64 s[26:27], s[30:31]
	s_cbranch_execnz .LBB274_240
.LBB274_218:
	s_or_b64 exec, exec, s[26:27]
	s_and_b64 s[30:31], s[14:15], s[18:19]
	s_and_saveexec_b64 s[26:27], s[30:31]
	s_cbranch_execnz .LBB274_244
.LBB274_219:
	s_or_b64 exec, exec, s[26:27]
	s_and_b64 s[26:27], s[16:17], s[18:19]
	s_and_saveexec_b64 s[18:19], s[26:27]
	s_cbranch_execnz .LBB274_248
	s_branch .LBB274_252
.LBB274_220:
	s_and_b64 vcc, exec, s[0:1]
	s_cbranch_vccnz .LBB274_222
; %bb.221:
	v_lshl_add_u64 v[28:29], v[32:33], 1, v[26:27]
	flat_load_ushort v28, v[28:29]
	s_waitcnt vmcnt(0) lgkmcnt(0)
	v_mul_f16_e32 v28, s33, v28
	s_branch .LBB274_223
.LBB274_222:
	v_mov_b32_e32 v28, 0
.LBB274_223:
	s_waitcnt lgkmcnt(1)
	v_pk_add_f16 v29, v16, v20
	v_pk_max_f16 v30, v83, v83
	s_nop 0
	v_pk_min_f16 v29, v30, v29
	v_pk_add_f16 v30, v17, v21
	s_nop 0
	v_pk_min_f16 v29, v29, v30
	s_nop 0
	v_lshrrev_b32_e32 v30, 16, v29
	v_min3_f16 v30, v28, v29, v30
	v_lshl_add_u64 v[28:29], v[32:33], 1, v[24:25]
	global_store_short v[28:29], v30, off
	s_or_b64 exec, exec, s[26:27]
	s_and_b64 s[30:31], s[4:5], s[18:19]
	s_and_saveexec_b64 s[26:27], s[30:31]
	s_cbranch_execz .LBB274_214
.LBB274_224:
	s_and_b64 vcc, exec, s[0:1]
	s_cbranch_vccnz .LBB274_226
; %bb.225:
	v_lshl_add_u64 v[28:29], v[34:35], 1, v[26:27]
	flat_load_ushort v28, v[28:29]
	s_waitcnt vmcnt(0) lgkmcnt(0)
	v_mul_f16_e32 v28, s33, v28
	s_branch .LBB274_227
.LBB274_226:
	v_mov_b32_e32 v28, 0
.LBB274_227:
	s_waitcnt lgkmcnt(1)
	v_pk_add_f16 v29, v18, v20
	v_pk_max_f16 v30, v82, v82
	s_nop 0
	v_pk_min_f16 v29, v30, v29
	v_pk_add_f16 v30, v19, v21
	s_nop 0
	v_pk_min_f16 v29, v29, v30
	s_nop 0
	v_lshrrev_b32_e32 v30, 16, v29
	v_min3_f16 v30, v28, v29, v30
	v_lshl_add_u64 v[28:29], v[34:35], 1, v[24:25]
	global_store_short v[28:29], v30, off
	s_or_b64 exec, exec, s[26:27]
	s_and_b64 s[30:31], s[6:7], s[18:19]
	s_and_saveexec_b64 s[26:27], s[30:31]
	s_cbranch_execz .LBB274_215
.LBB274_228:
	s_and_b64 vcc, exec, s[0:1]
	s_cbranch_vccnz .LBB274_230
; %bb.229:
	v_lshl_add_u64 v[28:29], v[36:37], 1, v[26:27]
	flat_load_ushort v28, v[28:29]
	s_waitcnt vmcnt(0) lgkmcnt(0)
	v_mul_f16_e32 v28, s33, v28
	s_branch .LBB274_231
.LBB274_230:
	v_mov_b32_e32 v28, 0
.LBB274_231:
	s_waitcnt lgkmcnt(1)
	v_pk_add_f16 v29, v12, v20
	v_pk_max_f16 v30, v81, v81
	s_nop 0
	v_pk_min_f16 v29, v30, v29
	v_pk_add_f16 v30, v13, v21
	s_nop 0
	v_pk_min_f16 v29, v29, v30
	s_nop 0
	v_lshrrev_b32_e32 v30, 16, v29
	v_min3_f16 v30, v28, v29, v30
	v_lshl_add_u64 v[28:29], v[36:37], 1, v[24:25]
	global_store_short v[28:29], v30, off
	s_or_b64 exec, exec, s[26:27]
	s_and_b64 s[30:31], s[8:9], s[18:19]
	s_and_saveexec_b64 s[26:27], s[30:31]
	s_cbranch_execz .LBB274_216
.LBB274_232:
	s_and_b64 vcc, exec, s[0:1]
	s_cbranch_vccnz .LBB274_234
; %bb.233:
	v_lshl_add_u64 v[28:29], v[38:39], 1, v[26:27]
	flat_load_ushort v28, v[28:29]
	s_waitcnt vmcnt(0) lgkmcnt(0)
	v_mul_f16_e32 v28, s33, v28
	s_branch .LBB274_235
.LBB274_234:
	v_mov_b32_e32 v28, 0
.LBB274_235:
	s_waitcnt lgkmcnt(1)
	v_pk_add_f16 v29, v14, v20
	v_pk_max_f16 v30, v80, v80
	s_nop 0
	v_pk_min_f16 v29, v30, v29
	v_pk_add_f16 v30, v15, v21
	s_nop 0
	v_pk_min_f16 v29, v29, v30
	s_nop 0
	v_lshrrev_b32_e32 v30, 16, v29
	v_min3_f16 v30, v28, v29, v30
	v_lshl_add_u64 v[28:29], v[38:39], 1, v[24:25]
	global_store_short v[28:29], v30, off
	s_or_b64 exec, exec, s[26:27]
	s_and_b64 s[30:31], s[10:11], s[18:19]
	s_and_saveexec_b64 s[26:27], s[30:31]
	s_cbranch_execz .LBB274_217
.LBB274_236:
	s_and_b64 vcc, exec, s[0:1]
	s_cbranch_vccnz .LBB274_238
; %bb.237:
	v_lshl_add_u64 v[28:29], v[40:41], 1, v[26:27]
	flat_load_ushort v28, v[28:29]
	s_waitcnt vmcnt(0) lgkmcnt(0)
	v_mul_f16_e32 v28, s33, v28
	s_branch .LBB274_239
.LBB274_238:
	v_mov_b32_e32 v28, 0
.LBB274_239:
	s_waitcnt lgkmcnt(1)
	v_pk_add_f16 v29, v8, v20
	v_pk_max_f16 v30, v79, v79
	s_nop 0
	v_pk_min_f16 v29, v30, v29
	v_pk_add_f16 v30, v9, v21
	s_nop 0
	v_pk_min_f16 v29, v29, v30
	s_nop 0
	v_lshrrev_b32_e32 v30, 16, v29
	v_min3_f16 v30, v28, v29, v30
	v_lshl_add_u64 v[28:29], v[40:41], 1, v[24:25]
	global_store_short v[28:29], v30, off
	s_or_b64 exec, exec, s[26:27]
	s_and_b64 s[30:31], s[12:13], s[18:19]
	s_and_saveexec_b64 s[26:27], s[30:31]
	s_cbranch_execz .LBB274_218
.LBB274_240:
	s_and_b64 vcc, exec, s[0:1]
	s_cbranch_vccnz .LBB274_242
; %bb.241:
	v_lshl_add_u64 v[28:29], v[42:43], 1, v[26:27]
	flat_load_ushort v28, v[28:29]
	s_waitcnt vmcnt(0) lgkmcnt(0)
	v_mul_f16_e32 v28, s33, v28
	s_branch .LBB274_243
.LBB274_242:
	v_mov_b32_e32 v28, 0
.LBB274_243:
	s_waitcnt lgkmcnt(1)
	v_pk_add_f16 v29, v10, v20
	v_pk_max_f16 v30, v78, v78
	s_nop 0
	v_pk_min_f16 v29, v30, v29
	v_pk_add_f16 v30, v11, v21
	s_nop 0
	v_pk_min_f16 v29, v29, v30
	s_nop 0
	v_lshrrev_b32_e32 v30, 16, v29
	v_min3_f16 v30, v28, v29, v30
	v_lshl_add_u64 v[28:29], v[42:43], 1, v[24:25]
	global_store_short v[28:29], v30, off
	s_or_b64 exec, exec, s[26:27]
	s_and_b64 s[30:31], s[14:15], s[18:19]
	s_and_saveexec_b64 s[26:27], s[30:31]
	s_cbranch_execz .LBB274_219
.LBB274_244:
	s_and_b64 vcc, exec, s[0:1]
	s_cbranch_vccnz .LBB274_246
; %bb.245:
	v_lshl_add_u64 v[28:29], v[44:45], 1, v[26:27]
	flat_load_ushort v28, v[28:29]
	s_waitcnt vmcnt(0) lgkmcnt(0)
	v_mul_f16_e32 v28, s33, v28
	s_branch .LBB274_247
.LBB274_246:
	v_mov_b32_e32 v28, 0
.LBB274_247:
	s_waitcnt lgkmcnt(1)
	v_pk_add_f16 v29, v0, v20
	v_pk_max_f16 v30, v77, v77
	s_nop 0
	v_pk_min_f16 v29, v30, v29
	v_pk_add_f16 v30, v1, v21
	s_nop 0
	v_pk_min_f16 v29, v29, v30
	s_nop 0
	v_lshrrev_b32_e32 v30, 16, v29
	v_min3_f16 v30, v28, v29, v30
	v_lshl_add_u64 v[28:29], v[44:45], 1, v[24:25]
	global_store_short v[28:29], v30, off
	s_or_b64 exec, exec, s[26:27]
	s_and_b64 s[26:27], s[16:17], s[18:19]
	s_and_saveexec_b64 s[18:19], s[26:27]
	s_cbranch_execz .LBB274_252
.LBB274_248:
	s_and_b64 vcc, exec, s[0:1]
	s_cbranch_vccnz .LBB274_250
; %bb.249:
	v_lshl_add_u64 v[26:27], v[46:47], 1, v[26:27]
	flat_load_ushort v26, v[26:27]
	s_waitcnt vmcnt(0) lgkmcnt(0)
	v_mul_f16_e32 v26, s33, v26
	s_branch .LBB274_251
.LBB274_250:
	v_mov_b32_e32 v26, 0
.LBB274_251:
	s_waitcnt lgkmcnt(1)
	v_pk_add_f16 v20, v2, v20
	v_pk_max_f16 v27, v76, v76
	v_pk_add_f16 v21, v3, v21
	v_pk_min_f16 v20, v27, v20
	s_nop 0
	v_pk_min_f16 v20, v20, v21
	s_nop 0
	v_lshrrev_b32_e32 v21, 16, v20
	v_min3_f16 v26, v26, v20, v21
	v_lshl_add_u64 v[20:21], v[46:47], 1, v[24:25]
	global_store_short v[20:21], v26, off
.LBB274_252:
	s_or_b64 exec, exec, s[18:19]
	v_add_u32_e32 v26, 0xa0, v92
	s_waitcnt lgkmcnt(1)
	v_mad_i64_i32 v[20:21], s[26:27], v26, s29, 0
	v_cmp_gt_i32_e64 s[18:19], s21, v26
	v_lshl_add_u64 v[24:25], v[20:21], 1, s[24:25]
	v_mad_i64_i32 v[20:21], s[26:27], v26, s28, 0
	v_lshl_add_u64 v[20:21], v[20:21], 1, s[22:23]
	s_and_b64 s[30:31], s[2:3], s[18:19]
	s_and_saveexec_b64 s[26:27], s[30:31]
	s_cbranch_execnz .LBB274_260
; %bb.253:
	s_or_b64 exec, exec, s[26:27]
	s_and_b64 s[30:31], s[4:5], s[18:19]
	s_and_saveexec_b64 s[26:27], s[30:31]
	s_cbranch_execnz .LBB274_264
.LBB274_254:
	s_or_b64 exec, exec, s[26:27]
	s_and_b64 s[30:31], s[6:7], s[18:19]
	s_and_saveexec_b64 s[26:27], s[30:31]
	s_cbranch_execnz .LBB274_268
.LBB274_255:
	s_or_b64 exec, exec, s[26:27]
	s_and_b64 s[30:31], s[8:9], s[18:19]
	s_and_saveexec_b64 s[26:27], s[30:31]
	s_cbranch_execnz .LBB274_272
.LBB274_256:
	s_or_b64 exec, exec, s[26:27]
	s_and_b64 s[30:31], s[10:11], s[18:19]
	s_and_saveexec_b64 s[26:27], s[30:31]
	s_cbranch_execnz .LBB274_276
.LBB274_257:
	s_or_b64 exec, exec, s[26:27]
	s_and_b64 s[30:31], s[12:13], s[18:19]
	s_and_saveexec_b64 s[26:27], s[30:31]
	s_cbranch_execnz .LBB274_280
.LBB274_258:
	s_or_b64 exec, exec, s[26:27]
	s_and_b64 s[30:31], s[14:15], s[18:19]
	s_and_saveexec_b64 s[26:27], s[30:31]
	s_cbranch_execnz .LBB274_284
.LBB274_259:
	s_or_b64 exec, exec, s[26:27]
	s_and_b64 s[26:27], s[16:17], s[18:19]
	s_and_saveexec_b64 s[18:19], s[26:27]
	s_cbranch_execnz .LBB274_288
	s_branch .LBB274_292
.LBB274_260:
	s_and_b64 vcc, exec, s[0:1]
	s_cbranch_vccnz .LBB274_262
; %bb.261:
	v_lshl_add_u64 v[26:27], v[32:33], 1, v[24:25]
	flat_load_ushort v26, v[26:27]
	s_waitcnt vmcnt(0) lgkmcnt(0)
	v_mul_f16_e32 v26, s33, v26
	s_branch .LBB274_263
.LBB274_262:
	v_mov_b32_e32 v26, 0
.LBB274_263:
	v_pk_add_f16 v27, v16, v22
	v_pk_max_f16 v28, v75, v75
	s_nop 0
	v_pk_min_f16 v27, v28, v27
	v_pk_add_f16 v28, v17, v23
	s_nop 0
	v_pk_min_f16 v27, v27, v28
	s_nop 0
	v_lshrrev_b32_e32 v28, 16, v27
	v_min3_f16 v28, v26, v27, v28
	v_lshl_add_u64 v[26:27], v[32:33], 1, v[20:21]
	global_store_short v[26:27], v28, off
	s_or_b64 exec, exec, s[26:27]
	s_and_b64 s[30:31], s[4:5], s[18:19]
	s_and_saveexec_b64 s[26:27], s[30:31]
	s_cbranch_execz .LBB274_254
.LBB274_264:
	s_and_b64 vcc, exec, s[0:1]
	s_cbranch_vccnz .LBB274_266
; %bb.265:
	v_lshl_add_u64 v[26:27], v[34:35], 1, v[24:25]
	flat_load_ushort v26, v[26:27]
	s_waitcnt vmcnt(0) lgkmcnt(0)
	v_mul_f16_e32 v26, s33, v26
	s_branch .LBB274_267
.LBB274_266:
	v_mov_b32_e32 v26, 0
.LBB274_267:
	v_pk_add_f16 v27, v18, v22
	v_pk_max_f16 v28, v74, v74
	s_nop 0
	v_pk_min_f16 v27, v28, v27
	v_pk_add_f16 v28, v19, v23
	s_nop 0
	v_pk_min_f16 v27, v27, v28
	s_nop 0
	v_lshrrev_b32_e32 v28, 16, v27
	v_min3_f16 v28, v26, v27, v28
	v_lshl_add_u64 v[26:27], v[34:35], 1, v[20:21]
	global_store_short v[26:27], v28, off
	s_or_b64 exec, exec, s[26:27]
	s_and_b64 s[30:31], s[6:7], s[18:19]
	s_and_saveexec_b64 s[26:27], s[30:31]
	s_cbranch_execz .LBB274_255
.LBB274_268:
	s_and_b64 vcc, exec, s[0:1]
	s_cbranch_vccnz .LBB274_270
; %bb.269:
	v_lshl_add_u64 v[26:27], v[36:37], 1, v[24:25]
	flat_load_ushort v26, v[26:27]
	s_waitcnt vmcnt(0) lgkmcnt(0)
	v_mul_f16_e32 v26, s33, v26
	s_branch .LBB274_271
.LBB274_270:
	v_mov_b32_e32 v26, 0
.LBB274_271:
	v_pk_add_f16 v27, v12, v22
	v_pk_max_f16 v28, v73, v73
	s_nop 0
	v_pk_min_f16 v27, v28, v27
	v_pk_add_f16 v28, v13, v23
	s_nop 0
	v_pk_min_f16 v27, v27, v28
	s_nop 0
	v_lshrrev_b32_e32 v28, 16, v27
	v_min3_f16 v28, v26, v27, v28
	v_lshl_add_u64 v[26:27], v[36:37], 1, v[20:21]
	global_store_short v[26:27], v28, off
	s_or_b64 exec, exec, s[26:27]
	s_and_b64 s[30:31], s[8:9], s[18:19]
	s_and_saveexec_b64 s[26:27], s[30:31]
	s_cbranch_execz .LBB274_256
.LBB274_272:
	s_and_b64 vcc, exec, s[0:1]
	s_cbranch_vccnz .LBB274_274
; %bb.273:
	v_lshl_add_u64 v[26:27], v[38:39], 1, v[24:25]
	flat_load_ushort v26, v[26:27]
	s_waitcnt vmcnt(0) lgkmcnt(0)
	v_mul_f16_e32 v26, s33, v26
	s_branch .LBB274_275
.LBB274_274:
	v_mov_b32_e32 v26, 0
.LBB274_275:
	v_pk_add_f16 v27, v14, v22
	v_pk_max_f16 v28, v72, v72
	s_nop 0
	v_pk_min_f16 v27, v28, v27
	v_pk_add_f16 v28, v15, v23
	s_nop 0
	v_pk_min_f16 v27, v27, v28
	s_nop 0
	v_lshrrev_b32_e32 v28, 16, v27
	v_min3_f16 v28, v26, v27, v28
	v_lshl_add_u64 v[26:27], v[38:39], 1, v[20:21]
	global_store_short v[26:27], v28, off
	s_or_b64 exec, exec, s[26:27]
	s_and_b64 s[30:31], s[10:11], s[18:19]
	s_and_saveexec_b64 s[26:27], s[30:31]
	s_cbranch_execz .LBB274_257
.LBB274_276:
	s_and_b64 vcc, exec, s[0:1]
	s_cbranch_vccnz .LBB274_278
; %bb.277:
	v_lshl_add_u64 v[26:27], v[40:41], 1, v[24:25]
	flat_load_ushort v26, v[26:27]
	s_waitcnt vmcnt(0) lgkmcnt(0)
	v_mul_f16_e32 v26, s33, v26
	s_branch .LBB274_279
.LBB274_278:
	v_mov_b32_e32 v26, 0
.LBB274_279:
	v_pk_add_f16 v27, v8, v22
	v_pk_max_f16 v28, v71, v71
	s_nop 0
	v_pk_min_f16 v27, v28, v27
	v_pk_add_f16 v28, v9, v23
	s_nop 0
	v_pk_min_f16 v27, v27, v28
	s_nop 0
	v_lshrrev_b32_e32 v28, 16, v27
	v_min3_f16 v28, v26, v27, v28
	v_lshl_add_u64 v[26:27], v[40:41], 1, v[20:21]
	global_store_short v[26:27], v28, off
	s_or_b64 exec, exec, s[26:27]
	s_and_b64 s[30:31], s[12:13], s[18:19]
	s_and_saveexec_b64 s[26:27], s[30:31]
	s_cbranch_execz .LBB274_258
.LBB274_280:
	s_and_b64 vcc, exec, s[0:1]
	s_cbranch_vccnz .LBB274_282
; %bb.281:
	v_lshl_add_u64 v[26:27], v[42:43], 1, v[24:25]
	flat_load_ushort v26, v[26:27]
	s_waitcnt vmcnt(0) lgkmcnt(0)
	v_mul_f16_e32 v26, s33, v26
	s_branch .LBB274_283
.LBB274_282:
	v_mov_b32_e32 v26, 0
.LBB274_283:
	v_pk_add_f16 v27, v10, v22
	v_pk_max_f16 v28, v70, v70
	s_nop 0
	v_pk_min_f16 v27, v28, v27
	v_pk_add_f16 v28, v11, v23
	s_nop 0
	v_pk_min_f16 v27, v27, v28
	s_nop 0
	v_lshrrev_b32_e32 v28, 16, v27
	v_min3_f16 v28, v26, v27, v28
	v_lshl_add_u64 v[26:27], v[42:43], 1, v[20:21]
	global_store_short v[26:27], v28, off
	s_or_b64 exec, exec, s[26:27]
	s_and_b64 s[30:31], s[14:15], s[18:19]
	s_and_saveexec_b64 s[26:27], s[30:31]
	s_cbranch_execz .LBB274_259
.LBB274_284:
	s_and_b64 vcc, exec, s[0:1]
	s_cbranch_vccnz .LBB274_286
; %bb.285:
	v_lshl_add_u64 v[26:27], v[44:45], 1, v[24:25]
	flat_load_ushort v26, v[26:27]
	s_waitcnt vmcnt(0) lgkmcnt(0)
	v_mul_f16_e32 v26, s33, v26
	s_branch .LBB274_287
.LBB274_286:
	v_mov_b32_e32 v26, 0
.LBB274_287:
	v_pk_add_f16 v27, v0, v22
	v_pk_max_f16 v28, v69, v69
	s_nop 0
	v_pk_min_f16 v27, v28, v27
	v_pk_add_f16 v28, v1, v23
	s_nop 0
	v_pk_min_f16 v27, v27, v28
	s_nop 0
	v_lshrrev_b32_e32 v28, 16, v27
	v_min3_f16 v28, v26, v27, v28
	v_lshl_add_u64 v[26:27], v[44:45], 1, v[20:21]
	global_store_short v[26:27], v28, off
	s_or_b64 exec, exec, s[26:27]
	s_and_b64 s[26:27], s[16:17], s[18:19]
	s_and_saveexec_b64 s[18:19], s[26:27]
	s_cbranch_execz .LBB274_292
.LBB274_288:
	s_and_b64 vcc, exec, s[0:1]
	s_cbranch_vccnz .LBB274_290
; %bb.289:
	v_lshl_add_u64 v[24:25], v[46:47], 1, v[24:25]
	flat_load_ushort v24, v[24:25]
	s_waitcnt vmcnt(0) lgkmcnt(0)
	v_mul_f16_e32 v24, s33, v24
	s_branch .LBB274_291
.LBB274_290:
	v_mov_b32_e32 v24, 0
.LBB274_291:
	v_pk_add_f16 v22, v2, v22
	v_pk_max_f16 v25, v68, v68
	v_pk_add_f16 v23, v3, v23
	v_pk_min_f16 v22, v25, v22
	v_lshl_add_u64 v[20:21], v[46:47], 1, v[20:21]
	v_pk_min_f16 v22, v22, v23
	s_nop 0
	v_lshrrev_b32_e32 v23, 16, v22
	v_min3_f16 v22, v24, v22, v23
	global_store_short v[20:21], v22, off
.LBB274_292:
	s_or_b64 exec, exec, s[18:19]
	v_add_u32_e32 v24, 0xc0, v92
	v_mad_i64_i32 v[20:21], s[26:27], v24, s29, 0
	v_cmp_gt_i32_e64 s[18:19], s21, v24
	v_lshl_add_u64 v[22:23], v[20:21], 1, s[24:25]
	v_mad_i64_i32 v[20:21], s[26:27], v24, s28, 0
	v_lshl_add_u64 v[20:21], v[20:21], 1, s[22:23]
	s_and_b64 s[30:31], s[2:3], s[18:19]
	s_and_saveexec_b64 s[26:27], s[30:31]
	s_cbranch_execnz .LBB274_300
; %bb.293:
	s_or_b64 exec, exec, s[26:27]
	s_and_b64 s[30:31], s[4:5], s[18:19]
	s_and_saveexec_b64 s[26:27], s[30:31]
	s_cbranch_execnz .LBB274_304
.LBB274_294:
	s_or_b64 exec, exec, s[26:27]
	s_and_b64 s[30:31], s[6:7], s[18:19]
	s_and_saveexec_b64 s[26:27], s[30:31]
	s_cbranch_execnz .LBB274_308
.LBB274_295:
	s_or_b64 exec, exec, s[26:27]
	s_and_b64 s[30:31], s[8:9], s[18:19]
	s_and_saveexec_b64 s[26:27], s[30:31]
	s_cbranch_execnz .LBB274_312
.LBB274_296:
	s_or_b64 exec, exec, s[26:27]
	s_and_b64 s[30:31], s[10:11], s[18:19]
	s_and_saveexec_b64 s[26:27], s[30:31]
	s_cbranch_execnz .LBB274_316
.LBB274_297:
	s_or_b64 exec, exec, s[26:27]
	s_and_b64 s[30:31], s[12:13], s[18:19]
	s_and_saveexec_b64 s[26:27], s[30:31]
	s_cbranch_execnz .LBB274_320
.LBB274_298:
	s_or_b64 exec, exec, s[26:27]
	s_and_b64 s[30:31], s[14:15], s[18:19]
	s_and_saveexec_b64 s[26:27], s[30:31]
	s_cbranch_execnz .LBB274_324
.LBB274_299:
	s_or_b64 exec, exec, s[26:27]
	s_and_b64 s[26:27], s[16:17], s[18:19]
	s_and_saveexec_b64 s[18:19], s[26:27]
	s_cbranch_execnz .LBB274_328
	s_branch .LBB274_332
.LBB274_300:
	s_and_b64 vcc, exec, s[0:1]
	s_cbranch_vccnz .LBB274_302
; %bb.301:
	v_lshl_add_u64 v[24:25], v[32:33], 1, v[22:23]
	flat_load_ushort v24, v[24:25]
	s_waitcnt vmcnt(0) lgkmcnt(0)
	v_mul_f16_e32 v24, s33, v24
	s_branch .LBB274_303
.LBB274_302:
	v_mov_b32_e32 v24, 0
.LBB274_303:
	s_waitcnt lgkmcnt(0)
	v_pk_add_f16 v25, v16, v4
	v_pk_max_f16 v26, v67, v67
	s_nop 0
	v_pk_min_f16 v25, v26, v25
	v_pk_add_f16 v26, v17, v5
	s_nop 0
	v_pk_min_f16 v25, v25, v26
	s_nop 0
	v_lshrrev_b32_e32 v26, 16, v25
	v_min3_f16 v26, v24, v25, v26
	v_lshl_add_u64 v[24:25], v[32:33], 1, v[20:21]
	global_store_short v[24:25], v26, off
	s_or_b64 exec, exec, s[26:27]
	s_and_b64 s[30:31], s[4:5], s[18:19]
	s_and_saveexec_b64 s[26:27], s[30:31]
	s_cbranch_execz .LBB274_294
.LBB274_304:
	s_and_b64 vcc, exec, s[0:1]
	s_cbranch_vccnz .LBB274_306
; %bb.305:
	v_lshl_add_u64 v[24:25], v[34:35], 1, v[22:23]
	flat_load_ushort v24, v[24:25]
	s_waitcnt vmcnt(0) lgkmcnt(0)
	v_mul_f16_e32 v24, s33, v24
	s_branch .LBB274_307
.LBB274_306:
	v_mov_b32_e32 v24, 0
.LBB274_307:
	s_waitcnt lgkmcnt(0)
	v_pk_add_f16 v25, v18, v4
	v_pk_max_f16 v26, v66, v66
	s_nop 0
	v_pk_min_f16 v25, v26, v25
	v_pk_add_f16 v26, v19, v5
	s_nop 0
	v_pk_min_f16 v25, v25, v26
	s_nop 0
	v_lshrrev_b32_e32 v26, 16, v25
	v_min3_f16 v26, v24, v25, v26
	v_lshl_add_u64 v[24:25], v[34:35], 1, v[20:21]
	global_store_short v[24:25], v26, off
	s_or_b64 exec, exec, s[26:27]
	s_and_b64 s[30:31], s[6:7], s[18:19]
	s_and_saveexec_b64 s[26:27], s[30:31]
	s_cbranch_execz .LBB274_295
.LBB274_308:
	s_and_b64 vcc, exec, s[0:1]
	s_cbranch_vccnz .LBB274_310
; %bb.309:
	v_lshl_add_u64 v[24:25], v[36:37], 1, v[22:23]
	flat_load_ushort v24, v[24:25]
	s_waitcnt vmcnt(0) lgkmcnt(0)
	v_mul_f16_e32 v24, s33, v24
	s_branch .LBB274_311
.LBB274_310:
	v_mov_b32_e32 v24, 0
.LBB274_311:
	s_waitcnt lgkmcnt(0)
	v_pk_add_f16 v25, v12, v4
	v_pk_max_f16 v26, v65, v65
	s_nop 0
	v_pk_min_f16 v25, v26, v25
	v_pk_add_f16 v26, v13, v5
	s_nop 0
	v_pk_min_f16 v25, v25, v26
	s_nop 0
	v_lshrrev_b32_e32 v26, 16, v25
	v_min3_f16 v26, v24, v25, v26
	v_lshl_add_u64 v[24:25], v[36:37], 1, v[20:21]
	global_store_short v[24:25], v26, off
	s_or_b64 exec, exec, s[26:27]
	s_and_b64 s[30:31], s[8:9], s[18:19]
	s_and_saveexec_b64 s[26:27], s[30:31]
	s_cbranch_execz .LBB274_296
.LBB274_312:
	s_and_b64 vcc, exec, s[0:1]
	s_cbranch_vccnz .LBB274_314
; %bb.313:
	v_lshl_add_u64 v[24:25], v[38:39], 1, v[22:23]
	flat_load_ushort v24, v[24:25]
	s_waitcnt vmcnt(0) lgkmcnt(0)
	v_mul_f16_e32 v24, s33, v24
	s_branch .LBB274_315
.LBB274_314:
	v_mov_b32_e32 v24, 0
.LBB274_315:
	s_waitcnt lgkmcnt(0)
	v_pk_add_f16 v25, v14, v4
	v_pk_max_f16 v26, v64, v64
	s_nop 0
	v_pk_min_f16 v25, v26, v25
	v_pk_add_f16 v26, v15, v5
	s_nop 0
	v_pk_min_f16 v25, v25, v26
	s_nop 0
	v_lshrrev_b32_e32 v26, 16, v25
	v_min3_f16 v26, v24, v25, v26
	v_lshl_add_u64 v[24:25], v[38:39], 1, v[20:21]
	global_store_short v[24:25], v26, off
	s_or_b64 exec, exec, s[26:27]
	s_and_b64 s[30:31], s[10:11], s[18:19]
	s_and_saveexec_b64 s[26:27], s[30:31]
	s_cbranch_execz .LBB274_297
.LBB274_316:
	s_and_b64 vcc, exec, s[0:1]
	s_cbranch_vccnz .LBB274_318
; %bb.317:
	v_lshl_add_u64 v[24:25], v[40:41], 1, v[22:23]
	flat_load_ushort v24, v[24:25]
	s_waitcnt vmcnt(0) lgkmcnt(0)
	v_mul_f16_e32 v24, s33, v24
	s_branch .LBB274_319
.LBB274_318:
	v_mov_b32_e32 v24, 0
.LBB274_319:
	s_waitcnt lgkmcnt(0)
	v_pk_add_f16 v25, v8, v4
	v_pk_max_f16 v26, v63, v63
	s_nop 0
	v_pk_min_f16 v25, v26, v25
	v_pk_add_f16 v26, v9, v5
	s_nop 0
	v_pk_min_f16 v25, v25, v26
	s_nop 0
	v_lshrrev_b32_e32 v26, 16, v25
	v_min3_f16 v26, v24, v25, v26
	v_lshl_add_u64 v[24:25], v[40:41], 1, v[20:21]
	global_store_short v[24:25], v26, off
	s_or_b64 exec, exec, s[26:27]
	s_and_b64 s[30:31], s[12:13], s[18:19]
	s_and_saveexec_b64 s[26:27], s[30:31]
	s_cbranch_execz .LBB274_298
.LBB274_320:
	s_and_b64 vcc, exec, s[0:1]
	s_cbranch_vccnz .LBB274_322
; %bb.321:
	v_lshl_add_u64 v[24:25], v[42:43], 1, v[22:23]
	flat_load_ushort v24, v[24:25]
	s_waitcnt vmcnt(0) lgkmcnt(0)
	v_mul_f16_e32 v24, s33, v24
	s_branch .LBB274_323
.LBB274_322:
	v_mov_b32_e32 v24, 0
.LBB274_323:
	s_waitcnt lgkmcnt(0)
	v_pk_add_f16 v25, v10, v4
	v_pk_max_f16 v26, v62, v62
	s_nop 0
	v_pk_min_f16 v25, v26, v25
	v_pk_add_f16 v26, v11, v5
	s_nop 0
	v_pk_min_f16 v25, v25, v26
	s_nop 0
	v_lshrrev_b32_e32 v26, 16, v25
	v_min3_f16 v26, v24, v25, v26
	v_lshl_add_u64 v[24:25], v[42:43], 1, v[20:21]
	global_store_short v[24:25], v26, off
	s_or_b64 exec, exec, s[26:27]
	s_and_b64 s[30:31], s[14:15], s[18:19]
	s_and_saveexec_b64 s[26:27], s[30:31]
	s_cbranch_execz .LBB274_299
.LBB274_324:
	s_and_b64 vcc, exec, s[0:1]
	s_cbranch_vccnz .LBB274_326
; %bb.325:
	v_lshl_add_u64 v[24:25], v[44:45], 1, v[22:23]
	flat_load_ushort v24, v[24:25]
	s_waitcnt vmcnt(0) lgkmcnt(0)
	v_mul_f16_e32 v24, s33, v24
	s_branch .LBB274_327
.LBB274_326:
	v_mov_b32_e32 v24, 0
.LBB274_327:
	s_waitcnt lgkmcnt(0)
	v_pk_add_f16 v25, v0, v4
	v_pk_max_f16 v26, v61, v61
	s_nop 0
	v_pk_min_f16 v25, v26, v25
	v_pk_add_f16 v26, v1, v5
	s_nop 0
	v_pk_min_f16 v25, v25, v26
	s_nop 0
	v_lshrrev_b32_e32 v26, 16, v25
	v_min3_f16 v26, v24, v25, v26
	v_lshl_add_u64 v[24:25], v[44:45], 1, v[20:21]
	global_store_short v[24:25], v26, off
	s_or_b64 exec, exec, s[26:27]
	s_and_b64 s[26:27], s[16:17], s[18:19]
	s_and_saveexec_b64 s[18:19], s[26:27]
	s_cbranch_execz .LBB274_332
.LBB274_328:
	s_and_b64 vcc, exec, s[0:1]
	s_cbranch_vccnz .LBB274_330
; %bb.329:
	v_lshl_add_u64 v[22:23], v[46:47], 1, v[22:23]
	flat_load_ushort v22, v[22:23]
	s_waitcnt vmcnt(0) lgkmcnt(0)
	v_mul_f16_e32 v22, s33, v22
	s_branch .LBB274_331
.LBB274_330:
	v_mov_b32_e32 v22, 0
.LBB274_331:
	s_waitcnt lgkmcnt(0)
	v_pk_add_f16 v4, v2, v4
	v_pk_max_f16 v23, v60, v60
	v_pk_add_f16 v5, v3, v5
	v_pk_min_f16 v4, v23, v4
	s_nop 0
	v_pk_min_f16 v4, v4, v5
	s_nop 0
	v_lshrrev_b32_e32 v5, 16, v4
	v_min3_f16 v22, v22, v4, v5
	v_lshl_add_u64 v[4:5], v[46:47], 1, v[20:21]
	global_store_short v[4:5], v22, off
.LBB274_332:
	s_or_b64 exec, exec, s[18:19]
	v_add_u32_e32 v22, 0xe0, v92
	v_cmp_gt_i32_e64 s[18:19], s21, v22
	s_waitcnt lgkmcnt(0)
	v_mad_i64_i32 v[4:5], s[20:21], v22, s29, 0
	v_lshl_add_u64 v[20:21], v[4:5], 1, s[24:25]
	v_mad_i64_i32 v[4:5], s[20:21], v22, s28, 0
	v_lshl_add_u64 v[4:5], v[4:5], 1, s[22:23]
	s_and_b64 s[20:21], s[2:3], s[18:19]
	s_and_saveexec_b64 s[2:3], s[20:21]
	s_cbranch_execnz .LBB274_341
; %bb.333:
	s_or_b64 exec, exec, s[2:3]
	s_and_b64 s[4:5], s[4:5], s[18:19]
	s_and_saveexec_b64 s[2:3], s[4:5]
	s_cbranch_execnz .LBB274_345
.LBB274_334:
	s_or_b64 exec, exec, s[2:3]
	s_and_b64 s[4:5], s[6:7], s[18:19]
	s_and_saveexec_b64 s[2:3], s[4:5]
	s_cbranch_execnz .LBB274_349
.LBB274_335:
	s_or_b64 exec, exec, s[2:3]
	s_and_b64 s[4:5], s[8:9], s[18:19]
	s_and_saveexec_b64 s[2:3], s[4:5]
	s_cbranch_execnz .LBB274_353
.LBB274_336:
	s_or_b64 exec, exec, s[2:3]
	s_and_b64 s[4:5], s[10:11], s[18:19]
	s_and_saveexec_b64 s[2:3], s[4:5]
	s_cbranch_execnz .LBB274_357
.LBB274_337:
	s_or_b64 exec, exec, s[2:3]
	s_and_b64 s[4:5], s[12:13], s[18:19]
	s_and_saveexec_b64 s[2:3], s[4:5]
	s_cbranch_execnz .LBB274_361
.LBB274_338:
	s_or_b64 exec, exec, s[2:3]
	s_and_b64 s[4:5], s[14:15], s[18:19]
	s_and_saveexec_b64 s[2:3], s[4:5]
	s_cbranch_execnz .LBB274_365
.LBB274_339:
	s_or_b64 exec, exec, s[2:3]
	s_and_b64 s[2:3], s[16:17], s[18:19]
	s_and_saveexec_b64 s[4:5], s[2:3]
	s_cbranch_execnz .LBB274_369
.LBB274_340:
	s_endpgm
.LBB274_341:
	s_and_b64 vcc, exec, s[0:1]
	s_cbranch_vccnz .LBB274_343
; %bb.342:
	v_lshl_add_u64 v[22:23], v[32:33], 1, v[20:21]
	flat_load_ushort v22, v[22:23]
	s_waitcnt vmcnt(0) lgkmcnt(0)
	v_mul_f16_e32 v22, s33, v22
	s_branch .LBB274_344
.LBB274_343:
	v_mov_b32_e32 v22, 0
.LBB274_344:
	v_pk_add_f16 v16, v16, v6
	v_pk_max_f16 v23, v59, v59
	v_pk_add_f16 v17, v17, v7
	v_pk_min_f16 v16, v23, v16
	s_nop 0
	v_pk_min_f16 v16, v16, v17
	s_nop 0
	v_lshrrev_b32_e32 v17, 16, v16
	v_min3_f16 v22, v22, v16, v17
	v_lshl_add_u64 v[16:17], v[32:33], 1, v[4:5]
	global_store_short v[16:17], v22, off
	s_or_b64 exec, exec, s[2:3]
	s_and_b64 s[4:5], s[4:5], s[18:19]
	s_and_saveexec_b64 s[2:3], s[4:5]
	s_cbranch_execz .LBB274_334
.LBB274_345:
	s_and_b64 vcc, exec, s[0:1]
	s_cbranch_vccnz .LBB274_347
; %bb.346:
	v_lshl_add_u64 v[16:17], v[34:35], 1, v[20:21]
	flat_load_ushort v16, v[16:17]
	s_waitcnt vmcnt(0) lgkmcnt(0)
	v_mul_f16_e32 v16, s33, v16
	s_branch .LBB274_348
.LBB274_347:
	v_mov_b32_e32 v16, 0
.LBB274_348:
	v_pk_add_f16 v17, v18, v6
	v_pk_max_f16 v18, v58, v58
	s_nop 0
	v_pk_min_f16 v17, v18, v17
	v_pk_add_f16 v18, v19, v7
	s_nop 0
	v_pk_min_f16 v17, v17, v18
	s_nop 0
	v_lshrrev_b32_e32 v18, 16, v17
	v_min3_f16 v18, v16, v17, v18
	v_lshl_add_u64 v[16:17], v[34:35], 1, v[4:5]
	global_store_short v[16:17], v18, off
	s_or_b64 exec, exec, s[2:3]
	s_and_b64 s[4:5], s[6:7], s[18:19]
	s_and_saveexec_b64 s[2:3], s[4:5]
	s_cbranch_execz .LBB274_335
.LBB274_349:
	s_and_b64 vcc, exec, s[0:1]
	s_cbranch_vccnz .LBB274_351
; %bb.350:
	v_lshl_add_u64 v[16:17], v[36:37], 1, v[20:21]
	flat_load_ushort v16, v[16:17]
	s_waitcnt vmcnt(0) lgkmcnt(0)
	v_mul_f16_e32 v16, s33, v16
	s_branch .LBB274_352
.LBB274_351:
	v_mov_b32_e32 v16, 0
.LBB274_352:
	v_pk_add_f16 v12, v12, v6
	v_pk_max_f16 v17, v57, v57
	v_pk_add_f16 v13, v13, v7
	v_pk_min_f16 v12, v17, v12
	s_nop 0
	v_pk_min_f16 v12, v12, v13
	s_nop 0
	v_lshrrev_b32_e32 v13, 16, v12
	v_min3_f16 v16, v16, v12, v13
	v_lshl_add_u64 v[12:13], v[36:37], 1, v[4:5]
	global_store_short v[12:13], v16, off
	s_or_b64 exec, exec, s[2:3]
	s_and_b64 s[4:5], s[8:9], s[18:19]
	s_and_saveexec_b64 s[2:3], s[4:5]
	s_cbranch_execz .LBB274_336
.LBB274_353:
	s_and_b64 vcc, exec, s[0:1]
	s_cbranch_vccnz .LBB274_355
; %bb.354:
	v_lshl_add_u64 v[12:13], v[38:39], 1, v[20:21]
	flat_load_ushort v12, v[12:13]
	s_waitcnt vmcnt(0) lgkmcnt(0)
	v_mul_f16_e32 v12, s33, v12
	s_branch .LBB274_356
.LBB274_355:
	v_mov_b32_e32 v12, 0
.LBB274_356:
	v_pk_add_f16 v13, v14, v6
	v_pk_max_f16 v14, v55, v55
	s_nop 0
	v_pk_min_f16 v13, v14, v13
	v_pk_add_f16 v14, v15, v7
	s_nop 0
	v_pk_min_f16 v13, v13, v14
	s_nop 0
	v_lshrrev_b32_e32 v14, 16, v13
	v_min3_f16 v14, v12, v13, v14
	v_lshl_add_u64 v[12:13], v[38:39], 1, v[4:5]
	global_store_short v[12:13], v14, off
	s_or_b64 exec, exec, s[2:3]
	s_and_b64 s[4:5], s[10:11], s[18:19]
	s_and_saveexec_b64 s[2:3], s[4:5]
	s_cbranch_execz .LBB274_337
.LBB274_357:
	s_and_b64 vcc, exec, s[0:1]
	s_cbranch_vccnz .LBB274_359
; %bb.358:
	v_lshl_add_u64 v[12:13], v[40:41], 1, v[20:21]
	flat_load_ushort v12, v[12:13]
	s_waitcnt vmcnt(0) lgkmcnt(0)
	v_mul_f16_e32 v12, s33, v12
	s_branch .LBB274_360
.LBB274_359:
	v_mov_b32_e32 v12, 0
.LBB274_360:
	v_pk_add_f16 v8, v8, v6
	v_pk_max_f16 v13, v54, v54
	v_pk_add_f16 v9, v9, v7
	v_pk_min_f16 v8, v13, v8
	s_nop 0
	v_pk_min_f16 v8, v8, v9
	s_nop 0
	v_lshrrev_b32_e32 v9, 16, v8
	v_min3_f16 v12, v12, v8, v9
	v_lshl_add_u64 v[8:9], v[40:41], 1, v[4:5]
	global_store_short v[8:9], v12, off
	s_or_b64 exec, exec, s[2:3]
	s_and_b64 s[4:5], s[12:13], s[18:19]
	s_and_saveexec_b64 s[2:3], s[4:5]
	s_cbranch_execz .LBB274_338
.LBB274_361:
	s_and_b64 vcc, exec, s[0:1]
	s_cbranch_vccnz .LBB274_363
; %bb.362:
	v_lshl_add_u64 v[8:9], v[42:43], 1, v[20:21]
	flat_load_ushort v8, v[8:9]
	s_waitcnt vmcnt(0) lgkmcnt(0)
	v_mul_f16_e32 v8, s33, v8
	s_branch .LBB274_364
.LBB274_363:
	v_mov_b32_e32 v8, 0
.LBB274_364:
	v_pk_add_f16 v9, v10, v6
	v_pk_max_f16 v10, v53, v53
	s_nop 0
	v_pk_min_f16 v9, v10, v9
	v_pk_add_f16 v10, v11, v7
	s_nop 0
	v_pk_min_f16 v9, v9, v10
	s_nop 0
	v_lshrrev_b32_e32 v10, 16, v9
	v_min3_f16 v10, v8, v9, v10
	v_lshl_add_u64 v[8:9], v[42:43], 1, v[4:5]
	global_store_short v[8:9], v10, off
	s_or_b64 exec, exec, s[2:3]
	s_and_b64 s[4:5], s[14:15], s[18:19]
	s_and_saveexec_b64 s[2:3], s[4:5]
	s_cbranch_execz .LBB274_339
.LBB274_365:
	s_and_b64 vcc, exec, s[0:1]
	s_cbranch_vccnz .LBB274_367
; %bb.366:
	v_lshl_add_u64 v[8:9], v[44:45], 1, v[20:21]
	flat_load_ushort v8, v[8:9]
	s_waitcnt vmcnt(0) lgkmcnt(0)
	v_mul_f16_e32 v8, s33, v8
	s_branch .LBB274_368
.LBB274_367:
	v_mov_b32_e32 v8, 0
.LBB274_368:
	v_pk_add_f16 v0, v0, v6
	v_pk_max_f16 v9, v52, v52
	v_pk_add_f16 v1, v1, v7
	v_pk_min_f16 v0, v9, v0
	s_nop 0
	v_pk_min_f16 v0, v0, v1
	s_nop 0
	v_lshrrev_b32_e32 v1, 16, v0
	v_min3_f16 v8, v8, v0, v1
	v_lshl_add_u64 v[0:1], v[44:45], 1, v[4:5]
	global_store_short v[0:1], v8, off
	s_or_b64 exec, exec, s[2:3]
	s_and_b64 s[2:3], s[16:17], s[18:19]
	s_and_saveexec_b64 s[4:5], s[2:3]
	s_cbranch_execz .LBB274_340
.LBB274_369:
	s_and_b64 vcc, exec, s[0:1]
	s_cbranch_vccnz .LBB274_371
; %bb.370:
	v_lshl_add_u64 v[0:1], v[46:47], 1, v[20:21]
	flat_load_ushort v0, v[0:1]
	s_waitcnt vmcnt(0) lgkmcnt(0)
	v_mul_f16_e32 v0, s33, v0
	s_branch .LBB274_372
.LBB274_371:
	v_mov_b32_e32 v0, 0
.LBB274_372:
	v_pk_add_f16 v1, v2, v6
	v_pk_max_f16 v2, v56, v56
	s_nop 0
	v_pk_min_f16 v1, v2, v1
	v_pk_add_f16 v2, v3, v7
	s_nop 0
	v_pk_min_f16 v1, v1, v2
	s_nop 0
	v_lshrrev_b32_e32 v2, 16, v1
	v_min3_f16 v2, v0, v1, v2
	v_lshl_add_u64 v[0:1], v[46:47], 1, v[4:5]
	global_store_short v[0:1], v2, off
	s_endpgm
	.section	.rodata,"a",@progbits
	.p2align	6, 0x0
	.amdhsa_kernel _ZN12_GLOBAL__N_120geam_min_plus_kernelIDF16_Dv2_DF16_S1_Li8ELi32ELi64ELi256ELi4ELi64ELi4ELi64ELi4ELc78ELc84ELb1ELb1ELb1EDF16_KDF16_DF16_EEviiiT16_PT17_ilS5_ilS3_S5_ilPT18_ili26rocblas_geam_ex_operation_
		.amdhsa_group_segment_fixed_size 5120
		.amdhsa_private_segment_fixed_size 0
		.amdhsa_kernarg_size 128
		.amdhsa_user_sgpr_count 2
		.amdhsa_user_sgpr_dispatch_ptr 0
		.amdhsa_user_sgpr_queue_ptr 0
		.amdhsa_user_sgpr_kernarg_segment_ptr 1
		.amdhsa_user_sgpr_dispatch_id 0
		.amdhsa_user_sgpr_kernarg_preload_length 0
		.amdhsa_user_sgpr_kernarg_preload_offset 0
		.amdhsa_user_sgpr_private_segment_size 0
		.amdhsa_uses_dynamic_stack 0
		.amdhsa_enable_private_segment 0
		.amdhsa_system_sgpr_workgroup_id_x 1
		.amdhsa_system_sgpr_workgroup_id_y 0
		.amdhsa_system_sgpr_workgroup_id_z 1
		.amdhsa_system_sgpr_workgroup_info 0
		.amdhsa_system_vgpr_workitem_id 1
		.amdhsa_next_free_vgpr 172
		.amdhsa_next_free_sgpr 40
		.amdhsa_accum_offset 172
		.amdhsa_reserve_vcc 1
		.amdhsa_float_round_mode_32 0
		.amdhsa_float_round_mode_16_64 0
		.amdhsa_float_denorm_mode_32 3
		.amdhsa_float_denorm_mode_16_64 3
		.amdhsa_dx10_clamp 1
		.amdhsa_ieee_mode 1
		.amdhsa_fp16_overflow 0
		.amdhsa_tg_split 0
		.amdhsa_exception_fp_ieee_invalid_op 0
		.amdhsa_exception_fp_denorm_src 0
		.amdhsa_exception_fp_ieee_div_zero 0
		.amdhsa_exception_fp_ieee_overflow 0
		.amdhsa_exception_fp_ieee_underflow 0
		.amdhsa_exception_fp_ieee_inexact 0
		.amdhsa_exception_int_div_zero 0
	.end_amdhsa_kernel
	.section	.text._ZN12_GLOBAL__N_120geam_min_plus_kernelIDF16_Dv2_DF16_S1_Li8ELi32ELi64ELi256ELi4ELi64ELi4ELi64ELi4ELc78ELc84ELb1ELb1ELb1EDF16_KDF16_DF16_EEviiiT16_PT17_ilS5_ilS3_S5_ilPT18_ili26rocblas_geam_ex_operation_,"axG",@progbits,_ZN12_GLOBAL__N_120geam_min_plus_kernelIDF16_Dv2_DF16_S1_Li8ELi32ELi64ELi256ELi4ELi64ELi4ELi64ELi4ELc78ELc84ELb1ELb1ELb1EDF16_KDF16_DF16_EEviiiT16_PT17_ilS5_ilS3_S5_ilPT18_ili26rocblas_geam_ex_operation_,comdat
.Lfunc_end274:
	.size	_ZN12_GLOBAL__N_120geam_min_plus_kernelIDF16_Dv2_DF16_S1_Li8ELi32ELi64ELi256ELi4ELi64ELi4ELi64ELi4ELc78ELc84ELb1ELb1ELb1EDF16_KDF16_DF16_EEviiiT16_PT17_ilS5_ilS3_S5_ilPT18_ili26rocblas_geam_ex_operation_, .Lfunc_end274-_ZN12_GLOBAL__N_120geam_min_plus_kernelIDF16_Dv2_DF16_S1_Li8ELi32ELi64ELi256ELi4ELi64ELi4ELi64ELi4ELc78ELc84ELb1ELb1ELb1EDF16_KDF16_DF16_EEviiiT16_PT17_ilS5_ilS3_S5_ilPT18_ili26rocblas_geam_ex_operation_
                                        ; -- End function
	.section	.AMDGPU.csdata,"",@progbits
; Kernel info:
; codeLenInByte = 19696
; NumSgprs: 46
; NumVgprs: 172
; NumAgprs: 0
; TotalNumVgprs: 172
; ScratchSize: 0
; MemoryBound: 0
; FloatMode: 240
; IeeeMode: 1
; LDSByteSize: 5120 bytes/workgroup (compile time only)
; SGPRBlocks: 5
; VGPRBlocks: 21
; NumSGPRsForWavesPerEU: 46
; NumVGPRsForWavesPerEU: 172
; AccumOffset: 172
; Occupancy: 2
; WaveLimiterHint : 0
; COMPUTE_PGM_RSRC2:SCRATCH_EN: 0
; COMPUTE_PGM_RSRC2:USER_SGPR: 2
; COMPUTE_PGM_RSRC2:TRAP_HANDLER: 0
; COMPUTE_PGM_RSRC2:TGID_X_EN: 1
; COMPUTE_PGM_RSRC2:TGID_Y_EN: 0
; COMPUTE_PGM_RSRC2:TGID_Z_EN: 1
; COMPUTE_PGM_RSRC2:TIDIG_COMP_CNT: 1
; COMPUTE_PGM_RSRC3_GFX90A:ACCUM_OFFSET: 42
; COMPUTE_PGM_RSRC3_GFX90A:TG_SPLIT: 0
	.section	.text._ZN12_GLOBAL__N_120geam_min_plus_kernelIDF16_Dv2_DF16_S1_Li8ELi32ELi64ELi256ELi4ELi64ELi4ELi64ELi4ELc78ELc84ELb0ELb1ELb1EDF16_KDF16_DF16_EEviiiT16_PT17_ilS5_ilS3_S5_ilPT18_ili26rocblas_geam_ex_operation_,"axG",@progbits,_ZN12_GLOBAL__N_120geam_min_plus_kernelIDF16_Dv2_DF16_S1_Li8ELi32ELi64ELi256ELi4ELi64ELi4ELi64ELi4ELc78ELc84ELb0ELb1ELb1EDF16_KDF16_DF16_EEviiiT16_PT17_ilS5_ilS3_S5_ilPT18_ili26rocblas_geam_ex_operation_,comdat
	.globl	_ZN12_GLOBAL__N_120geam_min_plus_kernelIDF16_Dv2_DF16_S1_Li8ELi32ELi64ELi256ELi4ELi64ELi4ELi64ELi4ELc78ELc84ELb0ELb1ELb1EDF16_KDF16_DF16_EEviiiT16_PT17_ilS5_ilS3_S5_ilPT18_ili26rocblas_geam_ex_operation_ ; -- Begin function _ZN12_GLOBAL__N_120geam_min_plus_kernelIDF16_Dv2_DF16_S1_Li8ELi32ELi64ELi256ELi4ELi64ELi4ELi64ELi4ELc78ELc84ELb0ELb1ELb1EDF16_KDF16_DF16_EEviiiT16_PT17_ilS5_ilS3_S5_ilPT18_ili26rocblas_geam_ex_operation_
	.p2align	8
	.type	_ZN12_GLOBAL__N_120geam_min_plus_kernelIDF16_Dv2_DF16_S1_Li8ELi32ELi64ELi256ELi4ELi64ELi4ELi64ELi4ELc78ELc84ELb0ELb1ELb1EDF16_KDF16_DF16_EEviiiT16_PT17_ilS5_ilS3_S5_ilPT18_ili26rocblas_geam_ex_operation_,@function
_ZN12_GLOBAL__N_120geam_min_plus_kernelIDF16_Dv2_DF16_S1_Li8ELi32ELi64ELi256ELi4ELi64ELi4ELi64ELi4ELc78ELc84ELb0ELb1ELb1EDF16_KDF16_DF16_EEviiiT16_PT17_ilS5_ilS3_S5_ilPT18_ili26rocblas_geam_ex_operation_: ; @_ZN12_GLOBAL__N_120geam_min_plus_kernelIDF16_Dv2_DF16_S1_Li8ELi32ELi64ELi256ELi4ELi64ELi4ELi64ELi4ELc78ELc84ELb0ELb1ELb1EDF16_KDF16_DF16_EEviiiT16_PT17_ilS5_ilS3_S5_ilPT18_ili26rocblas_geam_ex_operation_
; %bb.0:
	s_load_dwordx4 s[20:23], s[0:1], 0x0
	s_load_dwordx4 s[4:7], s[0:1], 0x20
	s_mov_b64 s[36:37], 0
	s_waitcnt lgkmcnt(0)
	v_cmp_eq_f16_e64 s[30:31], s23, 0
	v_cmp_neq_f16_e64 s[8:9], s23, 0
	s_and_b64 vcc, exec, s[30:31]
	s_cbranch_vccnz .LBB275_2
; %bb.1:
	s_load_dwordx2 s[10:11], s[0:1], 0x10
	s_mul_i32 s5, s3, s5
	s_mul_hi_u32 s12, s3, s4
	s_add_i32 s5, s12, s5
	s_mul_i32 s4, s3, s4
	s_lshl_b64 s[4:5], s[4:5], 1
	s_waitcnt lgkmcnt(0)
	s_add_u32 s36, s10, s4
	s_addc_u32 s37, s11, s5
.LBB275_2:
	s_and_b64 vcc, exec, s[8:9]
	s_cbranch_vccz .LBB275_4
; %bb.3:
	s_load_dwordx2 s[4:5], s[0:1], 0x38
	s_mov_b32 s29, 0
	s_waitcnt lgkmcnt(0)
	s_mul_i32 s5, s3, s5
	s_mul_hi_u32 s8, s3, s4
	s_mul_i32 s4, s3, s4
	s_add_i32 s5, s8, s5
	s_lshl_b64 s[4:5], s[4:5], 1
	s_add_u32 s34, s6, s4
	s_addc_u32 s35, s7, s5
	s_cbranch_execz .LBB275_5
	s_branch .LBB275_6
.LBB275_4:
                                        ; implicit-def: $sgpr34_sgpr35
                                        ; implicit-def: $sgpr28_sgpr29
.LBB275_5:
	s_mov_b32 s29, 0
	s_mov_b64 s[34:35], 0
.LBB275_6:
	s_load_dword s28, s[0:1], 0x40
	s_load_dwordx4 s[16:19], s[0:1], 0x58
	s_waitcnt lgkmcnt(0)
	v_cmp_eq_f16_e64 s[4:5], s28, 0
	v_cmp_neq_f16_e64 s[26:27], s28, 0
	s_and_b64 vcc, exec, s[4:5]
	s_cbranch_vccnz .LBB275_8
; %bb.7:
	s_load_dwordx2 s[4:5], s[0:1], 0x48
	s_mul_i32 s6, s3, s17
	s_mul_hi_u32 s7, s3, s16
	s_add_i32 s6, s7, s6
	s_mul_i32 s7, s29, s16
	s_add_i32 s7, s6, s7
	s_mul_i32 s6, s3, s16
	s_lshl_b64 s[6:7], s[6:7], 1
	s_waitcnt lgkmcnt(0)
	s_add_u32 s24, s4, s6
	s_addc_u32 s25, s5, s7
	s_branch .LBB275_9
.LBB275_8:
	s_mov_b64 s[24:25], 0
.LBB275_9:
	s_add_i32 s6, s20, -1
	s_ashr_i32 s4, s6, 31
	s_lshr_b32 s4, s4, 26
	s_add_i32 s4, s6, s4
	s_ashr_i32 s4, s4, 6
	s_add_i32 s5, s4, 1
	v_cvt_f32_u32_e32 v1, s5
	s_not_b32 s4, s4
	s_load_dword s38, s[0:1], 0x18
	v_and_b32_e32 v48, 0x3ff, v0
	v_rcp_iflag_f32_e32 v1, v1
	v_bfe_u32 v49, v0, 10, 10
	v_lshl_add_u32 v0, v49, 3, v48
	s_waitcnt lgkmcnt(0)
	s_ashr_i32 s39, s38, 31
	v_mul_f32_e32 v1, 0x4f7ffffe, v1
	v_cvt_u32_f32_e32 v1, v1
	v_and_b32_e32 v2, 63, v0
	v_lshrrev_b32_e32 v50, 6, v0
	v_cmp_le_i32_e64 s[10:11], s22, v50
	v_readfirstlane_b32 s7, v1
	s_mul_i32 s4, s4, s7
	s_mul_hi_u32 s4, s7, s4
	s_add_i32 s7, s7, s4
	s_mul_hi_u32 s4, s2, s7
	s_mul_i32 s7, s4, s5
	s_sub_i32 s7, s2, s7
	s_add_i32 s8, s4, 1
	s_sub_i32 s9, s7, s5
	s_cmp_ge_u32 s7, s5
	s_cselect_b32 s4, s8, s4
	s_cselect_b32 s7, s9, s7
	s_add_i32 s8, s4, 1
	s_cmp_ge_u32 s7, s5
	s_cselect_b32 s8, s8, s4
	s_mul_i32 s4, s8, s5
	s_sub_i32 s2, s2, s4
	s_lshl_b32 s2, s2, 6
	v_or_b32_e32 v0, s2, v2
	v_cmp_le_i32_e32 vcc, s20, v0
	s_or_b64 s[4:5], vcc, s[10:11]
	s_add_i32 s40, s22, -1
	v_min_i32_e32 v40, s6, v0
	v_min_i32_e32 v0, s40, v50
	s_or_b64 s[6:7], s[30:31], s[4:5]
	s_xor_b64 s[6:7], s[6:7], -1
	v_ashrrev_i32_e32 v1, 31, v0
	v_ashrrev_i32_e32 v41, 31, v40
                                        ; implicit-def: $vgpr3
	s_and_saveexec_b64 s[12:13], s[6:7]
	s_xor_b64 s[6:7], exec, s[12:13]
	s_cbranch_execz .LBB275_11
; %bb.10:
	v_mad_i64_i32 v[4:5], s[12:13], s38, v0, 0
	v_lshl_add_u64 v[4:5], v[4:5], 1, s[36:37]
	v_lshl_add_u64 v[4:5], v[40:41], 1, v[4:5]
	flat_load_ushort v3, v[4:5]
	s_waitcnt vmcnt(0) lgkmcnt(0)
	v_mul_f16_e32 v3, s23, v3
.LBB275_11:
	s_andn2_saveexec_b64 s[6:7], s[6:7]
; %bb.12:
	v_mov_b32_e32 v3, 0x7c00
	v_cndmask_b32_e64 v3, 0, v3, s[4:5]
; %bb.13:
	s_or_b64 exec, exec, s[6:7]
	s_load_dword s41, s[0:1], 0x30
	s_lshl_b32 s33, s8, 8
	v_or_b32_e32 v32, s33, v2
	v_cmp_le_i32_e64 s[14:15], s21, v32
	v_ashrrev_i32_e32 v33, 31, v32
	s_waitcnt lgkmcnt(0)
	s_ashr_i32 s42, s41, 31
	v_mul_lo_u32 v4, v1, s41
	v_mul_lo_u32 v5, v0, s42
	v_mad_u64_u32 v[0:1], s[4:5], v0, s41, 0
	v_add3_u32 v1, v1, v5, v4
	v_mov_b32_e32 v5, 0x7c00
	s_or_b64 s[4:5], s[14:15], s[10:11]
	v_cndmask_b32_e64 v4, 0, v5, s[4:5]
	s_or_b64 s[4:5], s[30:31], s[4:5]
	v_lshl_add_u64 v[0:1], v[0:1], 1, s[34:35]
	s_xor_b64 s[6:7], s[4:5], -1
	s_and_saveexec_b64 s[4:5], s[6:7]
	s_cbranch_execz .LBB275_15
; %bb.14:
	v_lshl_add_u64 v[6:7], v[32:33], 1, v[0:1]
	flat_load_ushort v4, v[6:7]
	s_waitcnt vmcnt(0) lgkmcnt(0)
	v_mul_f16_e32 v4, s23, v4
.LBB275_15:
	s_or_b64 exec, exec, s[4:5]
	v_or_b32_e32 v6, 64, v32
	v_cmp_le_i32_e64 s[4:5], s21, v6
	s_add_i32 s12, s21, -1
	s_or_b64 s[6:7], s[4:5], s[10:11]
	v_min_i32_e32 v34, s12, v6
	v_cndmask_b32_e64 v5, 0, v5, s[6:7]
	s_or_b64 s[6:7], s[30:31], s[6:7]
	s_xor_b64 s[8:9], s[6:7], -1
	v_ashrrev_i32_e32 v35, 31, v34
	s_and_saveexec_b64 s[6:7], s[8:9]
	s_cbranch_execz .LBB275_17
; %bb.16:
	v_lshl_add_u64 v[6:7], v[34:35], 1, v[0:1]
	flat_load_ushort v5, v[6:7]
	s_waitcnt vmcnt(0) lgkmcnt(0)
	v_mul_f16_e32 v5, s23, v5
.LBB275_17:
	s_or_b64 exec, exec, s[6:7]
	v_or_b32_e32 v6, 0x80, v32
	v_cmp_le_i32_e64 s[6:7], s21, v6
	v_mov_b32_e32 v7, 0x7c00
	s_or_b64 s[8:9], s[6:7], s[10:11]
	v_min_i32_e32 v36, s12, v6
	v_cndmask_b32_e64 v6, 0, v7, s[8:9]
	s_or_b64 s[8:9], s[30:31], s[8:9]
	s_xor_b64 s[16:17], s[8:9], -1
	v_ashrrev_i32_e32 v37, 31, v36
	s_and_saveexec_b64 s[8:9], s[16:17]
	s_cbranch_execz .LBB275_19
; %bb.18:
	v_lshl_add_u64 v[8:9], v[36:37], 1, v[0:1]
	flat_load_ushort v6, v[8:9]
	s_waitcnt vmcnt(0) lgkmcnt(0)
	v_mul_f16_e32 v6, s23, v6
.LBB275_19:
	s_or_b64 exec, exec, s[8:9]
	v_or_b32_e32 v8, 0xc0, v32
	v_cmp_le_i32_e64 s[8:9], s21, v8
	s_or_b64 s[10:11], s[8:9], s[10:11]
	v_min_i32_e32 v38, s12, v8
	v_cndmask_b32_e64 v7, 0, v7, s[10:11]
	s_or_b64 s[10:11], s[30:31], s[10:11]
	s_xor_b64 s[12:13], s[10:11], -1
	v_ashrrev_i32_e32 v39, 31, v38
	s_and_saveexec_b64 s[10:11], s[12:13]
	s_cbranch_execz .LBB275_21
; %bb.20:
	v_lshl_add_u64 v[0:1], v[38:39], 1, v[0:1]
	flat_load_ushort v0, v[0:1]
	s_waitcnt vmcnt(0) lgkmcnt(0)
	v_mul_f16_e32 v7, s23, v0
.LBB275_21:
	s_or_b64 exec, exec, s[10:11]
	v_add_u32_e32 v0, 4, v50
	v_cmp_le_i32_e64 s[10:11], s22, v0
	s_or_b64 s[12:13], vcc, s[10:11]
	v_min_i32_e32 v0, s40, v0
	s_or_b64 s[16:17], s[30:31], s[12:13]
	s_xor_b64 s[16:17], s[16:17], -1
	v_ashrrev_i32_e32 v1, 31, v0
                                        ; implicit-def: $vgpr42
	s_and_saveexec_b64 s[44:45], s[16:17]
	s_xor_b64 s[16:17], exec, s[44:45]
	s_cbranch_execz .LBB275_23
; %bb.22:
	v_mad_i64_i32 v[8:9], s[44:45], s38, v0, 0
	v_lshl_add_u64 v[8:9], v[8:9], 1, s[36:37]
	v_lshl_add_u64 v[8:9], v[40:41], 1, v[8:9]
	flat_load_ushort v8, v[8:9]
	s_waitcnt vmcnt(0) lgkmcnt(0)
	v_mul_f16_e32 v42, s23, v8
.LBB275_23:
	s_andn2_saveexec_b64 s[16:17], s[16:17]
; %bb.24:
	v_mov_b32_e32 v8, 0x7c00
	v_cndmask_b32_e64 v42, 0, v8, s[12:13]
; %bb.25:
	s_or_b64 exec, exec, s[16:17]
	v_mul_lo_u32 v8, v1, s41
	v_mul_lo_u32 v9, v0, s42
	v_mad_u64_u32 v[0:1], s[12:13], v0, s41, 0
	v_add3_u32 v1, v1, v9, v8
	v_mov_b32_e32 v8, 0x7c00
	s_or_b64 s[12:13], s[14:15], s[10:11]
	v_cndmask_b32_e64 v43, 0, v8, s[12:13]
	s_or_b64 s[12:13], s[30:31], s[12:13]
	v_lshl_add_u64 v[0:1], v[0:1], 1, s[34:35]
	s_xor_b64 s[16:17], s[12:13], -1
	s_and_saveexec_b64 s[12:13], s[16:17]
	s_cbranch_execz .LBB275_27
; %bb.26:
	v_lshl_add_u64 v[10:11], v[32:33], 1, v[0:1]
	flat_load_ushort v9, v[10:11]
	s_waitcnt vmcnt(0) lgkmcnt(0)
	v_mul_f16_e32 v43, s23, v9
.LBB275_27:
	s_or_b64 exec, exec, s[12:13]
	s_or_b64 s[12:13], s[4:5], s[10:11]
	v_cndmask_b32_e64 v44, 0, v8, s[12:13]
	s_or_b64 s[12:13], s[30:31], s[12:13]
	s_xor_b64 s[16:17], s[12:13], -1
	s_and_saveexec_b64 s[12:13], s[16:17]
	s_cbranch_execz .LBB275_29
; %bb.28:
	v_lshl_add_u64 v[8:9], v[34:35], 1, v[0:1]
	flat_load_ushort v8, v[8:9]
	s_waitcnt vmcnt(0) lgkmcnt(0)
	v_mul_f16_e32 v44, s23, v8
.LBB275_29:
	s_or_b64 exec, exec, s[12:13]
	v_mov_b32_e32 v8, 0x7c00
	s_or_b64 s[12:13], s[6:7], s[10:11]
	v_cndmask_b32_e64 v45, 0, v8, s[12:13]
	s_or_b64 s[12:13], s[30:31], s[12:13]
	s_xor_b64 s[16:17], s[12:13], -1
	s_and_saveexec_b64 s[12:13], s[16:17]
	s_cbranch_execz .LBB275_31
; %bb.30:
	v_lshl_add_u64 v[10:11], v[36:37], 1, v[0:1]
	flat_load_ushort v9, v[10:11]
	s_waitcnt vmcnt(0) lgkmcnt(0)
	v_mul_f16_e32 v45, s23, v9
.LBB275_31:
	s_or_b64 exec, exec, s[12:13]
	s_or_b64 s[10:11], s[8:9], s[10:11]
	v_cndmask_b32_e64 v46, 0, v8, s[10:11]
	s_or_b64 s[10:11], s[30:31], s[10:11]
	s_xor_b64 s[16:17], s[10:11], -1
	s_movk_i32 s12, 0x7c00
	s_and_saveexec_b64 s[10:11], s[16:17]
	s_cbranch_execz .LBB275_33
; %bb.32:
	v_lshl_add_u64 v[0:1], v[38:39], 1, v[0:1]
	flat_load_ushort v0, v[0:1]
	s_waitcnt vmcnt(0) lgkmcnt(0)
	v_mul_f16_e32 v46, s23, v0
.LBB275_33:
	s_or_b64 exec, exec, s[10:11]
	v_lshlrev_b32_e32 v0, 1, v50
	v_lshlrev_b32_e32 v51, 3, v48
	v_lshl_add_u32 v101, v2, 3, v0
	v_add_u32_e32 v102, 0x1000, v51
	v_lshlrev_b32_e32 v93, 3, v49
	ds_write_b16 v101, v3 offset:4096
	ds_write_b16 v101, v4
	ds_write_b16 v101, v5 offset:512
	ds_write_b16 v101, v6 offset:1024
	ds_write_b16 v101, v7 offset:1536
	s_waitcnt lgkmcnt(0)
	s_barrier
	ds_read2_b64 v[16:19], v102 offset1:8
	ds_read2_b64 v[12:15], v102 offset0:16 offset1:24
	ds_read2_b64 v[0:3], v102 offset0:32 offset1:40
	ds_read2_b64 v[28:31], v93 offset1:32
	ds_read2_b64 v[4:7], v102 offset0:48 offset1:56
	ds_read2_b64 v[24:27], v93 offset0:64 offset1:96
	;; [unrolled: 1-line block ×4, first 2 shown]
	s_cmp_lt_i32 s22, 9
	s_waitcnt lgkmcnt(4)
	v_pk_add_f16 v47, v16, v28
	v_pk_add_f16 v52, v18, v28
	s_waitcnt lgkmcnt(1)
	v_pk_add_f16 v82, v14, v20
	v_pk_min_f16 v47, v47, s12 op_sel_hi:[1,0]
	v_pk_min_f16 v119, v82, s12 op_sel_hi:[1,0]
	v_pk_add_f16 v82, v0, v20
	v_pk_add_f16 v53, v12, v28
	v_pk_min_f16 v120, v82, s12 op_sel_hi:[1,0]
	v_pk_add_f16 v82, v2, v20
	v_pk_add_f16 v54, v14, v28
	;; [unrolled: 3-line block ×10, first 2 shown]
	v_pk_min_f16 v129, v82, s12 op_sel_hi:[1,0]
	s_waitcnt lgkmcnt(0)
	v_pk_add_f16 v82, v16, v8
	v_pk_add_f16 v62, v0, v30
	v_pk_min_f16 v130, v82, s12 op_sel_hi:[1,0]
	v_pk_add_f16 v82, v18, v8
	v_pk_add_f16 v63, v2, v30
	v_pk_min_f16 v131, v82, s12 op_sel_hi:[1,0]
	;; [unrolled: 3-line block ×5, first 2 shown]
	v_pk_add_f16 v82, v2, v8
	v_pk_add_f16 v66, v18, v24
	;; [unrolled: 1-line block ×21, first 2 shown]
	v_pk_min_f16 v135, v82, s12 op_sel_hi:[1,0]
	v_pk_add_f16 v82, v4, v8
	v_pk_add_f16 v8, v6, v8
	;; [unrolled: 1-line block ×11, first 2 shown]
	v_pk_min_f16 v52, v52, s12 op_sel_hi:[1,0]
	v_pk_min_f16 v118, v47, v10
	v_pk_add_f16 v10, v19, v29
	v_pk_min_f16 v53, v53, s12 op_sel_hi:[1,0]
	v_pk_min_f16 v117, v52, v10
	v_pk_add_f16 v10, v13, v29
	;; [unrolled: 3-line block ×33, first 2 shown]
	v_pk_min_f16 v81, v81, s12 op_sel_hi:[1,0]
	v_pk_min_f16 v136, v82, s12 op_sel_hi:[1,0]
	v_pk_min_f16 v82, v80, v10
	v_pk_add_f16 v10, v13, v21
	v_pk_min_f16 v20, v20, s12 op_sel_hi:[1,0]
	v_pk_min_f16 v81, v81, v10
	v_pk_add_f16 v10, v15, v21
	;; [unrolled: 3-line block ×12, first 2 shown]
	ds_write_b16 v101, v42 offset:4608
	ds_write_b16 v101, v43 offset:2048
	;; [unrolled: 1-line block ×5, first 2 shown]
	v_pk_min_f16 v70, v128, v10
	v_pk_add_f16 v10, v5, v23
	s_waitcnt lgkmcnt(0)
	v_pk_min_f16 v69, v129, v10
	v_pk_add_f16 v10, v7, v23
	s_barrier
	v_pk_min_f16 v68, v22, v10
	v_pk_add_f16 v10, v17, v9
	s_nop 0
	v_pk_min_f16 v67, v130, v10
	v_pk_add_f16 v10, v19, v9
	s_nop 0
	;; [unrolled: 3-line block ×4, first 2 shown]
	v_pk_min_f16 v64, v133, v10
	v_pk_add_f16 v10, v1, v9
	v_pk_add_f16 v1, v1, v11
	v_pk_min_f16 v63, v134, v10
	v_pk_add_f16 v10, v3, v9
	v_pk_min_f16 v54, v0, v1
	v_pk_min_f16 v62, v135, v10
	v_pk_add_f16 v10, v5, v9
	v_pk_add_f16 v9, v7, v9
	;; [unrolled: 1-line block ×3, first 2 shown]
	v_pk_min_f16 v60, v8, v9
	v_pk_add_f16 v8, v17, v11
	v_pk_min_f16 v53, v2, v0
	v_pk_min_f16 v59, v16, v8
	v_pk_add_f16 v8, v19, v11
	v_pk_add_f16 v0, v5, v11
	v_pk_min_f16 v58, v18, v8
	v_pk_add_f16 v8, v13, v11
	v_pk_min_f16 v52, v4, v0
	v_pk_min_f16 v57, v12, v8
	v_pk_add_f16 v8, v15, v11
	v_pk_add_f16 v0, v7, v11
	v_pk_min_f16 v61, v136, v10
	v_pk_min_f16 v55, v14, v8
	;; [unrolled: 1-line block ×3, first 2 shown]
	s_cbranch_scc1 .LBB275_56
; %bb.34:
	v_mov_b32_e32 v0, 0x1200
	v_lshl_add_u32 v122, v48, 3, v0
	v_add_u32_e32 v0, v93, v48
	v_lshrrev_b32_e32 v2, 6, v0
	v_add_u32_e32 v0, 12, v2
	v_mad_i64_i32 v[0:1], s[10:11], v0, s38, 0
	v_lshlrev_b64 v[42:43], 1, v[0:1]
	v_add_u32_e32 v0, 8, v2
	v_mad_i64_i32 v[0:1], s[10:11], v0, s38, 0
	v_or_b32_e32 v119, 0x1000, v101
	v_add_u32_e32 v120, 0x1200, v101
	v_or_b32_e32 v121, 0x800, v101
	s_add_i32 s42, s22, -8
	v_lshl_add_u64 v[40:41], v[40:41], 1, s[36:37]
	v_add_u32_e32 v123, 0x800, v93
	s_lshl_b64 s[16:17], s[38:39], 4
	v_lshlrev_b64 v[44:45], 1, v[0:1]
	s_mov_b32 s36, 0
	v_mov_b32_e32 v124, 0x7c00
	s_branch .LBB275_36
.LBB275_35:                             ;   in Loop: Header=BB275_36 Depth=1
	s_or_b64 exec, exec, s[10:11]
	ds_read2_b64 v[8:11], v102 offset1:8
	ds_read2_b64 v[4:7], v102 offset0:16 offset1:24
	ds_read2_b64 v[0:3], v102 offset0:32 offset1:40
	ds_read2_b64 v[130:133], v93 offset1:32
	ds_read2_b64 v[12:15], v102 offset0:48 offset1:56
	ds_read2_b64 v[24:27], v93 offset0:64 offset1:96
	ds_read2_b64 v[20:23], v93 offset0:128 offset1:160
	ds_read2_b64 v[16:19], v93 offset0:192 offset1:224
	s_waitcnt lgkmcnt(4)
	v_pk_add_f16 v46, v8, v130
	v_pk_max_f16 v47, v115, v115
	v_pk_max_f16 v114, v114, v114
	v_pk_min_f16 v46, v47, v46
	v_pk_add_f16 v47, v10, v130
	v_pk_max_f16 v113, v113, v113
	v_pk_min_f16 v47, v114, v47
	v_pk_add_f16 v114, v4, v130
	;; [unrolled: 3-line block ×5, first 2 shown]
	v_pk_max_f16 v109, v109, v109
	v_pk_min_f16 v110, v110, v114
	s_waitcnt lgkmcnt(3)
	v_pk_add_f16 v114, v12, v130
	v_pk_max_f16 v108, v108, v108
	v_pk_min_f16 v109, v109, v114
	v_pk_add_f16 v114, v14, v130
	v_pk_max_f16 v107, v107, v107
	v_pk_min_f16 v108, v108, v114
	;; [unrolled: 3-line block ×10, first 2 shown]
	s_waitcnt lgkmcnt(2)
	v_pk_add_f16 v114, v8, v24
	v_pk_max_f16 v96, v96, v96
	v_pk_min_f16 v97, v97, v114
	v_pk_add_f16 v114, v10, v24
	v_pk_max_f16 v95, v95, v95
	v_pk_min_f16 v96, v96, v114
	v_pk_add_f16 v114, v4, v24
	v_pk_max_f16 v94, v94, v94
	v_pk_min_f16 v95, v95, v114
	v_pk_add_f16 v114, v6, v24
	v_pk_max_f16 v92, v92, v92
	v_pk_min_f16 v94, v94, v114
	v_pk_add_f16 v114, v0, v24
	v_pk_max_f16 v91, v91, v91
	v_pk_min_f16 v92, v92, v114
	v_pk_add_f16 v114, v2, v24
	v_pk_max_f16 v89, v89, v89
	v_pk_min_f16 v91, v91, v114
	v_pk_add_f16 v114, v12, v24
	v_pk_add_f16 v24, v14, v24
	v_pk_max_f16 v88, v88, v88
	v_pk_min_f16 v24, v89, v24
	v_pk_add_f16 v89, v8, v26
	v_pk_max_f16 v87, v87, v87
	v_pk_min_f16 v88, v88, v89
	;; [unrolled: 3-line block ×7, first 2 shown]
	v_pk_add_f16 v89, v12, v26
	v_pk_add_f16 v26, v14, v26
	v_pk_max_f16 v80, v80, v80
	v_pk_min_f16 v26, v81, v26
	s_waitcnt lgkmcnt(1)
	v_pk_add_f16 v81, v8, v20
	v_pk_max_f16 v79, v79, v79
	v_pk_min_f16 v80, v80, v81
	v_pk_add_f16 v81, v10, v20
	v_pk_max_f16 v78, v78, v78
	v_pk_min_f16 v79, v79, v81
	;; [unrolled: 3-line block ×6, first 2 shown]
	v_pk_add_f16 v81, v12, v20
	v_pk_add_f16 v20, v14, v20
	v_pk_max_f16 v72, v72, v72
	v_pk_min_f16 v20, v73, v20
	v_pk_add_f16 v73, v8, v22
	v_pk_max_f16 v71, v71, v71
	v_pk_min_f16 v72, v72, v73
	;; [unrolled: 3-line block ×7, first 2 shown]
	v_pk_add_f16 v73, v12, v22
	v_pk_add_f16 v22, v14, v22
	v_pk_max_f16 v64, v64, v64
	v_pk_min_f16 v22, v65, v22
	s_waitcnt lgkmcnt(0)
	v_pk_add_f16 v65, v8, v16
	v_pk_max_f16 v63, v63, v63
	v_pk_min_f16 v64, v64, v65
	v_pk_add_f16 v65, v10, v16
	v_pk_max_f16 v62, v62, v62
	v_pk_min_f16 v63, v63, v65
	;; [unrolled: 3-line block ×5, first 2 shown]
	v_pk_add_f16 v65, v2, v16
	v_pk_add_f16 v8, v8, v18
	v_pk_min_f16 v59, v59, v65
	v_pk_add_f16 v65, v12, v16
	v_pk_add_f16 v16, v14, v16
	;; [unrolled: 1-line block ×9, first 2 shown]
	v_pk_max_f16 v18, v29, v29
	v_pk_max_f16 v90, v90, v90
	v_pk_min_f16 v14, v18, v14
	v_pk_add_f16 v18, v9, v131
	v_pk_min_f16 v90, v90, v114
	v_pk_min_f16 v118, v46, v18
	v_pk_add_f16 v18, v11, v131
	v_pk_max_f16 v82, v82, v82
	v_pk_min_f16 v117, v47, v18
	v_pk_add_f16 v18, v5, v131
	v_pk_min_f16 v82, v82, v89
	v_pk_min_f16 v116, v113, v18
	v_pk_add_f16 v18, v7, v131
	;; [unrolled: 6-line block ×5, first 2 shown]
	v_pk_max_f16 v52, v52, v52
	v_pk_min_f16 v109, v106, v18
	v_pk_add_f16 v18, v5, v133
	v_pk_max_f16 v54, v54, v54
	v_pk_min_f16 v108, v105, v18
	v_pk_add_f16 v18, v7, v133
	v_pk_min_f16 v0, v52, v0
	v_pk_min_f16 v107, v104, v18
	v_pk_add_f16 v18, v1, v133
	v_pk_max_f16 v31, v31, v31
	v_pk_min_f16 v106, v103, v18
	v_pk_add_f16 v18, v3, v133
	v_pk_max_f16 v56, v56, v56
	v_pk_min_f16 v105, v100, v18
	v_pk_add_f16 v18, v13, v133
	v_pk_min_f16 v4, v54, v4
	v_pk_min_f16 v104, v99, v18
	v_pk_add_f16 v18, v15, v133
	v_pk_max_f16 v53, v53, v53
	v_pk_min_f16 v103, v98, v18
	v_pk_add_f16 v18, v9, v25
	v_pk_min_f16 v2, v31, v2
	v_pk_min_f16 v100, v97, v18
	v_pk_add_f16 v18, v11, v25
	v_pk_max_f16 v30, v30, v30
	v_pk_min_f16 v99, v96, v18
	v_pk_add_f16 v18, v5, v25
	v_pk_max_f16 v57, v57, v57
	v_pk_min_f16 v98, v95, v18
	v_pk_add_f16 v18, v7, v25
	v_pk_min_f16 v8, v56, v8
	v_pk_min_f16 v97, v94, v18
	v_pk_add_f16 v18, v1, v25
	v_pk_max_f16 v55, v55, v55
	v_pk_min_f16 v96, v92, v18
	v_pk_add_f16 v18, v3, v25
	v_pk_min_f16 v6, v53, v6
	v_pk_min_f16 v95, v91, v18
	v_pk_add_f16 v18, v13, v25
	v_pk_min_f16 v12, v30, v12
	;; [unrolled: 3-line block ×4, first 2 shown]
	v_pk_min_f16 v91, v88, v18
	v_pk_add_f16 v18, v11, v27
	s_add_i32 s36, s36, 8
	v_pk_min_f16 v90, v87, v18
	v_pk_add_f16 v18, v5, v27
	s_cmp_ge_i32 s36, s42
	v_pk_min_f16 v89, v86, v18
	v_pk_add_f16 v18, v7, v27
	v_lshl_add_u64 v[40:41], v[40:41], 0, s[16:17]
	v_pk_min_f16 v88, v85, v18
	v_pk_add_f16 v18, v1, v27
	ds_write_b16 v120, v125
	ds_write_b16 v121, v126
	ds_write_b16 v121, v127 offset:512
	ds_write_b16 v121, v128 offset:1024
	;; [unrolled: 1-line block ×3, first 2 shown]
	v_pk_min_f16 v87, v84, v18
	v_pk_add_f16 v18, v3, v27
	s_waitcnt lgkmcnt(0)
	v_pk_min_f16 v86, v83, v18
	v_pk_add_f16 v18, v13, v27
	s_barrier
	v_pk_min_f16 v85, v82, v18
	v_pk_add_f16 v18, v15, v27
	s_nop 0
	v_pk_min_f16 v84, v26, v18
	v_pk_add_f16 v18, v9, v21
	s_nop 0
	;; [unrolled: 3-line block ×17, first 2 shown]
	v_pk_min_f16 v68, v22, v18
	v_pk_add_f16 v18, v9, v17
	v_pk_add_f16 v9, v9, v19
	v_pk_min_f16 v67, v64, v18
	v_pk_add_f16 v18, v11, v17
	s_nop 0
	v_pk_min_f16 v66, v63, v18
	v_pk_add_f16 v18, v5, v17
	v_pk_add_f16 v5, v5, v19
	v_pk_min_f16 v65, v62, v18
	v_pk_add_f16 v18, v7, v17
	v_pk_min_f16 v57, v4, v5
	v_pk_min_f16 v64, v61, v18
	v_pk_add_f16 v18, v1, v17
	v_pk_add_f16 v1, v1, v19
	v_pk_min_f16 v63, v60, v18
	v_pk_min_f16 v54, v0, v1
	v_pk_add_f16 v0, v3, v19
	v_pk_add_f16 v18, v3, v17
	v_pk_min_f16 v53, v2, v0
	v_pk_add_f16 v0, v13, v19
	v_pk_min_f16 v62, v59, v18
	v_pk_add_f16 v18, v13, v17
	v_pk_add_f16 v17, v15, v17
	v_pk_min_f16 v59, v8, v9
	v_pk_add_f16 v8, v11, v19
	;; [unrolled: 3-line block ×3, first 2 shown]
	v_pk_min_f16 v61, v58, v18
	v_pk_min_f16 v60, v16, v17
	;; [unrolled: 1-line block ×5, first 2 shown]
	s_cbranch_scc1 .LBB275_56
.LBB275_36:                             ; =>This Inner Loop Header: Depth=1
	v_add_u32_e32 v46, s36, v50
	v_add_u32_e32 v0, 8, v46
	v_cmp_le_i32_e64 s[10:11], s22, v0
	s_or_b64 s[12:13], vcc, s[10:11]
	v_cndmask_b32_e64 v47, 0, v124, s[12:13]
	s_or_b64 s[12:13], s[30:31], s[12:13]
	s_xor_b64 s[38:39], s[12:13], -1
	s_and_saveexec_b64 s[12:13], s[38:39]
	s_cbranch_execz .LBB275_38
; %bb.37:                               ;   in Loop: Header=BB275_36 Depth=1
	v_lshl_add_u64 v[2:3], v[40:41], 0, v[44:45]
	flat_load_ushort v1, v[2:3]
	s_waitcnt vmcnt(0) lgkmcnt(0)
	v_mul_f16_e32 v47, s23, v1
.LBB275_38:                             ;   in Loop: Header=BB275_36 Depth=1
	s_or_b64 exec, exec, s[12:13]
	v_min_i32_e32 v0, s40, v0
	v_mad_i64_i32 v[0:1], s[12:13], v0, s41, 0
	s_or_b64 s[12:13], s[14:15], s[10:11]
	s_nop 0
	v_cndmask_b32_e64 v125, 0, v124, s[12:13]
	s_or_b64 s[12:13], s[30:31], s[12:13]
	v_lshl_add_u64 v[0:1], v[0:1], 1, s[34:35]
	s_xor_b64 s[38:39], s[12:13], -1
	s_and_saveexec_b64 s[12:13], s[38:39]
	s_cbranch_execz .LBB275_40
; %bb.39:                               ;   in Loop: Header=BB275_36 Depth=1
	v_lshl_add_u64 v[2:3], v[32:33], 1, v[0:1]
	flat_load_ushort v2, v[2:3]
	s_waitcnt vmcnt(0) lgkmcnt(0)
	v_mul_f16_e32 v125, s23, v2
.LBB275_40:                             ;   in Loop: Header=BB275_36 Depth=1
	s_or_b64 exec, exec, s[12:13]
	s_or_b64 s[12:13], s[4:5], s[10:11]
	v_cndmask_b32_e64 v126, 0, v124, s[12:13]
	s_or_b64 s[12:13], s[30:31], s[12:13]
	s_xor_b64 s[38:39], s[12:13], -1
	s_and_saveexec_b64 s[12:13], s[38:39]
	s_cbranch_execz .LBB275_42
; %bb.41:                               ;   in Loop: Header=BB275_36 Depth=1
	v_lshl_add_u64 v[2:3], v[34:35], 1, v[0:1]
	flat_load_ushort v2, v[2:3]
	s_waitcnt vmcnt(0) lgkmcnt(0)
	v_mul_f16_e32 v126, s23, v2
.LBB275_42:                             ;   in Loop: Header=BB275_36 Depth=1
	s_or_b64 exec, exec, s[12:13]
	s_or_b64 s[12:13], s[6:7], s[10:11]
	v_cndmask_b32_e64 v127, 0, v124, s[12:13]
	s_or_b64 s[12:13], s[30:31], s[12:13]
	;; [unrolled: 13-line block ×3, first 2 shown]
	s_xor_b64 s[12:13], s[10:11], -1
	s_and_saveexec_b64 s[10:11], s[12:13]
	s_cbranch_execz .LBB275_46
; %bb.45:                               ;   in Loop: Header=BB275_36 Depth=1
	v_lshl_add_u64 v[0:1], v[38:39], 1, v[0:1]
	flat_load_ushort v0, v[0:1]
	s_waitcnt vmcnt(0) lgkmcnt(0)
	v_mul_f16_e32 v128, s23, v0
.LBB275_46:                             ;   in Loop: Header=BB275_36 Depth=1
	s_or_b64 exec, exec, s[10:11]
	ds_read2_b64 v[12:15], v122 offset1:8
	ds_read2_b64 v[8:11], v122 offset0:16 offset1:24
	ds_read2_b64 v[4:7], v122 offset0:32 offset1:40
	;; [unrolled: 1-line block ×3, first 2 shown]
	ds_read2_b64 v[28:31], v123 offset1:32
	ds_read2_b64 v[24:27], v123 offset0:64 offset1:96
	ds_read2_b64 v[20:23], v123 offset0:128 offset1:160
	;; [unrolled: 1-line block ×3, first 2 shown]
	v_add_u32_e32 v46, 12, v46
	v_cmp_le_i32_e64 s[10:11], s22, v46
	s_or_b64 s[12:13], vcc, s[10:11]
	ds_write_b16 v119, v47
	ds_write_b16 v101, v125
	ds_write_b16 v101, v126 offset:512
	ds_write_b16 v101, v127 offset:1024
	;; [unrolled: 1-line block ×3, first 2 shown]
	v_cndmask_b32_e64 v125, 0, v124, s[12:13]
	s_or_b64 s[12:13], s[30:31], s[12:13]
	s_xor_b64 s[12:13], s[12:13], -1
	s_waitcnt lgkmcnt(0)
	s_barrier
	s_and_saveexec_b64 s[38:39], s[12:13]
	s_xor_b64 s[12:13], exec, s[38:39]
	s_cbranch_execz .LBB275_48
; %bb.47:                               ;   in Loop: Header=BB275_36 Depth=1
	v_lshl_add_u64 v[126:127], v[40:41], 0, v[42:43]
	flat_load_ushort v47, v[126:127]
	s_waitcnt vmcnt(0) lgkmcnt(0)
	v_mul_f16_e32 v125, s23, v47
.LBB275_48:                             ;   in Loop: Header=BB275_36 Depth=1
	s_or_b64 exec, exec, s[12:13]
	v_min_i32_e32 v46, s40, v46
	v_mad_i64_i32 v[46:47], s[12:13], v46, s41, 0
	s_or_b64 s[12:13], s[14:15], s[10:11]
	s_nop 0
	v_cndmask_b32_e64 v126, 0, v124, s[12:13]
	s_or_b64 s[12:13], s[30:31], s[12:13]
	v_lshl_add_u64 v[46:47], v[46:47], 1, s[34:35]
	s_xor_b64 s[38:39], s[12:13], -1
	s_and_saveexec_b64 s[12:13], s[38:39]
	s_cbranch_execz .LBB275_50
; %bb.49:                               ;   in Loop: Header=BB275_36 Depth=1
	v_lshl_add_u64 v[126:127], v[32:33], 1, v[46:47]
	flat_load_ushort v126, v[126:127]
	s_waitcnt vmcnt(0) lgkmcnt(0)
	v_mul_f16_e32 v126, s23, v126
.LBB275_50:                             ;   in Loop: Header=BB275_36 Depth=1
	s_or_b64 exec, exec, s[12:13]
	s_or_b64 s[12:13], s[4:5], s[10:11]
	v_cndmask_b32_e64 v127, 0, v124, s[12:13]
	s_or_b64 s[12:13], s[30:31], s[12:13]
	s_xor_b64 s[38:39], s[12:13], -1
	s_and_saveexec_b64 s[12:13], s[38:39]
	s_cbranch_execz .LBB275_52
; %bb.51:                               ;   in Loop: Header=BB275_36 Depth=1
	v_lshl_add_u64 v[128:129], v[34:35], 1, v[46:47]
	flat_load_ushort v127, v[128:129]
	s_waitcnt vmcnt(0) lgkmcnt(0)
	v_mul_f16_e32 v127, s23, v127
.LBB275_52:                             ;   in Loop: Header=BB275_36 Depth=1
	s_or_b64 exec, exec, s[12:13]
	s_or_b64 s[12:13], s[6:7], s[10:11]
	v_cndmask_b32_e64 v128, 0, v124, s[12:13]
	s_or_b64 s[12:13], s[30:31], s[12:13]
	s_xor_b64 s[38:39], s[12:13], -1
	s_and_saveexec_b64 s[12:13], s[38:39]
	s_cbranch_execz .LBB275_54
; %bb.53:                               ;   in Loop: Header=BB275_36 Depth=1
	v_lshl_add_u64 v[128:129], v[36:37], 1, v[46:47]
	flat_load_ushort v128, v[128:129]
	s_waitcnt vmcnt(0) lgkmcnt(0)
	v_mul_f16_e32 v128, s23, v128
.LBB275_54:                             ;   in Loop: Header=BB275_36 Depth=1
	s_or_b64 exec, exec, s[12:13]
	v_pk_add_f16 v129, v12, v28
	v_pk_max_f16 v118, v118, v118
	v_pk_max_f16 v117, v117, v117
	v_pk_min_f16 v118, v118, v129
	v_pk_add_f16 v129, v14, v28
	v_pk_max_f16 v116, v116, v116
	v_pk_min_f16 v117, v117, v129
	v_pk_add_f16 v129, v8, v28
	v_pk_max_f16 v115, v115, v115
	v_pk_min_f16 v116, v116, v129
	v_pk_add_f16 v129, v10, v28
	v_pk_max_f16 v114, v114, v114
	v_pk_min_f16 v129, v115, v129
	v_pk_add_f16 v115, v4, v28
	v_pk_max_f16 v113, v113, v113
	v_pk_min_f16 v130, v114, v115
	v_pk_add_f16 v114, v6, v28
	v_pk_max_f16 v111, v111, v111
	v_pk_min_f16 v131, v113, v114
	v_pk_add_f16 v113, v0, v28
	v_pk_add_f16 v28, v2, v28
	v_pk_max_f16 v110, v110, v110
	v_pk_min_f16 v28, v111, v28
	v_pk_add_f16 v111, v12, v30
	v_pk_max_f16 v109, v109, v109
	v_pk_min_f16 v133, v110, v111
	v_pk_add_f16 v110, v14, v30
	v_pk_max_f16 v108, v108, v108
	v_pk_min_f16 v134, v109, v110
	v_pk_add_f16 v109, v8, v30
	v_pk_max_f16 v107, v107, v107
	v_pk_min_f16 v135, v108, v109
	v_pk_add_f16 v108, v10, v30
	v_pk_max_f16 v106, v106, v106
	v_pk_min_f16 v136, v107, v108
	v_pk_add_f16 v107, v4, v30
	v_pk_max_f16 v105, v105, v105
	v_pk_min_f16 v137, v106, v107
	v_pk_add_f16 v106, v6, v30
	v_pk_max_f16 v103, v103, v103
	v_pk_min_f16 v138, v105, v106
	v_pk_add_f16 v105, v0, v30
	v_pk_add_f16 v30, v2, v30
	v_pk_max_f16 v100, v100, v100
	v_pk_min_f16 v30, v103, v30
	v_pk_add_f16 v103, v12, v24
	;; [unrolled: 22-line block ×6, first 2 shown]
	v_pk_max_f16 v66, v66, v66
	v_pk_min_f16 v168, v67, v68
	v_pk_add_f16 v67, v14, v16
	v_pk_max_f16 v65, v65, v65
	v_pk_min_f16 v169, v66, v67
	v_pk_add_f16 v66, v8, v16
	;; [unrolled: 3-line block ×5, first 2 shown]
	v_pk_add_f16 v12, v12, v18
	v_pk_min_f16 v173, v62, v63
	v_pk_add_f16 v62, v0, v16
	v_pk_add_f16 v16, v2, v16
	;; [unrolled: 1-line block ×9, first 2 shown]
	v_pk_max_f16 v18, v56, v56
	v_pk_max_f16 v112, v112, v112
	v_pk_min_f16 v2, v18, v2
	v_pk_add_f16 v18, v13, v29
	v_pk_min_f16 v132, v112, v113
	v_pk_min_f16 v115, v118, v18
	v_pk_add_f16 v18, v15, v29
	v_pk_max_f16 v104, v104, v104
	v_pk_min_f16 v114, v117, v18
	v_pk_add_f16 v18, v9, v29
	v_pk_min_f16 v139, v104, v105
	v_pk_min_f16 v113, v116, v18
	v_pk_add_f16 v18, v11, v29
	;; [unrolled: 6-line block ×8, first 2 shown]
	v_pk_max_f16 v59, v59, v59
	v_pk_min_f16 v98, v30, v18
	v_pk_add_f16 v18, v13, v25
	v_pk_max_f16 v57, v57, v57
	v_pk_min_f16 v97, v140, v18
	v_pk_add_f16 v18, v15, v25
	;; [unrolled: 3-line block ×4, first 2 shown]
	v_pk_min_f16 v12, v59, v12
	v_pk_min_f16 v94, v143, v18
	v_pk_add_f16 v18, v5, v25
	v_pk_max_f16 v58, v58, v58
	v_pk_min_f16 v92, v144, v18
	v_pk_add_f16 v18, v7, v25
	v_pk_min_f16 v8, v57, v8
	v_pk_min_f16 v91, v145, v18
	v_pk_add_f16 v18, v1, v25
	v_pk_max_f16 v55, v55, v55
	v_pk_min_f16 v90, v146, v18
	v_pk_add_f16 v18, v3, v25
	;; [unrolled: 6-line block ×3, first 2 shown]
	v_pk_min_f16 v0, v52, v0
	v_pk_min_f16 v87, v148, v18
	v_pk_add_f16 v18, v9, v27
	s_or_b64 s[10:11], s[8:9], s[10:11]
	v_pk_min_f16 v86, v149, v18
	v_pk_add_f16 v18, v11, v27
	v_pk_min_f16 v14, v58, v14
	v_pk_min_f16 v85, v150, v18
	v_pk_add_f16 v18, v5, v27
	v_pk_min_f16 v10, v55, v10
	;; [unrolled: 3-line block ×3, first 2 shown]
	v_pk_min_f16 v83, v152, v18
	v_pk_add_f16 v18, v1, v27
	v_cndmask_b32_e64 v28, 0, v124, s[10:11]
	v_pk_min_f16 v82, v153, v18
	v_pk_add_f16 v18, v3, v27
	s_or_b64 s[10:11], s[30:31], s[10:11]
	v_pk_min_f16 v81, v26, v18
	v_pk_add_f16 v18, v13, v21
	s_xor_b64 s[12:13], s[10:11], -1
	v_pk_min_f16 v80, v154, v18
	v_pk_add_f16 v18, v15, v21
	s_nop 0
	v_pk_min_f16 v79, v155, v18
	v_pk_add_f16 v18, v9, v21
	s_nop 0
	;; [unrolled: 3-line block ×15, first 2 shown]
	v_pk_min_f16 v65, v22, v18
	v_pk_add_f16 v18, v13, v17
	v_pk_add_f16 v13, v13, v19
	v_pk_min_f16 v64, v168, v18
	v_pk_add_f16 v18, v15, v17
	v_pk_min_f16 v56, v12, v13
	v_pk_min_f16 v63, v169, v18
	v_pk_add_f16 v18, v9, v17
	v_pk_add_f16 v9, v9, v19
	v_pk_min_f16 v62, v170, v18
	v_pk_add_f16 v18, v11, v17
	v_pk_add_f16 v12, v15, v19
	;; [unrolled: 3-line block ×3, first 2 shown]
	v_pk_min_f16 v60, v172, v18
	v_pk_add_f16 v18, v7, v17
	v_pk_min_f16 v54, v8, v9
	v_pk_min_f16 v59, v173, v18
	v_pk_add_f16 v18, v1, v17
	v_pk_add_f16 v1, v1, v19
	;; [unrolled: 1-line block ×4, first 2 shown]
	v_pk_min_f16 v52, v4, v5
	v_pk_add_f16 v4, v7, v19
	v_pk_min_f16 v30, v0, v1
	v_pk_add_f16 v0, v3, v19
	v_pk_min_f16 v58, v174, v18
	v_pk_min_f16 v57, v16, v17
	;; [unrolled: 1-line block ×6, first 2 shown]
	s_and_saveexec_b64 s[10:11], s[12:13]
	s_cbranch_execz .LBB275_35
; %bb.55:                               ;   in Loop: Header=BB275_36 Depth=1
	v_lshl_add_u64 v[0:1], v[38:39], 1, v[46:47]
	flat_load_ushort v0, v[0:1]
	s_waitcnt vmcnt(0) lgkmcnt(0)
	v_mul_f16_e32 v28, s23, v0
	s_branch .LBB275_35
.LBB275_56:
	s_load_dwordx2 s[4:5], s[0:1], 0x70
	s_load_dword s31, s[0:1], 0x50
	s_load_dword s30, s[0:1], 0x68
	v_add_u32_e32 v0, 0x1000, v51
	v_add_u32_e32 v4, 0x800, v93
	s_waitcnt lgkmcnt(0)
	s_mul_i32 s0, s3, s5
	s_mul_hi_u32 s1, s3, s4
	s_mul_i32 s5, s29, s4
	s_add_i32 s0, s1, s0
	s_add_i32 s1, s0, s5
	s_mul_i32 s0, s3, s4
	ds_read2_b64 v[16:19], v0 offset0:64 offset1:72
	ds_read2_b64 v[12:15], v0 offset0:80 offset1:88
	;; [unrolled: 1-line block ×4, first 2 shown]
	ds_read2_b64 v[28:31], v4 offset1:32
	ds_read2_b64 v[24:27], v4 offset0:64 offset1:96
	ds_read2_b64 v[20:23], v4 offset0:128 offset1:160
	;; [unrolled: 1-line block ×3, first 2 shown]
	s_lshl_b64 s[0:1], s[0:1], 1
	s_add_u32 s22, s18, s0
	v_add_u32_e32 v93, s33, v49
	s_addc_u32 s23, s19, s1
	v_mad_i64_i32 v[34:35], s[0:1], v93, s31, 0
	v_add_u32_e32 v32, s2, v48
	v_lshl_add_u64 v[50:51], v[34:35], 1, s[24:25]
	v_mad_i64_i32 v[34:35], s[0:1], v93, s30, 0
	v_cmp_gt_i32_e64 s[2:3], s20, v32
	v_cmp_gt_i32_e64 s[18:19], s21, v93
	v_lshl_add_u64 v[48:49], v[34:35], 1, s[22:23]
	v_cndmask_b32_e64 v34, 0, 1, s[26:27]
	v_ashrrev_i32_e32 v33, 31, v32
	s_and_b64 s[4:5], s[2:3], s[18:19]
	v_cmp_ne_u32_e64 s[0:1], 1, v34
	s_and_saveexec_b64 s[6:7], s[4:5]
	s_xor_b64 s[4:5], exec, s[6:7]
	s_cbranch_execz .LBB275_61
; %bb.57:
	s_and_b64 vcc, exec, s[0:1]
	s_cbranch_vccnz .LBB275_59
; %bb.58:
	v_lshl_add_u64 v[34:35], v[32:33], 1, v[50:51]
	flat_load_ushort v34, v[34:35]
	s_waitcnt vmcnt(0) lgkmcnt(0)
	v_mul_f16_e32 v34, s28, v34
	s_branch .LBB275_60
.LBB275_59:
	v_mov_b32_e32 v34, 0
.LBB275_60:
	s_waitcnt lgkmcnt(3)
	v_pk_add_f16 v35, v16, v28
	v_pk_max_f16 v36, v118, v118
	s_nop 0
	v_pk_min_f16 v35, v36, v35
	v_pk_add_f16 v36, v17, v29
	s_nop 0
	v_pk_min_f16 v35, v35, v36
	s_nop 0
	v_lshrrev_b32_e32 v36, 16, v35
	v_min3_f16 v36, v34, v35, v36
	v_lshl_add_u64 v[34:35], v[32:33], 1, v[48:49]
	global_store_short v[34:35], v36, off
.LBB275_61:
	s_or_b64 exec, exec, s[4:5]
	v_add_u32_e32 v34, 8, v32
	v_cmp_gt_i32_e64 s[4:5], s20, v34
	v_ashrrev_i32_e32 v35, 31, v34
	s_and_b64 s[8:9], s[4:5], s[18:19]
	s_and_saveexec_b64 s[6:7], s[8:9]
	s_cbranch_execz .LBB275_66
; %bb.62:
	s_and_b64 vcc, exec, s[0:1]
	s_cbranch_vccnz .LBB275_64
; %bb.63:
	v_lshl_add_u64 v[36:37], v[34:35], 1, v[50:51]
	flat_load_ushort v36, v[36:37]
	s_waitcnt vmcnt(0) lgkmcnt(0)
	v_mul_f16_e32 v36, s28, v36
	s_branch .LBB275_65
.LBB275_64:
	v_mov_b32_e32 v36, 0
.LBB275_65:
	s_waitcnt lgkmcnt(3)
	v_pk_add_f16 v37, v18, v28
	v_pk_max_f16 v38, v117, v117
	s_nop 0
	v_pk_min_f16 v37, v38, v37
	v_pk_add_f16 v38, v19, v29
	s_nop 0
	v_pk_min_f16 v37, v37, v38
	s_nop 0
	v_lshrrev_b32_e32 v38, 16, v37
	v_min3_f16 v38, v36, v37, v38
	v_lshl_add_u64 v[36:37], v[34:35], 1, v[48:49]
	global_store_short v[36:37], v38, off
.LBB275_66:
	s_or_b64 exec, exec, s[6:7]
	v_add_u32_e32 v36, 16, v32
	v_cmp_gt_i32_e64 s[6:7], s20, v36
	v_ashrrev_i32_e32 v37, 31, v36
	s_and_b64 s[10:11], s[6:7], s[18:19]
	s_and_saveexec_b64 s[8:9], s[10:11]
	;; [unrolled: 33-line block ×7, first 2 shown]
	s_cbranch_execz .LBB275_96
; %bb.92:
	s_and_b64 vcc, exec, s[0:1]
	s_cbranch_vccnz .LBB275_94
; %bb.93:
	v_lshl_add_u64 v[50:51], v[46:47], 1, v[50:51]
	flat_load_ushort v50, v[50:51]
	s_waitcnt vmcnt(0) lgkmcnt(0)
	v_mul_f16_e32 v50, s28, v50
	s_branch .LBB275_95
.LBB275_94:
	v_mov_b32_e32 v50, 0
.LBB275_95:
	s_waitcnt lgkmcnt(3)
	v_pk_add_f16 v28, v2, v28
	v_pk_max_f16 v51, v111, v111
	v_pk_add_f16 v29, v3, v29
	v_pk_min_f16 v28, v51, v28
	s_nop 0
	v_pk_min_f16 v28, v28, v29
	s_nop 0
	v_lshrrev_b32_e32 v29, 16, v28
	v_min3_f16 v50, v50, v28, v29
	v_lshl_add_u64 v[28:29], v[46:47], 1, v[48:49]
	global_store_short v[28:29], v50, off
.LBB275_96:
	s_or_b64 exec, exec, s[18:19]
	v_add_u32_e32 v50, 32, v93
	s_waitcnt lgkmcnt(3)
	v_mad_i64_i32 v[28:29], s[26:27], v50, s31, 0
	v_cmp_gt_i32_e64 s[18:19], s21, v50
	v_lshl_add_u64 v[48:49], v[28:29], 1, s[24:25]
	v_mad_i64_i32 v[28:29], s[26:27], v50, s30, 0
	v_lshl_add_u64 v[28:29], v[28:29], 1, s[22:23]
	s_and_b64 s[34:35], s[2:3], s[18:19]
	s_and_saveexec_b64 s[26:27], s[34:35]
	s_cbranch_execnz .LBB275_104
; %bb.97:
	s_or_b64 exec, exec, s[26:27]
	s_and_b64 s[34:35], s[4:5], s[18:19]
	s_and_saveexec_b64 s[26:27], s[34:35]
	s_cbranch_execnz .LBB275_108
.LBB275_98:
	s_or_b64 exec, exec, s[26:27]
	s_and_b64 s[34:35], s[6:7], s[18:19]
	s_and_saveexec_b64 s[26:27], s[34:35]
	s_cbranch_execnz .LBB275_112
.LBB275_99:
	s_or_b64 exec, exec, s[26:27]
	s_and_b64 s[34:35], s[8:9], s[18:19]
	s_and_saveexec_b64 s[26:27], s[34:35]
	s_cbranch_execnz .LBB275_116
.LBB275_100:
	s_or_b64 exec, exec, s[26:27]
	s_and_b64 s[34:35], s[10:11], s[18:19]
	s_and_saveexec_b64 s[26:27], s[34:35]
	s_cbranch_execnz .LBB275_120
.LBB275_101:
	s_or_b64 exec, exec, s[26:27]
	s_and_b64 s[34:35], s[12:13], s[18:19]
	s_and_saveexec_b64 s[26:27], s[34:35]
	s_cbranch_execnz .LBB275_124
.LBB275_102:
	s_or_b64 exec, exec, s[26:27]
	s_and_b64 s[34:35], s[14:15], s[18:19]
	s_and_saveexec_b64 s[26:27], s[34:35]
	s_cbranch_execnz .LBB275_128
.LBB275_103:
	s_or_b64 exec, exec, s[26:27]
	s_and_b64 s[26:27], s[16:17], s[18:19]
	s_and_saveexec_b64 s[18:19], s[26:27]
	s_cbranch_execnz .LBB275_132
	s_branch .LBB275_136
.LBB275_104:
	s_and_b64 vcc, exec, s[0:1]
	s_cbranch_vccnz .LBB275_106
; %bb.105:
	v_lshl_add_u64 v[50:51], v[32:33], 1, v[48:49]
	flat_load_ushort v50, v[50:51]
	s_waitcnt vmcnt(0) lgkmcnt(0)
	v_mul_f16_e32 v50, s28, v50
	s_branch .LBB275_107
.LBB275_106:
	v_mov_b32_e32 v50, 0
.LBB275_107:
	v_pk_add_f16 v51, v16, v30
	v_pk_max_f16 v101, v110, v110
	s_nop 0
	v_pk_min_f16 v51, v101, v51
	v_pk_add_f16 v101, v17, v31
	s_nop 0
	v_pk_min_f16 v51, v51, v101
	s_nop 0
	v_lshrrev_b32_e32 v101, 16, v51
	v_min3_f16 v101, v50, v51, v101
	v_lshl_add_u64 v[50:51], v[32:33], 1, v[28:29]
	global_store_short v[50:51], v101, off
	s_or_b64 exec, exec, s[26:27]
	s_and_b64 s[34:35], s[4:5], s[18:19]
	s_and_saveexec_b64 s[26:27], s[34:35]
	s_cbranch_execz .LBB275_98
.LBB275_108:
	s_and_b64 vcc, exec, s[0:1]
	s_cbranch_vccnz .LBB275_110
; %bb.109:
	v_lshl_add_u64 v[50:51], v[34:35], 1, v[48:49]
	flat_load_ushort v50, v[50:51]
	s_waitcnt vmcnt(0) lgkmcnt(0)
	v_mul_f16_e32 v50, s28, v50
	s_branch .LBB275_111
.LBB275_110:
	v_mov_b32_e32 v50, 0
.LBB275_111:
	v_pk_add_f16 v51, v18, v30
	v_pk_max_f16 v101, v109, v109
	s_nop 0
	v_pk_min_f16 v51, v101, v51
	v_pk_add_f16 v101, v19, v31
	s_nop 0
	v_pk_min_f16 v51, v51, v101
	s_nop 0
	v_lshrrev_b32_e32 v101, 16, v51
	v_min3_f16 v101, v50, v51, v101
	v_lshl_add_u64 v[50:51], v[34:35], 1, v[28:29]
	global_store_short v[50:51], v101, off
	s_or_b64 exec, exec, s[26:27]
	s_and_b64 s[34:35], s[6:7], s[18:19]
	s_and_saveexec_b64 s[26:27], s[34:35]
	s_cbranch_execz .LBB275_99
.LBB275_112:
	s_and_b64 vcc, exec, s[0:1]
	s_cbranch_vccnz .LBB275_114
; %bb.113:
	v_lshl_add_u64 v[50:51], v[36:37], 1, v[48:49]
	flat_load_ushort v50, v[50:51]
	s_waitcnt vmcnt(0) lgkmcnt(0)
	v_mul_f16_e32 v50, s28, v50
	s_branch .LBB275_115
.LBB275_114:
	v_mov_b32_e32 v50, 0
.LBB275_115:
	v_pk_add_f16 v51, v12, v30
	v_pk_max_f16 v101, v108, v108
	s_nop 0
	v_pk_min_f16 v51, v101, v51
	v_pk_add_f16 v101, v13, v31
	s_nop 0
	v_pk_min_f16 v51, v51, v101
	s_nop 0
	v_lshrrev_b32_e32 v101, 16, v51
	v_min3_f16 v101, v50, v51, v101
	v_lshl_add_u64 v[50:51], v[36:37], 1, v[28:29]
	global_store_short v[50:51], v101, off
	s_or_b64 exec, exec, s[26:27]
	s_and_b64 s[34:35], s[8:9], s[18:19]
	s_and_saveexec_b64 s[26:27], s[34:35]
	s_cbranch_execz .LBB275_100
.LBB275_116:
	s_and_b64 vcc, exec, s[0:1]
	s_cbranch_vccnz .LBB275_118
; %bb.117:
	v_lshl_add_u64 v[50:51], v[38:39], 1, v[48:49]
	flat_load_ushort v50, v[50:51]
	s_waitcnt vmcnt(0) lgkmcnt(0)
	v_mul_f16_e32 v50, s28, v50
	s_branch .LBB275_119
.LBB275_118:
	v_mov_b32_e32 v50, 0
.LBB275_119:
	v_pk_add_f16 v51, v14, v30
	v_pk_max_f16 v101, v107, v107
	s_nop 0
	v_pk_min_f16 v51, v101, v51
	v_pk_add_f16 v101, v15, v31
	s_nop 0
	v_pk_min_f16 v51, v51, v101
	s_nop 0
	v_lshrrev_b32_e32 v101, 16, v51
	v_min3_f16 v101, v50, v51, v101
	v_lshl_add_u64 v[50:51], v[38:39], 1, v[28:29]
	global_store_short v[50:51], v101, off
	s_or_b64 exec, exec, s[26:27]
	s_and_b64 s[34:35], s[10:11], s[18:19]
	s_and_saveexec_b64 s[26:27], s[34:35]
	s_cbranch_execz .LBB275_101
.LBB275_120:
	s_and_b64 vcc, exec, s[0:1]
	s_cbranch_vccnz .LBB275_122
; %bb.121:
	v_lshl_add_u64 v[50:51], v[40:41], 1, v[48:49]
	flat_load_ushort v50, v[50:51]
	s_waitcnt vmcnt(0) lgkmcnt(0)
	v_mul_f16_e32 v50, s28, v50
	s_branch .LBB275_123
.LBB275_122:
	v_mov_b32_e32 v50, 0
.LBB275_123:
	v_pk_add_f16 v51, v8, v30
	v_pk_max_f16 v101, v106, v106
	s_nop 0
	v_pk_min_f16 v51, v101, v51
	v_pk_add_f16 v101, v9, v31
	s_nop 0
	v_pk_min_f16 v51, v51, v101
	s_nop 0
	v_lshrrev_b32_e32 v101, 16, v51
	v_min3_f16 v101, v50, v51, v101
	v_lshl_add_u64 v[50:51], v[40:41], 1, v[28:29]
	global_store_short v[50:51], v101, off
	s_or_b64 exec, exec, s[26:27]
	s_and_b64 s[34:35], s[12:13], s[18:19]
	s_and_saveexec_b64 s[26:27], s[34:35]
	s_cbranch_execz .LBB275_102
.LBB275_124:
	s_and_b64 vcc, exec, s[0:1]
	s_cbranch_vccnz .LBB275_126
; %bb.125:
	v_lshl_add_u64 v[50:51], v[42:43], 1, v[48:49]
	flat_load_ushort v50, v[50:51]
	s_waitcnt vmcnt(0) lgkmcnt(0)
	v_mul_f16_e32 v50, s28, v50
	s_branch .LBB275_127
.LBB275_126:
	v_mov_b32_e32 v50, 0
.LBB275_127:
	v_pk_add_f16 v51, v10, v30
	v_pk_max_f16 v101, v105, v105
	s_nop 0
	v_pk_min_f16 v51, v101, v51
	v_pk_add_f16 v101, v11, v31
	s_nop 0
	v_pk_min_f16 v51, v51, v101
	s_nop 0
	v_lshrrev_b32_e32 v101, 16, v51
	v_min3_f16 v101, v50, v51, v101
	v_lshl_add_u64 v[50:51], v[42:43], 1, v[28:29]
	global_store_short v[50:51], v101, off
	s_or_b64 exec, exec, s[26:27]
	s_and_b64 s[34:35], s[14:15], s[18:19]
	s_and_saveexec_b64 s[26:27], s[34:35]
	s_cbranch_execz .LBB275_103
.LBB275_128:
	s_and_b64 vcc, exec, s[0:1]
	s_cbranch_vccnz .LBB275_130
; %bb.129:
	v_lshl_add_u64 v[50:51], v[44:45], 1, v[48:49]
	flat_load_ushort v50, v[50:51]
	s_waitcnt vmcnt(0) lgkmcnt(0)
	v_mul_f16_e32 v50, s28, v50
	s_branch .LBB275_131
.LBB275_130:
	v_mov_b32_e32 v50, 0
.LBB275_131:
	v_pk_add_f16 v51, v0, v30
	v_pk_max_f16 v101, v104, v104
	s_nop 0
	v_pk_min_f16 v51, v101, v51
	v_pk_add_f16 v101, v1, v31
	s_nop 0
	v_pk_min_f16 v51, v51, v101
	s_nop 0
	v_lshrrev_b32_e32 v101, 16, v51
	v_min3_f16 v101, v50, v51, v101
	v_lshl_add_u64 v[50:51], v[44:45], 1, v[28:29]
	global_store_short v[50:51], v101, off
	s_or_b64 exec, exec, s[26:27]
	s_and_b64 s[26:27], s[16:17], s[18:19]
	s_and_saveexec_b64 s[18:19], s[26:27]
	s_cbranch_execz .LBB275_136
.LBB275_132:
	s_and_b64 vcc, exec, s[0:1]
	s_cbranch_vccnz .LBB275_134
; %bb.133:
	v_lshl_add_u64 v[48:49], v[46:47], 1, v[48:49]
	flat_load_ushort v48, v[48:49]
	s_waitcnt vmcnt(0) lgkmcnt(0)
	v_mul_f16_e32 v48, s28, v48
	s_branch .LBB275_135
.LBB275_134:
	v_mov_b32_e32 v48, 0
.LBB275_135:
	v_pk_add_f16 v30, v2, v30
	v_pk_max_f16 v49, v103, v103
	v_pk_add_f16 v31, v3, v31
	v_pk_min_f16 v30, v49, v30
	v_lshl_add_u64 v[28:29], v[46:47], 1, v[28:29]
	v_pk_min_f16 v30, v30, v31
	s_nop 0
	v_lshrrev_b32_e32 v31, 16, v30
	v_min3_f16 v30, v48, v30, v31
	global_store_short v[28:29], v30, off
.LBB275_136:
	s_or_b64 exec, exec, s[18:19]
	v_add_u32_e32 v48, 64, v93
	v_mad_i64_i32 v[28:29], s[26:27], v48, s31, 0
	v_cmp_gt_i32_e64 s[18:19], s21, v48
	v_lshl_add_u64 v[30:31], v[28:29], 1, s[24:25]
	v_mad_i64_i32 v[28:29], s[26:27], v48, s30, 0
	v_lshl_add_u64 v[28:29], v[28:29], 1, s[22:23]
	s_and_b64 s[34:35], s[2:3], s[18:19]
	s_and_saveexec_b64 s[26:27], s[34:35]
	s_cbranch_execnz .LBB275_144
; %bb.137:
	s_or_b64 exec, exec, s[26:27]
	s_and_b64 s[34:35], s[4:5], s[18:19]
	s_and_saveexec_b64 s[26:27], s[34:35]
	s_cbranch_execnz .LBB275_148
.LBB275_138:
	s_or_b64 exec, exec, s[26:27]
	s_and_b64 s[34:35], s[6:7], s[18:19]
	s_and_saveexec_b64 s[26:27], s[34:35]
	s_cbranch_execnz .LBB275_152
.LBB275_139:
	s_or_b64 exec, exec, s[26:27]
	s_and_b64 s[34:35], s[8:9], s[18:19]
	s_and_saveexec_b64 s[26:27], s[34:35]
	s_cbranch_execnz .LBB275_156
.LBB275_140:
	s_or_b64 exec, exec, s[26:27]
	s_and_b64 s[34:35], s[10:11], s[18:19]
	s_and_saveexec_b64 s[26:27], s[34:35]
	s_cbranch_execnz .LBB275_160
.LBB275_141:
	s_or_b64 exec, exec, s[26:27]
	s_and_b64 s[34:35], s[12:13], s[18:19]
	s_and_saveexec_b64 s[26:27], s[34:35]
	s_cbranch_execnz .LBB275_164
.LBB275_142:
	s_or_b64 exec, exec, s[26:27]
	s_and_b64 s[34:35], s[14:15], s[18:19]
	s_and_saveexec_b64 s[26:27], s[34:35]
	s_cbranch_execnz .LBB275_168
.LBB275_143:
	s_or_b64 exec, exec, s[26:27]
	s_and_b64 s[26:27], s[16:17], s[18:19]
	s_and_saveexec_b64 s[18:19], s[26:27]
	s_cbranch_execnz .LBB275_172
	s_branch .LBB275_176
.LBB275_144:
	s_and_b64 vcc, exec, s[0:1]
	s_cbranch_vccnz .LBB275_146
; %bb.145:
	v_lshl_add_u64 v[48:49], v[32:33], 1, v[30:31]
	flat_load_ushort v48, v[48:49]
	s_waitcnt vmcnt(0) lgkmcnt(0)
	v_mul_f16_e32 v48, s28, v48
	s_branch .LBB275_147
.LBB275_146:
	v_mov_b32_e32 v48, 0
.LBB275_147:
	s_waitcnt lgkmcnt(2)
	v_pk_add_f16 v49, v16, v24
	v_pk_max_f16 v50, v100, v100
	s_nop 0
	v_pk_min_f16 v49, v50, v49
	v_pk_add_f16 v50, v17, v25
	s_nop 0
	v_pk_min_f16 v49, v49, v50
	s_nop 0
	v_lshrrev_b32_e32 v50, 16, v49
	v_min3_f16 v50, v48, v49, v50
	v_lshl_add_u64 v[48:49], v[32:33], 1, v[28:29]
	global_store_short v[48:49], v50, off
	s_or_b64 exec, exec, s[26:27]
	s_and_b64 s[34:35], s[4:5], s[18:19]
	s_and_saveexec_b64 s[26:27], s[34:35]
	s_cbranch_execz .LBB275_138
.LBB275_148:
	s_and_b64 vcc, exec, s[0:1]
	s_cbranch_vccnz .LBB275_150
; %bb.149:
	v_lshl_add_u64 v[48:49], v[34:35], 1, v[30:31]
	flat_load_ushort v48, v[48:49]
	s_waitcnt vmcnt(0) lgkmcnt(0)
	v_mul_f16_e32 v48, s28, v48
	s_branch .LBB275_151
.LBB275_150:
	v_mov_b32_e32 v48, 0
.LBB275_151:
	s_waitcnt lgkmcnt(2)
	v_pk_add_f16 v49, v18, v24
	v_pk_max_f16 v50, v99, v99
	s_nop 0
	v_pk_min_f16 v49, v50, v49
	v_pk_add_f16 v50, v19, v25
	s_nop 0
	v_pk_min_f16 v49, v49, v50
	s_nop 0
	v_lshrrev_b32_e32 v50, 16, v49
	v_min3_f16 v50, v48, v49, v50
	v_lshl_add_u64 v[48:49], v[34:35], 1, v[28:29]
	global_store_short v[48:49], v50, off
	s_or_b64 exec, exec, s[26:27]
	s_and_b64 s[34:35], s[6:7], s[18:19]
	s_and_saveexec_b64 s[26:27], s[34:35]
	s_cbranch_execz .LBB275_139
.LBB275_152:
	s_and_b64 vcc, exec, s[0:1]
	s_cbranch_vccnz .LBB275_154
; %bb.153:
	v_lshl_add_u64 v[48:49], v[36:37], 1, v[30:31]
	flat_load_ushort v48, v[48:49]
	s_waitcnt vmcnt(0) lgkmcnt(0)
	v_mul_f16_e32 v48, s28, v48
	s_branch .LBB275_155
.LBB275_154:
	v_mov_b32_e32 v48, 0
.LBB275_155:
	s_waitcnt lgkmcnt(2)
	v_pk_add_f16 v49, v12, v24
	v_pk_max_f16 v50, v98, v98
	s_nop 0
	v_pk_min_f16 v49, v50, v49
	v_pk_add_f16 v50, v13, v25
	s_nop 0
	v_pk_min_f16 v49, v49, v50
	s_nop 0
	v_lshrrev_b32_e32 v50, 16, v49
	v_min3_f16 v50, v48, v49, v50
	v_lshl_add_u64 v[48:49], v[36:37], 1, v[28:29]
	global_store_short v[48:49], v50, off
	s_or_b64 exec, exec, s[26:27]
	s_and_b64 s[34:35], s[8:9], s[18:19]
	s_and_saveexec_b64 s[26:27], s[34:35]
	s_cbranch_execz .LBB275_140
.LBB275_156:
	s_and_b64 vcc, exec, s[0:1]
	s_cbranch_vccnz .LBB275_158
; %bb.157:
	v_lshl_add_u64 v[48:49], v[38:39], 1, v[30:31]
	flat_load_ushort v48, v[48:49]
	s_waitcnt vmcnt(0) lgkmcnt(0)
	v_mul_f16_e32 v48, s28, v48
	s_branch .LBB275_159
.LBB275_158:
	v_mov_b32_e32 v48, 0
.LBB275_159:
	s_waitcnt lgkmcnt(2)
	v_pk_add_f16 v49, v14, v24
	v_pk_max_f16 v50, v97, v97
	s_nop 0
	v_pk_min_f16 v49, v50, v49
	v_pk_add_f16 v50, v15, v25
	s_nop 0
	v_pk_min_f16 v49, v49, v50
	s_nop 0
	v_lshrrev_b32_e32 v50, 16, v49
	v_min3_f16 v50, v48, v49, v50
	v_lshl_add_u64 v[48:49], v[38:39], 1, v[28:29]
	global_store_short v[48:49], v50, off
	s_or_b64 exec, exec, s[26:27]
	s_and_b64 s[34:35], s[10:11], s[18:19]
	s_and_saveexec_b64 s[26:27], s[34:35]
	s_cbranch_execz .LBB275_141
.LBB275_160:
	s_and_b64 vcc, exec, s[0:1]
	s_cbranch_vccnz .LBB275_162
; %bb.161:
	v_lshl_add_u64 v[48:49], v[40:41], 1, v[30:31]
	flat_load_ushort v48, v[48:49]
	s_waitcnt vmcnt(0) lgkmcnt(0)
	v_mul_f16_e32 v48, s28, v48
	s_branch .LBB275_163
.LBB275_162:
	v_mov_b32_e32 v48, 0
.LBB275_163:
	s_waitcnt lgkmcnt(2)
	v_pk_add_f16 v49, v8, v24
	v_pk_max_f16 v50, v96, v96
	s_nop 0
	v_pk_min_f16 v49, v50, v49
	v_pk_add_f16 v50, v9, v25
	s_nop 0
	v_pk_min_f16 v49, v49, v50
	s_nop 0
	v_lshrrev_b32_e32 v50, 16, v49
	v_min3_f16 v50, v48, v49, v50
	v_lshl_add_u64 v[48:49], v[40:41], 1, v[28:29]
	global_store_short v[48:49], v50, off
	s_or_b64 exec, exec, s[26:27]
	s_and_b64 s[34:35], s[12:13], s[18:19]
	s_and_saveexec_b64 s[26:27], s[34:35]
	s_cbranch_execz .LBB275_142
.LBB275_164:
	s_and_b64 vcc, exec, s[0:1]
	s_cbranch_vccnz .LBB275_166
; %bb.165:
	v_lshl_add_u64 v[48:49], v[42:43], 1, v[30:31]
	flat_load_ushort v48, v[48:49]
	s_waitcnt vmcnt(0) lgkmcnt(0)
	v_mul_f16_e32 v48, s28, v48
	s_branch .LBB275_167
.LBB275_166:
	v_mov_b32_e32 v48, 0
.LBB275_167:
	s_waitcnt lgkmcnt(2)
	v_pk_add_f16 v49, v10, v24
	v_pk_max_f16 v50, v95, v95
	s_nop 0
	v_pk_min_f16 v49, v50, v49
	v_pk_add_f16 v50, v11, v25
	s_nop 0
	v_pk_min_f16 v49, v49, v50
	s_nop 0
	v_lshrrev_b32_e32 v50, 16, v49
	v_min3_f16 v50, v48, v49, v50
	v_lshl_add_u64 v[48:49], v[42:43], 1, v[28:29]
	global_store_short v[48:49], v50, off
	s_or_b64 exec, exec, s[26:27]
	s_and_b64 s[34:35], s[14:15], s[18:19]
	s_and_saveexec_b64 s[26:27], s[34:35]
	s_cbranch_execz .LBB275_143
.LBB275_168:
	s_and_b64 vcc, exec, s[0:1]
	s_cbranch_vccnz .LBB275_170
; %bb.169:
	v_lshl_add_u64 v[48:49], v[44:45], 1, v[30:31]
	flat_load_ushort v48, v[48:49]
	s_waitcnt vmcnt(0) lgkmcnt(0)
	v_mul_f16_e32 v48, s28, v48
	s_branch .LBB275_171
.LBB275_170:
	v_mov_b32_e32 v48, 0
.LBB275_171:
	s_waitcnt lgkmcnt(2)
	v_pk_add_f16 v49, v0, v24
	v_pk_max_f16 v50, v94, v94
	s_nop 0
	v_pk_min_f16 v49, v50, v49
	v_pk_add_f16 v50, v1, v25
	s_nop 0
	v_pk_min_f16 v49, v49, v50
	s_nop 0
	v_lshrrev_b32_e32 v50, 16, v49
	v_min3_f16 v50, v48, v49, v50
	v_lshl_add_u64 v[48:49], v[44:45], 1, v[28:29]
	global_store_short v[48:49], v50, off
	s_or_b64 exec, exec, s[26:27]
	s_and_b64 s[26:27], s[16:17], s[18:19]
	s_and_saveexec_b64 s[18:19], s[26:27]
	s_cbranch_execz .LBB275_176
.LBB275_172:
	s_and_b64 vcc, exec, s[0:1]
	s_cbranch_vccnz .LBB275_174
; %bb.173:
	v_lshl_add_u64 v[30:31], v[46:47], 1, v[30:31]
	flat_load_ushort v30, v[30:31]
	s_waitcnt vmcnt(0) lgkmcnt(0)
	v_mul_f16_e32 v30, s28, v30
	s_branch .LBB275_175
.LBB275_174:
	v_mov_b32_e32 v30, 0
.LBB275_175:
	s_waitcnt lgkmcnt(2)
	v_pk_add_f16 v24, v2, v24
	v_pk_max_f16 v31, v92, v92
	v_pk_add_f16 v25, v3, v25
	v_pk_min_f16 v24, v31, v24
	s_nop 0
	v_pk_min_f16 v24, v24, v25
	s_nop 0
	v_lshrrev_b32_e32 v25, 16, v24
	v_min3_f16 v30, v30, v24, v25
	v_lshl_add_u64 v[24:25], v[46:47], 1, v[28:29]
	global_store_short v[24:25], v30, off
.LBB275_176:
	s_or_b64 exec, exec, s[18:19]
	v_add_u32_e32 v30, 0x60, v93
	s_waitcnt lgkmcnt(2)
	v_mad_i64_i32 v[24:25], s[26:27], v30, s31, 0
	v_cmp_gt_i32_e64 s[18:19], s21, v30
	v_lshl_add_u64 v[28:29], v[24:25], 1, s[24:25]
	v_mad_i64_i32 v[24:25], s[26:27], v30, s30, 0
	v_lshl_add_u64 v[24:25], v[24:25], 1, s[22:23]
	s_and_b64 s[34:35], s[2:3], s[18:19]
	s_and_saveexec_b64 s[26:27], s[34:35]
	s_cbranch_execnz .LBB275_184
; %bb.177:
	s_or_b64 exec, exec, s[26:27]
	s_and_b64 s[34:35], s[4:5], s[18:19]
	s_and_saveexec_b64 s[26:27], s[34:35]
	s_cbranch_execnz .LBB275_188
.LBB275_178:
	s_or_b64 exec, exec, s[26:27]
	s_and_b64 s[34:35], s[6:7], s[18:19]
	s_and_saveexec_b64 s[26:27], s[34:35]
	s_cbranch_execnz .LBB275_192
.LBB275_179:
	s_or_b64 exec, exec, s[26:27]
	s_and_b64 s[34:35], s[8:9], s[18:19]
	s_and_saveexec_b64 s[26:27], s[34:35]
	s_cbranch_execnz .LBB275_196
.LBB275_180:
	s_or_b64 exec, exec, s[26:27]
	s_and_b64 s[34:35], s[10:11], s[18:19]
	s_and_saveexec_b64 s[26:27], s[34:35]
	s_cbranch_execnz .LBB275_200
.LBB275_181:
	s_or_b64 exec, exec, s[26:27]
	s_and_b64 s[34:35], s[12:13], s[18:19]
	s_and_saveexec_b64 s[26:27], s[34:35]
	s_cbranch_execnz .LBB275_204
.LBB275_182:
	s_or_b64 exec, exec, s[26:27]
	s_and_b64 s[34:35], s[14:15], s[18:19]
	s_and_saveexec_b64 s[26:27], s[34:35]
	s_cbranch_execnz .LBB275_208
.LBB275_183:
	s_or_b64 exec, exec, s[26:27]
	s_and_b64 s[26:27], s[16:17], s[18:19]
	s_and_saveexec_b64 s[18:19], s[26:27]
	s_cbranch_execnz .LBB275_212
	s_branch .LBB275_216
.LBB275_184:
	s_and_b64 vcc, exec, s[0:1]
	s_cbranch_vccnz .LBB275_186
; %bb.185:
	v_lshl_add_u64 v[30:31], v[32:33], 1, v[28:29]
	flat_load_ushort v30, v[30:31]
	s_waitcnt vmcnt(0) lgkmcnt(0)
	v_mul_f16_e32 v30, s28, v30
	s_branch .LBB275_187
.LBB275_186:
	v_mov_b32_e32 v30, 0
.LBB275_187:
	v_pk_add_f16 v31, v16, v26
	v_pk_max_f16 v48, v91, v91
	s_nop 0
	v_pk_min_f16 v31, v48, v31
	v_pk_add_f16 v48, v17, v27
	s_nop 0
	v_pk_min_f16 v31, v31, v48
	s_nop 0
	v_lshrrev_b32_e32 v48, 16, v31
	v_min3_f16 v48, v30, v31, v48
	v_lshl_add_u64 v[30:31], v[32:33], 1, v[24:25]
	global_store_short v[30:31], v48, off
	s_or_b64 exec, exec, s[26:27]
	s_and_b64 s[34:35], s[4:5], s[18:19]
	s_and_saveexec_b64 s[26:27], s[34:35]
	s_cbranch_execz .LBB275_178
.LBB275_188:
	s_and_b64 vcc, exec, s[0:1]
	s_cbranch_vccnz .LBB275_190
; %bb.189:
	v_lshl_add_u64 v[30:31], v[34:35], 1, v[28:29]
	flat_load_ushort v30, v[30:31]
	s_waitcnt vmcnt(0) lgkmcnt(0)
	v_mul_f16_e32 v30, s28, v30
	s_branch .LBB275_191
.LBB275_190:
	v_mov_b32_e32 v30, 0
.LBB275_191:
	v_pk_add_f16 v31, v18, v26
	v_pk_max_f16 v48, v90, v90
	s_nop 0
	v_pk_min_f16 v31, v48, v31
	v_pk_add_f16 v48, v19, v27
	s_nop 0
	v_pk_min_f16 v31, v31, v48
	s_nop 0
	v_lshrrev_b32_e32 v48, 16, v31
	v_min3_f16 v48, v30, v31, v48
	v_lshl_add_u64 v[30:31], v[34:35], 1, v[24:25]
	global_store_short v[30:31], v48, off
	s_or_b64 exec, exec, s[26:27]
	s_and_b64 s[34:35], s[6:7], s[18:19]
	s_and_saveexec_b64 s[26:27], s[34:35]
	s_cbranch_execz .LBB275_179
.LBB275_192:
	s_and_b64 vcc, exec, s[0:1]
	s_cbranch_vccnz .LBB275_194
; %bb.193:
	v_lshl_add_u64 v[30:31], v[36:37], 1, v[28:29]
	flat_load_ushort v30, v[30:31]
	s_waitcnt vmcnt(0) lgkmcnt(0)
	v_mul_f16_e32 v30, s28, v30
	s_branch .LBB275_195
.LBB275_194:
	v_mov_b32_e32 v30, 0
.LBB275_195:
	v_pk_add_f16 v31, v12, v26
	v_pk_max_f16 v48, v89, v89
	s_nop 0
	v_pk_min_f16 v31, v48, v31
	v_pk_add_f16 v48, v13, v27
	s_nop 0
	v_pk_min_f16 v31, v31, v48
	s_nop 0
	v_lshrrev_b32_e32 v48, 16, v31
	v_min3_f16 v48, v30, v31, v48
	v_lshl_add_u64 v[30:31], v[36:37], 1, v[24:25]
	global_store_short v[30:31], v48, off
	s_or_b64 exec, exec, s[26:27]
	s_and_b64 s[34:35], s[8:9], s[18:19]
	s_and_saveexec_b64 s[26:27], s[34:35]
	s_cbranch_execz .LBB275_180
.LBB275_196:
	s_and_b64 vcc, exec, s[0:1]
	s_cbranch_vccnz .LBB275_198
; %bb.197:
	v_lshl_add_u64 v[30:31], v[38:39], 1, v[28:29]
	flat_load_ushort v30, v[30:31]
	s_waitcnt vmcnt(0) lgkmcnt(0)
	v_mul_f16_e32 v30, s28, v30
	s_branch .LBB275_199
.LBB275_198:
	v_mov_b32_e32 v30, 0
.LBB275_199:
	v_pk_add_f16 v31, v14, v26
	v_pk_max_f16 v48, v88, v88
	s_nop 0
	v_pk_min_f16 v31, v48, v31
	v_pk_add_f16 v48, v15, v27
	s_nop 0
	v_pk_min_f16 v31, v31, v48
	s_nop 0
	v_lshrrev_b32_e32 v48, 16, v31
	v_min3_f16 v48, v30, v31, v48
	v_lshl_add_u64 v[30:31], v[38:39], 1, v[24:25]
	global_store_short v[30:31], v48, off
	s_or_b64 exec, exec, s[26:27]
	s_and_b64 s[34:35], s[10:11], s[18:19]
	s_and_saveexec_b64 s[26:27], s[34:35]
	s_cbranch_execz .LBB275_181
.LBB275_200:
	s_and_b64 vcc, exec, s[0:1]
	s_cbranch_vccnz .LBB275_202
; %bb.201:
	v_lshl_add_u64 v[30:31], v[40:41], 1, v[28:29]
	flat_load_ushort v30, v[30:31]
	s_waitcnt vmcnt(0) lgkmcnt(0)
	v_mul_f16_e32 v30, s28, v30
	s_branch .LBB275_203
.LBB275_202:
	v_mov_b32_e32 v30, 0
.LBB275_203:
	v_pk_add_f16 v31, v8, v26
	v_pk_max_f16 v48, v87, v87
	s_nop 0
	v_pk_min_f16 v31, v48, v31
	v_pk_add_f16 v48, v9, v27
	s_nop 0
	v_pk_min_f16 v31, v31, v48
	s_nop 0
	v_lshrrev_b32_e32 v48, 16, v31
	v_min3_f16 v48, v30, v31, v48
	v_lshl_add_u64 v[30:31], v[40:41], 1, v[24:25]
	global_store_short v[30:31], v48, off
	s_or_b64 exec, exec, s[26:27]
	s_and_b64 s[34:35], s[12:13], s[18:19]
	s_and_saveexec_b64 s[26:27], s[34:35]
	s_cbranch_execz .LBB275_182
.LBB275_204:
	s_and_b64 vcc, exec, s[0:1]
	s_cbranch_vccnz .LBB275_206
; %bb.205:
	v_lshl_add_u64 v[30:31], v[42:43], 1, v[28:29]
	flat_load_ushort v30, v[30:31]
	s_waitcnt vmcnt(0) lgkmcnt(0)
	v_mul_f16_e32 v30, s28, v30
	s_branch .LBB275_207
.LBB275_206:
	v_mov_b32_e32 v30, 0
.LBB275_207:
	v_pk_add_f16 v31, v10, v26
	v_pk_max_f16 v48, v86, v86
	s_nop 0
	v_pk_min_f16 v31, v48, v31
	v_pk_add_f16 v48, v11, v27
	s_nop 0
	v_pk_min_f16 v31, v31, v48
	s_nop 0
	v_lshrrev_b32_e32 v48, 16, v31
	v_min3_f16 v48, v30, v31, v48
	v_lshl_add_u64 v[30:31], v[42:43], 1, v[24:25]
	global_store_short v[30:31], v48, off
	s_or_b64 exec, exec, s[26:27]
	s_and_b64 s[34:35], s[14:15], s[18:19]
	s_and_saveexec_b64 s[26:27], s[34:35]
	s_cbranch_execz .LBB275_183
.LBB275_208:
	s_and_b64 vcc, exec, s[0:1]
	s_cbranch_vccnz .LBB275_210
; %bb.209:
	v_lshl_add_u64 v[30:31], v[44:45], 1, v[28:29]
	flat_load_ushort v30, v[30:31]
	s_waitcnt vmcnt(0) lgkmcnt(0)
	v_mul_f16_e32 v30, s28, v30
	s_branch .LBB275_211
.LBB275_210:
	v_mov_b32_e32 v30, 0
.LBB275_211:
	v_pk_add_f16 v31, v0, v26
	v_pk_max_f16 v48, v85, v85
	s_nop 0
	v_pk_min_f16 v31, v48, v31
	v_pk_add_f16 v48, v1, v27
	s_nop 0
	v_pk_min_f16 v31, v31, v48
	s_nop 0
	v_lshrrev_b32_e32 v48, 16, v31
	v_min3_f16 v48, v30, v31, v48
	v_lshl_add_u64 v[30:31], v[44:45], 1, v[24:25]
	global_store_short v[30:31], v48, off
	s_or_b64 exec, exec, s[26:27]
	s_and_b64 s[26:27], s[16:17], s[18:19]
	s_and_saveexec_b64 s[18:19], s[26:27]
	s_cbranch_execz .LBB275_216
.LBB275_212:
	s_and_b64 vcc, exec, s[0:1]
	s_cbranch_vccnz .LBB275_214
; %bb.213:
	v_lshl_add_u64 v[28:29], v[46:47], 1, v[28:29]
	flat_load_ushort v28, v[28:29]
	s_waitcnt vmcnt(0) lgkmcnt(0)
	v_mul_f16_e32 v28, s28, v28
	s_branch .LBB275_215
.LBB275_214:
	v_mov_b32_e32 v28, 0
.LBB275_215:
	v_pk_add_f16 v26, v2, v26
	v_pk_max_f16 v29, v84, v84
	v_pk_add_f16 v27, v3, v27
	v_pk_min_f16 v26, v29, v26
	v_lshl_add_u64 v[24:25], v[46:47], 1, v[24:25]
	v_pk_min_f16 v26, v26, v27
	s_nop 0
	v_lshrrev_b32_e32 v27, 16, v26
	v_min3_f16 v26, v28, v26, v27
	global_store_short v[24:25], v26, off
.LBB275_216:
	s_or_b64 exec, exec, s[18:19]
	v_add_u32_e32 v28, 0x80, v93
	v_mad_i64_i32 v[24:25], s[26:27], v28, s31, 0
	v_cmp_gt_i32_e64 s[18:19], s21, v28
	v_lshl_add_u64 v[26:27], v[24:25], 1, s[24:25]
	v_mad_i64_i32 v[24:25], s[26:27], v28, s30, 0
	v_lshl_add_u64 v[24:25], v[24:25], 1, s[22:23]
	s_and_b64 s[34:35], s[2:3], s[18:19]
	s_and_saveexec_b64 s[26:27], s[34:35]
	s_cbranch_execnz .LBB275_224
; %bb.217:
	s_or_b64 exec, exec, s[26:27]
	s_and_b64 s[34:35], s[4:5], s[18:19]
	s_and_saveexec_b64 s[26:27], s[34:35]
	s_cbranch_execnz .LBB275_228
.LBB275_218:
	s_or_b64 exec, exec, s[26:27]
	s_and_b64 s[34:35], s[6:7], s[18:19]
	s_and_saveexec_b64 s[26:27], s[34:35]
	s_cbranch_execnz .LBB275_232
.LBB275_219:
	s_or_b64 exec, exec, s[26:27]
	s_and_b64 s[34:35], s[8:9], s[18:19]
	s_and_saveexec_b64 s[26:27], s[34:35]
	s_cbranch_execnz .LBB275_236
.LBB275_220:
	s_or_b64 exec, exec, s[26:27]
	s_and_b64 s[34:35], s[10:11], s[18:19]
	s_and_saveexec_b64 s[26:27], s[34:35]
	s_cbranch_execnz .LBB275_240
.LBB275_221:
	s_or_b64 exec, exec, s[26:27]
	s_and_b64 s[34:35], s[12:13], s[18:19]
	s_and_saveexec_b64 s[26:27], s[34:35]
	s_cbranch_execnz .LBB275_244
.LBB275_222:
	s_or_b64 exec, exec, s[26:27]
	s_and_b64 s[34:35], s[14:15], s[18:19]
	s_and_saveexec_b64 s[26:27], s[34:35]
	s_cbranch_execnz .LBB275_248
.LBB275_223:
	s_or_b64 exec, exec, s[26:27]
	s_and_b64 s[26:27], s[16:17], s[18:19]
	s_and_saveexec_b64 s[18:19], s[26:27]
	s_cbranch_execnz .LBB275_252
	s_branch .LBB275_256
.LBB275_224:
	s_and_b64 vcc, exec, s[0:1]
	s_cbranch_vccnz .LBB275_226
; %bb.225:
	v_lshl_add_u64 v[28:29], v[32:33], 1, v[26:27]
	flat_load_ushort v28, v[28:29]
	s_waitcnt vmcnt(0) lgkmcnt(0)
	v_mul_f16_e32 v28, s28, v28
	s_branch .LBB275_227
.LBB275_226:
	v_mov_b32_e32 v28, 0
.LBB275_227:
	s_waitcnt lgkmcnt(1)
	v_pk_add_f16 v29, v16, v20
	v_pk_max_f16 v30, v83, v83
	s_nop 0
	v_pk_min_f16 v29, v30, v29
	v_pk_add_f16 v30, v17, v21
	s_nop 0
	v_pk_min_f16 v29, v29, v30
	s_nop 0
	v_lshrrev_b32_e32 v30, 16, v29
	v_min3_f16 v30, v28, v29, v30
	v_lshl_add_u64 v[28:29], v[32:33], 1, v[24:25]
	global_store_short v[28:29], v30, off
	s_or_b64 exec, exec, s[26:27]
	s_and_b64 s[34:35], s[4:5], s[18:19]
	s_and_saveexec_b64 s[26:27], s[34:35]
	s_cbranch_execz .LBB275_218
.LBB275_228:
	s_and_b64 vcc, exec, s[0:1]
	s_cbranch_vccnz .LBB275_230
; %bb.229:
	v_lshl_add_u64 v[28:29], v[34:35], 1, v[26:27]
	flat_load_ushort v28, v[28:29]
	s_waitcnt vmcnt(0) lgkmcnt(0)
	v_mul_f16_e32 v28, s28, v28
	s_branch .LBB275_231
.LBB275_230:
	v_mov_b32_e32 v28, 0
.LBB275_231:
	s_waitcnt lgkmcnt(1)
	v_pk_add_f16 v29, v18, v20
	v_pk_max_f16 v30, v82, v82
	s_nop 0
	v_pk_min_f16 v29, v30, v29
	v_pk_add_f16 v30, v19, v21
	s_nop 0
	v_pk_min_f16 v29, v29, v30
	s_nop 0
	v_lshrrev_b32_e32 v30, 16, v29
	v_min3_f16 v30, v28, v29, v30
	v_lshl_add_u64 v[28:29], v[34:35], 1, v[24:25]
	global_store_short v[28:29], v30, off
	s_or_b64 exec, exec, s[26:27]
	s_and_b64 s[34:35], s[6:7], s[18:19]
	s_and_saveexec_b64 s[26:27], s[34:35]
	s_cbranch_execz .LBB275_219
.LBB275_232:
	s_and_b64 vcc, exec, s[0:1]
	s_cbranch_vccnz .LBB275_234
; %bb.233:
	v_lshl_add_u64 v[28:29], v[36:37], 1, v[26:27]
	flat_load_ushort v28, v[28:29]
	s_waitcnt vmcnt(0) lgkmcnt(0)
	v_mul_f16_e32 v28, s28, v28
	s_branch .LBB275_235
.LBB275_234:
	v_mov_b32_e32 v28, 0
.LBB275_235:
	s_waitcnt lgkmcnt(1)
	v_pk_add_f16 v29, v12, v20
	v_pk_max_f16 v30, v81, v81
	s_nop 0
	v_pk_min_f16 v29, v30, v29
	v_pk_add_f16 v30, v13, v21
	s_nop 0
	v_pk_min_f16 v29, v29, v30
	s_nop 0
	v_lshrrev_b32_e32 v30, 16, v29
	v_min3_f16 v30, v28, v29, v30
	v_lshl_add_u64 v[28:29], v[36:37], 1, v[24:25]
	global_store_short v[28:29], v30, off
	s_or_b64 exec, exec, s[26:27]
	s_and_b64 s[34:35], s[8:9], s[18:19]
	s_and_saveexec_b64 s[26:27], s[34:35]
	s_cbranch_execz .LBB275_220
.LBB275_236:
	s_and_b64 vcc, exec, s[0:1]
	s_cbranch_vccnz .LBB275_238
; %bb.237:
	v_lshl_add_u64 v[28:29], v[38:39], 1, v[26:27]
	flat_load_ushort v28, v[28:29]
	s_waitcnt vmcnt(0) lgkmcnt(0)
	v_mul_f16_e32 v28, s28, v28
	s_branch .LBB275_239
.LBB275_238:
	v_mov_b32_e32 v28, 0
.LBB275_239:
	s_waitcnt lgkmcnt(1)
	v_pk_add_f16 v29, v14, v20
	v_pk_max_f16 v30, v80, v80
	s_nop 0
	v_pk_min_f16 v29, v30, v29
	v_pk_add_f16 v30, v15, v21
	s_nop 0
	v_pk_min_f16 v29, v29, v30
	s_nop 0
	v_lshrrev_b32_e32 v30, 16, v29
	v_min3_f16 v30, v28, v29, v30
	v_lshl_add_u64 v[28:29], v[38:39], 1, v[24:25]
	global_store_short v[28:29], v30, off
	s_or_b64 exec, exec, s[26:27]
	s_and_b64 s[34:35], s[10:11], s[18:19]
	s_and_saveexec_b64 s[26:27], s[34:35]
	s_cbranch_execz .LBB275_221
.LBB275_240:
	s_and_b64 vcc, exec, s[0:1]
	s_cbranch_vccnz .LBB275_242
; %bb.241:
	v_lshl_add_u64 v[28:29], v[40:41], 1, v[26:27]
	flat_load_ushort v28, v[28:29]
	s_waitcnt vmcnt(0) lgkmcnt(0)
	v_mul_f16_e32 v28, s28, v28
	s_branch .LBB275_243
.LBB275_242:
	v_mov_b32_e32 v28, 0
.LBB275_243:
	s_waitcnt lgkmcnt(1)
	v_pk_add_f16 v29, v8, v20
	v_pk_max_f16 v30, v79, v79
	s_nop 0
	v_pk_min_f16 v29, v30, v29
	v_pk_add_f16 v30, v9, v21
	s_nop 0
	v_pk_min_f16 v29, v29, v30
	s_nop 0
	v_lshrrev_b32_e32 v30, 16, v29
	v_min3_f16 v30, v28, v29, v30
	v_lshl_add_u64 v[28:29], v[40:41], 1, v[24:25]
	global_store_short v[28:29], v30, off
	s_or_b64 exec, exec, s[26:27]
	s_and_b64 s[34:35], s[12:13], s[18:19]
	s_and_saveexec_b64 s[26:27], s[34:35]
	s_cbranch_execz .LBB275_222
.LBB275_244:
	s_and_b64 vcc, exec, s[0:1]
	s_cbranch_vccnz .LBB275_246
; %bb.245:
	v_lshl_add_u64 v[28:29], v[42:43], 1, v[26:27]
	flat_load_ushort v28, v[28:29]
	s_waitcnt vmcnt(0) lgkmcnt(0)
	v_mul_f16_e32 v28, s28, v28
	s_branch .LBB275_247
.LBB275_246:
	v_mov_b32_e32 v28, 0
.LBB275_247:
	s_waitcnt lgkmcnt(1)
	v_pk_add_f16 v29, v10, v20
	v_pk_max_f16 v30, v78, v78
	s_nop 0
	v_pk_min_f16 v29, v30, v29
	v_pk_add_f16 v30, v11, v21
	s_nop 0
	v_pk_min_f16 v29, v29, v30
	s_nop 0
	v_lshrrev_b32_e32 v30, 16, v29
	v_min3_f16 v30, v28, v29, v30
	v_lshl_add_u64 v[28:29], v[42:43], 1, v[24:25]
	global_store_short v[28:29], v30, off
	s_or_b64 exec, exec, s[26:27]
	s_and_b64 s[34:35], s[14:15], s[18:19]
	s_and_saveexec_b64 s[26:27], s[34:35]
	s_cbranch_execz .LBB275_223
.LBB275_248:
	s_and_b64 vcc, exec, s[0:1]
	s_cbranch_vccnz .LBB275_250
; %bb.249:
	v_lshl_add_u64 v[28:29], v[44:45], 1, v[26:27]
	flat_load_ushort v28, v[28:29]
	s_waitcnt vmcnt(0) lgkmcnt(0)
	v_mul_f16_e32 v28, s28, v28
	s_branch .LBB275_251
.LBB275_250:
	v_mov_b32_e32 v28, 0
.LBB275_251:
	s_waitcnt lgkmcnt(1)
	v_pk_add_f16 v29, v0, v20
	v_pk_max_f16 v30, v77, v77
	s_nop 0
	v_pk_min_f16 v29, v30, v29
	v_pk_add_f16 v30, v1, v21
	s_nop 0
	v_pk_min_f16 v29, v29, v30
	s_nop 0
	v_lshrrev_b32_e32 v30, 16, v29
	v_min3_f16 v30, v28, v29, v30
	v_lshl_add_u64 v[28:29], v[44:45], 1, v[24:25]
	global_store_short v[28:29], v30, off
	s_or_b64 exec, exec, s[26:27]
	s_and_b64 s[26:27], s[16:17], s[18:19]
	s_and_saveexec_b64 s[18:19], s[26:27]
	s_cbranch_execz .LBB275_256
.LBB275_252:
	s_and_b64 vcc, exec, s[0:1]
	s_cbranch_vccnz .LBB275_254
; %bb.253:
	v_lshl_add_u64 v[26:27], v[46:47], 1, v[26:27]
	flat_load_ushort v26, v[26:27]
	s_waitcnt vmcnt(0) lgkmcnt(0)
	v_mul_f16_e32 v26, s28, v26
	s_branch .LBB275_255
.LBB275_254:
	v_mov_b32_e32 v26, 0
.LBB275_255:
	s_waitcnt lgkmcnt(1)
	v_pk_add_f16 v20, v2, v20
	v_pk_max_f16 v27, v76, v76
	v_pk_add_f16 v21, v3, v21
	v_pk_min_f16 v20, v27, v20
	s_nop 0
	v_pk_min_f16 v20, v20, v21
	s_nop 0
	v_lshrrev_b32_e32 v21, 16, v20
	v_min3_f16 v26, v26, v20, v21
	v_lshl_add_u64 v[20:21], v[46:47], 1, v[24:25]
	global_store_short v[20:21], v26, off
.LBB275_256:
	s_or_b64 exec, exec, s[18:19]
	v_add_u32_e32 v26, 0xa0, v93
	s_waitcnt lgkmcnt(1)
	v_mad_i64_i32 v[20:21], s[26:27], v26, s31, 0
	v_cmp_gt_i32_e64 s[18:19], s21, v26
	v_lshl_add_u64 v[24:25], v[20:21], 1, s[24:25]
	v_mad_i64_i32 v[20:21], s[26:27], v26, s30, 0
	v_lshl_add_u64 v[20:21], v[20:21], 1, s[22:23]
	s_and_b64 s[34:35], s[2:3], s[18:19]
	s_and_saveexec_b64 s[26:27], s[34:35]
	s_cbranch_execnz .LBB275_264
; %bb.257:
	s_or_b64 exec, exec, s[26:27]
	s_and_b64 s[34:35], s[4:5], s[18:19]
	s_and_saveexec_b64 s[26:27], s[34:35]
	s_cbranch_execnz .LBB275_268
.LBB275_258:
	s_or_b64 exec, exec, s[26:27]
	s_and_b64 s[34:35], s[6:7], s[18:19]
	s_and_saveexec_b64 s[26:27], s[34:35]
	s_cbranch_execnz .LBB275_272
.LBB275_259:
	s_or_b64 exec, exec, s[26:27]
	s_and_b64 s[34:35], s[8:9], s[18:19]
	s_and_saveexec_b64 s[26:27], s[34:35]
	s_cbranch_execnz .LBB275_276
.LBB275_260:
	s_or_b64 exec, exec, s[26:27]
	s_and_b64 s[34:35], s[10:11], s[18:19]
	s_and_saveexec_b64 s[26:27], s[34:35]
	s_cbranch_execnz .LBB275_280
.LBB275_261:
	s_or_b64 exec, exec, s[26:27]
	s_and_b64 s[34:35], s[12:13], s[18:19]
	s_and_saveexec_b64 s[26:27], s[34:35]
	s_cbranch_execnz .LBB275_284
.LBB275_262:
	s_or_b64 exec, exec, s[26:27]
	s_and_b64 s[34:35], s[14:15], s[18:19]
	s_and_saveexec_b64 s[26:27], s[34:35]
	s_cbranch_execnz .LBB275_288
.LBB275_263:
	s_or_b64 exec, exec, s[26:27]
	s_and_b64 s[26:27], s[16:17], s[18:19]
	s_and_saveexec_b64 s[18:19], s[26:27]
	s_cbranch_execnz .LBB275_292
	s_branch .LBB275_296
.LBB275_264:
	s_and_b64 vcc, exec, s[0:1]
	s_cbranch_vccnz .LBB275_266
; %bb.265:
	v_lshl_add_u64 v[26:27], v[32:33], 1, v[24:25]
	flat_load_ushort v26, v[26:27]
	s_waitcnt vmcnt(0) lgkmcnt(0)
	v_mul_f16_e32 v26, s28, v26
	s_branch .LBB275_267
.LBB275_266:
	v_mov_b32_e32 v26, 0
.LBB275_267:
	v_pk_add_f16 v27, v16, v22
	v_pk_max_f16 v28, v75, v75
	s_nop 0
	v_pk_min_f16 v27, v28, v27
	v_pk_add_f16 v28, v17, v23
	s_nop 0
	v_pk_min_f16 v27, v27, v28
	s_nop 0
	v_lshrrev_b32_e32 v28, 16, v27
	v_min3_f16 v28, v26, v27, v28
	v_lshl_add_u64 v[26:27], v[32:33], 1, v[20:21]
	global_store_short v[26:27], v28, off
	s_or_b64 exec, exec, s[26:27]
	s_and_b64 s[34:35], s[4:5], s[18:19]
	s_and_saveexec_b64 s[26:27], s[34:35]
	s_cbranch_execz .LBB275_258
.LBB275_268:
	s_and_b64 vcc, exec, s[0:1]
	s_cbranch_vccnz .LBB275_270
; %bb.269:
	v_lshl_add_u64 v[26:27], v[34:35], 1, v[24:25]
	flat_load_ushort v26, v[26:27]
	s_waitcnt vmcnt(0) lgkmcnt(0)
	v_mul_f16_e32 v26, s28, v26
	s_branch .LBB275_271
.LBB275_270:
	v_mov_b32_e32 v26, 0
.LBB275_271:
	v_pk_add_f16 v27, v18, v22
	v_pk_max_f16 v28, v74, v74
	s_nop 0
	v_pk_min_f16 v27, v28, v27
	v_pk_add_f16 v28, v19, v23
	s_nop 0
	v_pk_min_f16 v27, v27, v28
	s_nop 0
	v_lshrrev_b32_e32 v28, 16, v27
	v_min3_f16 v28, v26, v27, v28
	v_lshl_add_u64 v[26:27], v[34:35], 1, v[20:21]
	global_store_short v[26:27], v28, off
	s_or_b64 exec, exec, s[26:27]
	s_and_b64 s[34:35], s[6:7], s[18:19]
	s_and_saveexec_b64 s[26:27], s[34:35]
	s_cbranch_execz .LBB275_259
.LBB275_272:
	s_and_b64 vcc, exec, s[0:1]
	s_cbranch_vccnz .LBB275_274
; %bb.273:
	v_lshl_add_u64 v[26:27], v[36:37], 1, v[24:25]
	flat_load_ushort v26, v[26:27]
	s_waitcnt vmcnt(0) lgkmcnt(0)
	v_mul_f16_e32 v26, s28, v26
	s_branch .LBB275_275
.LBB275_274:
	v_mov_b32_e32 v26, 0
.LBB275_275:
	v_pk_add_f16 v27, v12, v22
	v_pk_max_f16 v28, v73, v73
	s_nop 0
	v_pk_min_f16 v27, v28, v27
	v_pk_add_f16 v28, v13, v23
	s_nop 0
	v_pk_min_f16 v27, v27, v28
	s_nop 0
	v_lshrrev_b32_e32 v28, 16, v27
	v_min3_f16 v28, v26, v27, v28
	v_lshl_add_u64 v[26:27], v[36:37], 1, v[20:21]
	global_store_short v[26:27], v28, off
	s_or_b64 exec, exec, s[26:27]
	s_and_b64 s[34:35], s[8:9], s[18:19]
	s_and_saveexec_b64 s[26:27], s[34:35]
	s_cbranch_execz .LBB275_260
.LBB275_276:
	s_and_b64 vcc, exec, s[0:1]
	s_cbranch_vccnz .LBB275_278
; %bb.277:
	v_lshl_add_u64 v[26:27], v[38:39], 1, v[24:25]
	flat_load_ushort v26, v[26:27]
	s_waitcnt vmcnt(0) lgkmcnt(0)
	v_mul_f16_e32 v26, s28, v26
	s_branch .LBB275_279
.LBB275_278:
	v_mov_b32_e32 v26, 0
.LBB275_279:
	v_pk_add_f16 v27, v14, v22
	v_pk_max_f16 v28, v72, v72
	s_nop 0
	v_pk_min_f16 v27, v28, v27
	v_pk_add_f16 v28, v15, v23
	s_nop 0
	v_pk_min_f16 v27, v27, v28
	s_nop 0
	v_lshrrev_b32_e32 v28, 16, v27
	v_min3_f16 v28, v26, v27, v28
	v_lshl_add_u64 v[26:27], v[38:39], 1, v[20:21]
	global_store_short v[26:27], v28, off
	s_or_b64 exec, exec, s[26:27]
	s_and_b64 s[34:35], s[10:11], s[18:19]
	s_and_saveexec_b64 s[26:27], s[34:35]
	s_cbranch_execz .LBB275_261
.LBB275_280:
	s_and_b64 vcc, exec, s[0:1]
	s_cbranch_vccnz .LBB275_282
; %bb.281:
	v_lshl_add_u64 v[26:27], v[40:41], 1, v[24:25]
	flat_load_ushort v26, v[26:27]
	s_waitcnt vmcnt(0) lgkmcnt(0)
	v_mul_f16_e32 v26, s28, v26
	s_branch .LBB275_283
.LBB275_282:
	v_mov_b32_e32 v26, 0
.LBB275_283:
	v_pk_add_f16 v27, v8, v22
	v_pk_max_f16 v28, v71, v71
	s_nop 0
	v_pk_min_f16 v27, v28, v27
	v_pk_add_f16 v28, v9, v23
	s_nop 0
	v_pk_min_f16 v27, v27, v28
	s_nop 0
	v_lshrrev_b32_e32 v28, 16, v27
	v_min3_f16 v28, v26, v27, v28
	v_lshl_add_u64 v[26:27], v[40:41], 1, v[20:21]
	global_store_short v[26:27], v28, off
	s_or_b64 exec, exec, s[26:27]
	s_and_b64 s[34:35], s[12:13], s[18:19]
	s_and_saveexec_b64 s[26:27], s[34:35]
	s_cbranch_execz .LBB275_262
.LBB275_284:
	s_and_b64 vcc, exec, s[0:1]
	s_cbranch_vccnz .LBB275_286
; %bb.285:
	v_lshl_add_u64 v[26:27], v[42:43], 1, v[24:25]
	flat_load_ushort v26, v[26:27]
	s_waitcnt vmcnt(0) lgkmcnt(0)
	v_mul_f16_e32 v26, s28, v26
	s_branch .LBB275_287
.LBB275_286:
	v_mov_b32_e32 v26, 0
.LBB275_287:
	v_pk_add_f16 v27, v10, v22
	v_pk_max_f16 v28, v70, v70
	s_nop 0
	v_pk_min_f16 v27, v28, v27
	v_pk_add_f16 v28, v11, v23
	s_nop 0
	v_pk_min_f16 v27, v27, v28
	s_nop 0
	v_lshrrev_b32_e32 v28, 16, v27
	v_min3_f16 v28, v26, v27, v28
	v_lshl_add_u64 v[26:27], v[42:43], 1, v[20:21]
	global_store_short v[26:27], v28, off
	s_or_b64 exec, exec, s[26:27]
	s_and_b64 s[34:35], s[14:15], s[18:19]
	s_and_saveexec_b64 s[26:27], s[34:35]
	s_cbranch_execz .LBB275_263
.LBB275_288:
	s_and_b64 vcc, exec, s[0:1]
	s_cbranch_vccnz .LBB275_290
; %bb.289:
	v_lshl_add_u64 v[26:27], v[44:45], 1, v[24:25]
	flat_load_ushort v26, v[26:27]
	s_waitcnt vmcnt(0) lgkmcnt(0)
	v_mul_f16_e32 v26, s28, v26
	s_branch .LBB275_291
.LBB275_290:
	v_mov_b32_e32 v26, 0
.LBB275_291:
	v_pk_add_f16 v27, v0, v22
	v_pk_max_f16 v28, v69, v69
	s_nop 0
	v_pk_min_f16 v27, v28, v27
	v_pk_add_f16 v28, v1, v23
	s_nop 0
	v_pk_min_f16 v27, v27, v28
	s_nop 0
	v_lshrrev_b32_e32 v28, 16, v27
	v_min3_f16 v28, v26, v27, v28
	v_lshl_add_u64 v[26:27], v[44:45], 1, v[20:21]
	global_store_short v[26:27], v28, off
	s_or_b64 exec, exec, s[26:27]
	s_and_b64 s[26:27], s[16:17], s[18:19]
	s_and_saveexec_b64 s[18:19], s[26:27]
	s_cbranch_execz .LBB275_296
.LBB275_292:
	s_and_b64 vcc, exec, s[0:1]
	s_cbranch_vccnz .LBB275_294
; %bb.293:
	v_lshl_add_u64 v[24:25], v[46:47], 1, v[24:25]
	flat_load_ushort v24, v[24:25]
	s_waitcnt vmcnt(0) lgkmcnt(0)
	v_mul_f16_e32 v24, s28, v24
	s_branch .LBB275_295
.LBB275_294:
	v_mov_b32_e32 v24, 0
.LBB275_295:
	v_pk_add_f16 v22, v2, v22
	v_pk_max_f16 v25, v68, v68
	v_pk_add_f16 v23, v3, v23
	v_pk_min_f16 v22, v25, v22
	v_lshl_add_u64 v[20:21], v[46:47], 1, v[20:21]
	v_pk_min_f16 v22, v22, v23
	s_nop 0
	v_lshrrev_b32_e32 v23, 16, v22
	v_min3_f16 v22, v24, v22, v23
	global_store_short v[20:21], v22, off
.LBB275_296:
	s_or_b64 exec, exec, s[18:19]
	v_add_u32_e32 v24, 0xc0, v93
	v_mad_i64_i32 v[20:21], s[26:27], v24, s31, 0
	v_cmp_gt_i32_e64 s[18:19], s21, v24
	v_lshl_add_u64 v[22:23], v[20:21], 1, s[24:25]
	v_mad_i64_i32 v[20:21], s[26:27], v24, s30, 0
	v_lshl_add_u64 v[20:21], v[20:21], 1, s[22:23]
	s_and_b64 s[34:35], s[2:3], s[18:19]
	s_and_saveexec_b64 s[26:27], s[34:35]
	s_cbranch_execnz .LBB275_304
; %bb.297:
	s_or_b64 exec, exec, s[26:27]
	s_and_b64 s[34:35], s[4:5], s[18:19]
	s_and_saveexec_b64 s[26:27], s[34:35]
	s_cbranch_execnz .LBB275_308
.LBB275_298:
	s_or_b64 exec, exec, s[26:27]
	s_and_b64 s[34:35], s[6:7], s[18:19]
	s_and_saveexec_b64 s[26:27], s[34:35]
	s_cbranch_execnz .LBB275_312
.LBB275_299:
	s_or_b64 exec, exec, s[26:27]
	s_and_b64 s[34:35], s[8:9], s[18:19]
	s_and_saveexec_b64 s[26:27], s[34:35]
	s_cbranch_execnz .LBB275_316
.LBB275_300:
	s_or_b64 exec, exec, s[26:27]
	s_and_b64 s[34:35], s[10:11], s[18:19]
	s_and_saveexec_b64 s[26:27], s[34:35]
	s_cbranch_execnz .LBB275_320
.LBB275_301:
	s_or_b64 exec, exec, s[26:27]
	s_and_b64 s[34:35], s[12:13], s[18:19]
	s_and_saveexec_b64 s[26:27], s[34:35]
	s_cbranch_execnz .LBB275_324
.LBB275_302:
	s_or_b64 exec, exec, s[26:27]
	s_and_b64 s[34:35], s[14:15], s[18:19]
	s_and_saveexec_b64 s[26:27], s[34:35]
	s_cbranch_execnz .LBB275_328
.LBB275_303:
	s_or_b64 exec, exec, s[26:27]
	s_and_b64 s[26:27], s[16:17], s[18:19]
	s_and_saveexec_b64 s[18:19], s[26:27]
	s_cbranch_execnz .LBB275_332
	s_branch .LBB275_336
.LBB275_304:
	s_and_b64 vcc, exec, s[0:1]
	s_cbranch_vccnz .LBB275_306
; %bb.305:
	v_lshl_add_u64 v[24:25], v[32:33], 1, v[22:23]
	flat_load_ushort v24, v[24:25]
	s_waitcnt vmcnt(0) lgkmcnt(0)
	v_mul_f16_e32 v24, s28, v24
	s_branch .LBB275_307
.LBB275_306:
	v_mov_b32_e32 v24, 0
.LBB275_307:
	s_waitcnt lgkmcnt(0)
	v_pk_add_f16 v25, v16, v4
	v_pk_max_f16 v26, v67, v67
	s_nop 0
	v_pk_min_f16 v25, v26, v25
	v_pk_add_f16 v26, v17, v5
	s_nop 0
	v_pk_min_f16 v25, v25, v26
	s_nop 0
	v_lshrrev_b32_e32 v26, 16, v25
	v_min3_f16 v26, v24, v25, v26
	v_lshl_add_u64 v[24:25], v[32:33], 1, v[20:21]
	global_store_short v[24:25], v26, off
	s_or_b64 exec, exec, s[26:27]
	s_and_b64 s[34:35], s[4:5], s[18:19]
	s_and_saveexec_b64 s[26:27], s[34:35]
	s_cbranch_execz .LBB275_298
.LBB275_308:
	s_and_b64 vcc, exec, s[0:1]
	s_cbranch_vccnz .LBB275_310
; %bb.309:
	v_lshl_add_u64 v[24:25], v[34:35], 1, v[22:23]
	flat_load_ushort v24, v[24:25]
	s_waitcnt vmcnt(0) lgkmcnt(0)
	v_mul_f16_e32 v24, s28, v24
	s_branch .LBB275_311
.LBB275_310:
	v_mov_b32_e32 v24, 0
.LBB275_311:
	s_waitcnt lgkmcnt(0)
	v_pk_add_f16 v25, v18, v4
	v_pk_max_f16 v26, v66, v66
	s_nop 0
	v_pk_min_f16 v25, v26, v25
	v_pk_add_f16 v26, v19, v5
	s_nop 0
	v_pk_min_f16 v25, v25, v26
	s_nop 0
	v_lshrrev_b32_e32 v26, 16, v25
	v_min3_f16 v26, v24, v25, v26
	v_lshl_add_u64 v[24:25], v[34:35], 1, v[20:21]
	global_store_short v[24:25], v26, off
	s_or_b64 exec, exec, s[26:27]
	s_and_b64 s[34:35], s[6:7], s[18:19]
	s_and_saveexec_b64 s[26:27], s[34:35]
	s_cbranch_execz .LBB275_299
.LBB275_312:
	s_and_b64 vcc, exec, s[0:1]
	s_cbranch_vccnz .LBB275_314
; %bb.313:
	v_lshl_add_u64 v[24:25], v[36:37], 1, v[22:23]
	flat_load_ushort v24, v[24:25]
	s_waitcnt vmcnt(0) lgkmcnt(0)
	v_mul_f16_e32 v24, s28, v24
	s_branch .LBB275_315
.LBB275_314:
	v_mov_b32_e32 v24, 0
.LBB275_315:
	s_waitcnt lgkmcnt(0)
	v_pk_add_f16 v25, v12, v4
	v_pk_max_f16 v26, v65, v65
	s_nop 0
	v_pk_min_f16 v25, v26, v25
	v_pk_add_f16 v26, v13, v5
	s_nop 0
	v_pk_min_f16 v25, v25, v26
	s_nop 0
	v_lshrrev_b32_e32 v26, 16, v25
	v_min3_f16 v26, v24, v25, v26
	v_lshl_add_u64 v[24:25], v[36:37], 1, v[20:21]
	global_store_short v[24:25], v26, off
	s_or_b64 exec, exec, s[26:27]
	s_and_b64 s[34:35], s[8:9], s[18:19]
	s_and_saveexec_b64 s[26:27], s[34:35]
	s_cbranch_execz .LBB275_300
.LBB275_316:
	s_and_b64 vcc, exec, s[0:1]
	s_cbranch_vccnz .LBB275_318
; %bb.317:
	v_lshl_add_u64 v[24:25], v[38:39], 1, v[22:23]
	flat_load_ushort v24, v[24:25]
	s_waitcnt vmcnt(0) lgkmcnt(0)
	v_mul_f16_e32 v24, s28, v24
	s_branch .LBB275_319
.LBB275_318:
	v_mov_b32_e32 v24, 0
.LBB275_319:
	s_waitcnt lgkmcnt(0)
	v_pk_add_f16 v25, v14, v4
	v_pk_max_f16 v26, v64, v64
	s_nop 0
	v_pk_min_f16 v25, v26, v25
	v_pk_add_f16 v26, v15, v5
	s_nop 0
	v_pk_min_f16 v25, v25, v26
	s_nop 0
	v_lshrrev_b32_e32 v26, 16, v25
	v_min3_f16 v26, v24, v25, v26
	v_lshl_add_u64 v[24:25], v[38:39], 1, v[20:21]
	global_store_short v[24:25], v26, off
	s_or_b64 exec, exec, s[26:27]
	s_and_b64 s[34:35], s[10:11], s[18:19]
	s_and_saveexec_b64 s[26:27], s[34:35]
	s_cbranch_execz .LBB275_301
.LBB275_320:
	s_and_b64 vcc, exec, s[0:1]
	s_cbranch_vccnz .LBB275_322
; %bb.321:
	v_lshl_add_u64 v[24:25], v[40:41], 1, v[22:23]
	flat_load_ushort v24, v[24:25]
	s_waitcnt vmcnt(0) lgkmcnt(0)
	v_mul_f16_e32 v24, s28, v24
	s_branch .LBB275_323
.LBB275_322:
	v_mov_b32_e32 v24, 0
.LBB275_323:
	s_waitcnt lgkmcnt(0)
	v_pk_add_f16 v25, v8, v4
	v_pk_max_f16 v26, v63, v63
	s_nop 0
	v_pk_min_f16 v25, v26, v25
	v_pk_add_f16 v26, v9, v5
	s_nop 0
	v_pk_min_f16 v25, v25, v26
	s_nop 0
	v_lshrrev_b32_e32 v26, 16, v25
	v_min3_f16 v26, v24, v25, v26
	v_lshl_add_u64 v[24:25], v[40:41], 1, v[20:21]
	global_store_short v[24:25], v26, off
	s_or_b64 exec, exec, s[26:27]
	s_and_b64 s[34:35], s[12:13], s[18:19]
	s_and_saveexec_b64 s[26:27], s[34:35]
	s_cbranch_execz .LBB275_302
.LBB275_324:
	s_and_b64 vcc, exec, s[0:1]
	s_cbranch_vccnz .LBB275_326
; %bb.325:
	v_lshl_add_u64 v[24:25], v[42:43], 1, v[22:23]
	flat_load_ushort v24, v[24:25]
	s_waitcnt vmcnt(0) lgkmcnt(0)
	v_mul_f16_e32 v24, s28, v24
	s_branch .LBB275_327
.LBB275_326:
	v_mov_b32_e32 v24, 0
.LBB275_327:
	s_waitcnt lgkmcnt(0)
	v_pk_add_f16 v25, v10, v4
	v_pk_max_f16 v26, v62, v62
	s_nop 0
	v_pk_min_f16 v25, v26, v25
	v_pk_add_f16 v26, v11, v5
	s_nop 0
	v_pk_min_f16 v25, v25, v26
	s_nop 0
	v_lshrrev_b32_e32 v26, 16, v25
	v_min3_f16 v26, v24, v25, v26
	v_lshl_add_u64 v[24:25], v[42:43], 1, v[20:21]
	global_store_short v[24:25], v26, off
	s_or_b64 exec, exec, s[26:27]
	s_and_b64 s[34:35], s[14:15], s[18:19]
	s_and_saveexec_b64 s[26:27], s[34:35]
	s_cbranch_execz .LBB275_303
.LBB275_328:
	s_and_b64 vcc, exec, s[0:1]
	s_cbranch_vccnz .LBB275_330
; %bb.329:
	v_lshl_add_u64 v[24:25], v[44:45], 1, v[22:23]
	flat_load_ushort v24, v[24:25]
	s_waitcnt vmcnt(0) lgkmcnt(0)
	v_mul_f16_e32 v24, s28, v24
	s_branch .LBB275_331
.LBB275_330:
	v_mov_b32_e32 v24, 0
.LBB275_331:
	s_waitcnt lgkmcnt(0)
	v_pk_add_f16 v25, v0, v4
	v_pk_max_f16 v26, v61, v61
	s_nop 0
	v_pk_min_f16 v25, v26, v25
	v_pk_add_f16 v26, v1, v5
	s_nop 0
	v_pk_min_f16 v25, v25, v26
	s_nop 0
	v_lshrrev_b32_e32 v26, 16, v25
	v_min3_f16 v26, v24, v25, v26
	v_lshl_add_u64 v[24:25], v[44:45], 1, v[20:21]
	global_store_short v[24:25], v26, off
	s_or_b64 exec, exec, s[26:27]
	s_and_b64 s[26:27], s[16:17], s[18:19]
	s_and_saveexec_b64 s[18:19], s[26:27]
	s_cbranch_execz .LBB275_336
.LBB275_332:
	s_and_b64 vcc, exec, s[0:1]
	s_cbranch_vccnz .LBB275_334
; %bb.333:
	v_lshl_add_u64 v[22:23], v[46:47], 1, v[22:23]
	flat_load_ushort v22, v[22:23]
	s_waitcnt vmcnt(0) lgkmcnt(0)
	v_mul_f16_e32 v22, s28, v22
	s_branch .LBB275_335
.LBB275_334:
	v_mov_b32_e32 v22, 0
.LBB275_335:
	s_waitcnt lgkmcnt(0)
	v_pk_add_f16 v4, v2, v4
	v_pk_max_f16 v23, v60, v60
	v_pk_add_f16 v5, v3, v5
	v_pk_min_f16 v4, v23, v4
	s_nop 0
	v_pk_min_f16 v4, v4, v5
	s_nop 0
	v_lshrrev_b32_e32 v5, 16, v4
	v_min3_f16 v22, v22, v4, v5
	v_lshl_add_u64 v[4:5], v[46:47], 1, v[20:21]
	global_store_short v[4:5], v22, off
.LBB275_336:
	s_or_b64 exec, exec, s[18:19]
	v_add_u32_e32 v22, 0xe0, v93
	v_cmp_gt_i32_e64 s[18:19], s21, v22
	s_waitcnt lgkmcnt(0)
	v_mad_i64_i32 v[4:5], s[20:21], v22, s31, 0
	v_lshl_add_u64 v[20:21], v[4:5], 1, s[24:25]
	v_mad_i64_i32 v[4:5], s[20:21], v22, s30, 0
	v_lshl_add_u64 v[4:5], v[4:5], 1, s[22:23]
	s_and_b64 s[20:21], s[2:3], s[18:19]
	s_and_saveexec_b64 s[2:3], s[20:21]
	s_cbranch_execnz .LBB275_345
; %bb.337:
	s_or_b64 exec, exec, s[2:3]
	s_and_b64 s[4:5], s[4:5], s[18:19]
	s_and_saveexec_b64 s[2:3], s[4:5]
	s_cbranch_execnz .LBB275_349
.LBB275_338:
	s_or_b64 exec, exec, s[2:3]
	s_and_b64 s[4:5], s[6:7], s[18:19]
	s_and_saveexec_b64 s[2:3], s[4:5]
	s_cbranch_execnz .LBB275_353
.LBB275_339:
	s_or_b64 exec, exec, s[2:3]
	s_and_b64 s[4:5], s[8:9], s[18:19]
	s_and_saveexec_b64 s[2:3], s[4:5]
	s_cbranch_execnz .LBB275_357
.LBB275_340:
	s_or_b64 exec, exec, s[2:3]
	s_and_b64 s[4:5], s[10:11], s[18:19]
	s_and_saveexec_b64 s[2:3], s[4:5]
	s_cbranch_execnz .LBB275_361
.LBB275_341:
	s_or_b64 exec, exec, s[2:3]
	s_and_b64 s[4:5], s[12:13], s[18:19]
	s_and_saveexec_b64 s[2:3], s[4:5]
	s_cbranch_execnz .LBB275_365
.LBB275_342:
	s_or_b64 exec, exec, s[2:3]
	s_and_b64 s[4:5], s[14:15], s[18:19]
	s_and_saveexec_b64 s[2:3], s[4:5]
	s_cbranch_execnz .LBB275_369
.LBB275_343:
	s_or_b64 exec, exec, s[2:3]
	s_and_b64 s[2:3], s[16:17], s[18:19]
	s_and_saveexec_b64 s[4:5], s[2:3]
	s_cbranch_execnz .LBB275_373
.LBB275_344:
	s_endpgm
.LBB275_345:
	s_and_b64 vcc, exec, s[0:1]
	s_cbranch_vccnz .LBB275_347
; %bb.346:
	v_lshl_add_u64 v[22:23], v[32:33], 1, v[20:21]
	flat_load_ushort v22, v[22:23]
	s_waitcnt vmcnt(0) lgkmcnt(0)
	v_mul_f16_e32 v22, s28, v22
	s_branch .LBB275_348
.LBB275_347:
	v_mov_b32_e32 v22, 0
.LBB275_348:
	v_pk_add_f16 v16, v16, v6
	v_pk_max_f16 v23, v59, v59
	v_pk_add_f16 v17, v17, v7
	v_pk_min_f16 v16, v23, v16
	s_nop 0
	v_pk_min_f16 v16, v16, v17
	s_nop 0
	v_lshrrev_b32_e32 v17, 16, v16
	v_min3_f16 v22, v22, v16, v17
	v_lshl_add_u64 v[16:17], v[32:33], 1, v[4:5]
	global_store_short v[16:17], v22, off
	s_or_b64 exec, exec, s[2:3]
	s_and_b64 s[4:5], s[4:5], s[18:19]
	s_and_saveexec_b64 s[2:3], s[4:5]
	s_cbranch_execz .LBB275_338
.LBB275_349:
	s_and_b64 vcc, exec, s[0:1]
	s_cbranch_vccnz .LBB275_351
; %bb.350:
	v_lshl_add_u64 v[16:17], v[34:35], 1, v[20:21]
	flat_load_ushort v16, v[16:17]
	s_waitcnt vmcnt(0) lgkmcnt(0)
	v_mul_f16_e32 v16, s28, v16
	s_branch .LBB275_352
.LBB275_351:
	v_mov_b32_e32 v16, 0
.LBB275_352:
	v_pk_add_f16 v17, v18, v6
	v_pk_max_f16 v18, v58, v58
	s_nop 0
	v_pk_min_f16 v17, v18, v17
	v_pk_add_f16 v18, v19, v7
	s_nop 0
	v_pk_min_f16 v17, v17, v18
	s_nop 0
	v_lshrrev_b32_e32 v18, 16, v17
	v_min3_f16 v18, v16, v17, v18
	v_lshl_add_u64 v[16:17], v[34:35], 1, v[4:5]
	global_store_short v[16:17], v18, off
	s_or_b64 exec, exec, s[2:3]
	s_and_b64 s[4:5], s[6:7], s[18:19]
	s_and_saveexec_b64 s[2:3], s[4:5]
	s_cbranch_execz .LBB275_339
.LBB275_353:
	s_and_b64 vcc, exec, s[0:1]
	s_cbranch_vccnz .LBB275_355
; %bb.354:
	v_lshl_add_u64 v[16:17], v[36:37], 1, v[20:21]
	flat_load_ushort v16, v[16:17]
	s_waitcnt vmcnt(0) lgkmcnt(0)
	v_mul_f16_e32 v16, s28, v16
	s_branch .LBB275_356
.LBB275_355:
	v_mov_b32_e32 v16, 0
.LBB275_356:
	v_pk_add_f16 v12, v12, v6
	v_pk_max_f16 v17, v57, v57
	v_pk_add_f16 v13, v13, v7
	v_pk_min_f16 v12, v17, v12
	s_nop 0
	v_pk_min_f16 v12, v12, v13
	s_nop 0
	v_lshrrev_b32_e32 v13, 16, v12
	v_min3_f16 v16, v16, v12, v13
	v_lshl_add_u64 v[12:13], v[36:37], 1, v[4:5]
	global_store_short v[12:13], v16, off
	s_or_b64 exec, exec, s[2:3]
	s_and_b64 s[4:5], s[8:9], s[18:19]
	s_and_saveexec_b64 s[2:3], s[4:5]
	s_cbranch_execz .LBB275_340
.LBB275_357:
	s_and_b64 vcc, exec, s[0:1]
	s_cbranch_vccnz .LBB275_359
; %bb.358:
	v_lshl_add_u64 v[12:13], v[38:39], 1, v[20:21]
	flat_load_ushort v12, v[12:13]
	s_waitcnt vmcnt(0) lgkmcnt(0)
	v_mul_f16_e32 v12, s28, v12
	s_branch .LBB275_360
.LBB275_359:
	v_mov_b32_e32 v12, 0
.LBB275_360:
	v_pk_add_f16 v13, v14, v6
	v_pk_max_f16 v14, v55, v55
	s_nop 0
	v_pk_min_f16 v13, v14, v13
	v_pk_add_f16 v14, v15, v7
	s_nop 0
	v_pk_min_f16 v13, v13, v14
	s_nop 0
	v_lshrrev_b32_e32 v14, 16, v13
	v_min3_f16 v14, v12, v13, v14
	v_lshl_add_u64 v[12:13], v[38:39], 1, v[4:5]
	global_store_short v[12:13], v14, off
	s_or_b64 exec, exec, s[2:3]
	s_and_b64 s[4:5], s[10:11], s[18:19]
	s_and_saveexec_b64 s[2:3], s[4:5]
	s_cbranch_execz .LBB275_341
.LBB275_361:
	s_and_b64 vcc, exec, s[0:1]
	s_cbranch_vccnz .LBB275_363
; %bb.362:
	v_lshl_add_u64 v[12:13], v[40:41], 1, v[20:21]
	flat_load_ushort v12, v[12:13]
	s_waitcnt vmcnt(0) lgkmcnt(0)
	v_mul_f16_e32 v12, s28, v12
	s_branch .LBB275_364
.LBB275_363:
	v_mov_b32_e32 v12, 0
.LBB275_364:
	v_pk_add_f16 v8, v8, v6
	v_pk_max_f16 v13, v54, v54
	v_pk_add_f16 v9, v9, v7
	v_pk_min_f16 v8, v13, v8
	s_nop 0
	v_pk_min_f16 v8, v8, v9
	s_nop 0
	v_lshrrev_b32_e32 v9, 16, v8
	v_min3_f16 v12, v12, v8, v9
	v_lshl_add_u64 v[8:9], v[40:41], 1, v[4:5]
	global_store_short v[8:9], v12, off
	s_or_b64 exec, exec, s[2:3]
	s_and_b64 s[4:5], s[12:13], s[18:19]
	s_and_saveexec_b64 s[2:3], s[4:5]
	s_cbranch_execz .LBB275_342
.LBB275_365:
	s_and_b64 vcc, exec, s[0:1]
	s_cbranch_vccnz .LBB275_367
; %bb.366:
	v_lshl_add_u64 v[8:9], v[42:43], 1, v[20:21]
	flat_load_ushort v8, v[8:9]
	s_waitcnt vmcnt(0) lgkmcnt(0)
	v_mul_f16_e32 v8, s28, v8
	s_branch .LBB275_368
.LBB275_367:
	v_mov_b32_e32 v8, 0
.LBB275_368:
	v_pk_add_f16 v9, v10, v6
	v_pk_max_f16 v10, v53, v53
	s_nop 0
	v_pk_min_f16 v9, v10, v9
	v_pk_add_f16 v10, v11, v7
	s_nop 0
	v_pk_min_f16 v9, v9, v10
	s_nop 0
	v_lshrrev_b32_e32 v10, 16, v9
	v_min3_f16 v10, v8, v9, v10
	v_lshl_add_u64 v[8:9], v[42:43], 1, v[4:5]
	global_store_short v[8:9], v10, off
	s_or_b64 exec, exec, s[2:3]
	s_and_b64 s[4:5], s[14:15], s[18:19]
	s_and_saveexec_b64 s[2:3], s[4:5]
	s_cbranch_execz .LBB275_343
.LBB275_369:
	s_and_b64 vcc, exec, s[0:1]
	s_cbranch_vccnz .LBB275_371
; %bb.370:
	v_lshl_add_u64 v[8:9], v[44:45], 1, v[20:21]
	flat_load_ushort v8, v[8:9]
	s_waitcnt vmcnt(0) lgkmcnt(0)
	v_mul_f16_e32 v8, s28, v8
	s_branch .LBB275_372
.LBB275_371:
	v_mov_b32_e32 v8, 0
.LBB275_372:
	v_pk_add_f16 v0, v0, v6
	v_pk_max_f16 v9, v52, v52
	v_pk_add_f16 v1, v1, v7
	v_pk_min_f16 v0, v9, v0
	s_nop 0
	v_pk_min_f16 v0, v0, v1
	s_nop 0
	v_lshrrev_b32_e32 v1, 16, v0
	v_min3_f16 v8, v8, v0, v1
	v_lshl_add_u64 v[0:1], v[44:45], 1, v[4:5]
	global_store_short v[0:1], v8, off
	s_or_b64 exec, exec, s[2:3]
	s_and_b64 s[2:3], s[16:17], s[18:19]
	s_and_saveexec_b64 s[4:5], s[2:3]
	s_cbranch_execz .LBB275_344
.LBB275_373:
	s_and_b64 vcc, exec, s[0:1]
	s_cbranch_vccnz .LBB275_375
; %bb.374:
	v_lshl_add_u64 v[0:1], v[46:47], 1, v[20:21]
	flat_load_ushort v0, v[0:1]
	s_waitcnt vmcnt(0) lgkmcnt(0)
	v_mul_f16_e32 v0, s28, v0
	s_branch .LBB275_376
.LBB275_375:
	v_mov_b32_e32 v0, 0
.LBB275_376:
	v_pk_add_f16 v1, v2, v6
	v_pk_max_f16 v2, v56, v56
	s_nop 0
	v_pk_min_f16 v1, v2, v1
	v_pk_add_f16 v2, v3, v7
	s_nop 0
	v_pk_min_f16 v1, v1, v2
	s_nop 0
	v_lshrrev_b32_e32 v2, 16, v1
	v_min3_f16 v2, v0, v1, v2
	v_lshl_add_u64 v[0:1], v[46:47], 1, v[4:5]
	global_store_short v[0:1], v2, off
	s_endpgm
	.section	.rodata,"a",@progbits
	.p2align	6, 0x0
	.amdhsa_kernel _ZN12_GLOBAL__N_120geam_min_plus_kernelIDF16_Dv2_DF16_S1_Li8ELi32ELi64ELi256ELi4ELi64ELi4ELi64ELi4ELc78ELc84ELb0ELb1ELb1EDF16_KDF16_DF16_EEviiiT16_PT17_ilS5_ilS3_S5_ilPT18_ili26rocblas_geam_ex_operation_
		.amdhsa_group_segment_fixed_size 5120
		.amdhsa_private_segment_fixed_size 0
		.amdhsa_kernarg_size 128
		.amdhsa_user_sgpr_count 2
		.amdhsa_user_sgpr_dispatch_ptr 0
		.amdhsa_user_sgpr_queue_ptr 0
		.amdhsa_user_sgpr_kernarg_segment_ptr 1
		.amdhsa_user_sgpr_dispatch_id 0
		.amdhsa_user_sgpr_kernarg_preload_length 0
		.amdhsa_user_sgpr_kernarg_preload_offset 0
		.amdhsa_user_sgpr_private_segment_size 0
		.amdhsa_uses_dynamic_stack 0
		.amdhsa_enable_private_segment 0
		.amdhsa_system_sgpr_workgroup_id_x 1
		.amdhsa_system_sgpr_workgroup_id_y 0
		.amdhsa_system_sgpr_workgroup_id_z 1
		.amdhsa_system_sgpr_workgroup_info 0
		.amdhsa_system_vgpr_workitem_id 1
		.amdhsa_next_free_vgpr 175
		.amdhsa_next_free_sgpr 46
		.amdhsa_accum_offset 176
		.amdhsa_reserve_vcc 1
		.amdhsa_float_round_mode_32 0
		.amdhsa_float_round_mode_16_64 0
		.amdhsa_float_denorm_mode_32 3
		.amdhsa_float_denorm_mode_16_64 3
		.amdhsa_dx10_clamp 1
		.amdhsa_ieee_mode 1
		.amdhsa_fp16_overflow 0
		.amdhsa_tg_split 0
		.amdhsa_exception_fp_ieee_invalid_op 0
		.amdhsa_exception_fp_denorm_src 0
		.amdhsa_exception_fp_ieee_div_zero 0
		.amdhsa_exception_fp_ieee_overflow 0
		.amdhsa_exception_fp_ieee_underflow 0
		.amdhsa_exception_fp_ieee_inexact 0
		.amdhsa_exception_int_div_zero 0
	.end_amdhsa_kernel
	.section	.text._ZN12_GLOBAL__N_120geam_min_plus_kernelIDF16_Dv2_DF16_S1_Li8ELi32ELi64ELi256ELi4ELi64ELi4ELi64ELi4ELc78ELc84ELb0ELb1ELb1EDF16_KDF16_DF16_EEviiiT16_PT17_ilS5_ilS3_S5_ilPT18_ili26rocblas_geam_ex_operation_,"axG",@progbits,_ZN12_GLOBAL__N_120geam_min_plus_kernelIDF16_Dv2_DF16_S1_Li8ELi32ELi64ELi256ELi4ELi64ELi4ELi64ELi4ELc78ELc84ELb0ELb1ELb1EDF16_KDF16_DF16_EEviiiT16_PT17_ilS5_ilS3_S5_ilPT18_ili26rocblas_geam_ex_operation_,comdat
.Lfunc_end275:
	.size	_ZN12_GLOBAL__N_120geam_min_plus_kernelIDF16_Dv2_DF16_S1_Li8ELi32ELi64ELi256ELi4ELi64ELi4ELi64ELi4ELc78ELc84ELb0ELb1ELb1EDF16_KDF16_DF16_EEviiiT16_PT17_ilS5_ilS3_S5_ilPT18_ili26rocblas_geam_ex_operation_, .Lfunc_end275-_ZN12_GLOBAL__N_120geam_min_plus_kernelIDF16_Dv2_DF16_S1_Li8ELi32ELi64ELi256ELi4ELi64ELi4ELi64ELi4ELc78ELc84ELb0ELb1ELb1EDF16_KDF16_DF16_EEviiiT16_PT17_ilS5_ilS3_S5_ilPT18_ili26rocblas_geam_ex_operation_
                                        ; -- End function
	.section	.AMDGPU.csdata,"",@progbits
; Kernel info:
; codeLenInByte = 20156
; NumSgprs: 52
; NumVgprs: 175
; NumAgprs: 0
; TotalNumVgprs: 175
; ScratchSize: 0
; MemoryBound: 0
; FloatMode: 240
; IeeeMode: 1
; LDSByteSize: 5120 bytes/workgroup (compile time only)
; SGPRBlocks: 6
; VGPRBlocks: 21
; NumSGPRsForWavesPerEU: 52
; NumVGPRsForWavesPerEU: 175
; AccumOffset: 176
; Occupancy: 2
; WaveLimiterHint : 0
; COMPUTE_PGM_RSRC2:SCRATCH_EN: 0
; COMPUTE_PGM_RSRC2:USER_SGPR: 2
; COMPUTE_PGM_RSRC2:TRAP_HANDLER: 0
; COMPUTE_PGM_RSRC2:TGID_X_EN: 1
; COMPUTE_PGM_RSRC2:TGID_Y_EN: 0
; COMPUTE_PGM_RSRC2:TGID_Z_EN: 1
; COMPUTE_PGM_RSRC2:TIDIG_COMP_CNT: 1
; COMPUTE_PGM_RSRC3_GFX90A:ACCUM_OFFSET: 43
; COMPUTE_PGM_RSRC3_GFX90A:TG_SPLIT: 0
	.section	.text._ZN12_GLOBAL__N_120geam_min_plus_kernelIDF16_Dv2_DF16_S1_Li8ELi32ELi64ELi256ELi4ELi4ELi64ELi64ELi4ELc84ELc84ELb0ELb0ELb1EPKDF16_S2_DF16_EEviiiT16_PT17_ilS6_ilS4_S6_ilPT18_ili26rocblas_geam_ex_operation_,"axG",@progbits,_ZN12_GLOBAL__N_120geam_min_plus_kernelIDF16_Dv2_DF16_S1_Li8ELi32ELi64ELi256ELi4ELi4ELi64ELi64ELi4ELc84ELc84ELb0ELb0ELb1EPKDF16_S2_DF16_EEviiiT16_PT17_ilS6_ilS4_S6_ilPT18_ili26rocblas_geam_ex_operation_,comdat
	.globl	_ZN12_GLOBAL__N_120geam_min_plus_kernelIDF16_Dv2_DF16_S1_Li8ELi32ELi64ELi256ELi4ELi4ELi64ELi64ELi4ELc84ELc84ELb0ELb0ELb1EPKDF16_S2_DF16_EEviiiT16_PT17_ilS6_ilS4_S6_ilPT18_ili26rocblas_geam_ex_operation_ ; -- Begin function _ZN12_GLOBAL__N_120geam_min_plus_kernelIDF16_Dv2_DF16_S1_Li8ELi32ELi64ELi256ELi4ELi4ELi64ELi64ELi4ELc84ELc84ELb0ELb0ELb1EPKDF16_S2_DF16_EEviiiT16_PT17_ilS6_ilS4_S6_ilPT18_ili26rocblas_geam_ex_operation_
	.p2align	8
	.type	_ZN12_GLOBAL__N_120geam_min_plus_kernelIDF16_Dv2_DF16_S1_Li8ELi32ELi64ELi256ELi4ELi4ELi64ELi64ELi4ELc84ELc84ELb0ELb0ELb1EPKDF16_S2_DF16_EEviiiT16_PT17_ilS6_ilS4_S6_ilPT18_ili26rocblas_geam_ex_operation_,@function
_ZN12_GLOBAL__N_120geam_min_plus_kernelIDF16_Dv2_DF16_S1_Li8ELi32ELi64ELi256ELi4ELi4ELi64ELi64ELi4ELc84ELc84ELb0ELb0ELb1EPKDF16_S2_DF16_EEviiiT16_PT17_ilS6_ilS4_S6_ilPT18_ili26rocblas_geam_ex_operation_: ; @_ZN12_GLOBAL__N_120geam_min_plus_kernelIDF16_Dv2_DF16_S1_Li8ELi32ELi64ELi256ELi4ELi4ELi64ELi64ELi4ELc84ELc84ELb0ELb0ELb1EPKDF16_S2_DF16_EEviiiT16_PT17_ilS6_ilS4_S6_ilPT18_ili26rocblas_geam_ex_operation_
; %bb.0:
	s_load_dwordx4 s[16:19], s[0:1], 0x10
	s_load_dwordx4 s[8:11], s[0:1], 0x28
	s_mov_b32 s20, s3
	s_mov_b32 s21, 0
	s_lshl_b64 s[4:5], s[20:21], 1
	s_waitcnt lgkmcnt(0)
	s_add_u32 s6, s16, s4
	s_addc_u32 s7, s17, s5
	v_mov_b32_e32 v1, 0
	global_load_ushort v44, v1, s[6:7]
	s_load_dwordx4 s[12:15], s[0:1], 0x40
	s_load_dwordx2 s[24:25], s[0:1], 0x50
	s_mov_b64 s[16:17], 0
	s_mov_b64 s[22:23], 0
	s_waitcnt lgkmcnt(0)
	s_add_u32 s4, s14, s4
	s_addc_u32 s5, s15, s5
	s_waitcnt vmcnt(0)
	v_cmp_eq_f16_e32 vcc, 0, v44
	v_cmp_neq_f16_e64 s[6:7], 0, v44
	s_cbranch_vccnz .LBB276_2
; %bb.1:
	s_mul_i32 s3, s20, s9
	s_mul_hi_u32 s9, s20, s8
	s_add_i32 s9, s9, s3
	s_mul_i32 s8, s20, s8
	s_lshl_b64 s[8:9], s[8:9], 1
	s_add_u32 s22, s18, s8
	s_addc_u32 s23, s19, s9
.LBB276_2:
	global_load_ushort v52, v1, s[4:5]
	v_cndmask_b32_e64 v1, 0, 1, s[6:7]
	v_cmp_ne_u32_e64 s[4:5], 1, v1
	s_andn2_b64 vcc, exec, s[6:7]
	s_cbranch_vccnz .LBB276_4
; %bb.3:
	s_mul_i32 s3, s20, s13
	s_mul_hi_u32 s8, s20, s12
	s_add_i32 s9, s8, s3
	s_mul_i32 s8, s20, s12
	s_lshl_b64 s[8:9], s[8:9], 1
	s_add_u32 s16, s10, s8
	s_addc_u32 s17, s11, s9
.LBB276_4:
	s_load_dwordx4 s[12:15], s[0:1], 0x60
	s_waitcnt vmcnt(0)
	v_cmp_eq_f16_e32 vcc, 0, v52
	s_and_b64 s[8:9], exec, vcc
	s_mov_b64 vcc, s[8:9]
	s_cbranch_vccnz .LBB276_6
; %bb.5:
	s_waitcnt lgkmcnt(0)
	s_mul_i32 s3, s20, s13
	s_mul_hi_u32 s10, s20, s12
	s_add_i32 s11, s10, s3
	s_mul_i32 s10, s20, s12
	s_lshl_b64 s[10:11], s[10:11], 1
	s_add_u32 s10, s24, s10
	s_addc_u32 s11, s25, s11
	s_branch .LBB276_7
.LBB276_6:
	s_mov_b64 s[10:11], 0
.LBB276_7:
	s_waitcnt lgkmcnt(0)
	s_load_dword s12, s[0:1], 0x0
	s_load_dword s3, s[0:1], 0x20
	v_and_b32_e32 v42, 0x3ff, v0
	v_bfe_u32 v43, v0, 10, 10
	v_lshl_add_u32 v0, v43, 3, v42
	s_waitcnt lgkmcnt(0)
	s_add_i32 s12, s12, -1
	s_ashr_i32 s13, s12, 31
	s_lshr_b32 s13, s13, 26
	s_add_i32 s12, s12, s13
	s_ashr_i32 s12, s12, 6
	s_add_i32 s18, s12, 1
	v_cvt_f32_u32_e32 v1, s18
	s_not_b32 s12, s12
	v_and_b32_e32 v2, 3, v42
	v_lshrrev_b32_e32 v34, 2, v0
	v_rcp_iflag_f32_e32 v1, v1
	v_lshlrev_b32_e32 v32, 1, v2
	v_mul_f32_e32 v1, 0x4f7ffffe, v1
	v_cvt_u32_f32_e32 v1, v1
	s_nop 0
	v_readfirstlane_b32 s13, v1
	s_mul_i32 s12, s12, s13
	s_mul_hi_u32 s12, s13, s12
	s_add_i32 s13, s13, s12
	s_mul_hi_u32 s12, s2, s13
	s_mul_i32 s13, s12, s18
	s_sub_i32 s13, s2, s13
	s_add_i32 s19, s12, 1
	s_sub_i32 s21, s13, s18
	s_cmp_ge_u32 s13, s18
	s_cselect_b32 s12, s19, s12
	s_cselect_b32 s13, s21, s13
	s_add_i32 s19, s12, 1
	s_cmp_ge_u32 s13, s18
	s_cselect_b32 s13, s19, s12
	s_mul_i32 s21, s13, s18
	s_sub_i32 s12, s2, s21
	s_lshl_b32 s18, s12, 6
	s_and_b64 vcc, exec, s[4:5]
	v_add_u32_e32 v9, s18, v34
	s_cbranch_vccnz .LBB276_9
; %bb.8:
	v_mad_i64_i32 v[2:3], s[24:25], v9, s3, 0
	v_lshl_add_u64 v[2:3], v[2:3], 1, s[22:23]
	v_mov_b32_e32 v33, 0
	v_lshl_add_u64 v[2:3], v[2:3], 0, v[32:33]
	flat_load_ushort v1, v[2:3]
	s_waitcnt vmcnt(0) lgkmcnt(0)
	v_mul_f16_e32 v4, v44, v1
	s_branch .LBB276_10
.LBB276_9:
	v_mov_b32_e32 v4, 0
.LBB276_10:
	s_load_dword s12, s[0:1], 0x38
	v_and_b32_e32 v36, 63, v0
	v_lshrrev_b32_e32 v38, 6, v0
	s_lshl_b32 s19, s13, 8
	v_or_b32_e32 v0, s19, v36
	s_waitcnt lgkmcnt(0)
	v_mad_i64_i32 v[2:3], s[24:25], s12, v38, 0
	s_ashr_i32 s13, s12, 31
	v_lshl_add_u64 v[2:3], v[2:3], 1, s[16:17]
	s_and_b64 vcc, exec, s[4:5]
	v_ashrrev_i32_e32 v1, 31, v0
	s_cbranch_vccnz .LBB276_14
; %bb.11:
	v_lshl_add_u64 v[6:7], v[0:1], 1, v[2:3]
	flat_load_ushort v5, v[6:7]
	flat_load_ushort v8, v[6:7] offset:128
	s_waitcnt vmcnt(0) lgkmcnt(0)
	v_mul_f16_e32 v5, v44, v5
	v_mul_f16_e32 v6, v44, v8
	s_and_b64 vcc, exec, s[4:5]
	s_cbranch_vccnz .LBB276_15
.LBB276_12:
	v_lshl_add_u64 v[2:3], v[0:1], 1, v[2:3]
	flat_load_ushort v7, v[2:3] offset:256
	flat_load_ushort v8, v[2:3] offset:384
	s_waitcnt vmcnt(0) lgkmcnt(0)
	v_mul_f16_e32 v7, v44, v7
	v_mul_f16_e32 v8, v44, v8
	s_and_b64 vcc, exec, s[4:5]
	s_cbranch_vccnz .LBB276_16
.LBB276_13:
	v_mad_i64_i32 v[2:3], s[24:25], v9, s3, 0
	v_lshl_add_u64 v[2:3], v[2:3], 1, s[22:23]
	v_mov_b32_e32 v33, 0
	v_lshl_add_u64 v[2:3], v[2:3], 0, v[32:33]
	flat_load_ushort v2, v[2:3] offset:8
	s_waitcnt vmcnt(0) lgkmcnt(0)
	v_mul_f16_e32 v33, v44, v2
	s_branch .LBB276_17
.LBB276_14:
	v_mov_b32_e32 v5, 0
	v_mov_b32_e32 v6, 0
	s_and_b64 vcc, exec, s[4:5]
	s_cbranch_vccz .LBB276_12
.LBB276_15:
	v_mov_b32_e32 v7, 0
	v_mov_b32_e32 v8, 0
	s_and_b64 vcc, exec, s[4:5]
	s_cbranch_vccz .LBB276_13
.LBB276_16:
	v_mov_b32_e32 v33, 0
.LBB276_17:
	v_add_u32_e32 v2, 4, v38
	v_mad_i64_i32 v[2:3], s[24:25], s12, v2, 0
	s_and_b64 vcc, exec, s[4:5]
	v_lshl_add_u64 v[2:3], v[2:3], 1, s[16:17]
	s_cbranch_vccnz .LBB276_20
; %bb.18:
	v_lshl_add_u64 v[10:11], v[0:1], 1, v[2:3]
	flat_load_ushort v9, v[10:11]
	flat_load_ushort v12, v[10:11] offset:128
	s_waitcnt vmcnt(0) lgkmcnt(0)
	v_mul_f16_e32 v35, v44, v9
	v_mul_f16_e32 v37, v44, v12
	s_and_b64 vcc, exec, s[4:5]
	s_cbranch_vccnz .LBB276_21
.LBB276_19:
	v_lshl_add_u64 v[0:1], v[0:1], 1, v[2:3]
	flat_load_ushort v2, v[0:1] offset:256
	flat_load_ushort v3, v[0:1] offset:384
	s_waitcnt vmcnt(0) lgkmcnt(0)
	v_mul_f16_e32 v40, v44, v2
	v_mul_f16_e32 v41, v44, v3
	s_branch .LBB276_22
.LBB276_20:
	v_mov_b32_e32 v35, 0
	v_mov_b32_e32 v37, 0
	s_and_b64 vcc, exec, s[4:5]
	s_cbranch_vccz .LBB276_19
.LBB276_21:
	v_mov_b32_e32 v40, 0
	v_mov_b32_e32 v41, 0
.LBB276_22:
	v_lshlrev_b32_e32 v0, 1, v38
	v_lshlrev_b32_e32 v45, 3, v42
	v_lshl_or_b32 v39, v34, 3, v32
	v_lshl_add_u32 v46, v36, 3, v0
	v_add_u32_e32 v47, 0x1000, v45
	ds_write_b16 v39, v4 offset:4096
	ds_write_b16 v46, v5
	ds_write_b16 v46, v6 offset:512
	ds_write_b16 v46, v7 offset:1024
	;; [unrolled: 1-line block ×3, first 2 shown]
	s_waitcnt lgkmcnt(0)
	s_barrier
	ds_read2_b64 v[16:19], v47 offset1:8
	ds_read2_b64 v[12:15], v47 offset0:16 offset1:24
	ds_read2_b64 v[4:7], v47 offset0:32 offset1:40
	v_lshlrev_b32_e32 v50, 3, v43
	ds_read2_b64 v[28:31], v50 offset1:32
	ds_read2_b64 v[0:3], v47 offset0:48 offset1:56
	ds_read2_b64 v[24:27], v50 offset0:64 offset1:96
	;; [unrolled: 1-line block ×4, first 2 shown]
	s_movk_i32 s25, 0x7c00
	s_waitcnt lgkmcnt(4)
	v_pk_add_f16 v51, v12, v28
	v_pk_add_f16 v48, v16, v28
	v_pk_min_f16 v53, v51, s25 op_sel_hi:[1,0]
	v_pk_add_f16 v51, v14, v28
	v_pk_add_f16 v49, v18, v28
	v_pk_min_f16 v54, v51, s25 op_sel_hi:[1,0]
	v_pk_add_f16 v51, v4, v28
	v_pk_min_f16 v48, v48, s25 op_sel_hi:[1,0]
	v_pk_min_f16 v55, v51, s25 op_sel_hi:[1,0]
	v_pk_add_f16 v51, v6, v28
	v_pk_min_f16 v49, v49, s25 op_sel_hi:[1,0]
	v_pk_min_f16 v56, v51, s25 op_sel_hi:[1,0]
	s_waitcnt lgkmcnt(3)
	v_pk_add_f16 v51, v0, v28
	v_pk_add_f16 v28, v2, v28
	v_pk_min_f16 v57, v51, s25 op_sel_hi:[1,0]
	v_pk_add_f16 v51, v16, v30
	v_pk_min_f16 v28, v28, s25 op_sel_hi:[1,0]
	v_pk_min_f16 v58, v51, s25 op_sel_hi:[1,0]
	v_pk_add_f16 v51, v18, v30
	s_load_dword s24, s[0:1], 0x8
	v_pk_min_f16 v59, v51, s25 op_sel_hi:[1,0]
	v_pk_add_f16 v51, v12, v30
	ds_write_b16 v39, v33 offset:4608
	ds_write_b16 v46, v35 offset:2048
	;; [unrolled: 1-line block ×5, first 2 shown]
	v_pk_min_f16 v60, v51, s25 op_sel_hi:[1,0]
	v_pk_add_f16 v51, v14, v30
	s_waitcnt lgkmcnt(0)
	s_cmp_lt_i32 s24, 9
	v_pk_min_f16 v61, v51, s25 op_sel_hi:[1,0]
	v_pk_add_f16 v51, v4, v30
	s_nop 0
	v_pk_min_f16 v62, v51, s25 op_sel_hi:[1,0]
	v_pk_add_f16 v51, v6, v30
	s_barrier
	v_pk_min_f16 v63, v51, s25 op_sel_hi:[1,0]
	v_pk_add_f16 v51, v0, v30
	v_pk_add_f16 v30, v2, v30
	v_pk_min_f16 v64, v51, s25 op_sel_hi:[1,0]
	v_pk_add_f16 v51, v16, v24
	v_pk_min_f16 v30, v30, s25 op_sel_hi:[1,0]
	v_pk_min_f16 v65, v51, s25 op_sel_hi:[1,0]
	v_pk_add_f16 v51, v18, v24
	s_nop 0
	v_pk_min_f16 v66, v51, s25 op_sel_hi:[1,0]
	v_pk_add_f16 v51, v12, v24
	s_nop 0
	v_pk_min_f16 v67, v51, s25 op_sel_hi:[1,0]
	v_pk_add_f16 v51, v14, v24
	s_nop 0
	v_pk_min_f16 v68, v51, s25 op_sel_hi:[1,0]
	v_pk_add_f16 v51, v4, v24
	s_nop 0
	v_pk_min_f16 v69, v51, s25 op_sel_hi:[1,0]
	v_pk_add_f16 v51, v6, v24
	s_nop 0
	v_pk_min_f16 v70, v51, s25 op_sel_hi:[1,0]
	v_pk_add_f16 v51, v0, v24
	v_pk_add_f16 v24, v2, v24
	v_pk_min_f16 v71, v51, s25 op_sel_hi:[1,0]
	v_pk_add_f16 v51, v16, v26
	v_pk_min_f16 v24, v24, s25 op_sel_hi:[1,0]
	v_pk_min_f16 v72, v51, s25 op_sel_hi:[1,0]
	v_pk_add_f16 v51, v18, v26
	s_nop 0
	v_pk_min_f16 v73, v51, s25 op_sel_hi:[1,0]
	v_pk_add_f16 v51, v12, v26
	s_nop 0
	v_pk_min_f16 v74, v51, s25 op_sel_hi:[1,0]
	v_pk_add_f16 v51, v14, v26
	s_nop 0
	v_pk_min_f16 v75, v51, s25 op_sel_hi:[1,0]
	v_pk_add_f16 v51, v4, v26
	s_nop 0
	v_pk_min_f16 v76, v51, s25 op_sel_hi:[1,0]
	v_pk_add_f16 v51, v6, v26
	s_nop 0
	;; [unrolled: 21-line block ×4, first 2 shown]
	v_pk_min_f16 v125, v51, s25 op_sel_hi:[1,0]
	v_pk_add_f16 v51, v0, v22
	v_pk_add_f16 v22, v2, v22
	v_pk_min_f16 v126, v51, s25 op_sel_hi:[1,0]
	v_pk_add_f16 v51, v16, v8
	v_pk_min_f16 v22, v22, s25 op_sel_hi:[1,0]
	v_pk_min_f16 v127, v51, s25 op_sel_hi:[1,0]
	v_pk_add_f16 v51, v18, v8
	s_nop 0
	v_pk_min_f16 v128, v51, s25 op_sel_hi:[1,0]
	v_pk_add_f16 v51, v12, v8
	s_nop 0
	;; [unrolled: 3-line block ×3, first 2 shown]
	v_pk_min_f16 v130, v51, s25 op_sel_hi:[1,0]
	v_pk_add_f16 v51, v4, v8
	v_pk_add_f16 v4, v4, v10
	v_pk_min_f16 v131, v51, s25 op_sel_hi:[1,0]
	v_pk_add_f16 v51, v6, v8
	s_nop 0
	v_pk_min_f16 v132, v51, s25 op_sel_hi:[1,0]
	v_pk_add_f16 v51, v0, v8
	v_pk_add_f16 v8, v2, v8
	;; [unrolled: 1-line block ×3, first 2 shown]
	v_pk_min_f16 v134, v8, s25 op_sel_hi:[1,0]
	v_pk_add_f16 v8, v16, v10
	v_pk_min_f16 v133, v51, s25 op_sel_hi:[1,0]
	v_pk_min_f16 v16, v8, s25 op_sel_hi:[1,0]
	v_pk_add_f16 v8, v18, v10
	s_nop 0
	v_pk_min_f16 v18, v8, s25 op_sel_hi:[1,0]
	v_pk_add_f16 v8, v12, v10
	s_nop 0
	;; [unrolled: 3-line block ×3, first 2 shown]
	v_pk_min_f16 v14, v8, s25 op_sel_hi:[1,0]
	v_pk_min_f16 v8, v4, s25 op_sel_hi:[1,0]
	v_pk_add_f16 v4, v6, v10
	s_nop 0
	v_pk_min_f16 v6, v4, s25 op_sel_hi:[1,0]
	v_pk_min_f16 v4, v0, s25 op_sel_hi:[1,0]
	v_pk_add_f16 v0, v2, v10
	v_pk_add_f16 v2, v17, v29
	v_pk_min_f16 v0, v0, s25 op_sel_hi:[1,0]
	v_pk_min_f16 v51, v48, v2
	v_pk_add_f16 v2, v19, v29
	s_nop 0
	v_pk_min_f16 v115, v49, v2
	v_pk_add_f16 v2, v13, v29
	s_nop 0
	;; [unrolled: 3-line block ×53, first 2 shown]
	v_pk_min_f16 v62, v132, v2
	v_pk_add_f16 v2, v1, v9
	v_pk_add_f16 v1, v1, v11
	v_pk_min_f16 v61, v133, v2
	v_pk_add_f16 v2, v3, v9
	v_pk_min_f16 v54, v4, v1
	v_pk_min_f16 v59, v134, v2
	v_pk_add_f16 v2, v17, v11
	v_pk_add_f16 v1, v3, v11
	v_pk_min_f16 v60, v16, v2
	v_pk_add_f16 v2, v19, v11
	v_pk_min_f16 v68, v0, v1
	v_pk_min_f16 v58, v18, v2
	v_pk_add_f16 v2, v13, v11
	s_nop 0
	v_pk_min_f16 v57, v12, v2
	v_pk_add_f16 v2, v15, v11
	s_nop 0
	v_pk_min_f16 v56, v14, v2
	v_pk_add_f16 v2, v5, v11
	s_nop 0
	v_pk_min_f16 v55, v8, v2
	v_pk_add_f16 v2, v7, v11
	s_nop 0
	v_pk_min_f16 v53, v6, v2
	s_cbranch_scc1 .LBB276_40
; %bb.23:
	v_mov_b32_e32 v0, 0x1200
	v_lshl_add_u32 v117, v42, 3, v0
	v_mov_b32_e32 v0, 0x800
	v_lshl_add_u32 v118, v43, 3, v0
	v_lshl_add_u32 v0, s2, 6, v34
	s_lshl_b32 s2, s21, 6
	v_subrev_u32_e32 v0, s2, v0
	v_mad_i64_i32 v[0:1], s[2:3], s3, v0, 0
	v_mov_b32_e32 v33, 0
	v_lshl_add_u64 v[0:1], v[0:1], 1, v[32:33]
	v_lshl_add_u64 v[0:1], v[0:1], 0, s[22:23]
	;; [unrolled: 1-line block ×3, first 2 shown]
	v_add_u32_e32 v0, 12, v38
	v_mad_i64_i32 v[0:1], s[2:3], v0, s12, 0
	v_lshlrev_b64 v[34:35], 1, v[0:1]
	v_add_u32_e32 v0, s19, v36
	v_ashrrev_i32_e32 v1, 31, v0
	v_lshl_add_u64 v[36:37], v[0:1], 1, s[16:17]
	v_add_u32_e32 v0, 8, v38
	s_lshl_b64 s[2:3], s[12:13], 4
	v_mad_i64_i32 v[0:1], s[12:13], v0, s12, 0
	v_add_u32_e32 v48, 0x1000, v39
	v_add_u32_e32 v49, 0x1200, v39
	v_or_b32_e32 v116, 0x800, v46
	s_add_i32 s24, s24, -8
	v_lshlrev_b64 v[38:39], 1, v[0:1]
	s_mov_b32 s12, 0
	s_and_b64 s[6:7], exec, s[6:7]
	s_branch .LBB276_26
.LBB276_24:                             ;   in Loop: Header=BB276_26 Depth=1
	flat_load_ushort v0, v[40:41] offset:256
	flat_load_ushort v1, v[40:41] offset:384
	s_waitcnt vmcnt(0) lgkmcnt(0)
	v_mul_f16_e32 v28, v44, v0
	v_mul_f16_e32 v29, v44, v1
.LBB276_25:                             ;   in Loop: Header=BB276_26 Depth=1
	ds_read2_b64 v[8:11], v47 offset1:8
	ds_read2_b64 v[4:7], v47 offset0:16 offset1:24
	ds_read2_b64 v[0:3], v47 offset0:32 offset1:40
	ds_read2_b64 v[122:125], v50 offset1:32
	ds_read2_b64 v[12:15], v47 offset0:48 offset1:56
	ds_read2_b64 v[24:27], v50 offset0:64 offset1:96
	;; [unrolled: 1-line block ×4, first 2 shown]
	s_waitcnt lgkmcnt(4)
	v_pk_add_f16 v40, v8, v122
	v_pk_max_f16 v41, v113, v113
	v_pk_max_f16 v112, v112, v112
	v_pk_min_f16 v40, v41, v40
	v_pk_add_f16 v41, v10, v122
	v_pk_max_f16 v111, v111, v111
	v_pk_min_f16 v41, v112, v41
	v_pk_add_f16 v112, v4, v122
	;; [unrolled: 3-line block ×5, first 2 shown]
	v_pk_max_f16 v107, v107, v107
	v_pk_min_f16 v108, v108, v112
	s_waitcnt lgkmcnt(3)
	v_pk_add_f16 v112, v12, v122
	v_pk_max_f16 v106, v106, v106
	v_pk_min_f16 v107, v107, v112
	v_pk_add_f16 v112, v14, v122
	v_pk_max_f16 v105, v105, v105
	v_pk_min_f16 v106, v106, v112
	;; [unrolled: 3-line block ×10, first 2 shown]
	s_waitcnt lgkmcnt(2)
	v_pk_add_f16 v112, v8, v24
	v_pk_max_f16 v96, v96, v96
	v_pk_min_f16 v97, v97, v112
	v_pk_add_f16 v112, v10, v24
	v_pk_max_f16 v95, v95, v95
	v_pk_min_f16 v96, v96, v112
	;; [unrolled: 3-line block ×6, first 2 shown]
	v_pk_add_f16 v112, v12, v24
	v_pk_add_f16 v24, v14, v24
	v_pk_max_f16 v89, v89, v89
	v_pk_min_f16 v24, v90, v24
	v_pk_add_f16 v90, v8, v26
	v_pk_max_f16 v88, v88, v88
	v_pk_min_f16 v89, v89, v90
	;; [unrolled: 3-line block ×7, first 2 shown]
	v_pk_add_f16 v90, v12, v26
	v_pk_add_f16 v26, v14, v26
	v_pk_max_f16 v81, v81, v81
	v_pk_min_f16 v26, v82, v26
	s_waitcnt lgkmcnt(1)
	v_pk_add_f16 v82, v8, v20
	v_pk_max_f16 v80, v80, v80
	v_pk_min_f16 v81, v81, v82
	v_pk_add_f16 v82, v10, v20
	v_pk_max_f16 v79, v79, v79
	v_pk_min_f16 v80, v80, v82
	;; [unrolled: 3-line block ×6, first 2 shown]
	v_pk_add_f16 v82, v12, v20
	v_pk_add_f16 v20, v14, v20
	v_pk_max_f16 v73, v73, v73
	v_pk_min_f16 v20, v74, v20
	v_pk_add_f16 v74, v8, v22
	v_pk_max_f16 v72, v72, v72
	v_pk_min_f16 v73, v73, v74
	;; [unrolled: 3-line block ×7, first 2 shown]
	v_pk_add_f16 v74, v12, v22
	v_pk_add_f16 v22, v14, v22
	v_pk_max_f16 v65, v65, v65
	v_pk_min_f16 v22, v66, v22
	s_waitcnt lgkmcnt(0)
	v_pk_add_f16 v66, v8, v16
	v_pk_max_f16 v64, v64, v64
	v_pk_min_f16 v65, v65, v66
	v_pk_add_f16 v66, v10, v16
	v_pk_max_f16 v63, v63, v63
	v_pk_min_f16 v64, v64, v66
	;; [unrolled: 3-line block ×5, first 2 shown]
	v_pk_add_f16 v66, v2, v16
	v_pk_add_f16 v8, v8, v18
	v_pk_min_f16 v60, v60, v66
	v_pk_add_f16 v66, v12, v16
	v_pk_add_f16 v16, v14, v16
	v_pk_add_f16 v10, v10, v18
	v_pk_add_f16 v4, v4, v18
	v_pk_add_f16 v6, v6, v18
	v_pk_add_f16 v0, v0, v18
	v_pk_add_f16 v2, v2, v18
	v_pk_add_f16 v12, v12, v18
	v_pk_add_f16 v14, v14, v18
	v_pk_max_f16 v18, v51, v51
	v_pk_max_f16 v91, v91, v91
	v_pk_min_f16 v14, v18, v14
	v_pk_add_f16 v18, v9, v123
	v_pk_min_f16 v91, v91, v112
	v_pk_min_f16 v51, v40, v18
	v_pk_add_f16 v18, v11, v123
	v_pk_max_f16 v83, v83, v83
	v_pk_min_f16 v115, v41, v18
	v_pk_add_f16 v18, v5, v123
	v_pk_min_f16 v83, v83, v90
	v_pk_min_f16 v114, v111, v18
	v_pk_add_f16 v18, v7, v123
	;; [unrolled: 6-line block ×5, first 2 shown]
	v_pk_max_f16 v53, v53, v53
	v_pk_min_f16 v107, v104, v18
	v_pk_add_f16 v18, v5, v125
	v_pk_max_f16 v55, v55, v55
	v_pk_min_f16 v106, v103, v18
	v_pk_add_f16 v18, v7, v125
	v_pk_min_f16 v0, v53, v0
	v_pk_min_f16 v105, v102, v18
	v_pk_add_f16 v18, v1, v125
	v_pk_max_f16 v31, v31, v31
	v_pk_min_f16 v104, v101, v18
	v_pk_add_f16 v18, v3, v125
	v_pk_max_f16 v57, v57, v57
	v_pk_min_f16 v103, v100, v18
	v_pk_add_f16 v18, v13, v125
	v_pk_min_f16 v4, v55, v4
	v_pk_min_f16 v102, v99, v18
	v_pk_add_f16 v18, v15, v125
	v_pk_min_f16 v2, v31, v2
	v_pk_min_f16 v101, v98, v18
	v_pk_add_f16 v18, v9, v25
	v_pk_max_f16 v30, v30, v30
	v_pk_min_f16 v100, v97, v18
	v_pk_add_f16 v18, v11, v25
	v_pk_max_f16 v58, v58, v58
	v_pk_min_f16 v99, v96, v18
	v_pk_add_f16 v18, v5, v25
	v_pk_min_f16 v8, v57, v8
	v_pk_min_f16 v98, v95, v18
	v_pk_add_f16 v18, v7, v25
	v_pk_max_f16 v56, v56, v56
	v_pk_min_f16 v97, v94, v18
	v_pk_add_f16 v18, v1, v25
	v_pk_max_f16 v54, v54, v54
	v_pk_min_f16 v96, v93, v18
	v_pk_add_f16 v18, v3, v25
	v_pk_min_f16 v12, v30, v12
	v_pk_min_f16 v95, v92, v18
	v_pk_add_f16 v18, v13, v25
	v_pk_min_f16 v16, v58, v16
	v_pk_min_f16 v94, v91, v18
	v_pk_add_f16 v18, v15, v25
	v_pk_min_f16 v10, v56, v10
	v_pk_min_f16 v93, v24, v18
	v_pk_add_f16 v18, v9, v27
	v_pk_min_f16 v6, v54, v6
	v_pk_min_f16 v92, v89, v18
	v_pk_add_f16 v18, v11, v27
	s_add_i32 s12, s12, 8
	v_pk_min_f16 v91, v88, v18
	v_pk_add_f16 v18, v5, v27
	v_lshl_add_u64 v[32:33], v[32:33], 0, 16
	v_pk_min_f16 v90, v87, v18
	v_pk_add_f16 v18, v7, v27
	s_cmp_ge_i32 s12, s24
	v_pk_min_f16 v89, v86, v18
	v_pk_add_f16 v18, v1, v27
	v_lshl_add_u64 v[36:37], v[36:37], 0, s[2:3]
	v_pk_min_f16 v88, v85, v18
	v_pk_add_f16 v18, v3, v27
	ds_write_b16 v49, v119
	ds_write_b16 v116, v120
	ds_write_b16 v116, v121 offset:512
	ds_write_b16 v116, v28 offset:1024
	;; [unrolled: 1-line block ×3, first 2 shown]
	v_pk_min_f16 v87, v84, v18
	v_pk_add_f16 v18, v13, v27
	s_waitcnt lgkmcnt(0)
	v_pk_min_f16 v86, v83, v18
	v_pk_add_f16 v18, v15, v27
	s_barrier
	v_pk_min_f16 v84, v26, v18
	v_pk_add_f16 v18, v9, v21
	s_nop 0
	v_pk_min_f16 v85, v81, v18
	v_pk_add_f16 v18, v11, v21
	s_nop 0
	;; [unrolled: 3-line block ×16, first 2 shown]
	v_pk_min_f16 v69, v22, v18
	v_pk_add_f16 v18, v9, v17
	v_pk_add_f16 v9, v9, v19
	v_pk_min_f16 v67, v65, v18
	v_pk_add_f16 v18, v11, v17
	s_nop 0
	v_pk_min_f16 v66, v64, v18
	v_pk_add_f16 v18, v5, v17
	v_pk_add_f16 v5, v5, v19
	v_pk_min_f16 v65, v63, v18
	v_pk_add_f16 v18, v7, v17
	v_pk_min_f16 v57, v4, v5
	v_pk_min_f16 v64, v62, v18
	v_pk_add_f16 v18, v1, v17
	v_pk_add_f16 v1, v1, v19
	v_pk_min_f16 v63, v61, v18
	v_pk_min_f16 v55, v0, v1
	v_pk_add_f16 v0, v3, v19
	v_pk_add_f16 v18, v3, v17
	v_pk_min_f16 v53, v2, v0
	v_pk_add_f16 v0, v13, v19
	v_pk_min_f16 v62, v60, v18
	v_pk_add_f16 v18, v13, v17
	v_pk_add_f16 v17, v15, v17
	v_pk_min_f16 v60, v8, v9
	v_pk_add_f16 v8, v11, v19
	;; [unrolled: 3-line block ×3, first 2 shown]
	v_pk_min_f16 v61, v59, v18
	v_pk_min_f16 v59, v16, v17
	v_pk_min_f16 v58, v10, v8
	v_pk_min_f16 v56, v6, v4
	v_pk_min_f16 v68, v14, v0
	s_cbranch_scc1 .LBB276_40
.LBB276_26:                             ; =>This Inner Loop Header: Depth=1
	s_and_b64 vcc, exec, s[4:5]
	v_mov_b32_e32 v40, 0
	s_cbranch_vccnz .LBB276_28
; %bb.27:                               ;   in Loop: Header=BB276_26 Depth=1
	flat_load_ushort v0, v[32:33]
	s_waitcnt vmcnt(0) lgkmcnt(0)
	v_mul_f16_e32 v40, v44, v0
.LBB276_28:                             ;   in Loop: Header=BB276_26 Depth=1
	s_and_b64 vcc, exec, s[4:5]
	v_lshl_add_u64 v[0:1], v[36:37], 0, v[38:39]
	s_cbranch_vccnz .LBB276_31
; %bb.29:                               ;   in Loop: Header=BB276_26 Depth=1
	flat_load_ushort v2, v[0:1]
	flat_load_ushort v3, v[0:1] offset:128
	s_waitcnt vmcnt(0) lgkmcnt(0)
	v_mul_f16_e32 v41, v44, v2
	v_mul_f16_e32 v119, v44, v3
	s_and_b64 vcc, exec, s[4:5]
	s_cbranch_vccnz .LBB276_32
.LBB276_30:                             ;   in Loop: Header=BB276_26 Depth=1
	flat_load_ushort v2, v[0:1] offset:256
	flat_load_ushort v3, v[0:1] offset:384
	s_waitcnt vmcnt(0) lgkmcnt(0)
	v_mul_f16_e32 v120, v44, v2
	v_mul_f16_e32 v121, v44, v3
	s_branch .LBB276_33
.LBB276_31:                             ;   in Loop: Header=BB276_26 Depth=1
	v_mov_b32_e32 v41, 0
	v_mov_b32_e32 v119, 0
	s_and_b64 vcc, exec, s[4:5]
	s_cbranch_vccz .LBB276_30
.LBB276_32:                             ;   in Loop: Header=BB276_26 Depth=1
	v_mov_b32_e32 v120, 0
	v_mov_b32_e32 v121, 0
.LBB276_33:                             ;   in Loop: Header=BB276_26 Depth=1
	ds_read2_b64 v[12:15], v117 offset1:8
	ds_read2_b64 v[8:11], v117 offset0:16 offset1:24
	ds_read2_b64 v[4:7], v117 offset0:32 offset1:40
	;; [unrolled: 1-line block ×3, first 2 shown]
	ds_read2_b64 v[28:31], v118 offset1:32
	ds_read2_b64 v[24:27], v118 offset0:64 offset1:96
	ds_read2_b64 v[20:23], v118 offset0:128 offset1:160
	;; [unrolled: 1-line block ×3, first 2 shown]
	s_mov_b64 vcc, s[6:7]
	ds_write_b16 v48, v40
	ds_write_b16 v46, v41
	ds_write_b16 v46, v119 offset:512
	ds_write_b16 v46, v120 offset:1024
	;; [unrolled: 1-line block ×3, first 2 shown]
	s_waitcnt lgkmcnt(0)
	s_barrier
	s_cbranch_vccz .LBB276_36
; %bb.34:                               ;   in Loop: Header=BB276_26 Depth=1
	flat_load_ushort v40, v[32:33] offset:8
	s_waitcnt vmcnt(0) lgkmcnt(0)
	v_mul_f16_e32 v119, v44, v40
	s_and_b64 vcc, exec, s[4:5]
	v_lshl_add_u64 v[40:41], v[36:37], 0, v[34:35]
	s_cbranch_vccnz .LBB276_37
.LBB276_35:                             ;   in Loop: Header=BB276_26 Depth=1
	flat_load_ushort v120, v[40:41]
	flat_load_ushort v121, v[40:41] offset:128
	s_waitcnt vmcnt(0) lgkmcnt(0)
	v_mul_f16_e32 v120, v44, v120
	v_mul_f16_e32 v121, v44, v121
	s_branch .LBB276_38
.LBB276_36:                             ;   in Loop: Header=BB276_26 Depth=1
	v_mov_b32_e32 v119, 0
	s_and_b64 vcc, exec, s[4:5]
	v_lshl_add_u64 v[40:41], v[36:37], 0, v[34:35]
	s_cbranch_vccz .LBB276_35
.LBB276_37:                             ;   in Loop: Header=BB276_26 Depth=1
	v_mov_b32_e32 v120, 0
	v_mov_b32_e32 v121, 0
.LBB276_38:                             ;   in Loop: Header=BB276_26 Depth=1
	v_pk_add_f16 v122, v12, v28
	v_pk_max_f16 v51, v51, v51
	v_pk_max_f16 v115, v115, v115
	v_pk_min_f16 v51, v51, v122
	v_pk_add_f16 v122, v14, v28
	v_pk_max_f16 v114, v114, v114
	v_pk_min_f16 v115, v115, v122
	v_pk_add_f16 v122, v8, v28
	v_pk_max_f16 v113, v113, v113
	v_pk_min_f16 v114, v114, v122
	v_pk_add_f16 v122, v10, v28
	v_pk_max_f16 v112, v112, v112
	v_pk_min_f16 v122, v113, v122
	v_pk_add_f16 v113, v4, v28
	v_pk_max_f16 v111, v111, v111
	v_pk_min_f16 v123, v112, v113
	v_pk_add_f16 v112, v6, v28
	v_pk_max_f16 v109, v109, v109
	v_pk_min_f16 v124, v111, v112
	v_pk_add_f16 v111, v0, v28
	v_pk_add_f16 v28, v2, v28
	v_pk_max_f16 v108, v108, v108
	v_pk_min_f16 v28, v109, v28
	v_pk_add_f16 v109, v12, v30
	v_pk_max_f16 v107, v107, v107
	v_pk_min_f16 v126, v108, v109
	v_pk_add_f16 v108, v14, v30
	v_pk_max_f16 v106, v106, v106
	v_pk_min_f16 v127, v107, v108
	v_pk_add_f16 v107, v8, v30
	v_pk_max_f16 v105, v105, v105
	v_pk_min_f16 v128, v106, v107
	v_pk_add_f16 v106, v10, v30
	v_pk_max_f16 v104, v104, v104
	v_pk_min_f16 v129, v105, v106
	v_pk_add_f16 v105, v4, v30
	v_pk_max_f16 v103, v103, v103
	v_pk_min_f16 v130, v104, v105
	v_pk_add_f16 v104, v6, v30
	v_pk_max_f16 v101, v101, v101
	v_pk_min_f16 v131, v103, v104
	v_pk_add_f16 v103, v0, v30
	v_pk_add_f16 v30, v2, v30
	v_pk_max_f16 v100, v100, v100
	v_pk_min_f16 v30, v101, v30
	v_pk_add_f16 v101, v12, v24
	;; [unrolled: 22-line block ×6, first 2 shown]
	v_pk_max_f16 v66, v66, v66
	v_pk_min_f16 v161, v67, v69
	v_pk_add_f16 v67, v14, v16
	v_pk_max_f16 v65, v65, v65
	v_pk_min_f16 v162, v66, v67
	v_pk_add_f16 v66, v8, v16
	v_pk_max_f16 v64, v64, v64
	v_pk_min_f16 v163, v65, v66
	v_pk_add_f16 v65, v10, v16
	v_pk_max_f16 v63, v63, v63
	v_pk_min_f16 v164, v64, v65
	v_pk_add_f16 v64, v4, v16
	v_pk_max_f16 v62, v62, v62
	v_pk_min_f16 v165, v63, v64
	v_pk_add_f16 v63, v6, v16
	v_pk_add_f16 v12, v12, v18
	v_pk_min_f16 v166, v62, v63
	v_pk_add_f16 v62, v0, v16
	v_pk_add_f16 v16, v2, v16
	;; [unrolled: 1-line block ×9, first 2 shown]
	v_pk_max_f16 v18, v68, v68
	v_pk_max_f16 v110, v110, v110
	v_pk_min_f16 v2, v18, v2
	v_pk_add_f16 v18, v13, v29
	v_pk_min_f16 v125, v110, v111
	v_pk_min_f16 v113, v51, v18
	v_pk_add_f16 v18, v15, v29
	v_pk_max_f16 v102, v102, v102
	v_pk_min_f16 v112, v115, v18
	v_pk_add_f16 v18, v9, v29
	v_pk_min_f16 v132, v102, v103
	v_pk_min_f16 v111, v114, v18
	v_pk_add_f16 v18, v11, v29
	;; [unrolled: 6-line block ×7, first 2 shown]
	v_pk_max_f16 v59, v59, v59
	v_pk_min_f16 v100, v131, v18
	v_pk_add_f16 v18, v1, v31
	v_pk_max_f16 v53, v53, v53
	v_pk_min_f16 v99, v132, v18
	v_pk_add_f16 v18, v3, v31
	v_pk_min_f16 v16, v59, v16
	v_pk_min_f16 v98, v30, v18
	v_pk_add_f16 v18, v13, v25
	v_pk_max_f16 v59, v60, v60
	v_pk_min_f16 v97, v133, v18
	v_pk_add_f16 v18, v15, v25
	v_pk_max_f16 v57, v57, v57
	;; [unrolled: 3-line block ×3, first 2 shown]
	v_pk_min_f16 v95, v135, v18
	v_pk_add_f16 v18, v11, v25
	v_pk_min_f16 v6, v53, v6
	v_pk_min_f16 v94, v136, v18
	v_pk_add_f16 v18, v5, v25
	v_pk_max_f16 v53, v54, v54
	v_pk_min_f16 v93, v137, v18
	v_pk_add_f16 v18, v7, v25
	v_pk_min_f16 v12, v59, v12
	v_pk_min_f16 v92, v138, v18
	v_pk_add_f16 v18, v1, v25
	v_pk_max_f16 v58, v58, v58
	;; [unrolled: 6-line block ×3, first 2 shown]
	v_pk_min_f16 v89, v140, v18
	v_pk_add_f16 v18, v15, v27
	v_pk_min_f16 v4, v55, v4
	v_pk_min_f16 v88, v141, v18
	v_pk_add_f16 v18, v9, v27
	v_pk_min_f16 v0, v53, v0
	v_pk_min_f16 v87, v142, v18
	v_pk_add_f16 v18, v11, v27
	v_pk_min_f16 v14, v58, v14
	v_pk_min_f16 v86, v143, v18
	v_pk_add_f16 v18, v5, v27
	v_pk_min_f16 v10, v56, v10
	v_pk_min_f16 v85, v144, v18
	v_pk_add_f16 v18, v7, v27
	s_and_b64 vcc, exec, s[4:5]
	v_pk_min_f16 v84, v145, v18
	v_pk_add_f16 v18, v1, v27
	s_nop 0
	v_pk_min_f16 v83, v146, v18
	v_pk_add_f16 v18, v3, v27
	s_nop 0
	;; [unrolled: 3-line block ×18, first 2 shown]
	v_pk_min_f16 v66, v22, v18
	v_pk_add_f16 v18, v13, v17
	v_pk_add_f16 v13, v13, v19
	v_pk_min_f16 v65, v161, v18
	v_pk_add_f16 v18, v15, v17
	v_pk_min_f16 v57, v12, v13
	v_pk_min_f16 v64, v162, v18
	v_pk_add_f16 v18, v9, v17
	v_pk_add_f16 v9, v9, v19
	v_pk_min_f16 v63, v163, v18
	v_pk_add_f16 v18, v11, v17
	v_pk_add_f16 v12, v15, v19
	;; [unrolled: 3-line block ×3, first 2 shown]
	v_pk_min_f16 v61, v165, v18
	v_pk_add_f16 v18, v7, v17
	v_pk_min_f16 v55, v8, v9
	v_pk_min_f16 v60, v166, v18
	v_pk_add_f16 v18, v1, v17
	v_pk_add_f16 v1, v1, v19
	;; [unrolled: 1-line block ×4, first 2 shown]
	v_pk_min_f16 v53, v4, v5
	v_pk_add_f16 v4, v7, v19
	v_pk_min_f16 v30, v0, v1
	v_pk_add_f16 v0, v3, v19
	v_pk_min_f16 v59, v167, v18
	v_pk_min_f16 v58, v16, v17
	v_pk_min_f16 v56, v14, v12
	v_pk_min_f16 v54, v10, v8
	v_pk_min_f16 v31, v6, v4
	v_pk_min_f16 v51, v2, v0
	s_cbranch_vccz .LBB276_24
; %bb.39:                               ;   in Loop: Header=BB276_26 Depth=1
	v_mov_b32_e32 v28, 0
	v_mov_b32_e32 v29, 0
	s_branch .LBB276_25
.LBB276_40:
	s_load_dword s6, s[0:1], 0x58
	ds_read_b64 v[30:31], v45 offset:4608
	ds_read_b64 v[46:47], v50 offset:2048
	v_add_u32_e32 v116, s19, v43
	v_cmp_neq_f16_e64 s[4:5], 0, v52
	v_add_u32_e32 v28, s18, v42
	s_waitcnt lgkmcnt(0)
	v_mad_i64_i32 v[0:1], s[2:3], v116, s6, 0
	v_ashrrev_i32_e32 v29, 31, v28
	v_lshl_add_u64 v[48:49], v[0:1], 1, s[10:11]
	s_and_b64 vcc, exec, s[4:5]
	v_mov_b32_e32 v36, 0
	v_mov_b32_e32 v34, 0
	s_cbranch_vccz .LBB276_42
; %bb.41:
	v_lshl_add_u64 v[0:1], v[28:29], 1, v[48:49]
	flat_load_ushort v0, v[0:1]
	s_waitcnt vmcnt(0) lgkmcnt(0)
	v_mul_f16_e32 v34, v52, v0
.LBB276_42:
	v_add_u32_e32 v0, 0x1000, v45
	ds_read2_b64 v[8:11], v0 offset0:72 offset1:80
	ds_read2_b64 v[4:7], v0 offset0:88 offset1:96
	ds_read2_b64 v[0:3], v0 offset0:104 offset1:112
	ds_read_b64 v[24:25], v45 offset:5056
	s_load_dword s7, s[0:1], 0x70
	s_load_dwordx2 s[2:3], s[0:1], 0x78
	v_add_u32_e32 v12, 0x800, v50
	ds_read2_b64 v[20:23], v12 offset0:32 offset1:64
	ds_read2_b64 v[16:19], v12 offset0:96 offset1:128
	;; [unrolled: 1-line block ×3, first 2 shown]
	ds_read_b64 v[26:27], v50 offset:3840
	v_pk_add_f16 v32, v30, v46
	v_pk_max_f16 v33, v51, v51
	s_waitcnt lgkmcnt(0)
	s_mul_i32 s0, s20, s3
	s_mul_hi_u32 s1, s20, s2
	s_add_i32 s1, s1, s0
	s_mul_i32 s0, s20, s2
	s_lshl_b64 s[0:1], s[0:1], 1
	s_add_u32 s2, s14, s0
	v_pk_min_f16 v32, v33, v32
	v_pk_add_f16 v33, v31, v47
	s_addc_u32 s3, s15, s1
	v_pk_min_f16 v35, v32, v33
	v_mad_i64_i32 v[38:39], s[0:1], v116, s7, 0
	v_add_u32_e32 v32, 8, v28
	v_lshl_add_u64 v[50:51], v[38:39], 1, s[2:3]
	v_lshrrev_b32_e32 v37, 16, v35
	v_cndmask_b32_e64 v38, 0, 1, s[4:5]
	v_ashrrev_i32_e32 v33, 31, v32
	v_min3_f16 v37, v34, v35, v37
	v_lshl_add_u64 v[34:35], v[28:29], 1, v[50:51]
	v_cmp_ne_u32_e64 s[0:1], 1, v38
	s_andn2_b64 vcc, exec, s[4:5]
	global_store_short v[34:35], v37, off
	s_cbranch_vccnz .LBB276_44
; %bb.43:
	v_lshl_add_u64 v[34:35], v[32:33], 1, v[48:49]
	flat_load_ushort v34, v[34:35]
	s_waitcnt vmcnt(0) lgkmcnt(0)
	v_mul_f16_e32 v36, v52, v34
.LBB276_44:
	v_pk_add_f16 v34, v8, v46
	v_pk_max_f16 v35, v115, v115
	s_and_b64 vcc, exec, s[0:1]
	v_pk_min_f16 v34, v35, v34
	v_pk_add_f16 v35, v9, v47
	v_mov_b32_e32 v39, 0
	v_pk_min_f16 v37, v34, v35
	v_add_u32_e32 v34, 16, v28
	v_lshrrev_b32_e32 v38, 16, v37
	v_min3_f16 v38, v36, v37, v38
	v_lshl_add_u64 v[36:37], v[32:33], 1, v[50:51]
	v_ashrrev_i32_e32 v35, 31, v34
	global_store_short v[36:37], v38, off
	v_mov_b32_e32 v38, 0
	s_cbranch_vccnz .LBB276_46
; %bb.45:
	v_lshl_add_u64 v[36:37], v[34:35], 1, v[48:49]
	flat_load_ushort v36, v[36:37]
	s_waitcnt vmcnt(0) lgkmcnt(0)
	v_mul_f16_e32 v39, v52, v36
.LBB276_46:
	v_pk_add_f16 v36, v10, v46
	v_pk_max_f16 v37, v114, v114
	s_and_b64 vcc, exec, s[0:1]
	v_pk_min_f16 v36, v37, v36
	v_pk_add_f16 v37, v11, v47
	s_nop 0
	v_pk_min_f16 v40, v36, v37
	v_add_u32_e32 v36, 24, v28
	v_lshrrev_b32_e32 v41, 16, v40
	v_ashrrev_i32_e32 v37, 31, v36
	v_min3_f16 v39, v39, v40, v41
	v_lshl_add_u64 v[40:41], v[34:35], 1, v[50:51]
	global_store_short v[40:41], v39, off
	s_cbranch_vccnz .LBB276_48
; %bb.47:
	v_lshl_add_u64 v[38:39], v[36:37], 1, v[48:49]
	flat_load_ushort v38, v[38:39]
	s_waitcnt vmcnt(0) lgkmcnt(0)
	v_mul_f16_e32 v38, v52, v38
.LBB276_48:
	v_pk_add_f16 v39, v4, v46
	v_pk_max_f16 v40, v113, v113
	v_add_u32_e32 v44, 32, v28
	v_pk_min_f16 v39, v40, v39
	v_pk_add_f16 v40, v5, v47
	v_ashrrev_i32_e32 v45, 31, v44
	v_pk_min_f16 v39, v39, v40
	s_and_b64 vcc, exec, s[0:1]
	v_lshrrev_b32_e32 v40, 16, v39
	v_min3_f16 v40, v38, v39, v40
	v_lshl_add_u64 v[38:39], v[36:37], 1, v[50:51]
	global_store_short v[38:39], v40, off
	v_mov_b32_e32 v38, 0
	v_mov_b32_e32 v39, 0
	s_cbranch_vccnz .LBB276_50
; %bb.49:
	v_lshl_add_u64 v[40:41], v[44:45], 1, v[48:49]
	flat_load_ushort v39, v[40:41]
	s_waitcnt vmcnt(0) lgkmcnt(0)
	v_mul_f16_e32 v39, v52, v39
.LBB276_50:
	v_pk_add_f16 v40, v6, v46
	v_pk_max_f16 v41, v112, v112
	v_add_u32_e32 v42, 40, v28
	v_pk_min_f16 v40, v41, v40
	v_pk_add_f16 v41, v7, v47
	v_ashrrev_i32_e32 v43, 31, v42
	v_pk_min_f16 v40, v40, v41
	s_and_b64 vcc, exec, s[0:1]
	v_lshrrev_b32_e32 v41, 16, v40
	v_min3_f16 v39, v39, v40, v41
	v_lshl_add_u64 v[40:41], v[44:45], 1, v[50:51]
	global_store_short v[40:41], v39, off
	s_cbranch_vccnz .LBB276_52
; %bb.51:
	v_lshl_add_u64 v[38:39], v[42:43], 1, v[48:49]
	flat_load_ushort v38, v[38:39]
	s_waitcnt vmcnt(0) lgkmcnt(0)
	v_mul_f16_e32 v38, v52, v38
.LBB276_52:
	v_pk_add_f16 v39, v0, v46
	v_pk_max_f16 v40, v111, v111
	s_and_b64 vcc, exec, s[0:1]
	v_pk_min_f16 v39, v40, v39
	v_pk_add_f16 v40, v1, v47
	v_mov_b32_e32 v112, 0
	v_pk_min_f16 v39, v39, v40
	v_add_u32_e32 v40, 48, v28
	v_lshrrev_b32_e32 v111, 16, v39
	v_min3_f16 v111, v38, v39, v111
	v_lshl_add_u64 v[38:39], v[42:43], 1, v[50:51]
	v_ashrrev_i32_e32 v41, 31, v40
	global_store_short v[38:39], v111, off
	v_mov_b32_e32 v111, 0
	s_cbranch_vccnz .LBB276_54
; %bb.53:
	v_lshl_add_u64 v[38:39], v[40:41], 1, v[48:49]
	flat_load_ushort v38, v[38:39]
	s_waitcnt vmcnt(0) lgkmcnt(0)
	v_mul_f16_e32 v112, v52, v38
.LBB276_54:
	v_pk_add_f16 v38, v2, v46
	v_pk_max_f16 v39, v110, v110
	s_and_b64 vcc, exec, s[0:1]
	v_pk_min_f16 v38, v39, v38
	v_pk_add_f16 v39, v3, v47
	s_nop 0
	v_pk_min_f16 v110, v38, v39
	v_add_u32_e32 v38, 56, v28
	v_lshrrev_b32_e32 v113, 16, v110
	v_ashrrev_i32_e32 v39, 31, v38
	v_min3_f16 v110, v112, v110, v113
	v_lshl_add_u64 v[112:113], v[40:41], 1, v[50:51]
	global_store_short v[112:113], v110, off
	s_cbranch_vccnz .LBB276_56
; %bb.55:
	v_lshl_add_u64 v[48:49], v[38:39], 1, v[48:49]
	flat_load_ushort v48, v[48:49]
	s_waitcnt vmcnt(0) lgkmcnt(0)
	v_mul_f16_e32 v111, v52, v48
.LBB276_56:
	v_pk_add_f16 v46, v24, v46
	v_pk_max_f16 v48, v109, v109
	v_pk_add_f16 v47, v25, v47
	v_pk_min_f16 v46, v48, v46
	s_and_b64 vcc, exec, s[0:1]
	v_pk_min_f16 v46, v46, v47
	s_nop 0
	v_lshrrev_b32_e32 v47, 16, v46
	v_min3_f16 v48, v111, v46, v47
	v_lshl_add_u64 v[46:47], v[38:39], 1, v[50:51]
	global_store_short v[46:47], v48, off
	v_add_u32_e32 v48, 32, v116
	v_mad_i64_i32 v[46:47], s[4:5], v48, s6, 0
	v_lshl_add_u64 v[46:47], v[46:47], 1, s[10:11]
	v_mov_b32_e32 v50, 0
	v_mov_b32_e32 v51, 0
	s_cbranch_vccnz .LBB276_58
; %bb.57:
	v_lshl_add_u64 v[110:111], v[28:29], 1, v[46:47]
	flat_load_ushort v49, v[110:111]
	s_waitcnt vmcnt(0) lgkmcnt(0)
	v_mul_f16_e32 v51, v52, v49
.LBB276_58:
	v_pk_add_f16 v49, v30, v20
	v_pk_max_f16 v108, v108, v108
	s_and_b64 vcc, exec, s[0:1]
	v_pk_min_f16 v49, v108, v49
	v_pk_add_f16 v108, v31, v21
	s_nop 0
	v_pk_min_f16 v108, v49, v108
	v_mad_i64_i32 v[48:49], s[4:5], v48, s7, 0
	v_lshl_add_u64 v[48:49], v[48:49], 1, s[2:3]
	v_lshrrev_b32_e32 v109, 16, v108
	v_min3_f16 v51, v51, v108, v109
	v_lshl_add_u64 v[108:109], v[28:29], 1, v[48:49]
	global_store_short v[108:109], v51, off
	s_cbranch_vccnz .LBB276_60
; %bb.59:
	v_lshl_add_u64 v[50:51], v[32:33], 1, v[46:47]
	flat_load_ushort v50, v[50:51]
	s_waitcnt vmcnt(0) lgkmcnt(0)
	v_mul_f16_e32 v50, v52, v50
.LBB276_60:
	v_pk_add_f16 v51, v8, v20
	v_pk_max_f16 v107, v107, v107
	s_and_b64 vcc, exec, s[0:1]
	v_pk_min_f16 v51, v107, v51
	v_pk_add_f16 v107, v9, v21
	s_nop 0
	v_pk_min_f16 v51, v51, v107
	s_nop 0
	v_lshrrev_b32_e32 v107, 16, v51
	v_min3_f16 v107, v50, v51, v107
	v_lshl_add_u64 v[50:51], v[32:33], 1, v[48:49]
	global_store_short v[50:51], v107, off
	v_mov_b32_e32 v50, 0
	v_mov_b32_e32 v51, 0
	s_cbranch_vccnz .LBB276_62
; %bb.61:
	v_lshl_add_u64 v[108:109], v[34:35], 1, v[46:47]
	flat_load_ushort v51, v[108:109]
	s_waitcnt vmcnt(0) lgkmcnt(0)
	v_mul_f16_e32 v51, v52, v51
.LBB276_62:
	v_pk_add_f16 v107, v10, v20
	v_pk_max_f16 v106, v106, v106
	s_and_b64 vcc, exec, s[0:1]
	v_pk_min_f16 v106, v106, v107
	v_pk_add_f16 v107, v11, v21
	s_nop 0
	v_pk_min_f16 v106, v106, v107
	s_nop 0
	v_lshrrev_b32_e32 v107, 16, v106
	v_min3_f16 v51, v51, v106, v107
	v_lshl_add_u64 v[106:107], v[34:35], 1, v[48:49]
	global_store_short v[106:107], v51, off
	s_cbranch_vccnz .LBB276_64
; %bb.63:
	v_lshl_add_u64 v[50:51], v[36:37], 1, v[46:47]
	flat_load_ushort v50, v[50:51]
	s_waitcnt vmcnt(0) lgkmcnt(0)
	v_mul_f16_e32 v50, v52, v50
.LBB276_64:
	v_pk_add_f16 v51, v4, v20
	v_pk_max_f16 v105, v105, v105
	s_and_b64 vcc, exec, s[0:1]
	v_pk_min_f16 v51, v105, v51
	v_pk_add_f16 v105, v5, v21
	s_nop 0
	v_pk_min_f16 v51, v51, v105
	s_nop 0
	v_lshrrev_b32_e32 v105, 16, v51
	v_min3_f16 v105, v50, v51, v105
	v_lshl_add_u64 v[50:51], v[36:37], 1, v[48:49]
	global_store_short v[50:51], v105, off
	v_mov_b32_e32 v50, 0
	v_mov_b32_e32 v51, 0
	s_cbranch_vccnz .LBB276_66
; %bb.65:
	v_lshl_add_u64 v[106:107], v[44:45], 1, v[46:47]
	flat_load_ushort v51, v[106:107]
	s_waitcnt vmcnt(0) lgkmcnt(0)
	v_mul_f16_e32 v51, v52, v51
.LBB276_66:
	v_pk_add_f16 v105, v6, v20
	v_pk_max_f16 v104, v104, v104
	s_and_b64 vcc, exec, s[0:1]
	v_pk_min_f16 v104, v104, v105
	v_pk_add_f16 v105, v7, v21
	s_nop 0
	v_pk_min_f16 v104, v104, v105
	s_nop 0
	;; [unrolled: 40-line block ×3, first 2 shown]
	v_lshrrev_b32_e32 v103, 16, v102
	v_min3_f16 v51, v51, v102, v103
	v_lshl_add_u64 v[102:103], v[40:41], 1, v[48:49]
	global_store_short v[102:103], v51, off
	s_cbranch_vccnz .LBB276_72
; %bb.71:
	v_lshl_add_u64 v[46:47], v[38:39], 1, v[46:47]
	flat_load_ushort v46, v[46:47]
	s_waitcnt vmcnt(0) lgkmcnt(0)
	v_mul_f16_e32 v50, v52, v46
.LBB276_72:
	v_pk_add_f16 v20, v24, v20
	v_pk_max_f16 v46, v101, v101
	v_pk_add_f16 v21, v25, v21
	v_pk_min_f16 v20, v46, v20
	s_and_b64 vcc, exec, s[0:1]
	v_pk_min_f16 v20, v20, v21
	s_nop 0
	v_lshrrev_b32_e32 v21, 16, v20
	v_min3_f16 v46, v50, v20, v21
	v_lshl_add_u64 v[20:21], v[38:39], 1, v[48:49]
	global_store_short v[20:21], v46, off
	v_add_u32_e32 v46, 64, v116
	v_mad_i64_i32 v[20:21], s[4:5], v46, s6, 0
	v_lshl_add_u64 v[20:21], v[20:21], 1, s[10:11]
	v_mov_b32_e32 v48, 0
	v_mov_b32_e32 v49, 0
	s_cbranch_vccnz .LBB276_74
; %bb.73:
	v_lshl_add_u64 v[50:51], v[28:29], 1, v[20:21]
	flat_load_ushort v47, v[50:51]
	s_waitcnt vmcnt(0) lgkmcnt(0)
	v_mul_f16_e32 v49, v52, v47
.LBB276_74:
	v_pk_add_f16 v47, v30, v22
	v_pk_max_f16 v50, v100, v100
	s_and_b64 vcc, exec, s[0:1]
	v_pk_min_f16 v47, v50, v47
	v_pk_add_f16 v50, v31, v23
	s_nop 0
	v_pk_min_f16 v50, v47, v50
	v_mad_i64_i32 v[46:47], s[4:5], v46, s7, 0
	v_lshl_add_u64 v[46:47], v[46:47], 1, s[2:3]
	v_lshrrev_b32_e32 v51, 16, v50
	v_min3_f16 v49, v49, v50, v51
	v_lshl_add_u64 v[50:51], v[28:29], 1, v[46:47]
	global_store_short v[50:51], v49, off
	s_cbranch_vccnz .LBB276_76
; %bb.75:
	v_lshl_add_u64 v[48:49], v[32:33], 1, v[20:21]
	flat_load_ushort v48, v[48:49]
	s_waitcnt vmcnt(0) lgkmcnt(0)
	v_mul_f16_e32 v48, v52, v48
.LBB276_76:
	v_pk_add_f16 v49, v8, v22
	v_pk_max_f16 v50, v99, v99
	s_and_b64 vcc, exec, s[0:1]
	v_pk_min_f16 v49, v50, v49
	v_pk_add_f16 v50, v9, v23
	s_nop 0
	v_pk_min_f16 v49, v49, v50
	s_nop 0
	v_lshrrev_b32_e32 v50, 16, v49
	v_min3_f16 v50, v48, v49, v50
	v_lshl_add_u64 v[48:49], v[32:33], 1, v[46:47]
	global_store_short v[48:49], v50, off
	v_mov_b32_e32 v48, 0
	v_mov_b32_e32 v49, 0
	s_cbranch_vccnz .LBB276_78
; %bb.77:
	v_lshl_add_u64 v[50:51], v[34:35], 1, v[20:21]
	flat_load_ushort v49, v[50:51]
	s_waitcnt vmcnt(0) lgkmcnt(0)
	v_mul_f16_e32 v49, v52, v49
.LBB276_78:
	v_pk_add_f16 v50, v10, v22
	v_pk_max_f16 v51, v98, v98
	s_and_b64 vcc, exec, s[0:1]
	v_pk_min_f16 v50, v51, v50
	v_pk_add_f16 v51, v11, v23
	s_nop 0
	v_pk_min_f16 v50, v50, v51
	s_nop 0
	v_lshrrev_b32_e32 v51, 16, v50
	v_min3_f16 v49, v49, v50, v51
	v_lshl_add_u64 v[50:51], v[34:35], 1, v[46:47]
	global_store_short v[50:51], v49, off
	s_cbranch_vccnz .LBB276_80
; %bb.79:
	v_lshl_add_u64 v[48:49], v[36:37], 1, v[20:21]
	flat_load_ushort v48, v[48:49]
	s_waitcnt vmcnt(0) lgkmcnt(0)
	v_mul_f16_e32 v48, v52, v48
.LBB276_80:
	v_pk_add_f16 v49, v4, v22
	v_pk_max_f16 v50, v97, v97
	s_and_b64 vcc, exec, s[0:1]
	v_pk_min_f16 v49, v50, v49
	v_pk_add_f16 v50, v5, v23
	s_nop 0
	v_pk_min_f16 v49, v49, v50
	s_nop 0
	v_lshrrev_b32_e32 v50, 16, v49
	v_min3_f16 v50, v48, v49, v50
	v_lshl_add_u64 v[48:49], v[36:37], 1, v[46:47]
	global_store_short v[48:49], v50, off
	v_mov_b32_e32 v48, 0
	v_mov_b32_e32 v49, 0
	s_cbranch_vccnz .LBB276_82
; %bb.81:
	v_lshl_add_u64 v[50:51], v[44:45], 1, v[20:21]
	flat_load_ushort v49, v[50:51]
	s_waitcnt vmcnt(0) lgkmcnt(0)
	v_mul_f16_e32 v49, v52, v49
.LBB276_82:
	v_pk_add_f16 v50, v6, v22
	v_pk_max_f16 v51, v96, v96
	s_and_b64 vcc, exec, s[0:1]
	v_pk_min_f16 v50, v51, v50
	v_pk_add_f16 v51, v7, v23
	s_nop 0
	v_pk_min_f16 v50, v50, v51
	s_nop 0
	;; [unrolled: 40-line block ×3, first 2 shown]
	v_lshrrev_b32_e32 v51, 16, v50
	v_min3_f16 v49, v49, v50, v51
	v_lshl_add_u64 v[50:51], v[40:41], 1, v[46:47]
	global_store_short v[50:51], v49, off
	s_cbranch_vccnz .LBB276_88
; %bb.87:
	v_lshl_add_u64 v[20:21], v[38:39], 1, v[20:21]
	flat_load_ushort v20, v[20:21]
	s_waitcnt vmcnt(0) lgkmcnt(0)
	v_mul_f16_e32 v48, v52, v20
.LBB276_88:
	v_pk_add_f16 v20, v24, v22
	v_pk_max_f16 v21, v93, v93
	s_and_b64 vcc, exec, s[0:1]
	v_pk_min_f16 v20, v21, v20
	v_pk_add_f16 v21, v25, v23
	s_nop 0
	v_pk_min_f16 v20, v20, v21
	s_nop 0
	v_lshrrev_b32_e32 v21, 16, v20
	v_min3_f16 v22, v48, v20, v21
	v_lshl_add_u64 v[20:21], v[38:39], 1, v[46:47]
	global_store_short v[20:21], v22, off
	v_add_u32_e32 v22, 0x60, v116
	v_mad_i64_i32 v[20:21], s[4:5], v22, s6, 0
	v_lshl_add_u64 v[20:21], v[20:21], 1, s[10:11]
	v_mov_b32_e32 v46, 0
	v_mov_b32_e32 v47, 0
	s_cbranch_vccnz .LBB276_90
; %bb.89:
	v_lshl_add_u64 v[48:49], v[28:29], 1, v[20:21]
	flat_load_ushort v23, v[48:49]
	s_waitcnt vmcnt(0) lgkmcnt(0)
	v_mul_f16_e32 v47, v52, v23
.LBB276_90:
	v_pk_add_f16 v23, v30, v16
	v_pk_max_f16 v48, v92, v92
	s_and_b64 vcc, exec, s[0:1]
	v_pk_min_f16 v23, v48, v23
	v_pk_add_f16 v48, v31, v17
	s_nop 0
	v_pk_min_f16 v48, v23, v48
	v_mad_i64_i32 v[22:23], s[4:5], v22, s7, 0
	v_lshl_add_u64 v[22:23], v[22:23], 1, s[2:3]
	v_lshrrev_b32_e32 v49, 16, v48
	v_min3_f16 v47, v47, v48, v49
	v_lshl_add_u64 v[48:49], v[28:29], 1, v[22:23]
	global_store_short v[48:49], v47, off
	s_cbranch_vccnz .LBB276_92
; %bb.91:
	v_lshl_add_u64 v[46:47], v[32:33], 1, v[20:21]
	flat_load_ushort v46, v[46:47]
	s_waitcnt vmcnt(0) lgkmcnt(0)
	v_mul_f16_e32 v46, v52, v46
.LBB276_92:
	v_pk_add_f16 v47, v8, v16
	v_pk_max_f16 v48, v91, v91
	s_and_b64 vcc, exec, s[0:1]
	v_pk_min_f16 v47, v48, v47
	v_pk_add_f16 v48, v9, v17
	s_nop 0
	v_pk_min_f16 v47, v47, v48
	s_nop 0
	v_lshrrev_b32_e32 v48, 16, v47
	v_min3_f16 v48, v46, v47, v48
	v_lshl_add_u64 v[46:47], v[32:33], 1, v[22:23]
	global_store_short v[46:47], v48, off
	v_mov_b32_e32 v46, 0
	v_mov_b32_e32 v47, 0
	s_cbranch_vccnz .LBB276_94
; %bb.93:
	v_lshl_add_u64 v[48:49], v[34:35], 1, v[20:21]
	flat_load_ushort v47, v[48:49]
	s_waitcnt vmcnt(0) lgkmcnt(0)
	v_mul_f16_e32 v47, v52, v47
.LBB276_94:
	v_pk_add_f16 v48, v10, v16
	v_pk_max_f16 v49, v90, v90
	s_and_b64 vcc, exec, s[0:1]
	v_pk_min_f16 v48, v49, v48
	v_pk_add_f16 v49, v11, v17
	s_nop 0
	v_pk_min_f16 v48, v48, v49
	s_nop 0
	v_lshrrev_b32_e32 v49, 16, v48
	v_min3_f16 v47, v47, v48, v49
	v_lshl_add_u64 v[48:49], v[34:35], 1, v[22:23]
	global_store_short v[48:49], v47, off
	s_cbranch_vccnz .LBB276_96
; %bb.95:
	v_lshl_add_u64 v[46:47], v[36:37], 1, v[20:21]
	flat_load_ushort v46, v[46:47]
	s_waitcnt vmcnt(0) lgkmcnt(0)
	v_mul_f16_e32 v46, v52, v46
.LBB276_96:
	v_pk_add_f16 v47, v4, v16
	v_pk_max_f16 v48, v89, v89
	s_and_b64 vcc, exec, s[0:1]
	v_pk_min_f16 v47, v48, v47
	v_pk_add_f16 v48, v5, v17
	s_nop 0
	v_pk_min_f16 v47, v47, v48
	s_nop 0
	v_lshrrev_b32_e32 v48, 16, v47
	v_min3_f16 v48, v46, v47, v48
	v_lshl_add_u64 v[46:47], v[36:37], 1, v[22:23]
	global_store_short v[46:47], v48, off
	v_mov_b32_e32 v46, 0
	v_mov_b32_e32 v47, 0
	s_cbranch_vccnz .LBB276_98
; %bb.97:
	v_lshl_add_u64 v[48:49], v[44:45], 1, v[20:21]
	flat_load_ushort v47, v[48:49]
	s_waitcnt vmcnt(0) lgkmcnt(0)
	v_mul_f16_e32 v47, v52, v47
.LBB276_98:
	v_pk_add_f16 v48, v6, v16
	v_pk_max_f16 v49, v88, v88
	s_and_b64 vcc, exec, s[0:1]
	v_pk_min_f16 v48, v49, v48
	v_pk_add_f16 v49, v7, v17
	s_nop 0
	v_pk_min_f16 v48, v48, v49
	s_nop 0
	;; [unrolled: 40-line block ×3, first 2 shown]
	v_lshrrev_b32_e32 v49, 16, v48
	v_min3_f16 v47, v47, v48, v49
	v_lshl_add_u64 v[48:49], v[40:41], 1, v[22:23]
	global_store_short v[48:49], v47, off
	s_cbranch_vccnz .LBB276_104
; %bb.103:
	v_lshl_add_u64 v[20:21], v[38:39], 1, v[20:21]
	flat_load_ushort v20, v[20:21]
	s_waitcnt vmcnt(0) lgkmcnt(0)
	v_mul_f16_e32 v46, v52, v20
.LBB276_104:
	v_pk_add_f16 v16, v24, v16
	v_pk_max_f16 v20, v84, v84
	v_pk_add_f16 v17, v25, v17
	v_pk_min_f16 v16, v20, v16
	s_and_b64 vcc, exec, s[0:1]
	v_pk_min_f16 v16, v16, v17
	s_nop 0
	v_lshrrev_b32_e32 v17, 16, v16
	v_min3_f16 v20, v46, v16, v17
	v_lshl_add_u64 v[16:17], v[38:39], 1, v[22:23]
	global_store_short v[16:17], v20, off
	v_add_u32_e32 v20, 0x80, v116
	v_mad_i64_i32 v[16:17], s[4:5], v20, s6, 0
	v_lshl_add_u64 v[16:17], v[16:17], 1, s[10:11]
	v_mov_b32_e32 v22, 0
	v_mov_b32_e32 v23, 0
	s_cbranch_vccnz .LBB276_106
; %bb.105:
	v_lshl_add_u64 v[46:47], v[28:29], 1, v[16:17]
	flat_load_ushort v21, v[46:47]
	s_waitcnt vmcnt(0) lgkmcnt(0)
	v_mul_f16_e32 v23, v52, v21
.LBB276_106:
	v_pk_add_f16 v21, v30, v18
	v_pk_max_f16 v46, v85, v85
	s_and_b64 vcc, exec, s[0:1]
	v_pk_min_f16 v21, v46, v21
	v_pk_add_f16 v46, v31, v19
	s_nop 0
	v_pk_min_f16 v46, v21, v46
	v_mad_i64_i32 v[20:21], s[4:5], v20, s7, 0
	v_lshl_add_u64 v[20:21], v[20:21], 1, s[2:3]
	v_lshrrev_b32_e32 v47, 16, v46
	v_min3_f16 v23, v23, v46, v47
	v_lshl_add_u64 v[46:47], v[28:29], 1, v[20:21]
	global_store_short v[46:47], v23, off
	s_cbranch_vccnz .LBB276_108
; %bb.107:
	v_lshl_add_u64 v[22:23], v[32:33], 1, v[16:17]
	flat_load_ushort v22, v[22:23]
	s_waitcnt vmcnt(0) lgkmcnt(0)
	v_mul_f16_e32 v22, v52, v22
.LBB276_108:
	v_pk_add_f16 v23, v8, v18
	v_pk_max_f16 v46, v83, v83
	s_and_b64 vcc, exec, s[0:1]
	v_pk_min_f16 v23, v46, v23
	v_pk_add_f16 v46, v9, v19
	s_nop 0
	v_pk_min_f16 v23, v23, v46
	s_nop 0
	v_lshrrev_b32_e32 v46, 16, v23
	v_min3_f16 v46, v22, v23, v46
	v_lshl_add_u64 v[22:23], v[32:33], 1, v[20:21]
	global_store_short v[22:23], v46, off
	v_mov_b32_e32 v22, 0
	v_mov_b32_e32 v23, 0
	s_cbranch_vccnz .LBB276_110
; %bb.109:
	v_lshl_add_u64 v[46:47], v[34:35], 1, v[16:17]
	flat_load_ushort v23, v[46:47]
	s_waitcnt vmcnt(0) lgkmcnt(0)
	v_mul_f16_e32 v23, v52, v23
.LBB276_110:
	v_pk_add_f16 v46, v10, v18
	v_pk_max_f16 v47, v82, v82
	s_and_b64 vcc, exec, s[0:1]
	v_pk_min_f16 v46, v47, v46
	v_pk_add_f16 v47, v11, v19
	s_nop 0
	v_pk_min_f16 v46, v46, v47
	s_nop 0
	v_lshrrev_b32_e32 v47, 16, v46
	v_min3_f16 v23, v23, v46, v47
	v_lshl_add_u64 v[46:47], v[34:35], 1, v[20:21]
	global_store_short v[46:47], v23, off
	s_cbranch_vccnz .LBB276_112
; %bb.111:
	v_lshl_add_u64 v[22:23], v[36:37], 1, v[16:17]
	flat_load_ushort v22, v[22:23]
	s_waitcnt vmcnt(0) lgkmcnt(0)
	v_mul_f16_e32 v22, v52, v22
.LBB276_112:
	v_pk_add_f16 v23, v4, v18
	v_pk_max_f16 v46, v81, v81
	s_and_b64 vcc, exec, s[0:1]
	v_pk_min_f16 v23, v46, v23
	v_pk_add_f16 v46, v5, v19
	s_nop 0
	v_pk_min_f16 v23, v23, v46
	s_nop 0
	v_lshrrev_b32_e32 v46, 16, v23
	v_min3_f16 v46, v22, v23, v46
	v_lshl_add_u64 v[22:23], v[36:37], 1, v[20:21]
	global_store_short v[22:23], v46, off
	v_mov_b32_e32 v22, 0
	v_mov_b32_e32 v23, 0
	s_cbranch_vccnz .LBB276_114
; %bb.113:
	v_lshl_add_u64 v[46:47], v[44:45], 1, v[16:17]
	flat_load_ushort v23, v[46:47]
	s_waitcnt vmcnt(0) lgkmcnt(0)
	v_mul_f16_e32 v23, v52, v23
.LBB276_114:
	v_pk_add_f16 v46, v6, v18
	v_pk_max_f16 v47, v80, v80
	s_and_b64 vcc, exec, s[0:1]
	v_pk_min_f16 v46, v47, v46
	v_pk_add_f16 v47, v7, v19
	s_nop 0
	v_pk_min_f16 v46, v46, v47
	s_nop 0
	;; [unrolled: 40-line block ×3, first 2 shown]
	v_lshrrev_b32_e32 v47, 16, v46
	v_min3_f16 v23, v23, v46, v47
	v_lshl_add_u64 v[46:47], v[40:41], 1, v[20:21]
	global_store_short v[46:47], v23, off
	s_cbranch_vccnz .LBB276_120
; %bb.119:
	v_lshl_add_u64 v[16:17], v[38:39], 1, v[16:17]
	flat_load_ushort v16, v[16:17]
	s_waitcnt vmcnt(0) lgkmcnt(0)
	v_mul_f16_e32 v22, v52, v16
.LBB276_120:
	v_pk_add_f16 v16, v24, v18
	v_pk_max_f16 v17, v77, v77
	s_and_b64 vcc, exec, s[0:1]
	v_pk_min_f16 v16, v17, v16
	v_pk_add_f16 v17, v25, v19
	s_nop 0
	v_pk_min_f16 v16, v16, v17
	s_nop 0
	v_lshrrev_b32_e32 v17, 16, v16
	v_min3_f16 v18, v22, v16, v17
	v_lshl_add_u64 v[16:17], v[38:39], 1, v[20:21]
	global_store_short v[16:17], v18, off
	v_add_u32_e32 v18, 0xa0, v116
	v_mad_i64_i32 v[16:17], s[4:5], v18, s6, 0
	v_lshl_add_u64 v[16:17], v[16:17], 1, s[10:11]
	v_mov_b32_e32 v20, 0
	v_mov_b32_e32 v21, 0
	s_cbranch_vccnz .LBB276_122
; %bb.121:
	v_lshl_add_u64 v[22:23], v[28:29], 1, v[16:17]
	flat_load_ushort v19, v[22:23]
	s_waitcnt vmcnt(0) lgkmcnt(0)
	v_mul_f16_e32 v21, v52, v19
.LBB276_122:
	v_pk_add_f16 v19, v30, v12
	v_pk_max_f16 v22, v76, v76
	s_and_b64 vcc, exec, s[0:1]
	v_pk_min_f16 v19, v22, v19
	v_pk_add_f16 v22, v31, v13
	s_nop 0
	v_pk_min_f16 v22, v19, v22
	v_mad_i64_i32 v[18:19], s[4:5], v18, s7, 0
	v_lshl_add_u64 v[18:19], v[18:19], 1, s[2:3]
	v_lshrrev_b32_e32 v23, 16, v22
	v_min3_f16 v21, v21, v22, v23
	v_lshl_add_u64 v[22:23], v[28:29], 1, v[18:19]
	global_store_short v[22:23], v21, off
	s_cbranch_vccnz .LBB276_124
; %bb.123:
	v_lshl_add_u64 v[20:21], v[32:33], 1, v[16:17]
	flat_load_ushort v20, v[20:21]
	s_waitcnt vmcnt(0) lgkmcnt(0)
	v_mul_f16_e32 v20, v52, v20
.LBB276_124:
	v_pk_add_f16 v21, v8, v12
	v_pk_max_f16 v22, v75, v75
	s_and_b64 vcc, exec, s[0:1]
	v_pk_min_f16 v21, v22, v21
	v_pk_add_f16 v22, v9, v13
	s_nop 0
	v_pk_min_f16 v21, v21, v22
	s_nop 0
	v_lshrrev_b32_e32 v22, 16, v21
	v_min3_f16 v22, v20, v21, v22
	v_lshl_add_u64 v[20:21], v[32:33], 1, v[18:19]
	global_store_short v[20:21], v22, off
	v_mov_b32_e32 v20, 0
	v_mov_b32_e32 v21, 0
	s_cbranch_vccnz .LBB276_126
; %bb.125:
	v_lshl_add_u64 v[22:23], v[34:35], 1, v[16:17]
	flat_load_ushort v21, v[22:23]
	s_waitcnt vmcnt(0) lgkmcnt(0)
	v_mul_f16_e32 v21, v52, v21
.LBB276_126:
	v_pk_add_f16 v22, v10, v12
	v_pk_max_f16 v23, v74, v74
	s_and_b64 vcc, exec, s[0:1]
	v_pk_min_f16 v22, v23, v22
	v_pk_add_f16 v23, v11, v13
	s_nop 0
	v_pk_min_f16 v22, v22, v23
	s_nop 0
	v_lshrrev_b32_e32 v23, 16, v22
	v_min3_f16 v21, v21, v22, v23
	v_lshl_add_u64 v[22:23], v[34:35], 1, v[18:19]
	global_store_short v[22:23], v21, off
	s_cbranch_vccnz .LBB276_128
; %bb.127:
	v_lshl_add_u64 v[20:21], v[36:37], 1, v[16:17]
	flat_load_ushort v20, v[20:21]
	s_waitcnt vmcnt(0) lgkmcnt(0)
	v_mul_f16_e32 v20, v52, v20
.LBB276_128:
	v_pk_add_f16 v21, v4, v12
	v_pk_max_f16 v22, v73, v73
	s_and_b64 vcc, exec, s[0:1]
	v_pk_min_f16 v21, v22, v21
	v_pk_add_f16 v22, v5, v13
	s_nop 0
	v_pk_min_f16 v21, v21, v22
	s_nop 0
	v_lshrrev_b32_e32 v22, 16, v21
	v_min3_f16 v22, v20, v21, v22
	v_lshl_add_u64 v[20:21], v[36:37], 1, v[18:19]
	global_store_short v[20:21], v22, off
	v_mov_b32_e32 v20, 0
	v_mov_b32_e32 v21, 0
	s_cbranch_vccnz .LBB276_130
; %bb.129:
	v_lshl_add_u64 v[22:23], v[44:45], 1, v[16:17]
	flat_load_ushort v21, v[22:23]
	s_waitcnt vmcnt(0) lgkmcnt(0)
	v_mul_f16_e32 v21, v52, v21
.LBB276_130:
	v_pk_add_f16 v22, v6, v12
	v_pk_max_f16 v23, v72, v72
	s_and_b64 vcc, exec, s[0:1]
	v_pk_min_f16 v22, v23, v22
	v_pk_add_f16 v23, v7, v13
	s_nop 0
	v_pk_min_f16 v22, v22, v23
	s_nop 0
	;; [unrolled: 40-line block ×3, first 2 shown]
	v_lshrrev_b32_e32 v23, 16, v22
	v_min3_f16 v21, v21, v22, v23
	v_lshl_add_u64 v[22:23], v[40:41], 1, v[18:19]
	global_store_short v[22:23], v21, off
	s_cbranch_vccnz .LBB276_136
; %bb.135:
	v_lshl_add_u64 v[16:17], v[38:39], 1, v[16:17]
	flat_load_ushort v16, v[16:17]
	s_waitcnt vmcnt(0) lgkmcnt(0)
	v_mul_f16_e32 v20, v52, v16
.LBB276_136:
	v_pk_add_f16 v12, v24, v12
	v_pk_max_f16 v16, v69, v69
	v_pk_add_f16 v13, v25, v13
	v_pk_min_f16 v12, v16, v12
	s_and_b64 vcc, exec, s[0:1]
	v_pk_min_f16 v12, v12, v13
	s_nop 0
	v_lshrrev_b32_e32 v13, 16, v12
	v_min3_f16 v16, v20, v12, v13
	v_lshl_add_u64 v[12:13], v[38:39], 1, v[18:19]
	global_store_short v[12:13], v16, off
	v_add_u32_e32 v16, 0xc0, v116
	v_mad_i64_i32 v[12:13], s[4:5], v16, s6, 0
	v_lshl_add_u64 v[12:13], v[12:13], 1, s[10:11]
	v_mov_b32_e32 v18, 0
	v_mov_b32_e32 v19, 0
	s_cbranch_vccnz .LBB276_138
; %bb.137:
	v_lshl_add_u64 v[20:21], v[28:29], 1, v[12:13]
	flat_load_ushort v17, v[20:21]
	s_waitcnt vmcnt(0) lgkmcnt(0)
	v_mul_f16_e32 v19, v52, v17
.LBB276_138:
	v_pk_add_f16 v17, v30, v14
	v_pk_max_f16 v20, v67, v67
	s_and_b64 vcc, exec, s[0:1]
	v_pk_min_f16 v17, v20, v17
	v_pk_add_f16 v20, v31, v15
	s_nop 0
	v_pk_min_f16 v20, v17, v20
	v_mad_i64_i32 v[16:17], s[4:5], v16, s7, 0
	v_lshl_add_u64 v[16:17], v[16:17], 1, s[2:3]
	v_lshrrev_b32_e32 v21, 16, v20
	v_min3_f16 v19, v19, v20, v21
	v_lshl_add_u64 v[20:21], v[28:29], 1, v[16:17]
	global_store_short v[20:21], v19, off
	s_cbranch_vccnz .LBB276_140
; %bb.139:
	v_lshl_add_u64 v[18:19], v[32:33], 1, v[12:13]
	flat_load_ushort v18, v[18:19]
	s_waitcnt vmcnt(0) lgkmcnt(0)
	v_mul_f16_e32 v18, v52, v18
.LBB276_140:
	v_pk_add_f16 v19, v8, v14
	v_pk_max_f16 v20, v66, v66
	s_and_b64 vcc, exec, s[0:1]
	v_pk_min_f16 v19, v20, v19
	v_pk_add_f16 v20, v9, v15
	s_nop 0
	v_pk_min_f16 v19, v19, v20
	s_nop 0
	v_lshrrev_b32_e32 v20, 16, v19
	v_min3_f16 v20, v18, v19, v20
	v_lshl_add_u64 v[18:19], v[32:33], 1, v[16:17]
	global_store_short v[18:19], v20, off
	v_mov_b32_e32 v18, 0
	v_mov_b32_e32 v19, 0
	s_cbranch_vccnz .LBB276_142
; %bb.141:
	v_lshl_add_u64 v[20:21], v[34:35], 1, v[12:13]
	flat_load_ushort v19, v[20:21]
	s_waitcnt vmcnt(0) lgkmcnt(0)
	v_mul_f16_e32 v19, v52, v19
.LBB276_142:
	v_pk_add_f16 v20, v10, v14
	v_pk_max_f16 v21, v65, v65
	s_and_b64 vcc, exec, s[0:1]
	v_pk_min_f16 v20, v21, v20
	v_pk_add_f16 v21, v11, v15
	s_nop 0
	v_pk_min_f16 v20, v20, v21
	s_nop 0
	v_lshrrev_b32_e32 v21, 16, v20
	v_min3_f16 v19, v19, v20, v21
	v_lshl_add_u64 v[20:21], v[34:35], 1, v[16:17]
	global_store_short v[20:21], v19, off
	s_cbranch_vccnz .LBB276_144
; %bb.143:
	v_lshl_add_u64 v[18:19], v[36:37], 1, v[12:13]
	flat_load_ushort v18, v[18:19]
	s_waitcnt vmcnt(0) lgkmcnt(0)
	v_mul_f16_e32 v18, v52, v18
.LBB276_144:
	v_pk_add_f16 v19, v4, v14
	v_pk_max_f16 v20, v64, v64
	s_and_b64 vcc, exec, s[0:1]
	v_pk_min_f16 v19, v20, v19
	v_pk_add_f16 v20, v5, v15
	s_nop 0
	v_pk_min_f16 v19, v19, v20
	s_nop 0
	v_lshrrev_b32_e32 v20, 16, v19
	v_min3_f16 v20, v18, v19, v20
	v_lshl_add_u64 v[18:19], v[36:37], 1, v[16:17]
	global_store_short v[18:19], v20, off
	v_mov_b32_e32 v18, 0
	v_mov_b32_e32 v19, 0
	s_cbranch_vccnz .LBB276_146
; %bb.145:
	v_lshl_add_u64 v[20:21], v[44:45], 1, v[12:13]
	flat_load_ushort v19, v[20:21]
	s_waitcnt vmcnt(0) lgkmcnt(0)
	v_mul_f16_e32 v19, v52, v19
.LBB276_146:
	v_pk_add_f16 v20, v6, v14
	v_pk_max_f16 v21, v63, v63
	s_and_b64 vcc, exec, s[0:1]
	v_pk_min_f16 v20, v21, v20
	v_pk_add_f16 v21, v7, v15
	s_nop 0
	v_pk_min_f16 v20, v20, v21
	s_nop 0
	;; [unrolled: 40-line block ×3, first 2 shown]
	v_lshrrev_b32_e32 v21, 16, v20
	v_min3_f16 v19, v19, v20, v21
	v_lshl_add_u64 v[20:21], v[40:41], 1, v[16:17]
	global_store_short v[20:21], v19, off
	s_cbranch_vccnz .LBB276_152
; %bb.151:
	v_lshl_add_u64 v[12:13], v[38:39], 1, v[12:13]
	flat_load_ushort v12, v[12:13]
	s_waitcnt vmcnt(0) lgkmcnt(0)
	v_mul_f16_e32 v18, v52, v12
.LBB276_152:
	v_pk_add_f16 v12, v24, v14
	v_pk_max_f16 v13, v59, v59
	s_and_b64 vcc, exec, s[0:1]
	v_pk_min_f16 v12, v13, v12
	v_pk_add_f16 v13, v25, v15
	s_nop 0
	v_pk_min_f16 v12, v12, v13
	s_nop 0
	v_lshrrev_b32_e32 v13, 16, v12
	v_min3_f16 v14, v18, v12, v13
	v_lshl_add_u64 v[12:13], v[38:39], 1, v[16:17]
	global_store_short v[12:13], v14, off
	v_add_u32_e32 v14, 0xe0, v116
	v_mad_i64_i32 v[12:13], s[4:5], v14, s6, 0
	v_lshl_add_u64 v[12:13], v[12:13], 1, s[10:11]
	v_mov_b32_e32 v16, 0
	v_mov_b32_e32 v17, 0
	s_cbranch_vccnz .LBB276_154
; %bb.153:
	v_lshl_add_u64 v[18:19], v[28:29], 1, v[12:13]
	flat_load_ushort v15, v[18:19]
	s_waitcnt vmcnt(0) lgkmcnt(0)
	v_mul_f16_e32 v17, v52, v15
.LBB276_154:
	v_pk_add_f16 v15, v30, v26
	v_pk_max_f16 v18, v60, v60
	s_and_b64 vcc, exec, s[0:1]
	v_pk_min_f16 v15, v18, v15
	v_pk_add_f16 v18, v31, v27
	s_nop 0
	v_pk_min_f16 v18, v15, v18
	v_mad_i64_i32 v[14:15], s[4:5], v14, s7, 0
	v_lshl_add_u64 v[14:15], v[14:15], 1, s[2:3]
	v_lshrrev_b32_e32 v19, 16, v18
	v_min3_f16 v17, v17, v18, v19
	v_lshl_add_u64 v[18:19], v[28:29], 1, v[14:15]
	global_store_short v[18:19], v17, off
	s_cbranch_vccnz .LBB276_156
; %bb.155:
	v_lshl_add_u64 v[16:17], v[32:33], 1, v[12:13]
	flat_load_ushort v16, v[16:17]
	s_waitcnt vmcnt(0) lgkmcnt(0)
	v_mul_f16_e32 v16, v52, v16
.LBB276_156:
	v_pk_add_f16 v8, v8, v26
	v_pk_max_f16 v17, v58, v58
	v_pk_add_f16 v9, v9, v27
	v_pk_min_f16 v8, v17, v8
	s_and_b64 vcc, exec, s[0:1]
	v_pk_min_f16 v8, v8, v9
	s_nop 0
	v_lshrrev_b32_e32 v9, 16, v8
	v_min3_f16 v16, v16, v8, v9
	v_lshl_add_u64 v[8:9], v[32:33], 1, v[14:15]
	global_store_short v[8:9], v16, off
	v_mov_b32_e32 v8, 0
	v_mov_b32_e32 v9, 0
	s_cbranch_vccnz .LBB276_158
; %bb.157:
	v_lshl_add_u64 v[16:17], v[34:35], 1, v[12:13]
	flat_load_ushort v9, v[16:17]
	s_waitcnt vmcnt(0) lgkmcnt(0)
	v_mul_f16_e32 v9, v52, v9
.LBB276_158:
	v_pk_add_f16 v10, v10, v26
	v_pk_max_f16 v16, v57, v57
	v_pk_add_f16 v11, v11, v27
	v_pk_min_f16 v10, v16, v10
	s_and_b64 vcc, exec, s[0:1]
	v_pk_min_f16 v10, v10, v11
	s_nop 0
	v_lshrrev_b32_e32 v11, 16, v10
	v_min3_f16 v9, v9, v10, v11
	v_lshl_add_u64 v[10:11], v[34:35], 1, v[14:15]
	global_store_short v[10:11], v9, off
	s_cbranch_vccnz .LBB276_160
; %bb.159:
	v_lshl_add_u64 v[8:9], v[36:37], 1, v[12:13]
	flat_load_ushort v8, v[8:9]
	s_waitcnt vmcnt(0) lgkmcnt(0)
	v_mul_f16_e32 v8, v52, v8
.LBB276_160:
	v_pk_add_f16 v4, v4, v26
	v_pk_max_f16 v9, v56, v56
	v_pk_add_f16 v5, v5, v27
	v_pk_min_f16 v4, v9, v4
	s_and_b64 vcc, exec, s[0:1]
	v_pk_min_f16 v4, v4, v5
	s_nop 0
	v_lshrrev_b32_e32 v5, 16, v4
	v_min3_f16 v8, v8, v4, v5
	v_lshl_add_u64 v[4:5], v[36:37], 1, v[14:15]
	global_store_short v[4:5], v8, off
	v_mov_b32_e32 v4, 0
	v_mov_b32_e32 v5, 0
	s_cbranch_vccnz .LBB276_162
; %bb.161:
	v_lshl_add_u64 v[8:9], v[44:45], 1, v[12:13]
	flat_load_ushort v5, v[8:9]
	s_waitcnt vmcnt(0) lgkmcnt(0)
	v_mul_f16_e32 v5, v52, v5
.LBB276_162:
	v_pk_add_f16 v6, v6, v26
	v_pk_max_f16 v8, v55, v55
	v_pk_add_f16 v7, v7, v27
	v_pk_min_f16 v6, v8, v6
	s_and_b64 vcc, exec, s[0:1]
	v_pk_min_f16 v6, v6, v7
	s_nop 0
	v_lshrrev_b32_e32 v7, 16, v6
	v_min3_f16 v5, v5, v6, v7
	v_lshl_add_u64 v[6:7], v[44:45], 1, v[14:15]
	global_store_short v[6:7], v5, off
	s_cbranch_vccnz .LBB276_164
; %bb.163:
	v_lshl_add_u64 v[4:5], v[42:43], 1, v[12:13]
	flat_load_ushort v4, v[4:5]
	s_waitcnt vmcnt(0) lgkmcnt(0)
	v_mul_f16_e32 v4, v52, v4
.LBB276_164:
	v_pk_add_f16 v0, v0, v26
	v_pk_max_f16 v5, v53, v53
	v_pk_add_f16 v2, v2, v26
	v_pk_min_f16 v0, v5, v0
	v_pk_max_f16 v5, v54, v54
	v_pk_add_f16 v1, v1, v27
	v_pk_min_f16 v2, v5, v2
	v_pk_min_f16 v0, v0, v1
	v_pk_add_f16 v1, v3, v27
	s_mov_b64 vcc, s[8:9]
	v_pk_min_f16 v2, v2, v1
	v_lshrrev_b32_e32 v1, 16, v0
	v_min3_f16 v3, v4, v0, v1
	v_lshl_add_u64 v[0:1], v[42:43], 1, v[14:15]
	global_store_short v[0:1], v3, off
	v_min_f16_sdwa v0, v2, v2 dst_sel:DWORD dst_unused:UNUSED_PAD src0_sel:DWORD src1_sel:WORD_1
	v_max_f16_e32 v0, v0, v0
	s_cbranch_vccz .LBB276_167
; %bb.165:
	v_min_f16_e32 v1, 0, v0
	v_lshl_add_u64 v[2:3], v[40:41], 1, v[14:15]
	s_mov_b32 s2, 0
	global_store_short v[2:3], v1, off
	s_cbranch_execz .LBB276_168
; %bb.166:
	v_mov_b32_e32 v0, s2
	s_branch .LBB276_169
.LBB276_167:
                                        ; implicit-def: $sgpr2
.LBB276_168:
	v_lshlrev_b64 v[2:3], 1, v[40:41]
	v_lshl_add_u64 v[4:5], v[12:13], 0, v[2:3]
	flat_load_ushort v1, v[4:5]
	v_lshl_add_u64 v[2:3], v[14:15], 0, v[2:3]
	s_waitcnt vmcnt(0) lgkmcnt(0)
	v_mul_f16_e32 v1, v52, v1
	v_min_f16_e32 v0, v1, v0
	global_store_short v[2:3], v0, off
	v_lshl_add_u64 v[0:1], v[38:39], 1, v[12:13]
	flat_load_ushort v0, v[0:1]
	s_waitcnt vmcnt(0) lgkmcnt(0)
	v_mul_f16_e32 v0, v52, v0
.LBB276_169:
	v_pk_add_f16 v1, v24, v26
	v_pk_max_f16 v2, v68, v68
	s_nop 0
	v_pk_min_f16 v1, v2, v1
	v_pk_add_f16 v2, v25, v27
	s_nop 0
	v_pk_min_f16 v1, v1, v2
	s_nop 0
	v_lshrrev_b32_e32 v2, 16, v1
	v_min3_f16 v2, v0, v1, v2
	v_lshl_add_u64 v[0:1], v[38:39], 1, v[14:15]
	global_store_short v[0:1], v2, off
	s_endpgm
	.section	.rodata,"a",@progbits
	.p2align	6, 0x0
	.amdhsa_kernel _ZN12_GLOBAL__N_120geam_min_plus_kernelIDF16_Dv2_DF16_S1_Li8ELi32ELi64ELi256ELi4ELi4ELi64ELi64ELi4ELc84ELc84ELb0ELb0ELb1EPKDF16_S2_DF16_EEviiiT16_PT17_ilS6_ilS4_S6_ilPT18_ili26rocblas_geam_ex_operation_
		.amdhsa_group_segment_fixed_size 5120
		.amdhsa_private_segment_fixed_size 0
		.amdhsa_kernarg_size 136
		.amdhsa_user_sgpr_count 2
		.amdhsa_user_sgpr_dispatch_ptr 0
		.amdhsa_user_sgpr_queue_ptr 0
		.amdhsa_user_sgpr_kernarg_segment_ptr 1
		.amdhsa_user_sgpr_dispatch_id 0
		.amdhsa_user_sgpr_kernarg_preload_length 0
		.amdhsa_user_sgpr_kernarg_preload_offset 0
		.amdhsa_user_sgpr_private_segment_size 0
		.amdhsa_uses_dynamic_stack 0
		.amdhsa_enable_private_segment 0
		.amdhsa_system_sgpr_workgroup_id_x 1
		.amdhsa_system_sgpr_workgroup_id_y 0
		.amdhsa_system_sgpr_workgroup_id_z 1
		.amdhsa_system_sgpr_workgroup_info 0
		.amdhsa_system_vgpr_workitem_id 1
		.amdhsa_next_free_vgpr 168
		.amdhsa_next_free_sgpr 26
		.amdhsa_accum_offset 168
		.amdhsa_reserve_vcc 1
		.amdhsa_float_round_mode_32 0
		.amdhsa_float_round_mode_16_64 0
		.amdhsa_float_denorm_mode_32 3
		.amdhsa_float_denorm_mode_16_64 3
		.amdhsa_dx10_clamp 1
		.amdhsa_ieee_mode 1
		.amdhsa_fp16_overflow 0
		.amdhsa_tg_split 0
		.amdhsa_exception_fp_ieee_invalid_op 0
		.amdhsa_exception_fp_denorm_src 0
		.amdhsa_exception_fp_ieee_div_zero 0
		.amdhsa_exception_fp_ieee_overflow 0
		.amdhsa_exception_fp_ieee_underflow 0
		.amdhsa_exception_fp_ieee_inexact 0
		.amdhsa_exception_int_div_zero 0
	.end_amdhsa_kernel
	.section	.text._ZN12_GLOBAL__N_120geam_min_plus_kernelIDF16_Dv2_DF16_S1_Li8ELi32ELi64ELi256ELi4ELi4ELi64ELi64ELi4ELc84ELc84ELb0ELb0ELb1EPKDF16_S2_DF16_EEviiiT16_PT17_ilS6_ilS4_S6_ilPT18_ili26rocblas_geam_ex_operation_,"axG",@progbits,_ZN12_GLOBAL__N_120geam_min_plus_kernelIDF16_Dv2_DF16_S1_Li8ELi32ELi64ELi256ELi4ELi4ELi64ELi64ELi4ELc84ELc84ELb0ELb0ELb1EPKDF16_S2_DF16_EEviiiT16_PT17_ilS6_ilS4_S6_ilPT18_ili26rocblas_geam_ex_operation_,comdat
.Lfunc_end276:
	.size	_ZN12_GLOBAL__N_120geam_min_plus_kernelIDF16_Dv2_DF16_S1_Li8ELi32ELi64ELi256ELi4ELi4ELi64ELi64ELi4ELc84ELc84ELb0ELb0ELb1EPKDF16_S2_DF16_EEviiiT16_PT17_ilS6_ilS4_S6_ilPT18_ili26rocblas_geam_ex_operation_, .Lfunc_end276-_ZN12_GLOBAL__N_120geam_min_plus_kernelIDF16_Dv2_DF16_S1_Li8ELi32ELi64ELi256ELi4ELi4ELi64ELi64ELi4ELc84ELc84ELb0ELb0ELb1EPKDF16_S2_DF16_EEviiiT16_PT17_ilS6_ilS4_S6_ilPT18_ili26rocblas_geam_ex_operation_
                                        ; -- End function
	.section	.AMDGPU.csdata,"",@progbits
; Kernel info:
; codeLenInByte = 17132
; NumSgprs: 32
; NumVgprs: 168
; NumAgprs: 0
; TotalNumVgprs: 168
; ScratchSize: 0
; MemoryBound: 0
; FloatMode: 240
; IeeeMode: 1
; LDSByteSize: 5120 bytes/workgroup (compile time only)
; SGPRBlocks: 3
; VGPRBlocks: 20
; NumSGPRsForWavesPerEU: 32
; NumVGPRsForWavesPerEU: 168
; AccumOffset: 168
; Occupancy: 3
; WaveLimiterHint : 1
; COMPUTE_PGM_RSRC2:SCRATCH_EN: 0
; COMPUTE_PGM_RSRC2:USER_SGPR: 2
; COMPUTE_PGM_RSRC2:TRAP_HANDLER: 0
; COMPUTE_PGM_RSRC2:TGID_X_EN: 1
; COMPUTE_PGM_RSRC2:TGID_Y_EN: 0
; COMPUTE_PGM_RSRC2:TGID_Z_EN: 1
; COMPUTE_PGM_RSRC2:TIDIG_COMP_CNT: 1
; COMPUTE_PGM_RSRC3_GFX90A:ACCUM_OFFSET: 41
; COMPUTE_PGM_RSRC3_GFX90A:TG_SPLIT: 0
	.section	.text._ZN12_GLOBAL__N_120geam_min_plus_kernelIDF16_Dv2_DF16_S1_Li8ELi32ELi64ELi256ELi4ELi4ELi64ELi64ELi4ELc84ELc84ELb1ELb0ELb1EDF16_KDF16_DF16_EEviiiT16_PT17_ilS5_ilS3_S5_ilPT18_ili26rocblas_geam_ex_operation_,"axG",@progbits,_ZN12_GLOBAL__N_120geam_min_plus_kernelIDF16_Dv2_DF16_S1_Li8ELi32ELi64ELi256ELi4ELi4ELi64ELi64ELi4ELc84ELc84ELb1ELb0ELb1EDF16_KDF16_DF16_EEviiiT16_PT17_ilS5_ilS3_S5_ilPT18_ili26rocblas_geam_ex_operation_,comdat
	.globl	_ZN12_GLOBAL__N_120geam_min_plus_kernelIDF16_Dv2_DF16_S1_Li8ELi32ELi64ELi256ELi4ELi4ELi64ELi64ELi4ELc84ELc84ELb1ELb0ELb1EDF16_KDF16_DF16_EEviiiT16_PT17_ilS5_ilS3_S5_ilPT18_ili26rocblas_geam_ex_operation_ ; -- Begin function _ZN12_GLOBAL__N_120geam_min_plus_kernelIDF16_Dv2_DF16_S1_Li8ELi32ELi64ELi256ELi4ELi4ELi64ELi64ELi4ELc84ELc84ELb1ELb0ELb1EDF16_KDF16_DF16_EEviiiT16_PT17_ilS5_ilS3_S5_ilPT18_ili26rocblas_geam_ex_operation_
	.p2align	8
	.type	_ZN12_GLOBAL__N_120geam_min_plus_kernelIDF16_Dv2_DF16_S1_Li8ELi32ELi64ELi256ELi4ELi4ELi64ELi64ELi4ELc84ELc84ELb1ELb0ELb1EDF16_KDF16_DF16_EEviiiT16_PT17_ilS5_ilS3_S5_ilPT18_ili26rocblas_geam_ex_operation_,@function
_ZN12_GLOBAL__N_120geam_min_plus_kernelIDF16_Dv2_DF16_S1_Li8ELi32ELi64ELi256ELi4ELi4ELi64ELi64ELi4ELc84ELc84ELb1ELb0ELb1EDF16_KDF16_DF16_EEviiiT16_PT17_ilS5_ilS3_S5_ilPT18_ili26rocblas_geam_ex_operation_: ; @_ZN12_GLOBAL__N_120geam_min_plus_kernelIDF16_Dv2_DF16_S1_Li8ELi32ELi64ELi256ELi4ELi4ELi64ELi64ELi4ELc84ELc84ELb1ELb0ELb1EDF16_KDF16_DF16_EEviiiT16_PT17_ilS5_ilS3_S5_ilPT18_ili26rocblas_geam_ex_operation_
; %bb.0:
	s_load_dwordx2 s[14:15], s[0:1], 0x8
	s_load_dwordx4 s[4:7], s[0:1], 0x20
	s_waitcnt lgkmcnt(0)
	v_cmp_eq_f16_e64 s[8:9], s15, 0
	s_and_b64 vcc, exec, s[8:9]
	s_cbranch_vccnz .LBB277_3
; %bb.1:
	s_load_dwordx2 s[10:11], s[0:1], 0x10
	s_mul_i32 s5, s3, s5
	s_mul_hi_u32 s12, s3, s4
	s_add_i32 s5, s12, s5
	s_mul_i32 s4, s3, s4
	s_lshl_b64 s[4:5], s[4:5], 1
	s_waitcnt lgkmcnt(0)
	s_add_u32 s16, s10, s4
	s_addc_u32 s17, s11, s5
	s_andn2_b64 vcc, exec, s[8:9]
	s_cbranch_vccnz .LBB277_4
.LBB277_2:
	s_mov_b32 s13, 0
	s_mov_b64 s[18:19], 0
	s_cbranch_execz .LBB277_5
	s_branch .LBB277_6
.LBB277_3:
	s_mov_b64 s[16:17], 0
	s_andn2_b64 vcc, exec, s[8:9]
	s_cbranch_vccz .LBB277_2
.LBB277_4:
                                        ; implicit-def: $sgpr18_sgpr19
                                        ; implicit-def: $sgpr12_sgpr13
.LBB277_5:
	s_load_dwordx2 s[4:5], s[0:1], 0x38
	s_mov_b32 s13, 0
	s_waitcnt lgkmcnt(0)
	s_mul_i32 s5, s3, s5
	s_mul_hi_u32 s8, s3, s4
	s_add_i32 s5, s8, s5
	s_mul_i32 s4, s3, s4
	s_lshl_b64 s[4:5], s[4:5], 1
	s_add_u32 s18, s6, s4
	s_addc_u32 s19, s7, s5
.LBB277_6:
	s_load_dword s12, s[0:1], 0x40
	s_load_dwordx4 s[8:11], s[0:1], 0x58
	s_waitcnt lgkmcnt(0)
	v_cmp_eq_f16_e64 s[4:5], s12, 0
	s_and_b64 s[4:5], exec, s[4:5]
	s_mov_b64 vcc, s[4:5]
	s_cbranch_vccnz .LBB277_8
; %bb.7:
	s_load_dwordx2 s[6:7], s[0:1], 0x48
	s_mul_i32 s9, s3, s9
	s_mul_hi_u32 s15, s3, s8
	s_add_i32 s9, s15, s9
	s_mul_i32 s15, s13, s8
	s_add_i32 s9, s9, s15
	s_mul_i32 s8, s3, s8
	s_lshl_b64 s[8:9], s[8:9], 1
	s_waitcnt lgkmcnt(0)
	s_add_u32 s6, s6, s8
	s_addc_u32 s7, s7, s9
	s_branch .LBB277_9
.LBB277_8:
	s_mov_b64 s[6:7], 0
.LBB277_9:
	s_load_dword s8, s[0:1], 0x0
	s_load_dword s9, s[0:1], 0x18
	;; [unrolled: 1-line block ×3, first 2 shown]
	v_and_b32_e32 v41, 0x3ff, v0
	v_bfe_u32 v42, v0, 10, 10
	s_waitcnt lgkmcnt(0)
	s_add_i32 s8, s8, -1
	s_ashr_i32 s15, s8, 31
	s_lshr_b32 s15, s15, 26
	s_add_i32 s8, s8, s15
	s_ashr_i32 s8, s8, 6
	s_add_i32 s15, s8, 1
	v_cvt_f32_u32_e32 v1, s15
	s_not_b32 s8, s8
	v_lshlrev_b32_e32 v40, 3, v42
	v_and_b32_e32 v2, 3, v41
	v_rcp_iflag_f32_e32 v0, v1
	v_add_u32_e32 v1, v40, v41
	v_lshrrev_b32_e32 v6, 2, v1
	v_and_b32_e32 v7, 63, v1
	v_mul_f32_e32 v0, 0x4f7ffffe, v0
	v_cvt_u32_f32_e32 v0, v0
	v_lshrrev_b32_e32 v38, 6, v1
	v_lshlrev_b32_e32 v36, 1, v2
	v_mov_b32_e32 v37, 0
	v_readfirstlane_b32 s21, v0
	s_mul_i32 s8, s8, s21
	s_mul_hi_u32 s8, s21, s8
	s_add_i32 s21, s21, s8
	s_mul_hi_u32 s8, s2, s21
	s_mul_i32 s21, s8, s15
	s_sub_i32 s21, s2, s21
	s_add_i32 s22, s8, 1
	s_sub_i32 s23, s21, s15
	s_cmp_ge_u32 s21, s15
	s_cselect_b32 s8, s22, s8
	s_cselect_b32 s21, s23, s21
	s_add_i32 s22, s8, 1
	s_cmp_ge_u32 s21, s15
	s_cselect_b32 s8, s22, s8
	s_mul_i32 s15, s8, s15
	s_sub_i32 s2, s2, s15
	s_lshl_b32 s2, s2, 6
	s_lshl_b32 s15, s8, 8
	v_add_u32_e32 v0, s2, v6
	v_or_b32_e32 v32, s15, v7
	v_mad_i64_i32 v[34:35], s[8:9], v0, s9, 0
	v_mad_i64_i32 v[2:3], s[8:9], s20, v38, 0
	v_ashrrev_i32_e32 v33, 31, v32
	v_lshl_add_u64 v[2:3], v[2:3], 1, s[18:19]
	v_lshlrev_b64 v[4:5], 1, v[32:33]
	v_lshl_add_u64 v[0:1], v[34:35], 1, s[16:17]
	v_lshl_add_u64 v[2:3], v[2:3], 0, v[4:5]
	;; [unrolled: 1-line block ×3, first 2 shown]
	flat_load_ushort v8, v[2:3]
	flat_load_ushort v9, v[2:3] offset:128
	flat_load_ushort v10, v[2:3] offset:256
	;; [unrolled: 1-line block ×3, first 2 shown]
	flat_load_ushort v12, v[0:1]
	v_add_u32_e32 v2, 4, v38
	v_mad_i64_i32 v[2:3], s[22:23], s20, v2, 0
	v_lshlrev_b32_e32 v43, 3, v41
	v_lshl_or_b32 v39, v6, 3, v36
	v_lshlrev_b32_e32 v6, 1, v38
	v_lshl_add_u64 v[2:3], v[2:3], 1, s[18:19]
	v_add_u32_e32 v44, 0x1000, v43
	v_lshl_add_u32 v45, v7, 3, v6
	v_lshl_add_u64 v[2:3], v[2:3], 0, v[4:5]
	flat_load_ushort v46, v[2:3]
	flat_load_ushort v47, v[2:3] offset:128
	flat_load_ushort v48, v[2:3] offset:256
	;; [unrolled: 1-line block ×4, first 2 shown]
	s_movk_i32 s8, 0x7c00
	s_cmp_lt_i32 s14, 9
	s_waitcnt vmcnt(0) lgkmcnt(0)
	ds_write_b16 v45, v8
	ds_write_b16 v45, v9 offset:512
	ds_write_b16 v45, v10 offset:1024
	ds_write_b16 v45, v11 offset:1536
	ds_write_b16 v39, v12 offset:4096
	s_waitcnt lgkmcnt(0)
	s_barrier
	ds_read2_b64 v[16:19], v44 offset1:8
	ds_read2_b64 v[12:15], v44 offset0:16 offset1:24
	ds_read2_b64 v[8:11], v44 offset0:32 offset1:40
	ds_read2_b64 v[28:31], v40 offset1:32
	ds_read2_b64 v[0:3], v44 offset0:48 offset1:56
	ds_read2_b64 v[24:27], v40 offset0:64 offset1:96
	ds_read2_b64 v[20:23], v40 offset0:128 offset1:160
	ds_read2_b64 v[4:7], v40 offset0:192 offset1:224
	s_waitcnt lgkmcnt(4)
	v_pk_add_f16 v54, v14, v28
	v_pk_add_f16 v50, v16, v28
	v_pk_min_f16 v69, v54, s8 op_sel_hi:[1,0]
	s_waitcnt lgkmcnt(2)
	v_pk_add_f16 v54, v8, v24
	v_pk_add_f16 v58, v16, v30
	v_pk_min_f16 v78, v54, s8 op_sel_hi:[1,0]
	v_pk_add_f16 v54, v10, v24
	v_pk_add_f16 v65, v16, v24
	v_pk_min_f16 v79, v54, s8 op_sel_hi:[1,0]
	;; [unrolled: 3-line block ×10, first 2 shown]
	s_waitcnt lgkmcnt(1)
	v_pk_add_f16 v54, v16, v20
	v_pk_add_f16 v64, v0, v30
	v_pk_min_f16 v88, v54, s8 op_sel_hi:[1,0]
	v_pk_add_f16 v54, v18, v20
	v_pk_add_f16 v67, v12, v24
	v_pk_min_f16 v89, v54, s8 op_sel_hi:[1,0]
	;; [unrolled: 3-line block ×8, first 2 shown]
	v_pk_add_f16 v54, v18, v22
	v_pk_min_f16 v50, v50, s8 op_sel_hi:[1,0]
	v_pk_min_f16 v96, v54, s8 op_sel_hi:[1,0]
	v_pk_add_f16 v54, v12, v22
	v_pk_add_f16 v24, v2, v24
	v_pk_min_f16 v97, v54, s8 op_sel_hi:[1,0]
	v_pk_add_f16 v54, v14, v22
	v_pk_add_f16 v26, v2, v26
	;; [unrolled: 3-line block ×3, first 2 shown]
	v_pk_min_f16 v99, v54, s8 op_sel_hi:[1,0]
	v_pk_add_f16 v54, v10, v22
	v_pk_min_f16 v52, v52, s8 op_sel_hi:[1,0]
	v_pk_min_f16 v100, v54, s8 op_sel_hi:[1,0]
	v_pk_add_f16 v54, v0, v22
	v_pk_add_f16 v22, v2, v22
	v_pk_min_f16 v101, v54, s8 op_sel_hi:[1,0]
	s_waitcnt lgkmcnt(0)
	v_pk_add_f16 v54, v16, v4
	v_pk_min_f16 v53, v53, s8 op_sel_hi:[1,0]
	v_pk_min_f16 v102, v54, s8 op_sel_hi:[1,0]
	v_pk_add_f16 v54, v18, v4
	v_pk_min_f16 v55, v55, s8 op_sel_hi:[1,0]
	v_pk_min_f16 v103, v54, s8 op_sel_hi:[1,0]
	;; [unrolled: 3-line block ×6, first 2 shown]
	v_pk_add_f16 v54, v0, v4
	v_pk_add_f16 v4, v2, v4
	v_pk_add_f16 v0, v0, v6
	v_pk_min_f16 v111, v4, s8 op_sel_hi:[1,0]
	v_pk_add_f16 v4, v16, v6
	v_pk_min_f16 v110, v54, s8 op_sel_hi:[1,0]
	v_pk_min_f16 v16, v4, s8 op_sel_hi:[1,0]
	v_pk_add_f16 v4, v18, v6
	v_pk_min_f16 v59, v59, s8 op_sel_hi:[1,0]
	v_pk_min_f16 v18, v4, s8 op_sel_hi:[1,0]
	v_pk_add_f16 v4, v12, v6
	v_pk_min_f16 v75, v66, s8 op_sel_hi:[1,0]
	v_pk_min_f16 v112, v4, s8 op_sel_hi:[1,0]
	v_pk_add_f16 v4, v14, v6
	v_pk_min_f16 v60, v60, s8 op_sel_hi:[1,0]
	v_pk_min_f16 v14, v4, s8 op_sel_hi:[1,0]
	v_pk_add_f16 v4, v8, v6
	v_pk_min_f16 v74, v65, s8 op_sel_hi:[1,0]
	v_pk_min_f16 v12, v4, s8 op_sel_hi:[1,0]
	v_pk_add_f16 v4, v10, v6
	v_pk_min_f16 v61, v61, s8 op_sel_hi:[1,0]
	v_pk_min_f16 v8, v4, s8 op_sel_hi:[1,0]
	v_pk_min_f16 v4, v0, s8 op_sel_hi:[1,0]
	v_pk_add_f16 v0, v2, v6
	v_pk_add_f16 v2, v17, v29
	v_pk_min_f16 v73, v64, s8 op_sel_hi:[1,0]
	v_pk_min_f16 v50, v50, v2
	v_pk_add_f16 v2, v19, v29
	v_pk_min_f16 v62, v62, s8 op_sel_hi:[1,0]
	v_pk_min_f16 v52, v52, v2
	;; [unrolled: 3-line block ×11, first 2 shown]
	v_pk_add_f16 v2, v15, v31
	ds_write_b16 v39, v51 offset:4608
	ds_write_b16 v45, v46 offset:2048
	;; [unrolled: 1-line block ×5, first 2 shown]
	v_pk_min_f16 v63, v61, v2
	v_pk_add_f16 v2, v9, v31
	s_waitcnt lgkmcnt(0)
	v_pk_min_f16 v62, v62, v2
	v_pk_add_f16 v2, v11, v31
	s_barrier
	v_pk_min_f16 v60, v72, v2
	v_pk_add_f16 v2, v1, v31
	s_nop 0
	v_pk_min_f16 v59, v73, v2
	v_pk_add_f16 v2, v3, v31
	s_nop 0
	;; [unrolled: 3-line block ×40, first 2 shown]
	v_pk_min_f16 v101, v109, v2
	v_pk_add_f16 v2, v1, v5
	v_pk_add_f16 v1, v1, v7
	v_pk_min_f16 v100, v110, v2
	v_pk_add_f16 v2, v3, v5
	v_pk_min_f16 v113, v4, v1
	v_pk_min_f16 v99, v111, v2
	v_pk_add_f16 v2, v17, v7
	v_pk_add_f16 v1, v3, v7
	v_pk_min_f16 v108, v16, v2
	v_pk_add_f16 v2, v19, v7
	v_pk_min_f16 v114, v0, v1
	v_pk_min_f16 v107, v18, v2
	v_pk_add_f16 v2, v13, v7
	s_nop 0
	v_pk_min_f16 v109, v112, v2
	v_pk_add_f16 v2, v15, v7
	s_nop 0
	;; [unrolled: 3-line block ×4, first 2 shown]
	v_pk_min_f16 v112, v8, v2
	s_cbranch_scc1 .LBB277_12
; %bb.10:
	v_mov_b32_e32 v0, 0x1200
	v_lshl_add_u32 v49, v41, 3, v0
	v_lshl_add_u64 v[0:1], v[34:35], 1, v[36:37]
	v_lshl_add_u64 v[0:1], v[0:1], 0, s[16:17]
	;; [unrolled: 1-line block ×3, first 2 shown]
	v_add_u32_e32 v0, 8, v38
	v_mad_i64_i32 v[0:1], s[8:9], v0, s20, 0
	v_lshlrev_b64 v[36:37], 1, v[0:1]
	v_add_u32_e32 v0, 12, v38
	s_ashr_i32 s21, s20, 31
	v_mad_i64_i32 v[0:1], s[16:17], v0, s20, 0
	v_add_u32_e32 v46, 0x1000, v39
	v_add_u32_e32 v47, 0x1200, v39
	v_or_b32_e32 v48, 0x800, v45
	s_add_i32 s14, s14, -8
	v_add_u32_e32 v51, 0x800, v40
	v_lshl_add_u64 v[32:33], v[32:33], 1, s[18:19]
	s_lshl_b64 s[8:9], s[20:21], 4
	v_lshlrev_b64 v[38:39], 1, v[0:1]
	s_mov_b32 s16, 0
.LBB277_11:                             ; =>This Inner Loop Header: Depth=1
	v_lshl_add_u64 v[0:1], v[32:33], 0, v[36:37]
	flat_load_ushort v115, v[0:1] offset:384
	flat_load_ushort v116, v[0:1] offset:256
	;; [unrolled: 1-line block ×3, first 2 shown]
	flat_load_ushort v118, v[0:1]
	flat_load_ushort v119, v[34:35]
	ds_read2_b64 v[0:3], v49 offset1:8
	ds_read2_b64 v[4:7], v49 offset0:16 offset1:24
	ds_read2_b64 v[8:11], v49 offset0:32 offset1:40
	;; [unrolled: 1-line block ×3, first 2 shown]
	ds_read2_b64 v[12:15], v51 offset1:32
	ds_read2_b64 v[20:23], v51 offset0:64 offset1:96
	ds_read2_b64 v[24:27], v51 offset0:128 offset1:160
	;; [unrolled: 1-line block ×3, first 2 shown]
	v_lshl_add_u64 v[120:121], v[32:33], 0, v[38:39]
	v_pk_max_f16 v114, v114, v114
	v_pk_max_f16 v113, v113, v113
	;; [unrolled: 1-line block ×8, first 2 shown]
	s_add_i32 s16, s16, 8
	v_lshl_add_u64 v[32:33], v[32:33], 0, s[8:9]
	s_cmp_ge_i32 s16, s14
	s_waitcnt vmcnt(0) lgkmcnt(0)
	ds_write_b16 v46, v119
	ds_write_b16 v45, v118
	ds_write_b16 v45, v117 offset:512
	ds_write_b16 v45, v116 offset:1024
	;; [unrolled: 1-line block ×3, first 2 shown]
	s_waitcnt lgkmcnt(0)
	s_barrier
	flat_load_ushort v115, v[120:121] offset:384
	flat_load_ushort v116, v[120:121] offset:256
	;; [unrolled: 1-line block ×3, first 2 shown]
	flat_load_ushort v118, v[120:121]
	flat_load_ushort v119, v[34:35] offset:8
	v_pk_add_f16 v120, v18, v30
	v_lshl_add_u64 v[34:35], v[34:35], 0, 16
	v_pk_min_f16 v114, v114, v120
	v_pk_add_f16 v120, v19, v31
	s_nop 0
	v_pk_min_f16 v114, v114, v120
	v_pk_add_f16 v120, v16, v30
	s_nop 0
	;; [unrolled: 3-line block ×11, first 2 shown]
	v_pk_min_f16 v109, v109, v120
	v_pk_add_f16 v120, v2, v30
	v_pk_add_f16 v30, v0, v30
	v_pk_min_f16 v107, v107, v120
	v_pk_add_f16 v120, v3, v31
	v_pk_min_f16 v30, v108, v30
	;; [unrolled: 2-line block ×3, first 2 shown]
	v_pk_min_f16 v108, v30, v31
	v_pk_add_f16 v30, v18, v28
	v_pk_max_f16 v31, v99, v99
	s_nop 0
	v_pk_min_f16 v30, v31, v30
	v_pk_add_f16 v31, v19, v29
	s_nop 0
	v_pk_min_f16 v99, v30, v31
	v_pk_add_f16 v30, v16, v28
	v_pk_max_f16 v31, v100, v100
	s_nop 0
	v_pk_min_f16 v30, v31, v30
	v_pk_add_f16 v31, v17, v29
	s_nop 0
	v_pk_min_f16 v100, v30, v31
	v_pk_add_f16 v30, v10, v28
	v_pk_max_f16 v31, v101, v101
	s_nop 0
	v_pk_min_f16 v30, v31, v30
	v_pk_add_f16 v31, v11, v29
	s_nop 0
	v_pk_min_f16 v101, v30, v31
	v_pk_add_f16 v30, v8, v28
	v_pk_max_f16 v31, v102, v102
	s_nop 0
	v_pk_min_f16 v30, v31, v30
	v_pk_add_f16 v31, v9, v29
	s_nop 0
	v_pk_min_f16 v102, v30, v31
	v_pk_add_f16 v30, v6, v28
	v_pk_max_f16 v31, v103, v103
	s_nop 0
	v_pk_min_f16 v30, v31, v30
	v_pk_add_f16 v31, v7, v29
	s_nop 0
	v_pk_min_f16 v103, v30, v31
	v_pk_add_f16 v30, v4, v28
	v_pk_max_f16 v31, v104, v104
	s_nop 0
	v_pk_min_f16 v30, v31, v30
	v_pk_add_f16 v31, v5, v29
	s_nop 0
	v_pk_min_f16 v104, v30, v31
	v_pk_add_f16 v30, v2, v28
	v_pk_max_f16 v31, v105, v105
	v_pk_add_f16 v28, v0, v28
	v_pk_min_f16 v30, v31, v30
	v_pk_add_f16 v31, v3, v29
	v_pk_add_f16 v29, v1, v29
	v_pk_min_f16 v105, v30, v31
	v_pk_max_f16 v30, v106, v106
	s_nop 0
	v_pk_min_f16 v28, v30, v28
	s_nop 0
	v_pk_min_f16 v106, v28, v29
	v_pk_add_f16 v28, v18, v26
	v_pk_max_f16 v29, v98, v98
	s_nop 0
	v_pk_min_f16 v28, v29, v28
	v_pk_add_f16 v29, v19, v27
	s_nop 0
	v_pk_min_f16 v98, v28, v29
	v_pk_add_f16 v28, v16, v26
	v_pk_max_f16 v29, v97, v97
	s_nop 0
	v_pk_min_f16 v28, v29, v28
	v_pk_add_f16 v29, v17, v27
	s_nop 0
	v_pk_min_f16 v97, v28, v29
	v_pk_add_f16 v28, v10, v26
	v_pk_max_f16 v29, v96, v96
	s_nop 0
	v_pk_min_f16 v28, v29, v28
	v_pk_add_f16 v29, v11, v27
	s_nop 0
	v_pk_min_f16 v96, v28, v29
	v_pk_add_f16 v28, v8, v26
	v_pk_max_f16 v29, v95, v95
	s_nop 0
	v_pk_min_f16 v28, v29, v28
	v_pk_add_f16 v29, v9, v27
	s_nop 0
	v_pk_min_f16 v95, v28, v29
	v_pk_add_f16 v28, v6, v26
	v_pk_max_f16 v29, v93, v93
	s_nop 0
	v_pk_min_f16 v28, v29, v28
	v_pk_add_f16 v29, v7, v27
	s_nop 0
	v_pk_min_f16 v93, v28, v29
	v_pk_add_f16 v28, v4, v26
	v_pk_max_f16 v29, v91, v91
	s_nop 0
	v_pk_min_f16 v28, v29, v28
	v_pk_add_f16 v29, v5, v27
	s_nop 0
	v_pk_min_f16 v91, v28, v29
	v_pk_add_f16 v28, v2, v26
	v_pk_max_f16 v29, v88, v88
	v_pk_add_f16 v26, v0, v26
	v_pk_min_f16 v28, v29, v28
	v_pk_add_f16 v29, v3, v27
	v_pk_add_f16 v27, v1, v27
	v_pk_min_f16 v88, v28, v29
	v_pk_max_f16 v28, v90, v90
	s_nop 0
	v_pk_min_f16 v26, v28, v26
	s_nop 0
	;; [unrolled: 54-line block ×5, first 2 shown]
	v_pk_min_f16 v68, v20, v21
	v_pk_add_f16 v20, v18, v14
	v_pk_max_f16 v21, v61, v61
	s_nop 0
	v_pk_min_f16 v20, v21, v20
	v_pk_add_f16 v21, v19, v15
	s_nop 0
	v_pk_min_f16 v61, v20, v21
	v_pk_add_f16 v20, v16, v14
	v_pk_max_f16 v21, v59, v59
	s_nop 0
	v_pk_min_f16 v20, v21, v20
	v_pk_add_f16 v21, v17, v15
	s_nop 0
	v_pk_min_f16 v59, v20, v21
	v_pk_add_f16 v20, v10, v14
	v_pk_max_f16 v21, v60, v60
	v_pk_add_f16 v10, v10, v12
	v_pk_min_f16 v20, v21, v20
	v_pk_add_f16 v21, v11, v15
	v_pk_add_f16 v11, v11, v13
	v_pk_min_f16 v60, v20, v21
	v_pk_add_f16 v20, v8, v14
	v_pk_max_f16 v21, v62, v62
	v_pk_add_f16 v8, v8, v12
	v_pk_min_f16 v20, v21, v20
	v_pk_add_f16 v21, v9, v15
	v_pk_add_f16 v9, v9, v13
	v_pk_min_f16 v62, v20, v21
	v_pk_add_f16 v20, v6, v14
	v_pk_max_f16 v21, v63, v63
	v_pk_add_f16 v6, v6, v12
	v_pk_min_f16 v20, v21, v20
	v_pk_add_f16 v21, v7, v15
	v_pk_add_f16 v7, v7, v13
	v_pk_min_f16 v63, v20, v21
	v_pk_add_f16 v20, v4, v14
	v_pk_max_f16 v21, v64, v64
	v_pk_add_f16 v4, v4, v12
	v_pk_min_f16 v20, v21, v20
	v_pk_add_f16 v21, v5, v15
	v_pk_add_f16 v5, v5, v13
	v_pk_min_f16 v64, v20, v21
	v_pk_add_f16 v20, v2, v14
	v_pk_max_f16 v21, v65, v65
	v_pk_add_f16 v14, v0, v14
	v_pk_min_f16 v20, v21, v20
	v_pk_add_f16 v21, v3, v15
	v_pk_add_f16 v15, v1, v15
	v_pk_min_f16 v65, v20, v21
	v_pk_max_f16 v20, v66, v66
	v_pk_add_f16 v2, v2, v12
	v_pk_min_f16 v14, v20, v14
	v_pk_add_f16 v3, v3, v13
	v_pk_min_f16 v66, v14, v15
	v_pk_add_f16 v14, v18, v12
	v_pk_max_f16 v15, v57, v57
	v_pk_add_f16 v0, v0, v12
	v_pk_min_f16 v14, v15, v14
	v_pk_add_f16 v15, v19, v13
	v_pk_add_f16 v1, v1, v13
	v_pk_min_f16 v57, v14, v15
	v_pk_add_f16 v14, v16, v12
	v_pk_max_f16 v15, v58, v58
	s_nop 0
	v_pk_min_f16 v14, v15, v14
	v_pk_add_f16 v15, v17, v13
	s_nop 0
	v_pk_min_f16 v58, v14, v15
	v_pk_max_f16 v14, v55, v55
	s_nop 0
	v_pk_min_f16 v10, v14, v10
	s_nop 0
	v_pk_min_f16 v55, v10, v11
	v_pk_max_f16 v10, v56, v56
	s_nop 0
	v_pk_min_f16 v8, v10, v8
	;; [unrolled: 5-line block ×6, first 2 shown]
	s_nop 0
	v_pk_min_f16 v50, v0, v1
	ds_read2_b64 v[16:19], v44 offset1:8
	ds_read2_b64 v[12:15], v44 offset0:16 offset1:24
	ds_read2_b64 v[8:11], v44 offset0:32 offset1:40
	ds_read2_b64 v[0:3], v44 offset0:48 offset1:56
	ds_read2_b64 v[28:31], v40 offset1:32
	ds_read2_b64 v[24:27], v40 offset0:64 offset1:96
	ds_read2_b64 v[20:23], v40 offset0:128 offset1:160
	;; [unrolled: 1-line block ×3, first 2 shown]
	s_waitcnt vmcnt(0) lgkmcnt(0)
	ds_write_b16 v47, v119
	ds_write_b16 v48, v118
	ds_write_b16 v48, v117 offset:512
	ds_write_b16 v48, v116 offset:1024
	;; [unrolled: 1-line block ×3, first 2 shown]
	v_pk_add_f16 v120, v16, v28
	s_waitcnt lgkmcnt(0)
	v_pk_min_f16 v50, v50, v120
	v_pk_add_f16 v120, v18, v28
	s_barrier
	v_pk_min_f16 v52, v52, v120
	v_pk_add_f16 v120, v12, v28
	s_nop 0
	v_pk_min_f16 v54, v54, v120
	v_pk_add_f16 v120, v14, v28
	s_nop 0
	v_pk_min_f16 v53, v53, v120
	v_pk_add_f16 v120, v8, v28
	s_nop 0
	v_pk_min_f16 v56, v56, v120
	v_pk_add_f16 v120, v10, v28
	s_nop 0
	v_pk_min_f16 v55, v55, v120
	v_pk_add_f16 v120, v0, v28
	v_pk_add_f16 v28, v2, v28
	v_pk_min_f16 v58, v58, v120
	v_pk_min_f16 v57, v57, v28
	v_pk_add_f16 v28, v16, v30
	s_nop 0
	v_pk_min_f16 v66, v66, v28
	v_pk_add_f16 v28, v18, v30
	s_nop 0
	v_pk_min_f16 v65, v65, v28
	v_pk_add_f16 v28, v12, v30
	s_nop 0
	v_pk_min_f16 v64, v64, v28
	v_pk_add_f16 v28, v14, v30
	s_nop 0
	v_pk_min_f16 v63, v63, v28
	v_pk_add_f16 v28, v8, v30
	s_nop 0
	v_pk_min_f16 v62, v62, v28
	v_pk_add_f16 v28, v10, v30
	s_nop 0
	v_pk_min_f16 v60, v60, v28
	v_pk_add_f16 v28, v0, v30
	s_nop 0
	v_pk_min_f16 v59, v59, v28
	v_pk_add_f16 v28, v2, v30
	s_nop 0
	v_pk_min_f16 v61, v61, v28
	v_pk_add_f16 v28, v16, v24
	s_nop 0
	v_pk_min_f16 v68, v68, v28
	v_pk_add_f16 v28, v18, v24
	s_nop 0
	v_pk_min_f16 v67, v67, v28
	v_pk_add_f16 v28, v12, v24
	s_nop 0
	v_pk_min_f16 v69, v69, v28
	v_pk_add_f16 v28, v14, v24
	s_nop 0
	v_pk_min_f16 v70, v70, v28
	v_pk_add_f16 v28, v8, v24
	s_nop 0
	v_pk_min_f16 v71, v71, v28
	v_pk_add_f16 v28, v10, v24
	s_nop 0
	v_pk_min_f16 v73, v73, v28
	v_pk_add_f16 v28, v0, v24
	v_pk_add_f16 v24, v2, v24
	v_pk_min_f16 v76, v76, v28
	v_pk_min_f16 v78, v78, v24
	v_pk_add_f16 v24, v16, v26
	s_nop 0
	v_pk_min_f16 v74, v74, v24
	v_pk_add_f16 v24, v18, v26
	s_nop 0
	v_pk_min_f16 v72, v72, v24
	v_pk_add_f16 v24, v12, v26
	s_nop 0
	v_pk_min_f16 v75, v75, v24
	v_pk_add_f16 v24, v14, v26
	s_nop 0
	v_pk_min_f16 v77, v77, v24
	v_pk_add_f16 v24, v8, v26
	s_nop 0
	v_pk_min_f16 v79, v79, v24
	v_pk_add_f16 v24, v10, v26
	s_nop 0
	v_pk_min_f16 v80, v80, v24
	v_pk_add_f16 v24, v0, v26
	s_nop 0
	v_pk_min_f16 v81, v81, v24
	v_pk_add_f16 v24, v2, v26
	s_nop 0
	v_pk_min_f16 v82, v82, v24
	v_pk_add_f16 v24, v16, v20
	s_nop 0
	v_pk_min_f16 v84, v84, v24
	v_pk_add_f16 v24, v18, v20
	s_nop 0
	;; [unrolled: 46-line block ×3, first 2 shown]
	v_pk_min_f16 v22, v105, v20
	v_pk_add_f16 v20, v12, v4
	s_nop 0
	v_pk_min_f16 v24, v104, v20
	v_pk_add_f16 v20, v14, v4
	s_nop 0
	;; [unrolled: 3-line block ×4, first 2 shown]
	v_pk_min_f16 v30, v101, v20
	v_pk_add_f16 v20, v0, v4
	v_pk_add_f16 v4, v2, v4
	v_pk_min_f16 v100, v100, v20
	v_pk_min_f16 v99, v99, v4
	v_pk_add_f16 v4, v16, v6
	v_pk_add_f16 v0, v0, v6
	v_pk_min_f16 v20, v108, v4
	v_pk_add_f16 v4, v18, v6
	s_nop 0
	v_pk_min_f16 v18, v107, v4
	v_pk_add_f16 v4, v12, v6
	s_nop 0
	;; [unrolled: 3-line block ×5, first 2 shown]
	v_pk_min_f16 v8, v112, v4
	v_pk_min_f16 v4, v113, v0
	v_pk_add_f16 v0, v2, v6
	v_pk_add_f16 v2, v17, v29
	v_pk_min_f16 v0, v114, v0
	v_pk_min_f16 v50, v50, v2
	v_pk_add_f16 v2, v19, v29
	s_nop 0
	v_pk_min_f16 v52, v52, v2
	v_pk_add_f16 v2, v13, v29
	s_nop 0
	;; [unrolled: 3-line block ×53, first 2 shown]
	v_pk_min_f16 v101, v30, v2
	v_pk_add_f16 v2, v1, v5
	v_pk_add_f16 v1, v1, v7
	v_pk_min_f16 v100, v100, v2
	v_pk_add_f16 v2, v3, v5
	v_pk_min_f16 v113, v4, v1
	v_pk_min_f16 v99, v99, v2
	v_pk_add_f16 v2, v17, v7
	v_pk_add_f16 v1, v3, v7
	v_pk_min_f16 v108, v20, v2
	v_pk_add_f16 v2, v19, v7
	v_pk_min_f16 v114, v0, v1
	v_pk_min_f16 v107, v18, v2
	v_pk_add_f16 v2, v13, v7
	s_nop 0
	v_pk_min_f16 v109, v16, v2
	v_pk_add_f16 v2, v15, v7
	s_nop 0
	v_pk_min_f16 v110, v14, v2
	v_pk_add_f16 v2, v9, v7
	s_nop 0
	v_pk_min_f16 v111, v12, v2
	v_pk_add_f16 v2, v11, v7
	s_nop 0
	v_pk_min_f16 v112, v8, v2
	s_cbranch_scc0 .LBB277_11
.LBB277_12:
	s_load_dword s14, s[0:1], 0x50
	ds_read_b64 v[30:31], v43 offset:4608
	ds_read_b64 v[46:47], v40 offset:2048
	v_add_u32_e32 v115, s15, v42
	v_cmp_neq_f16_e64 s[8:9], s12, 0
	v_add_u32_e32 v28, s2, v41
	s_waitcnt lgkmcnt(0)
	v_mad_i64_i32 v[0:1], s[16:17], v115, s14, 0
	v_ashrrev_i32_e32 v29, 31, v28
	v_lshl_add_u64 v[48:49], v[0:1], 1, s[6:7]
	s_and_b64 vcc, exec, s[8:9]
	v_mov_b32_e32 v36, 0
	v_mov_b32_e32 v34, 0
	s_cbranch_vccz .LBB277_14
; %bb.13:
	v_lshl_add_u64 v[0:1], v[28:29], 1, v[48:49]
	flat_load_ushort v0, v[0:1]
	s_waitcnt vmcnt(0) lgkmcnt(0)
	v_mul_f16_e32 v34, s12, v0
.LBB277_14:
	v_add_u32_e32 v0, 0x1000, v43
	ds_read2_b64 v[8:11], v0 offset0:72 offset1:80
	ds_read2_b64 v[4:7], v0 offset0:88 offset1:96
	;; [unrolled: 1-line block ×3, first 2 shown]
	ds_read_b64 v[24:25], v43 offset:5056
	s_load_dword s15, s[0:1], 0x68
	s_load_dwordx2 s[16:17], s[0:1], 0x70
	v_add_u32_e32 v12, 0x800, v40
	ds_read2_b64 v[20:23], v12 offset0:32 offset1:64
	ds_read2_b64 v[16:19], v12 offset0:96 offset1:128
	;; [unrolled: 1-line block ×3, first 2 shown]
	ds_read_b64 v[26:27], v40 offset:3840
	v_pk_add_f16 v32, v30, v46
	v_pk_max_f16 v33, v50, v50
	s_waitcnt lgkmcnt(0)
	s_mul_i32 s0, s3, s17
	s_mul_hi_u32 s1, s3, s16
	s_add_i32 s0, s1, s0
	s_mul_i32 s1, s13, s16
	s_add_i32 s1, s0, s1
	s_mul_i32 s0, s3, s16
	s_lshl_b64 s[0:1], s[0:1], 1
	s_add_u32 s2, s10, s0
	v_pk_min_f16 v32, v33, v32
	v_pk_add_f16 v33, v31, v47
	s_addc_u32 s3, s11, s1
	v_pk_min_f16 v35, v32, v33
	v_mad_i64_i32 v[38:39], s[0:1], v115, s15, 0
	v_add_u32_e32 v32, 8, v28
	v_lshl_add_u64 v[50:51], v[38:39], 1, s[2:3]
	v_lshrrev_b32_e32 v37, 16, v35
	v_cndmask_b32_e64 v38, 0, 1, s[8:9]
	v_ashrrev_i32_e32 v33, 31, v32
	v_min3_f16 v37, v34, v35, v37
	v_lshl_add_u64 v[34:35], v[28:29], 1, v[50:51]
	v_cmp_ne_u32_e64 s[0:1], 1, v38
	s_andn2_b64 vcc, exec, s[8:9]
	global_store_short v[34:35], v37, off
	s_cbranch_vccnz .LBB277_16
; %bb.15:
	v_lshl_add_u64 v[34:35], v[32:33], 1, v[48:49]
	flat_load_ushort v34, v[34:35]
	s_waitcnt vmcnt(0) lgkmcnt(0)
	v_mul_f16_e32 v36, s12, v34
.LBB277_16:
	v_pk_add_f16 v34, v8, v46
	v_pk_max_f16 v35, v52, v52
	s_and_b64 vcc, exec, s[0:1]
	v_pk_min_f16 v34, v35, v34
	v_pk_add_f16 v35, v9, v47
	v_mov_b32_e32 v39, 0
	v_pk_min_f16 v37, v34, v35
	v_add_u32_e32 v34, 16, v28
	v_lshrrev_b32_e32 v38, 16, v37
	v_min3_f16 v38, v36, v37, v38
	v_lshl_add_u64 v[36:37], v[32:33], 1, v[50:51]
	v_ashrrev_i32_e32 v35, 31, v34
	global_store_short v[36:37], v38, off
	v_mov_b32_e32 v38, 0
	s_cbranch_vccnz .LBB277_18
; %bb.17:
	v_lshl_add_u64 v[36:37], v[34:35], 1, v[48:49]
	flat_load_ushort v36, v[36:37]
	s_waitcnt vmcnt(0) lgkmcnt(0)
	v_mul_f16_e32 v39, s12, v36
.LBB277_18:
	v_pk_add_f16 v36, v10, v46
	v_pk_max_f16 v37, v54, v54
	s_and_b64 vcc, exec, s[0:1]
	v_pk_min_f16 v36, v37, v36
	v_pk_add_f16 v37, v11, v47
	s_nop 0
	v_pk_min_f16 v40, v36, v37
	v_add_u32_e32 v36, 24, v28
	v_lshrrev_b32_e32 v41, 16, v40
	v_ashrrev_i32_e32 v37, 31, v36
	v_min3_f16 v39, v39, v40, v41
	v_lshl_add_u64 v[40:41], v[34:35], 1, v[50:51]
	global_store_short v[40:41], v39, off
	s_cbranch_vccnz .LBB277_20
; %bb.19:
	v_lshl_add_u64 v[38:39], v[36:37], 1, v[48:49]
	flat_load_ushort v38, v[38:39]
	s_waitcnt vmcnt(0) lgkmcnt(0)
	v_mul_f16_e32 v38, s12, v38
.LBB277_20:
	v_pk_add_f16 v39, v4, v46
	v_pk_max_f16 v40, v53, v53
	v_add_u32_e32 v44, 32, v28
	v_pk_min_f16 v39, v40, v39
	v_pk_add_f16 v40, v5, v47
	v_ashrrev_i32_e32 v45, 31, v44
	v_pk_min_f16 v39, v39, v40
	s_and_b64 vcc, exec, s[0:1]
	v_lshrrev_b32_e32 v40, 16, v39
	v_min3_f16 v40, v38, v39, v40
	v_lshl_add_u64 v[38:39], v[36:37], 1, v[50:51]
	global_store_short v[38:39], v40, off
	v_mov_b32_e32 v38, 0
	v_mov_b32_e32 v39, 0
	s_cbranch_vccnz .LBB277_22
; %bb.21:
	v_lshl_add_u64 v[40:41], v[44:45], 1, v[48:49]
	flat_load_ushort v39, v[40:41]
	s_waitcnt vmcnt(0) lgkmcnt(0)
	v_mul_f16_e32 v39, s12, v39
.LBB277_22:
	v_pk_add_f16 v40, v6, v46
	v_pk_max_f16 v41, v56, v56
	v_add_u32_e32 v42, 40, v28
	v_pk_min_f16 v40, v41, v40
	v_pk_add_f16 v41, v7, v47
	v_ashrrev_i32_e32 v43, 31, v42
	v_pk_min_f16 v40, v40, v41
	s_and_b64 vcc, exec, s[0:1]
	v_lshrrev_b32_e32 v41, 16, v40
	v_min3_f16 v39, v39, v40, v41
	v_lshl_add_u64 v[40:41], v[44:45], 1, v[50:51]
	global_store_short v[40:41], v39, off
	s_cbranch_vccnz .LBB277_24
; %bb.23:
	v_lshl_add_u64 v[38:39], v[42:43], 1, v[48:49]
	flat_load_ushort v38, v[38:39]
	s_waitcnt vmcnt(0) lgkmcnt(0)
	v_mul_f16_e32 v38, s12, v38
.LBB277_24:
	v_pk_add_f16 v39, v0, v46
	v_pk_max_f16 v40, v55, v55
	s_and_b64 vcc, exec, s[0:1]
	v_pk_min_f16 v39, v40, v39
	v_pk_add_f16 v40, v1, v47
	v_mov_b32_e32 v53, 0
	v_pk_min_f16 v39, v39, v40
	v_add_u32_e32 v40, 48, v28
	v_lshrrev_b32_e32 v52, 16, v39
	v_min3_f16 v52, v38, v39, v52
	v_lshl_add_u64 v[38:39], v[42:43], 1, v[50:51]
	v_ashrrev_i32_e32 v41, 31, v40
	global_store_short v[38:39], v52, off
	v_mov_b32_e32 v52, 0
	s_cbranch_vccnz .LBB277_26
; %bb.25:
	v_lshl_add_u64 v[38:39], v[40:41], 1, v[48:49]
	flat_load_ushort v38, v[38:39]
	s_waitcnt vmcnt(0) lgkmcnt(0)
	v_mul_f16_e32 v53, s12, v38
.LBB277_26:
	v_pk_add_f16 v38, v2, v46
	v_pk_max_f16 v39, v58, v58
	s_and_b64 vcc, exec, s[0:1]
	v_pk_min_f16 v38, v39, v38
	v_pk_add_f16 v39, v3, v47
	s_nop 0
	v_pk_min_f16 v54, v38, v39
	v_add_u32_e32 v38, 56, v28
	v_lshrrev_b32_e32 v55, 16, v54
	v_ashrrev_i32_e32 v39, 31, v38
	v_min3_f16 v53, v53, v54, v55
	v_lshl_add_u64 v[54:55], v[40:41], 1, v[50:51]
	global_store_short v[54:55], v53, off
	s_cbranch_vccnz .LBB277_28
; %bb.27:
	v_lshl_add_u64 v[48:49], v[38:39], 1, v[48:49]
	flat_load_ushort v48, v[48:49]
	s_waitcnt vmcnt(0) lgkmcnt(0)
	v_mul_f16_e32 v52, s12, v48
.LBB277_28:
	v_pk_add_f16 v46, v24, v46
	v_pk_max_f16 v48, v57, v57
	v_pk_add_f16 v47, v25, v47
	v_pk_min_f16 v46, v48, v46
	s_and_b64 vcc, exec, s[0:1]
	v_pk_min_f16 v46, v46, v47
	s_nop 0
	v_lshrrev_b32_e32 v47, 16, v46
	v_min3_f16 v48, v52, v46, v47
	v_lshl_add_u64 v[46:47], v[38:39], 1, v[50:51]
	global_store_short v[46:47], v48, off
	v_add_u32_e32 v48, 32, v115
	v_mad_i64_i32 v[46:47], s[8:9], v48, s14, 0
	v_lshl_add_u64 v[46:47], v[46:47], 1, s[6:7]
	v_mov_b32_e32 v50, 0
	v_mov_b32_e32 v51, 0
	s_cbranch_vccnz .LBB277_30
; %bb.29:
	v_lshl_add_u64 v[52:53], v[28:29], 1, v[46:47]
	flat_load_ushort v49, v[52:53]
	s_waitcnt vmcnt(0) lgkmcnt(0)
	v_mul_f16_e32 v51, s12, v49
.LBB277_30:
	v_pk_add_f16 v49, v30, v20
	v_pk_max_f16 v52, v66, v66
	s_and_b64 vcc, exec, s[0:1]
	v_pk_min_f16 v49, v52, v49
	v_pk_add_f16 v52, v31, v21
	s_nop 0
	v_pk_min_f16 v52, v49, v52
	v_mad_i64_i32 v[48:49], s[8:9], v48, s15, 0
	v_lshl_add_u64 v[48:49], v[48:49], 1, s[2:3]
	v_lshrrev_b32_e32 v53, 16, v52
	v_min3_f16 v51, v51, v52, v53
	v_lshl_add_u64 v[52:53], v[28:29], 1, v[48:49]
	global_store_short v[52:53], v51, off
	s_cbranch_vccnz .LBB277_32
; %bb.31:
	v_lshl_add_u64 v[50:51], v[32:33], 1, v[46:47]
	flat_load_ushort v50, v[50:51]
	s_waitcnt vmcnt(0) lgkmcnt(0)
	v_mul_f16_e32 v50, s12, v50
.LBB277_32:
	v_pk_add_f16 v51, v8, v20
	v_pk_max_f16 v52, v65, v65
	s_and_b64 vcc, exec, s[0:1]
	v_pk_min_f16 v51, v52, v51
	v_pk_add_f16 v52, v9, v21
	s_nop 0
	v_pk_min_f16 v51, v51, v52
	s_nop 0
	v_lshrrev_b32_e32 v52, 16, v51
	v_min3_f16 v52, v50, v51, v52
	v_lshl_add_u64 v[50:51], v[32:33], 1, v[48:49]
	global_store_short v[50:51], v52, off
	v_mov_b32_e32 v50, 0
	v_mov_b32_e32 v51, 0
	s_cbranch_vccnz .LBB277_34
; %bb.33:
	v_lshl_add_u64 v[52:53], v[34:35], 1, v[46:47]
	flat_load_ushort v51, v[52:53]
	s_waitcnt vmcnt(0) lgkmcnt(0)
	v_mul_f16_e32 v51, s12, v51
.LBB277_34:
	v_pk_add_f16 v52, v10, v20
	v_pk_max_f16 v53, v64, v64
	s_and_b64 vcc, exec, s[0:1]
	v_pk_min_f16 v52, v53, v52
	v_pk_add_f16 v53, v11, v21
	s_nop 0
	v_pk_min_f16 v52, v52, v53
	s_nop 0
	v_lshrrev_b32_e32 v53, 16, v52
	v_min3_f16 v51, v51, v52, v53
	v_lshl_add_u64 v[52:53], v[34:35], 1, v[48:49]
	global_store_short v[52:53], v51, off
	s_cbranch_vccnz .LBB277_36
; %bb.35:
	v_lshl_add_u64 v[50:51], v[36:37], 1, v[46:47]
	flat_load_ushort v50, v[50:51]
	s_waitcnt vmcnt(0) lgkmcnt(0)
	v_mul_f16_e32 v50, s12, v50
.LBB277_36:
	v_pk_add_f16 v51, v4, v20
	v_pk_max_f16 v52, v63, v63
	s_and_b64 vcc, exec, s[0:1]
	v_pk_min_f16 v51, v52, v51
	v_pk_add_f16 v52, v5, v21
	s_nop 0
	v_pk_min_f16 v51, v51, v52
	s_nop 0
	v_lshrrev_b32_e32 v52, 16, v51
	v_min3_f16 v52, v50, v51, v52
	v_lshl_add_u64 v[50:51], v[36:37], 1, v[48:49]
	global_store_short v[50:51], v52, off
	v_mov_b32_e32 v50, 0
	v_mov_b32_e32 v51, 0
	s_cbranch_vccnz .LBB277_38
; %bb.37:
	v_lshl_add_u64 v[52:53], v[44:45], 1, v[46:47]
	flat_load_ushort v51, v[52:53]
	s_waitcnt vmcnt(0) lgkmcnt(0)
	v_mul_f16_e32 v51, s12, v51
.LBB277_38:
	v_pk_add_f16 v52, v6, v20
	v_pk_max_f16 v53, v62, v62
	s_and_b64 vcc, exec, s[0:1]
	v_pk_min_f16 v52, v53, v52
	v_pk_add_f16 v53, v7, v21
	s_nop 0
	v_pk_min_f16 v52, v52, v53
	s_nop 0
	;; [unrolled: 40-line block ×3, first 2 shown]
	v_lshrrev_b32_e32 v53, 16, v52
	v_min3_f16 v51, v51, v52, v53
	v_lshl_add_u64 v[52:53], v[40:41], 1, v[48:49]
	global_store_short v[52:53], v51, off
	s_cbranch_vccnz .LBB277_44
; %bb.43:
	v_lshl_add_u64 v[46:47], v[38:39], 1, v[46:47]
	flat_load_ushort v46, v[46:47]
	s_waitcnt vmcnt(0) lgkmcnt(0)
	v_mul_f16_e32 v50, s12, v46
.LBB277_44:
	v_pk_add_f16 v20, v24, v20
	v_pk_max_f16 v46, v61, v61
	v_pk_add_f16 v21, v25, v21
	v_pk_min_f16 v20, v46, v20
	s_and_b64 vcc, exec, s[0:1]
	v_pk_min_f16 v20, v20, v21
	s_nop 0
	v_lshrrev_b32_e32 v21, 16, v20
	v_min3_f16 v46, v50, v20, v21
	v_lshl_add_u64 v[20:21], v[38:39], 1, v[48:49]
	global_store_short v[20:21], v46, off
	v_add_u32_e32 v46, 64, v115
	v_mad_i64_i32 v[20:21], s[8:9], v46, s14, 0
	v_lshl_add_u64 v[20:21], v[20:21], 1, s[6:7]
	v_mov_b32_e32 v48, 0
	v_mov_b32_e32 v49, 0
	s_cbranch_vccnz .LBB277_46
; %bb.45:
	v_lshl_add_u64 v[50:51], v[28:29], 1, v[20:21]
	flat_load_ushort v47, v[50:51]
	s_waitcnt vmcnt(0) lgkmcnt(0)
	v_mul_f16_e32 v49, s12, v47
.LBB277_46:
	v_pk_add_f16 v47, v30, v22
	v_pk_max_f16 v50, v68, v68
	s_and_b64 vcc, exec, s[0:1]
	v_pk_min_f16 v47, v50, v47
	v_pk_add_f16 v50, v31, v23
	s_nop 0
	v_pk_min_f16 v50, v47, v50
	v_mad_i64_i32 v[46:47], s[8:9], v46, s15, 0
	v_lshl_add_u64 v[46:47], v[46:47], 1, s[2:3]
	v_lshrrev_b32_e32 v51, 16, v50
	v_min3_f16 v49, v49, v50, v51
	v_lshl_add_u64 v[50:51], v[28:29], 1, v[46:47]
	global_store_short v[50:51], v49, off
	s_cbranch_vccnz .LBB277_48
; %bb.47:
	v_lshl_add_u64 v[48:49], v[32:33], 1, v[20:21]
	flat_load_ushort v48, v[48:49]
	s_waitcnt vmcnt(0) lgkmcnt(0)
	v_mul_f16_e32 v48, s12, v48
.LBB277_48:
	v_pk_add_f16 v49, v8, v22
	v_pk_max_f16 v50, v67, v67
	s_and_b64 vcc, exec, s[0:1]
	v_pk_min_f16 v49, v50, v49
	v_pk_add_f16 v50, v9, v23
	s_nop 0
	v_pk_min_f16 v49, v49, v50
	s_nop 0
	v_lshrrev_b32_e32 v50, 16, v49
	v_min3_f16 v50, v48, v49, v50
	v_lshl_add_u64 v[48:49], v[32:33], 1, v[46:47]
	global_store_short v[48:49], v50, off
	v_mov_b32_e32 v48, 0
	v_mov_b32_e32 v49, 0
	s_cbranch_vccnz .LBB277_50
; %bb.49:
	v_lshl_add_u64 v[50:51], v[34:35], 1, v[20:21]
	flat_load_ushort v49, v[50:51]
	s_waitcnt vmcnt(0) lgkmcnt(0)
	v_mul_f16_e32 v49, s12, v49
.LBB277_50:
	v_pk_add_f16 v50, v10, v22
	v_pk_max_f16 v51, v69, v69
	s_and_b64 vcc, exec, s[0:1]
	v_pk_min_f16 v50, v51, v50
	v_pk_add_f16 v51, v11, v23
	s_nop 0
	v_pk_min_f16 v50, v50, v51
	s_nop 0
	v_lshrrev_b32_e32 v51, 16, v50
	v_min3_f16 v49, v49, v50, v51
	v_lshl_add_u64 v[50:51], v[34:35], 1, v[46:47]
	global_store_short v[50:51], v49, off
	s_cbranch_vccnz .LBB277_52
; %bb.51:
	v_lshl_add_u64 v[48:49], v[36:37], 1, v[20:21]
	flat_load_ushort v48, v[48:49]
	s_waitcnt vmcnt(0) lgkmcnt(0)
	v_mul_f16_e32 v48, s12, v48
.LBB277_52:
	v_pk_add_f16 v49, v4, v22
	v_pk_max_f16 v50, v70, v70
	s_and_b64 vcc, exec, s[0:1]
	v_pk_min_f16 v49, v50, v49
	v_pk_add_f16 v50, v5, v23
	s_nop 0
	v_pk_min_f16 v49, v49, v50
	s_nop 0
	v_lshrrev_b32_e32 v50, 16, v49
	v_min3_f16 v50, v48, v49, v50
	v_lshl_add_u64 v[48:49], v[36:37], 1, v[46:47]
	global_store_short v[48:49], v50, off
	v_mov_b32_e32 v48, 0
	v_mov_b32_e32 v49, 0
	s_cbranch_vccnz .LBB277_54
; %bb.53:
	v_lshl_add_u64 v[50:51], v[44:45], 1, v[20:21]
	flat_load_ushort v49, v[50:51]
	s_waitcnt vmcnt(0) lgkmcnt(0)
	v_mul_f16_e32 v49, s12, v49
.LBB277_54:
	v_pk_add_f16 v50, v6, v22
	v_pk_max_f16 v51, v71, v71
	s_and_b64 vcc, exec, s[0:1]
	v_pk_min_f16 v50, v51, v50
	v_pk_add_f16 v51, v7, v23
	s_nop 0
	v_pk_min_f16 v50, v50, v51
	s_nop 0
	;; [unrolled: 40-line block ×3, first 2 shown]
	v_lshrrev_b32_e32 v51, 16, v50
	v_min3_f16 v49, v49, v50, v51
	v_lshl_add_u64 v[50:51], v[40:41], 1, v[46:47]
	global_store_short v[50:51], v49, off
	s_cbranch_vccnz .LBB277_60
; %bb.59:
	v_lshl_add_u64 v[20:21], v[38:39], 1, v[20:21]
	flat_load_ushort v20, v[20:21]
	s_waitcnt vmcnt(0) lgkmcnt(0)
	v_mul_f16_e32 v48, s12, v20
.LBB277_60:
	v_pk_add_f16 v20, v24, v22
	v_pk_max_f16 v21, v78, v78
	s_and_b64 vcc, exec, s[0:1]
	v_pk_min_f16 v20, v21, v20
	v_pk_add_f16 v21, v25, v23
	s_nop 0
	v_pk_min_f16 v20, v20, v21
	s_nop 0
	v_lshrrev_b32_e32 v21, 16, v20
	v_min3_f16 v22, v48, v20, v21
	v_lshl_add_u64 v[20:21], v[38:39], 1, v[46:47]
	global_store_short v[20:21], v22, off
	v_add_u32_e32 v22, 0x60, v115
	v_mad_i64_i32 v[20:21], s[8:9], v22, s14, 0
	v_lshl_add_u64 v[20:21], v[20:21], 1, s[6:7]
	v_mov_b32_e32 v46, 0
	v_mov_b32_e32 v47, 0
	s_cbranch_vccnz .LBB277_62
; %bb.61:
	v_lshl_add_u64 v[48:49], v[28:29], 1, v[20:21]
	flat_load_ushort v23, v[48:49]
	s_waitcnt vmcnt(0) lgkmcnt(0)
	v_mul_f16_e32 v47, s12, v23
.LBB277_62:
	v_pk_add_f16 v23, v30, v16
	v_pk_max_f16 v48, v74, v74
	s_and_b64 vcc, exec, s[0:1]
	v_pk_min_f16 v23, v48, v23
	v_pk_add_f16 v48, v31, v17
	s_nop 0
	v_pk_min_f16 v48, v23, v48
	v_mad_i64_i32 v[22:23], s[8:9], v22, s15, 0
	v_lshl_add_u64 v[22:23], v[22:23], 1, s[2:3]
	v_lshrrev_b32_e32 v49, 16, v48
	v_min3_f16 v47, v47, v48, v49
	v_lshl_add_u64 v[48:49], v[28:29], 1, v[22:23]
	global_store_short v[48:49], v47, off
	s_cbranch_vccnz .LBB277_64
; %bb.63:
	v_lshl_add_u64 v[46:47], v[32:33], 1, v[20:21]
	flat_load_ushort v46, v[46:47]
	s_waitcnt vmcnt(0) lgkmcnt(0)
	v_mul_f16_e32 v46, s12, v46
.LBB277_64:
	v_pk_add_f16 v47, v8, v16
	v_pk_max_f16 v48, v72, v72
	s_and_b64 vcc, exec, s[0:1]
	v_pk_min_f16 v47, v48, v47
	v_pk_add_f16 v48, v9, v17
	s_nop 0
	v_pk_min_f16 v47, v47, v48
	s_nop 0
	v_lshrrev_b32_e32 v48, 16, v47
	v_min3_f16 v48, v46, v47, v48
	v_lshl_add_u64 v[46:47], v[32:33], 1, v[22:23]
	global_store_short v[46:47], v48, off
	v_mov_b32_e32 v46, 0
	v_mov_b32_e32 v47, 0
	s_cbranch_vccnz .LBB277_66
; %bb.65:
	v_lshl_add_u64 v[48:49], v[34:35], 1, v[20:21]
	flat_load_ushort v47, v[48:49]
	s_waitcnt vmcnt(0) lgkmcnt(0)
	v_mul_f16_e32 v47, s12, v47
.LBB277_66:
	v_pk_add_f16 v48, v10, v16
	v_pk_max_f16 v49, v75, v75
	s_and_b64 vcc, exec, s[0:1]
	v_pk_min_f16 v48, v49, v48
	v_pk_add_f16 v49, v11, v17
	s_nop 0
	v_pk_min_f16 v48, v48, v49
	s_nop 0
	v_lshrrev_b32_e32 v49, 16, v48
	v_min3_f16 v47, v47, v48, v49
	v_lshl_add_u64 v[48:49], v[34:35], 1, v[22:23]
	global_store_short v[48:49], v47, off
	s_cbranch_vccnz .LBB277_68
; %bb.67:
	v_lshl_add_u64 v[46:47], v[36:37], 1, v[20:21]
	flat_load_ushort v46, v[46:47]
	s_waitcnt vmcnt(0) lgkmcnt(0)
	v_mul_f16_e32 v46, s12, v46
.LBB277_68:
	v_pk_add_f16 v47, v4, v16
	v_pk_max_f16 v48, v77, v77
	s_and_b64 vcc, exec, s[0:1]
	v_pk_min_f16 v47, v48, v47
	v_pk_add_f16 v48, v5, v17
	s_nop 0
	v_pk_min_f16 v47, v47, v48
	s_nop 0
	v_lshrrev_b32_e32 v48, 16, v47
	v_min3_f16 v48, v46, v47, v48
	v_lshl_add_u64 v[46:47], v[36:37], 1, v[22:23]
	global_store_short v[46:47], v48, off
	v_mov_b32_e32 v46, 0
	v_mov_b32_e32 v47, 0
	s_cbranch_vccnz .LBB277_70
; %bb.69:
	v_lshl_add_u64 v[48:49], v[44:45], 1, v[20:21]
	flat_load_ushort v47, v[48:49]
	s_waitcnt vmcnt(0) lgkmcnt(0)
	v_mul_f16_e32 v47, s12, v47
.LBB277_70:
	v_pk_add_f16 v48, v6, v16
	v_pk_max_f16 v49, v79, v79
	s_and_b64 vcc, exec, s[0:1]
	v_pk_min_f16 v48, v49, v48
	v_pk_add_f16 v49, v7, v17
	s_nop 0
	v_pk_min_f16 v48, v48, v49
	s_nop 0
	;; [unrolled: 40-line block ×3, first 2 shown]
	v_lshrrev_b32_e32 v49, 16, v48
	v_min3_f16 v47, v47, v48, v49
	v_lshl_add_u64 v[48:49], v[40:41], 1, v[22:23]
	global_store_short v[48:49], v47, off
	s_cbranch_vccnz .LBB277_76
; %bb.75:
	v_lshl_add_u64 v[20:21], v[38:39], 1, v[20:21]
	flat_load_ushort v20, v[20:21]
	s_waitcnt vmcnt(0) lgkmcnt(0)
	v_mul_f16_e32 v46, s12, v20
.LBB277_76:
	v_pk_add_f16 v16, v24, v16
	v_pk_max_f16 v20, v82, v82
	v_pk_add_f16 v17, v25, v17
	v_pk_min_f16 v16, v20, v16
	s_and_b64 vcc, exec, s[0:1]
	v_pk_min_f16 v16, v16, v17
	s_nop 0
	v_lshrrev_b32_e32 v17, 16, v16
	v_min3_f16 v20, v46, v16, v17
	v_lshl_add_u64 v[16:17], v[38:39], 1, v[22:23]
	global_store_short v[16:17], v20, off
	v_add_u32_e32 v20, 0x80, v115
	v_mad_i64_i32 v[16:17], s[8:9], v20, s14, 0
	v_lshl_add_u64 v[16:17], v[16:17], 1, s[6:7]
	v_mov_b32_e32 v22, 0
	v_mov_b32_e32 v23, 0
	s_cbranch_vccnz .LBB277_78
; %bb.77:
	v_lshl_add_u64 v[46:47], v[28:29], 1, v[16:17]
	flat_load_ushort v21, v[46:47]
	s_waitcnt vmcnt(0) lgkmcnt(0)
	v_mul_f16_e32 v23, s12, v21
.LBB277_78:
	v_pk_add_f16 v21, v30, v18
	v_pk_max_f16 v46, v84, v84
	s_and_b64 vcc, exec, s[0:1]
	v_pk_min_f16 v21, v46, v21
	v_pk_add_f16 v46, v31, v19
	s_nop 0
	v_pk_min_f16 v46, v21, v46
	v_mad_i64_i32 v[20:21], s[8:9], v20, s15, 0
	v_lshl_add_u64 v[20:21], v[20:21], 1, s[2:3]
	v_lshrrev_b32_e32 v47, 16, v46
	v_min3_f16 v23, v23, v46, v47
	v_lshl_add_u64 v[46:47], v[28:29], 1, v[20:21]
	global_store_short v[46:47], v23, off
	s_cbranch_vccnz .LBB277_80
; %bb.79:
	v_lshl_add_u64 v[22:23], v[32:33], 1, v[16:17]
	flat_load_ushort v22, v[22:23]
	s_waitcnt vmcnt(0) lgkmcnt(0)
	v_mul_f16_e32 v22, s12, v22
.LBB277_80:
	v_pk_add_f16 v23, v8, v18
	v_pk_max_f16 v46, v83, v83
	s_and_b64 vcc, exec, s[0:1]
	v_pk_min_f16 v23, v46, v23
	v_pk_add_f16 v46, v9, v19
	s_nop 0
	v_pk_min_f16 v23, v23, v46
	s_nop 0
	v_lshrrev_b32_e32 v46, 16, v23
	v_min3_f16 v46, v22, v23, v46
	v_lshl_add_u64 v[22:23], v[32:33], 1, v[20:21]
	global_store_short v[22:23], v46, off
	v_mov_b32_e32 v22, 0
	v_mov_b32_e32 v23, 0
	s_cbranch_vccnz .LBB277_82
; %bb.81:
	v_lshl_add_u64 v[46:47], v[34:35], 1, v[16:17]
	flat_load_ushort v23, v[46:47]
	s_waitcnt vmcnt(0) lgkmcnt(0)
	v_mul_f16_e32 v23, s12, v23
.LBB277_82:
	v_pk_add_f16 v46, v10, v18
	v_pk_max_f16 v47, v85, v85
	s_and_b64 vcc, exec, s[0:1]
	v_pk_min_f16 v46, v47, v46
	v_pk_add_f16 v47, v11, v19
	s_nop 0
	v_pk_min_f16 v46, v46, v47
	s_nop 0
	v_lshrrev_b32_e32 v47, 16, v46
	v_min3_f16 v23, v23, v46, v47
	v_lshl_add_u64 v[46:47], v[34:35], 1, v[20:21]
	global_store_short v[46:47], v23, off
	s_cbranch_vccnz .LBB277_84
; %bb.83:
	v_lshl_add_u64 v[22:23], v[36:37], 1, v[16:17]
	flat_load_ushort v22, v[22:23]
	s_waitcnt vmcnt(0) lgkmcnt(0)
	v_mul_f16_e32 v22, s12, v22
.LBB277_84:
	v_pk_add_f16 v23, v4, v18
	v_pk_max_f16 v46, v86, v86
	s_and_b64 vcc, exec, s[0:1]
	v_pk_min_f16 v23, v46, v23
	v_pk_add_f16 v46, v5, v19
	s_nop 0
	v_pk_min_f16 v23, v23, v46
	s_nop 0
	v_lshrrev_b32_e32 v46, 16, v23
	v_min3_f16 v46, v22, v23, v46
	v_lshl_add_u64 v[22:23], v[36:37], 1, v[20:21]
	global_store_short v[22:23], v46, off
	v_mov_b32_e32 v22, 0
	v_mov_b32_e32 v23, 0
	s_cbranch_vccnz .LBB277_86
; %bb.85:
	v_lshl_add_u64 v[46:47], v[44:45], 1, v[16:17]
	flat_load_ushort v23, v[46:47]
	s_waitcnt vmcnt(0) lgkmcnt(0)
	v_mul_f16_e32 v23, s12, v23
.LBB277_86:
	v_pk_add_f16 v46, v6, v18
	v_pk_max_f16 v47, v87, v87
	s_and_b64 vcc, exec, s[0:1]
	v_pk_min_f16 v46, v47, v46
	v_pk_add_f16 v47, v7, v19
	s_nop 0
	v_pk_min_f16 v46, v46, v47
	s_nop 0
	;; [unrolled: 40-line block ×3, first 2 shown]
	v_lshrrev_b32_e32 v47, 16, v46
	v_min3_f16 v23, v23, v46, v47
	v_lshl_add_u64 v[46:47], v[40:41], 1, v[20:21]
	global_store_short v[46:47], v23, off
	s_cbranch_vccnz .LBB277_92
; %bb.91:
	v_lshl_add_u64 v[16:17], v[38:39], 1, v[16:17]
	flat_load_ushort v16, v[16:17]
	s_waitcnt vmcnt(0) lgkmcnt(0)
	v_mul_f16_e32 v22, s12, v16
.LBB277_92:
	v_pk_add_f16 v16, v24, v18
	v_pk_max_f16 v17, v94, v94
	s_and_b64 vcc, exec, s[0:1]
	v_pk_min_f16 v16, v17, v16
	v_pk_add_f16 v17, v25, v19
	s_nop 0
	v_pk_min_f16 v16, v16, v17
	s_nop 0
	v_lshrrev_b32_e32 v17, 16, v16
	v_min3_f16 v18, v22, v16, v17
	v_lshl_add_u64 v[16:17], v[38:39], 1, v[20:21]
	global_store_short v[16:17], v18, off
	v_add_u32_e32 v18, 0xa0, v115
	v_mad_i64_i32 v[16:17], s[8:9], v18, s14, 0
	v_lshl_add_u64 v[16:17], v[16:17], 1, s[6:7]
	v_mov_b32_e32 v20, 0
	v_mov_b32_e32 v21, 0
	s_cbranch_vccnz .LBB277_94
; %bb.93:
	v_lshl_add_u64 v[22:23], v[28:29], 1, v[16:17]
	flat_load_ushort v19, v[22:23]
	s_waitcnt vmcnt(0) lgkmcnt(0)
	v_mul_f16_e32 v21, s12, v19
.LBB277_94:
	v_pk_add_f16 v19, v30, v12
	v_pk_max_f16 v22, v90, v90
	s_and_b64 vcc, exec, s[0:1]
	v_pk_min_f16 v19, v22, v19
	v_pk_add_f16 v22, v31, v13
	s_nop 0
	v_pk_min_f16 v22, v19, v22
	v_mad_i64_i32 v[18:19], s[8:9], v18, s15, 0
	v_lshl_add_u64 v[18:19], v[18:19], 1, s[2:3]
	v_lshrrev_b32_e32 v23, 16, v22
	v_min3_f16 v21, v21, v22, v23
	v_lshl_add_u64 v[22:23], v[28:29], 1, v[18:19]
	global_store_short v[22:23], v21, off
	s_cbranch_vccnz .LBB277_96
; %bb.95:
	v_lshl_add_u64 v[20:21], v[32:33], 1, v[16:17]
	flat_load_ushort v20, v[20:21]
	s_waitcnt vmcnt(0) lgkmcnt(0)
	v_mul_f16_e32 v20, s12, v20
.LBB277_96:
	v_pk_add_f16 v21, v8, v12
	v_pk_max_f16 v22, v88, v88
	s_and_b64 vcc, exec, s[0:1]
	v_pk_min_f16 v21, v22, v21
	v_pk_add_f16 v22, v9, v13
	s_nop 0
	v_pk_min_f16 v21, v21, v22
	s_nop 0
	v_lshrrev_b32_e32 v22, 16, v21
	v_min3_f16 v22, v20, v21, v22
	v_lshl_add_u64 v[20:21], v[32:33], 1, v[18:19]
	global_store_short v[20:21], v22, off
	v_mov_b32_e32 v20, 0
	v_mov_b32_e32 v21, 0
	s_cbranch_vccnz .LBB277_98
; %bb.97:
	v_lshl_add_u64 v[22:23], v[34:35], 1, v[16:17]
	flat_load_ushort v21, v[22:23]
	s_waitcnt vmcnt(0) lgkmcnt(0)
	v_mul_f16_e32 v21, s12, v21
.LBB277_98:
	v_pk_add_f16 v22, v10, v12
	v_pk_max_f16 v23, v91, v91
	s_and_b64 vcc, exec, s[0:1]
	v_pk_min_f16 v22, v23, v22
	v_pk_add_f16 v23, v11, v13
	s_nop 0
	v_pk_min_f16 v22, v22, v23
	s_nop 0
	v_lshrrev_b32_e32 v23, 16, v22
	v_min3_f16 v21, v21, v22, v23
	v_lshl_add_u64 v[22:23], v[34:35], 1, v[18:19]
	global_store_short v[22:23], v21, off
	s_cbranch_vccnz .LBB277_100
; %bb.99:
	v_lshl_add_u64 v[20:21], v[36:37], 1, v[16:17]
	flat_load_ushort v20, v[20:21]
	s_waitcnt vmcnt(0) lgkmcnt(0)
	v_mul_f16_e32 v20, s12, v20
.LBB277_100:
	v_pk_add_f16 v21, v4, v12
	v_pk_max_f16 v22, v93, v93
	s_and_b64 vcc, exec, s[0:1]
	v_pk_min_f16 v21, v22, v21
	v_pk_add_f16 v22, v5, v13
	s_nop 0
	v_pk_min_f16 v21, v21, v22
	s_nop 0
	v_lshrrev_b32_e32 v22, 16, v21
	v_min3_f16 v22, v20, v21, v22
	v_lshl_add_u64 v[20:21], v[36:37], 1, v[18:19]
	global_store_short v[20:21], v22, off
	v_mov_b32_e32 v20, 0
	v_mov_b32_e32 v21, 0
	s_cbranch_vccnz .LBB277_102
; %bb.101:
	v_lshl_add_u64 v[22:23], v[44:45], 1, v[16:17]
	flat_load_ushort v21, v[22:23]
	s_waitcnt vmcnt(0) lgkmcnt(0)
	v_mul_f16_e32 v21, s12, v21
.LBB277_102:
	v_pk_add_f16 v22, v6, v12
	v_pk_max_f16 v23, v95, v95
	s_and_b64 vcc, exec, s[0:1]
	v_pk_min_f16 v22, v23, v22
	v_pk_add_f16 v23, v7, v13
	s_nop 0
	v_pk_min_f16 v22, v22, v23
	s_nop 0
	;; [unrolled: 40-line block ×3, first 2 shown]
	v_lshrrev_b32_e32 v23, 16, v22
	v_min3_f16 v21, v21, v22, v23
	v_lshl_add_u64 v[22:23], v[40:41], 1, v[18:19]
	global_store_short v[22:23], v21, off
	s_cbranch_vccnz .LBB277_108
; %bb.107:
	v_lshl_add_u64 v[16:17], v[38:39], 1, v[16:17]
	flat_load_ushort v16, v[16:17]
	s_waitcnt vmcnt(0) lgkmcnt(0)
	v_mul_f16_e32 v20, s12, v16
.LBB277_108:
	v_pk_add_f16 v12, v24, v12
	v_pk_max_f16 v16, v98, v98
	v_pk_add_f16 v13, v25, v13
	v_pk_min_f16 v12, v16, v12
	s_and_b64 vcc, exec, s[0:1]
	v_pk_min_f16 v12, v12, v13
	s_nop 0
	v_lshrrev_b32_e32 v13, 16, v12
	v_min3_f16 v16, v20, v12, v13
	v_lshl_add_u64 v[12:13], v[38:39], 1, v[18:19]
	global_store_short v[12:13], v16, off
	v_add_u32_e32 v16, 0xc0, v115
	v_mad_i64_i32 v[12:13], s[8:9], v16, s14, 0
	v_lshl_add_u64 v[12:13], v[12:13], 1, s[6:7]
	v_mov_b32_e32 v18, 0
	v_mov_b32_e32 v19, 0
	s_cbranch_vccnz .LBB277_110
; %bb.109:
	v_lshl_add_u64 v[20:21], v[28:29], 1, v[12:13]
	flat_load_ushort v17, v[20:21]
	s_waitcnt vmcnt(0) lgkmcnt(0)
	v_mul_f16_e32 v19, s12, v17
.LBB277_110:
	v_pk_add_f16 v17, v30, v14
	v_pk_max_f16 v20, v106, v106
	s_and_b64 vcc, exec, s[0:1]
	v_pk_min_f16 v17, v20, v17
	v_pk_add_f16 v20, v31, v15
	s_nop 0
	v_pk_min_f16 v20, v17, v20
	v_mad_i64_i32 v[16:17], s[8:9], v16, s15, 0
	v_lshl_add_u64 v[16:17], v[16:17], 1, s[2:3]
	v_lshrrev_b32_e32 v21, 16, v20
	v_min3_f16 v19, v19, v20, v21
	v_lshl_add_u64 v[20:21], v[28:29], 1, v[16:17]
	global_store_short v[20:21], v19, off
	s_cbranch_vccnz .LBB277_112
; %bb.111:
	v_lshl_add_u64 v[18:19], v[32:33], 1, v[12:13]
	flat_load_ushort v18, v[18:19]
	s_waitcnt vmcnt(0) lgkmcnt(0)
	v_mul_f16_e32 v18, s12, v18
.LBB277_112:
	v_pk_add_f16 v19, v8, v14
	v_pk_max_f16 v20, v105, v105
	s_and_b64 vcc, exec, s[0:1]
	v_pk_min_f16 v19, v20, v19
	v_pk_add_f16 v20, v9, v15
	s_nop 0
	v_pk_min_f16 v19, v19, v20
	s_nop 0
	v_lshrrev_b32_e32 v20, 16, v19
	v_min3_f16 v20, v18, v19, v20
	v_lshl_add_u64 v[18:19], v[32:33], 1, v[16:17]
	global_store_short v[18:19], v20, off
	v_mov_b32_e32 v18, 0
	v_mov_b32_e32 v19, 0
	s_cbranch_vccnz .LBB277_114
; %bb.113:
	v_lshl_add_u64 v[20:21], v[34:35], 1, v[12:13]
	flat_load_ushort v19, v[20:21]
	s_waitcnt vmcnt(0) lgkmcnt(0)
	v_mul_f16_e32 v19, s12, v19
.LBB277_114:
	v_pk_add_f16 v20, v10, v14
	v_pk_max_f16 v21, v104, v104
	s_and_b64 vcc, exec, s[0:1]
	v_pk_min_f16 v20, v21, v20
	v_pk_add_f16 v21, v11, v15
	s_nop 0
	v_pk_min_f16 v20, v20, v21
	s_nop 0
	v_lshrrev_b32_e32 v21, 16, v20
	v_min3_f16 v19, v19, v20, v21
	v_lshl_add_u64 v[20:21], v[34:35], 1, v[16:17]
	global_store_short v[20:21], v19, off
	s_cbranch_vccnz .LBB277_116
; %bb.115:
	v_lshl_add_u64 v[18:19], v[36:37], 1, v[12:13]
	flat_load_ushort v18, v[18:19]
	s_waitcnt vmcnt(0) lgkmcnt(0)
	v_mul_f16_e32 v18, s12, v18
.LBB277_116:
	v_pk_add_f16 v19, v4, v14
	v_pk_max_f16 v20, v103, v103
	s_and_b64 vcc, exec, s[0:1]
	v_pk_min_f16 v19, v20, v19
	v_pk_add_f16 v20, v5, v15
	s_nop 0
	v_pk_min_f16 v19, v19, v20
	s_nop 0
	v_lshrrev_b32_e32 v20, 16, v19
	v_min3_f16 v20, v18, v19, v20
	v_lshl_add_u64 v[18:19], v[36:37], 1, v[16:17]
	global_store_short v[18:19], v20, off
	v_mov_b32_e32 v18, 0
	v_mov_b32_e32 v19, 0
	s_cbranch_vccnz .LBB277_118
; %bb.117:
	v_lshl_add_u64 v[20:21], v[44:45], 1, v[12:13]
	flat_load_ushort v19, v[20:21]
	s_waitcnt vmcnt(0) lgkmcnt(0)
	v_mul_f16_e32 v19, s12, v19
.LBB277_118:
	v_pk_add_f16 v20, v6, v14
	v_pk_max_f16 v21, v102, v102
	s_and_b64 vcc, exec, s[0:1]
	v_pk_min_f16 v20, v21, v20
	v_pk_add_f16 v21, v7, v15
	s_nop 0
	v_pk_min_f16 v20, v20, v21
	s_nop 0
	;; [unrolled: 40-line block ×3, first 2 shown]
	v_lshrrev_b32_e32 v21, 16, v20
	v_min3_f16 v19, v19, v20, v21
	v_lshl_add_u64 v[20:21], v[40:41], 1, v[16:17]
	global_store_short v[20:21], v19, off
	s_cbranch_vccnz .LBB277_124
; %bb.123:
	v_lshl_add_u64 v[12:13], v[38:39], 1, v[12:13]
	flat_load_ushort v12, v[12:13]
	s_waitcnt vmcnt(0) lgkmcnt(0)
	v_mul_f16_e32 v18, s12, v12
.LBB277_124:
	v_pk_add_f16 v12, v24, v14
	v_pk_max_f16 v13, v99, v99
	s_and_b64 vcc, exec, s[0:1]
	v_pk_min_f16 v12, v13, v12
	v_pk_add_f16 v13, v25, v15
	s_nop 0
	v_pk_min_f16 v12, v12, v13
	s_nop 0
	v_lshrrev_b32_e32 v13, 16, v12
	v_min3_f16 v14, v18, v12, v13
	v_lshl_add_u64 v[12:13], v[38:39], 1, v[16:17]
	global_store_short v[12:13], v14, off
	v_add_u32_e32 v14, 0xe0, v115
	v_mad_i64_i32 v[12:13], s[8:9], v14, s14, 0
	v_lshl_add_u64 v[12:13], v[12:13], 1, s[6:7]
	v_mov_b32_e32 v16, 0
	v_mov_b32_e32 v17, 0
	s_cbranch_vccnz .LBB277_126
; %bb.125:
	v_lshl_add_u64 v[18:19], v[28:29], 1, v[12:13]
	flat_load_ushort v15, v[18:19]
	s_waitcnt vmcnt(0) lgkmcnt(0)
	v_mul_f16_e32 v17, s12, v15
.LBB277_126:
	v_pk_add_f16 v15, v30, v26
	v_pk_max_f16 v18, v108, v108
	s_and_b64 vcc, exec, s[0:1]
	v_pk_min_f16 v15, v18, v15
	v_pk_add_f16 v18, v31, v27
	s_nop 0
	v_pk_min_f16 v18, v15, v18
	v_mad_i64_i32 v[14:15], s[6:7], v14, s15, 0
	v_lshl_add_u64 v[14:15], v[14:15], 1, s[2:3]
	v_lshrrev_b32_e32 v19, 16, v18
	v_min3_f16 v17, v17, v18, v19
	v_lshl_add_u64 v[18:19], v[28:29], 1, v[14:15]
	global_store_short v[18:19], v17, off
	s_cbranch_vccnz .LBB277_128
; %bb.127:
	v_lshl_add_u64 v[16:17], v[32:33], 1, v[12:13]
	flat_load_ushort v16, v[16:17]
	s_waitcnt vmcnt(0) lgkmcnt(0)
	v_mul_f16_e32 v16, s12, v16
.LBB277_128:
	v_pk_add_f16 v8, v8, v26
	v_pk_max_f16 v17, v107, v107
	v_pk_add_f16 v9, v9, v27
	v_pk_min_f16 v8, v17, v8
	s_and_b64 vcc, exec, s[0:1]
	v_pk_min_f16 v8, v8, v9
	s_nop 0
	v_lshrrev_b32_e32 v9, 16, v8
	v_min3_f16 v16, v16, v8, v9
	v_lshl_add_u64 v[8:9], v[32:33], 1, v[14:15]
	global_store_short v[8:9], v16, off
	v_mov_b32_e32 v8, 0
	v_mov_b32_e32 v9, 0
	s_cbranch_vccnz .LBB277_130
; %bb.129:
	v_lshl_add_u64 v[16:17], v[34:35], 1, v[12:13]
	flat_load_ushort v9, v[16:17]
	s_waitcnt vmcnt(0) lgkmcnt(0)
	v_mul_f16_e32 v9, s12, v9
.LBB277_130:
	v_pk_add_f16 v10, v10, v26
	v_pk_max_f16 v16, v109, v109
	v_pk_add_f16 v11, v11, v27
	v_pk_min_f16 v10, v16, v10
	s_and_b64 vcc, exec, s[0:1]
	v_pk_min_f16 v10, v10, v11
	s_nop 0
	v_lshrrev_b32_e32 v11, 16, v10
	v_min3_f16 v9, v9, v10, v11
	v_lshl_add_u64 v[10:11], v[34:35], 1, v[14:15]
	global_store_short v[10:11], v9, off
	s_cbranch_vccnz .LBB277_132
; %bb.131:
	v_lshl_add_u64 v[8:9], v[36:37], 1, v[12:13]
	flat_load_ushort v8, v[8:9]
	s_waitcnt vmcnt(0) lgkmcnt(0)
	v_mul_f16_e32 v8, s12, v8
.LBB277_132:
	v_pk_add_f16 v4, v4, v26
	v_pk_max_f16 v9, v110, v110
	v_pk_add_f16 v5, v5, v27
	v_pk_min_f16 v4, v9, v4
	s_and_b64 vcc, exec, s[0:1]
	v_pk_min_f16 v4, v4, v5
	s_nop 0
	v_lshrrev_b32_e32 v5, 16, v4
	v_min3_f16 v8, v8, v4, v5
	v_lshl_add_u64 v[4:5], v[36:37], 1, v[14:15]
	global_store_short v[4:5], v8, off
	v_mov_b32_e32 v4, 0
	v_mov_b32_e32 v5, 0
	s_cbranch_vccnz .LBB277_134
; %bb.133:
	v_lshl_add_u64 v[8:9], v[44:45], 1, v[12:13]
	flat_load_ushort v5, v[8:9]
	s_waitcnt vmcnt(0) lgkmcnt(0)
	v_mul_f16_e32 v5, s12, v5
.LBB277_134:
	v_pk_add_f16 v6, v6, v26
	v_pk_max_f16 v8, v111, v111
	v_pk_add_f16 v7, v7, v27
	v_pk_min_f16 v6, v8, v6
	s_and_b64 vcc, exec, s[0:1]
	v_pk_min_f16 v6, v6, v7
	s_nop 0
	v_lshrrev_b32_e32 v7, 16, v6
	v_min3_f16 v5, v5, v6, v7
	v_lshl_add_u64 v[6:7], v[44:45], 1, v[14:15]
	global_store_short v[6:7], v5, off
	s_cbranch_vccnz .LBB277_136
; %bb.135:
	v_lshl_add_u64 v[4:5], v[42:43], 1, v[12:13]
	flat_load_ushort v4, v[4:5]
	s_waitcnt vmcnt(0) lgkmcnt(0)
	v_mul_f16_e32 v4, s12, v4
.LBB277_136:
	v_pk_add_f16 v0, v0, v26
	v_pk_max_f16 v5, v112, v112
	v_pk_add_f16 v2, v2, v26
	v_pk_min_f16 v0, v5, v0
	v_pk_max_f16 v5, v113, v113
	v_pk_add_f16 v1, v1, v27
	v_pk_min_f16 v2, v5, v2
	v_pk_min_f16 v0, v0, v1
	v_pk_add_f16 v1, v3, v27
	s_mov_b64 vcc, s[4:5]
	v_pk_min_f16 v2, v2, v1
	v_lshrrev_b32_e32 v1, 16, v0
	v_min3_f16 v3, v4, v0, v1
	v_lshl_add_u64 v[0:1], v[42:43], 1, v[14:15]
	global_store_short v[0:1], v3, off
	v_min_f16_sdwa v0, v2, v2 dst_sel:DWORD dst_unused:UNUSED_PAD src0_sel:DWORD src1_sel:WORD_1
	v_max_f16_e32 v0, v0, v0
	s_cbranch_vccz .LBB277_139
; %bb.137:
	v_min_f16_e32 v1, 0, v0
	v_lshl_add_u64 v[2:3], v[40:41], 1, v[14:15]
	s_mov_b32 s2, 0
	global_store_short v[2:3], v1, off
	s_cbranch_execz .LBB277_140
; %bb.138:
	v_mov_b32_e32 v0, s2
	s_branch .LBB277_141
.LBB277_139:
                                        ; implicit-def: $sgpr2
.LBB277_140:
	v_lshlrev_b64 v[2:3], 1, v[40:41]
	v_lshl_add_u64 v[4:5], v[12:13], 0, v[2:3]
	flat_load_ushort v1, v[4:5]
	v_lshl_add_u64 v[2:3], v[14:15], 0, v[2:3]
	s_waitcnt vmcnt(0) lgkmcnt(0)
	v_mul_f16_e32 v1, s12, v1
	v_min_f16_e32 v0, v1, v0
	global_store_short v[2:3], v0, off
	v_lshl_add_u64 v[0:1], v[38:39], 1, v[12:13]
	flat_load_ushort v0, v[0:1]
	s_waitcnt vmcnt(0) lgkmcnt(0)
	v_mul_f16_e32 v0, s12, v0
.LBB277_141:
	v_pk_add_f16 v1, v24, v26
	v_pk_max_f16 v2, v114, v114
	s_nop 0
	v_pk_min_f16 v1, v2, v1
	v_pk_add_f16 v2, v25, v27
	s_nop 0
	v_pk_min_f16 v1, v1, v2
	s_nop 0
	v_lshrrev_b32_e32 v2, 16, v1
	v_min3_f16 v2, v0, v1, v2
	v_lshl_add_u64 v[0:1], v[38:39], 1, v[14:15]
	global_store_short v[0:1], v2, off
	s_endpgm
	.section	.rodata,"a",@progbits
	.p2align	6, 0x0
	.amdhsa_kernel _ZN12_GLOBAL__N_120geam_min_plus_kernelIDF16_Dv2_DF16_S1_Li8ELi32ELi64ELi256ELi4ELi4ELi64ELi64ELi4ELc84ELc84ELb1ELb0ELb1EDF16_KDF16_DF16_EEviiiT16_PT17_ilS5_ilS3_S5_ilPT18_ili26rocblas_geam_ex_operation_
		.amdhsa_group_segment_fixed_size 5120
		.amdhsa_private_segment_fixed_size 0
		.amdhsa_kernarg_size 128
		.amdhsa_user_sgpr_count 2
		.amdhsa_user_sgpr_dispatch_ptr 0
		.amdhsa_user_sgpr_queue_ptr 0
		.amdhsa_user_sgpr_kernarg_segment_ptr 1
		.amdhsa_user_sgpr_dispatch_id 0
		.amdhsa_user_sgpr_kernarg_preload_length 0
		.amdhsa_user_sgpr_kernarg_preload_offset 0
		.amdhsa_user_sgpr_private_segment_size 0
		.amdhsa_uses_dynamic_stack 0
		.amdhsa_enable_private_segment 0
		.amdhsa_system_sgpr_workgroup_id_x 1
		.amdhsa_system_sgpr_workgroup_id_y 0
		.amdhsa_system_sgpr_workgroup_id_z 1
		.amdhsa_system_sgpr_workgroup_info 0
		.amdhsa_system_vgpr_workitem_id 1
		.amdhsa_next_free_vgpr 122
		.amdhsa_next_free_sgpr 24
		.amdhsa_accum_offset 124
		.amdhsa_reserve_vcc 1
		.amdhsa_float_round_mode_32 0
		.amdhsa_float_round_mode_16_64 0
		.amdhsa_float_denorm_mode_32 3
		.amdhsa_float_denorm_mode_16_64 3
		.amdhsa_dx10_clamp 1
		.amdhsa_ieee_mode 1
		.amdhsa_fp16_overflow 0
		.amdhsa_tg_split 0
		.amdhsa_exception_fp_ieee_invalid_op 0
		.amdhsa_exception_fp_denorm_src 0
		.amdhsa_exception_fp_ieee_div_zero 0
		.amdhsa_exception_fp_ieee_overflow 0
		.amdhsa_exception_fp_ieee_underflow 0
		.amdhsa_exception_fp_ieee_inexact 0
		.amdhsa_exception_int_div_zero 0
	.end_amdhsa_kernel
	.section	.text._ZN12_GLOBAL__N_120geam_min_plus_kernelIDF16_Dv2_DF16_S1_Li8ELi32ELi64ELi256ELi4ELi4ELi64ELi64ELi4ELc84ELc84ELb1ELb0ELb1EDF16_KDF16_DF16_EEviiiT16_PT17_ilS5_ilS3_S5_ilPT18_ili26rocblas_geam_ex_operation_,"axG",@progbits,_ZN12_GLOBAL__N_120geam_min_plus_kernelIDF16_Dv2_DF16_S1_Li8ELi32ELi64ELi256ELi4ELi4ELi64ELi64ELi4ELc84ELc84ELb1ELb0ELb1EDF16_KDF16_DF16_EEviiiT16_PT17_ilS5_ilS3_S5_ilPT18_ili26rocblas_geam_ex_operation_,comdat
.Lfunc_end277:
	.size	_ZN12_GLOBAL__N_120geam_min_plus_kernelIDF16_Dv2_DF16_S1_Li8ELi32ELi64ELi256ELi4ELi4ELi64ELi64ELi4ELc84ELc84ELb1ELb0ELb1EDF16_KDF16_DF16_EEviiiT16_PT17_ilS5_ilS3_S5_ilPT18_ili26rocblas_geam_ex_operation_, .Lfunc_end277-_ZN12_GLOBAL__N_120geam_min_plus_kernelIDF16_Dv2_DF16_S1_Li8ELi32ELi64ELi256ELi4ELi4ELi64ELi64ELi4ELc84ELc84ELb1ELb0ELb1EDF16_KDF16_DF16_EEviiiT16_PT17_ilS5_ilS3_S5_ilPT18_ili26rocblas_geam_ex_operation_
                                        ; -- End function
	.section	.AMDGPU.csdata,"",@progbits
; Kernel info:
; codeLenInByte = 16648
; NumSgprs: 30
; NumVgprs: 122
; NumAgprs: 0
; TotalNumVgprs: 122
; ScratchSize: 0
; MemoryBound: 0
; FloatMode: 240
; IeeeMode: 1
; LDSByteSize: 5120 bytes/workgroup (compile time only)
; SGPRBlocks: 3
; VGPRBlocks: 15
; NumSGPRsForWavesPerEU: 30
; NumVGPRsForWavesPerEU: 122
; AccumOffset: 124
; Occupancy: 4
; WaveLimiterHint : 1
; COMPUTE_PGM_RSRC2:SCRATCH_EN: 0
; COMPUTE_PGM_RSRC2:USER_SGPR: 2
; COMPUTE_PGM_RSRC2:TRAP_HANDLER: 0
; COMPUTE_PGM_RSRC2:TGID_X_EN: 1
; COMPUTE_PGM_RSRC2:TGID_Y_EN: 0
; COMPUTE_PGM_RSRC2:TGID_Z_EN: 1
; COMPUTE_PGM_RSRC2:TIDIG_COMP_CNT: 1
; COMPUTE_PGM_RSRC3_GFX90A:ACCUM_OFFSET: 30
; COMPUTE_PGM_RSRC3_GFX90A:TG_SPLIT: 0
	.section	.text._ZN12_GLOBAL__N_120geam_min_plus_kernelIDF16_Dv2_DF16_S1_Li8ELi32ELi64ELi256ELi4ELi4ELi64ELi64ELi4ELc84ELc84ELb0ELb0ELb1EDF16_KDF16_DF16_EEviiiT16_PT17_ilS5_ilS3_S5_ilPT18_ili26rocblas_geam_ex_operation_,"axG",@progbits,_ZN12_GLOBAL__N_120geam_min_plus_kernelIDF16_Dv2_DF16_S1_Li8ELi32ELi64ELi256ELi4ELi4ELi64ELi64ELi4ELc84ELc84ELb0ELb0ELb1EDF16_KDF16_DF16_EEviiiT16_PT17_ilS5_ilS3_S5_ilPT18_ili26rocblas_geam_ex_operation_,comdat
	.globl	_ZN12_GLOBAL__N_120geam_min_plus_kernelIDF16_Dv2_DF16_S1_Li8ELi32ELi64ELi256ELi4ELi4ELi64ELi64ELi4ELc84ELc84ELb0ELb0ELb1EDF16_KDF16_DF16_EEviiiT16_PT17_ilS5_ilS3_S5_ilPT18_ili26rocblas_geam_ex_operation_ ; -- Begin function _ZN12_GLOBAL__N_120geam_min_plus_kernelIDF16_Dv2_DF16_S1_Li8ELi32ELi64ELi256ELi4ELi4ELi64ELi64ELi4ELc84ELc84ELb0ELb0ELb1EDF16_KDF16_DF16_EEviiiT16_PT17_ilS5_ilS3_S5_ilPT18_ili26rocblas_geam_ex_operation_
	.p2align	8
	.type	_ZN12_GLOBAL__N_120geam_min_plus_kernelIDF16_Dv2_DF16_S1_Li8ELi32ELi64ELi256ELi4ELi4ELi64ELi64ELi4ELc84ELc84ELb0ELb0ELb1EDF16_KDF16_DF16_EEviiiT16_PT17_ilS5_ilS3_S5_ilPT18_ili26rocblas_geam_ex_operation_,@function
_ZN12_GLOBAL__N_120geam_min_plus_kernelIDF16_Dv2_DF16_S1_Li8ELi32ELi64ELi256ELi4ELi4ELi64ELi64ELi4ELc84ELc84ELb0ELb0ELb1EDF16_KDF16_DF16_EEviiiT16_PT17_ilS5_ilS3_S5_ilPT18_ili26rocblas_geam_ex_operation_: ; @_ZN12_GLOBAL__N_120geam_min_plus_kernelIDF16_Dv2_DF16_S1_Li8ELi32ELi64ELi256ELi4ELi4ELi64ELi64ELi4ELc84ELc84ELb0ELb0ELb1EDF16_KDF16_DF16_EEviiiT16_PT17_ilS5_ilS3_S5_ilPT18_ili26rocblas_geam_ex_operation_
; %bb.0:
	s_load_dwordx2 s[18:19], s[0:1], 0x8
	s_load_dwordx4 s[4:7], s[0:1], 0x20
	s_waitcnt lgkmcnt(0)
	v_cmp_eq_f16_e64 s[8:9], s19, 0
	s_and_b64 vcc, exec, s[8:9]
	s_cbranch_vccnz .LBB278_3
; %bb.1:
	s_load_dwordx2 s[10:11], s[0:1], 0x10
	s_mul_i32 s5, s3, s5
	s_mul_hi_u32 s12, s3, s4
	s_add_i32 s5, s12, s5
	s_mul_i32 s4, s3, s4
	s_lshl_b64 s[4:5], s[4:5], 1
	s_waitcnt lgkmcnt(0)
	s_add_u32 s20, s10, s4
	s_addc_u32 s21, s11, s5
	s_andn2_b64 vcc, exec, s[8:9]
	s_cbranch_vccnz .LBB278_4
.LBB278_2:
	s_mov_b32 s17, 0
	s_mov_b64 s[22:23], 0
	s_cbranch_execz .LBB278_5
	s_branch .LBB278_6
.LBB278_3:
	s_mov_b64 s[20:21], 0
	s_andn2_b64 vcc, exec, s[8:9]
	s_cbranch_vccz .LBB278_2
.LBB278_4:
                                        ; implicit-def: $sgpr22_sgpr23
                                        ; implicit-def: $sgpr16_sgpr17
.LBB278_5:
	s_load_dwordx2 s[4:5], s[0:1], 0x38
	s_mov_b32 s17, 0
	s_waitcnt lgkmcnt(0)
	s_mul_i32 s5, s3, s5
	s_mul_hi_u32 s8, s3, s4
	s_add_i32 s5, s8, s5
	s_mul_i32 s4, s3, s4
	s_lshl_b64 s[4:5], s[4:5], 1
	s_add_u32 s22, s6, s4
	s_addc_u32 s23, s7, s5
.LBB278_6:
	s_load_dword s16, s[0:1], 0x40
	s_load_dwordx4 s[12:15], s[0:1], 0x58
	v_cmp_neq_f16_e64 s[6:7], s19, 0
	s_waitcnt lgkmcnt(0)
	v_cmp_eq_f16_e64 s[4:5], s16, 0
	s_and_b64 s[8:9], exec, s[4:5]
	s_mov_b64 vcc, s[8:9]
	s_cbranch_vccnz .LBB278_8
; %bb.7:
	s_load_dwordx2 s[4:5], s[0:1], 0x48
	s_mul_i32 s10, s3, s13
	s_mul_hi_u32 s11, s3, s12
	s_add_i32 s10, s11, s10
	s_mul_i32 s11, s17, s12
	s_add_i32 s11, s10, s11
	s_mul_i32 s10, s3, s12
	s_lshl_b64 s[10:11], s[10:11], 1
	s_waitcnt lgkmcnt(0)
	s_add_u32 s10, s4, s10
	s_addc_u32 s11, s5, s11
	s_branch .LBB278_9
.LBB278_8:
	s_mov_b64 s[10:11], 0
.LBB278_9:
	s_load_dword s4, s[0:1], 0x0
	s_load_dword s26, s[0:1], 0x18
	v_and_b32_e32 v42, 0x3ff, v0
	v_bfe_u32 v43, v0, 10, 10
	v_lshl_add_u32 v0, v43, 3, v42
	s_waitcnt lgkmcnt(0)
	s_add_i32 s4, s4, -1
	s_ashr_i32 s5, s4, 31
	s_lshr_b32 s5, s5, 26
	s_add_i32 s4, s4, s5
	s_ashr_i32 s12, s4, 6
	s_add_i32 s24, s12, 1
	v_cvt_f32_u32_e32 v1, s24
	s_not_b32 s12, s12
	v_cndmask_b32_e64 v2, 0, 1, s[6:7]
	v_and_b32_e32 v3, 3, v42
	v_rcp_iflag_f32_e32 v1, v1
	v_lshrrev_b32_e32 v34, 2, v0
	v_cmp_ne_u32_e64 s[4:5], 1, v2
	v_lshlrev_b32_e32 v32, 1, v3
	v_mul_f32_e32 v1, 0x4f7ffffe, v1
	v_cvt_u32_f32_e32 v1, v1
	s_nop 0
	v_readfirstlane_b32 s13, v1
	s_mul_i32 s12, s12, s13
	s_mul_hi_u32 s12, s13, s12
	s_add_i32 s13, s13, s12
	s_mul_hi_u32 s12, s2, s13
	s_mul_i32 s13, s12, s24
	s_sub_i32 s13, s2, s13
	s_add_i32 s25, s12, 1
	s_sub_i32 s27, s13, s24
	s_cmp_ge_u32 s13, s24
	s_cselect_b32 s12, s25, s12
	s_cselect_b32 s13, s27, s13
	s_add_i32 s25, s12, 1
	s_cmp_ge_u32 s13, s24
	s_cselect_b32 s13, s25, s12
	s_mul_i32 s27, s13, s24
	s_sub_i32 s12, s2, s27
	s_lshl_b32 s24, s12, 6
	s_andn2_b64 vcc, exec, s[6:7]
	v_add_u32_e32 v9, s24, v34
	s_cbranch_vccnz .LBB278_11
; %bb.10:
	v_mad_i64_i32 v[2:3], s[28:29], v9, s26, 0
	v_lshl_add_u64 v[2:3], v[2:3], 1, s[20:21]
	v_mov_b32_e32 v33, 0
	v_lshl_add_u64 v[2:3], v[2:3], 0, v[32:33]
	flat_load_ushort v1, v[2:3]
	s_waitcnt vmcnt(0) lgkmcnt(0)
	v_mul_f16_e32 v4, s19, v1
	s_branch .LBB278_12
.LBB278_11:
	v_mov_b32_e32 v4, 0
.LBB278_12:
	s_load_dword s12, s[0:1], 0x30
	v_and_b32_e32 v36, 63, v0
	v_lshrrev_b32_e32 v38, 6, v0
	s_lshl_b32 s25, s13, 8
	v_or_b32_e32 v0, s25, v36
	s_waitcnt lgkmcnt(0)
	v_mad_i64_i32 v[2:3], s[28:29], s12, v38, 0
	s_ashr_i32 s13, s12, 31
	v_lshl_add_u64 v[2:3], v[2:3], 1, s[22:23]
	s_and_b64 vcc, exec, s[4:5]
	v_ashrrev_i32_e32 v1, 31, v0
	s_cbranch_vccnz .LBB278_16
; %bb.13:
	v_lshl_add_u64 v[6:7], v[0:1], 1, v[2:3]
	flat_load_ushort v5, v[6:7]
	flat_load_ushort v8, v[6:7] offset:128
	s_waitcnt vmcnt(0) lgkmcnt(0)
	v_mul_f16_e32 v5, s19, v5
	v_mul_f16_e32 v6, s19, v8
	s_and_b64 vcc, exec, s[4:5]
	s_cbranch_vccnz .LBB278_17
.LBB278_14:
	v_lshl_add_u64 v[2:3], v[0:1], 1, v[2:3]
	flat_load_ushort v7, v[2:3] offset:256
	flat_load_ushort v8, v[2:3] offset:384
	s_waitcnt vmcnt(0) lgkmcnt(0)
	v_mul_f16_e32 v7, s19, v7
	v_mul_f16_e32 v8, s19, v8
	s_and_b64 vcc, exec, s[4:5]
	s_cbranch_vccnz .LBB278_18
.LBB278_15:
	v_mad_i64_i32 v[2:3], s[28:29], v9, s26, 0
	v_lshl_add_u64 v[2:3], v[2:3], 1, s[20:21]
	v_mov_b32_e32 v33, 0
	v_lshl_add_u64 v[2:3], v[2:3], 0, v[32:33]
	flat_load_ushort v2, v[2:3] offset:8
	s_waitcnt vmcnt(0) lgkmcnt(0)
	v_mul_f16_e32 v33, s19, v2
	s_branch .LBB278_19
.LBB278_16:
	v_mov_b32_e32 v5, 0
	v_mov_b32_e32 v6, 0
	s_and_b64 vcc, exec, s[4:5]
	s_cbranch_vccz .LBB278_14
.LBB278_17:
	v_mov_b32_e32 v7, 0
	v_mov_b32_e32 v8, 0
	s_and_b64 vcc, exec, s[4:5]
	s_cbranch_vccz .LBB278_15
.LBB278_18:
	v_mov_b32_e32 v33, 0
.LBB278_19:
	v_add_u32_e32 v2, 4, v38
	v_mad_i64_i32 v[2:3], s[28:29], s12, v2, 0
	s_and_b64 vcc, exec, s[4:5]
	v_lshl_add_u64 v[2:3], v[2:3], 1, s[22:23]
	s_cbranch_vccnz .LBB278_22
; %bb.20:
	v_lshl_add_u64 v[10:11], v[0:1], 1, v[2:3]
	flat_load_ushort v9, v[10:11]
	flat_load_ushort v12, v[10:11] offset:128
	s_waitcnt vmcnt(0) lgkmcnt(0)
	v_mul_f16_e32 v35, s19, v9
	v_mul_f16_e32 v37, s19, v12
	s_and_b64 vcc, exec, s[4:5]
	s_cbranch_vccnz .LBB278_23
.LBB278_21:
	v_lshl_add_u64 v[0:1], v[0:1], 1, v[2:3]
	flat_load_ushort v2, v[0:1] offset:256
	flat_load_ushort v3, v[0:1] offset:384
	s_waitcnt vmcnt(0) lgkmcnt(0)
	v_mul_f16_e32 v40, s19, v2
	v_mul_f16_e32 v41, s19, v3
	s_branch .LBB278_24
.LBB278_22:
	v_mov_b32_e32 v35, 0
	v_mov_b32_e32 v37, 0
	s_and_b64 vcc, exec, s[4:5]
	s_cbranch_vccz .LBB278_21
.LBB278_23:
	v_mov_b32_e32 v40, 0
	v_mov_b32_e32 v41, 0
.LBB278_24:
	v_lshlrev_b32_e32 v0, 1, v38
	v_lshlrev_b32_e32 v44, 3, v42
	v_lshl_or_b32 v39, v34, 3, v32
	v_lshl_add_u32 v46, v36, 3, v0
	v_add_u32_e32 v47, 0x1000, v44
	ds_write_b16 v39, v4 offset:4096
	ds_write_b16 v46, v5
	ds_write_b16 v46, v6 offset:512
	ds_write_b16 v46, v7 offset:1024
	;; [unrolled: 1-line block ×3, first 2 shown]
	s_waitcnt lgkmcnt(0)
	s_barrier
	ds_read2_b64 v[16:19], v47 offset1:8
	ds_read2_b64 v[12:15], v47 offset0:16 offset1:24
	ds_read2_b64 v[4:7], v47 offset0:32 offset1:40
	v_lshlrev_b32_e32 v45, 3, v43
	ds_read2_b64 v[28:31], v45 offset1:32
	ds_read2_b64 v[0:3], v47 offset0:48 offset1:56
	ds_read2_b64 v[24:27], v45 offset0:64 offset1:96
	ds_read2_b64 v[20:23], v45 offset0:128 offset1:160
	ds_read2_b64 v[8:11], v45 offset0:192 offset1:224
	s_movk_i32 s28, 0x7c00
	s_waitcnt lgkmcnt(4)
	v_pk_add_f16 v50, v12, v28
	v_pk_add_f16 v48, v16, v28
	v_pk_min_f16 v51, v50, s28 op_sel_hi:[1,0]
	v_pk_add_f16 v50, v14, v28
	v_pk_add_f16 v49, v18, v28
	v_pk_min_f16 v52, v50, s28 op_sel_hi:[1,0]
	v_pk_add_f16 v50, v4, v28
	v_pk_min_f16 v48, v48, s28 op_sel_hi:[1,0]
	v_pk_min_f16 v53, v50, s28 op_sel_hi:[1,0]
	v_pk_add_f16 v50, v6, v28
	v_pk_min_f16 v49, v49, s28 op_sel_hi:[1,0]
	v_pk_min_f16 v54, v50, s28 op_sel_hi:[1,0]
	s_waitcnt lgkmcnt(3)
	v_pk_add_f16 v50, v0, v28
	v_pk_add_f16 v28, v2, v28
	v_pk_min_f16 v55, v50, s28 op_sel_hi:[1,0]
	v_pk_add_f16 v50, v16, v30
	v_pk_min_f16 v28, v28, s28 op_sel_hi:[1,0]
	v_pk_min_f16 v56, v50, s28 op_sel_hi:[1,0]
	v_pk_add_f16 v50, v18, v30
	s_cmp_lt_i32 s18, 9
	v_pk_min_f16 v57, v50, s28 op_sel_hi:[1,0]
	v_pk_add_f16 v50, v12, v30
	ds_write_b16 v39, v33 offset:4608
	ds_write_b16 v46, v35 offset:2048
	;; [unrolled: 1-line block ×5, first 2 shown]
	v_pk_min_f16 v58, v50, s28 op_sel_hi:[1,0]
	v_pk_add_f16 v50, v14, v30
	s_waitcnt lgkmcnt(0)
	v_pk_min_f16 v59, v50, s28 op_sel_hi:[1,0]
	v_pk_add_f16 v50, v4, v30
	s_barrier
	v_pk_min_f16 v60, v50, s28 op_sel_hi:[1,0]
	v_pk_add_f16 v50, v6, v30
	s_nop 0
	v_pk_min_f16 v61, v50, s28 op_sel_hi:[1,0]
	v_pk_add_f16 v50, v0, v30
	v_pk_add_f16 v30, v2, v30
	v_pk_min_f16 v62, v50, s28 op_sel_hi:[1,0]
	v_pk_add_f16 v50, v16, v24
	v_pk_min_f16 v30, v30, s28 op_sel_hi:[1,0]
	v_pk_min_f16 v63, v50, s28 op_sel_hi:[1,0]
	v_pk_add_f16 v50, v18, v24
	s_nop 0
	v_pk_min_f16 v64, v50, s28 op_sel_hi:[1,0]
	v_pk_add_f16 v50, v12, v24
	s_nop 0
	v_pk_min_f16 v65, v50, s28 op_sel_hi:[1,0]
	v_pk_add_f16 v50, v14, v24
	s_nop 0
	v_pk_min_f16 v66, v50, s28 op_sel_hi:[1,0]
	v_pk_add_f16 v50, v4, v24
	s_nop 0
	v_pk_min_f16 v67, v50, s28 op_sel_hi:[1,0]
	v_pk_add_f16 v50, v6, v24
	s_nop 0
	v_pk_min_f16 v68, v50, s28 op_sel_hi:[1,0]
	v_pk_add_f16 v50, v0, v24
	v_pk_add_f16 v24, v2, v24
	v_pk_min_f16 v69, v50, s28 op_sel_hi:[1,0]
	v_pk_add_f16 v50, v16, v26
	v_pk_min_f16 v24, v24, s28 op_sel_hi:[1,0]
	v_pk_min_f16 v70, v50, s28 op_sel_hi:[1,0]
	v_pk_add_f16 v50, v18, v26
	s_nop 0
	v_pk_min_f16 v71, v50, s28 op_sel_hi:[1,0]
	v_pk_add_f16 v50, v12, v26
	s_nop 0
	v_pk_min_f16 v72, v50, s28 op_sel_hi:[1,0]
	v_pk_add_f16 v50, v14, v26
	s_nop 0
	v_pk_min_f16 v73, v50, s28 op_sel_hi:[1,0]
	v_pk_add_f16 v50, v4, v26
	s_nop 0
	v_pk_min_f16 v74, v50, s28 op_sel_hi:[1,0]
	v_pk_add_f16 v50, v6, v26
	s_nop 0
	v_pk_min_f16 v75, v50, s28 op_sel_hi:[1,0]
	v_pk_add_f16 v50, v0, v26
	v_pk_add_f16 v26, v2, v26
	v_pk_min_f16 v76, v50, s28 op_sel_hi:[1,0]
	v_pk_add_f16 v50, v16, v20
	v_pk_min_f16 v26, v26, s28 op_sel_hi:[1,0]
	v_pk_min_f16 v77, v50, s28 op_sel_hi:[1,0]
	v_pk_add_f16 v50, v18, v20
	s_nop 0
	v_pk_min_f16 v78, v50, s28 op_sel_hi:[1,0]
	v_pk_add_f16 v50, v12, v20
	s_nop 0
	v_pk_min_f16 v79, v50, s28 op_sel_hi:[1,0]
	v_pk_add_f16 v50, v14, v20
	s_nop 0
	v_pk_min_f16 v80, v50, s28 op_sel_hi:[1,0]
	v_pk_add_f16 v50, v4, v20
	s_nop 0
	v_pk_min_f16 v115, v50, s28 op_sel_hi:[1,0]
	v_pk_add_f16 v50, v6, v20
	s_nop 0
	v_pk_min_f16 v116, v50, s28 op_sel_hi:[1,0]
	v_pk_add_f16 v50, v0, v20
	v_pk_add_f16 v20, v2, v20
	v_pk_min_f16 v117, v50, s28 op_sel_hi:[1,0]
	v_pk_add_f16 v50, v16, v22
	v_pk_min_f16 v20, v20, s28 op_sel_hi:[1,0]
	v_pk_min_f16 v118, v50, s28 op_sel_hi:[1,0]
	v_pk_add_f16 v50, v18, v22
	s_nop 0
	v_pk_min_f16 v119, v50, s28 op_sel_hi:[1,0]
	v_pk_add_f16 v50, v12, v22
	s_nop 0
	v_pk_min_f16 v120, v50, s28 op_sel_hi:[1,0]
	v_pk_add_f16 v50, v14, v22
	s_nop 0
	v_pk_min_f16 v121, v50, s28 op_sel_hi:[1,0]
	v_pk_add_f16 v50, v4, v22
	s_nop 0
	v_pk_min_f16 v122, v50, s28 op_sel_hi:[1,0]
	v_pk_add_f16 v50, v6, v22
	s_nop 0
	v_pk_min_f16 v123, v50, s28 op_sel_hi:[1,0]
	v_pk_add_f16 v50, v0, v22
	v_pk_add_f16 v22, v2, v22
	v_pk_min_f16 v124, v50, s28 op_sel_hi:[1,0]
	v_pk_add_f16 v50, v16, v8
	v_pk_min_f16 v22, v22, s28 op_sel_hi:[1,0]
	v_pk_min_f16 v125, v50, s28 op_sel_hi:[1,0]
	v_pk_add_f16 v50, v18, v8
	s_nop 0
	v_pk_min_f16 v126, v50, s28 op_sel_hi:[1,0]
	v_pk_add_f16 v50, v12, v8
	s_nop 0
	;; [unrolled: 3-line block ×3, first 2 shown]
	v_pk_min_f16 v128, v50, s28 op_sel_hi:[1,0]
	v_pk_add_f16 v50, v4, v8
	v_pk_add_f16 v4, v4, v10
	v_pk_min_f16 v129, v50, s28 op_sel_hi:[1,0]
	v_pk_add_f16 v50, v6, v8
	s_nop 0
	v_pk_min_f16 v130, v50, s28 op_sel_hi:[1,0]
	v_pk_add_f16 v50, v0, v8
	v_pk_add_f16 v8, v2, v8
	;; [unrolled: 1-line block ×3, first 2 shown]
	v_pk_min_f16 v132, v8, s28 op_sel_hi:[1,0]
	v_pk_add_f16 v8, v16, v10
	v_pk_min_f16 v131, v50, s28 op_sel_hi:[1,0]
	v_pk_min_f16 v16, v8, s28 op_sel_hi:[1,0]
	v_pk_add_f16 v8, v18, v10
	s_nop 0
	v_pk_min_f16 v18, v8, s28 op_sel_hi:[1,0]
	v_pk_add_f16 v8, v12, v10
	s_nop 0
	;; [unrolled: 3-line block ×3, first 2 shown]
	v_pk_min_f16 v14, v8, s28 op_sel_hi:[1,0]
	v_pk_min_f16 v8, v4, s28 op_sel_hi:[1,0]
	v_pk_add_f16 v4, v6, v10
	s_nop 0
	v_pk_min_f16 v6, v4, s28 op_sel_hi:[1,0]
	v_pk_min_f16 v4, v0, s28 op_sel_hi:[1,0]
	v_pk_add_f16 v0, v2, v10
	v_pk_add_f16 v2, v17, v29
	v_pk_min_f16 v0, v0, s28 op_sel_hi:[1,0]
	v_pk_min_f16 v50, v48, v2
	v_pk_add_f16 v2, v19, v29
	s_nop 0
	v_pk_min_f16 v114, v49, v2
	v_pk_add_f16 v2, v13, v29
	s_nop 0
	v_pk_min_f16 v113, v51, v2
	v_pk_add_f16 v2, v15, v29
	s_nop 0
	v_pk_min_f16 v112, v52, v2
	v_pk_add_f16 v2, v5, v29
	s_nop 0
	v_pk_min_f16 v111, v53, v2
	v_pk_add_f16 v2, v7, v29
	s_nop 0
	v_pk_min_f16 v110, v54, v2
	v_pk_add_f16 v2, v1, v29
	s_nop 0
	v_pk_min_f16 v109, v55, v2
	v_pk_add_f16 v2, v3, v29
	s_nop 0
	v_pk_min_f16 v108, v28, v2
	v_pk_add_f16 v2, v17, v31
	s_nop 0
	v_pk_min_f16 v107, v56, v2
	v_pk_add_f16 v2, v19, v31
	s_nop 0
	v_pk_min_f16 v106, v57, v2
	v_pk_add_f16 v2, v13, v31
	s_nop 0
	v_pk_min_f16 v105, v58, v2
	v_pk_add_f16 v2, v15, v31
	s_nop 0
	v_pk_min_f16 v104, v59, v2
	v_pk_add_f16 v2, v5, v31
	s_nop 0
	v_pk_min_f16 v103, v60, v2
	v_pk_add_f16 v2, v7, v31
	s_nop 0
	v_pk_min_f16 v102, v61, v2
	v_pk_add_f16 v2, v1, v31
	s_nop 0
	v_pk_min_f16 v101, v62, v2
	v_pk_add_f16 v2, v3, v31
	s_nop 0
	v_pk_min_f16 v100, v30, v2
	v_pk_add_f16 v2, v17, v25
	s_nop 0
	v_pk_min_f16 v99, v63, v2
	v_pk_add_f16 v2, v19, v25
	s_nop 0
	v_pk_min_f16 v98, v64, v2
	v_pk_add_f16 v2, v13, v25
	s_nop 0
	v_pk_min_f16 v97, v65, v2
	v_pk_add_f16 v2, v15, v25
	s_nop 0
	v_pk_min_f16 v96, v66, v2
	v_pk_add_f16 v2, v5, v25
	s_nop 0
	v_pk_min_f16 v95, v67, v2
	v_pk_add_f16 v2, v7, v25
	s_nop 0
	v_pk_min_f16 v94, v68, v2
	v_pk_add_f16 v2, v1, v25
	s_nop 0
	v_pk_min_f16 v93, v69, v2
	v_pk_add_f16 v2, v3, v25
	s_nop 0
	v_pk_min_f16 v92, v24, v2
	v_pk_add_f16 v2, v17, v27
	s_nop 0
	v_pk_min_f16 v91, v70, v2
	v_pk_add_f16 v2, v19, v27
	s_nop 0
	v_pk_min_f16 v90, v71, v2
	v_pk_add_f16 v2, v13, v27
	s_nop 0
	v_pk_min_f16 v89, v72, v2
	v_pk_add_f16 v2, v15, v27
	s_nop 0
	v_pk_min_f16 v88, v73, v2
	v_pk_add_f16 v2, v5, v27
	s_nop 0
	v_pk_min_f16 v87, v74, v2
	v_pk_add_f16 v2, v7, v27
	s_nop 0
	v_pk_min_f16 v86, v75, v2
	v_pk_add_f16 v2, v1, v27
	s_nop 0
	v_pk_min_f16 v85, v76, v2
	v_pk_add_f16 v2, v3, v27
	s_nop 0
	v_pk_min_f16 v83, v26, v2
	v_pk_add_f16 v2, v17, v21
	s_nop 0
	v_pk_min_f16 v84, v77, v2
	v_pk_add_f16 v2, v19, v21
	s_nop 0
	v_pk_min_f16 v82, v78, v2
	v_pk_add_f16 v2, v13, v21
	s_nop 0
	v_pk_min_f16 v81, v79, v2
	v_pk_add_f16 v2, v15, v21
	s_nop 0
	v_pk_min_f16 v80, v80, v2
	v_pk_add_f16 v2, v5, v21
	s_nop 0
	v_pk_min_f16 v79, v115, v2
	v_pk_add_f16 v2, v7, v21
	s_nop 0
	v_pk_min_f16 v78, v116, v2
	v_pk_add_f16 v2, v1, v21
	s_nop 0
	v_pk_min_f16 v77, v117, v2
	v_pk_add_f16 v2, v3, v21
	s_nop 0
	v_pk_min_f16 v76, v20, v2
	v_pk_add_f16 v2, v17, v23
	s_nop 0
	v_pk_min_f16 v75, v118, v2
	v_pk_add_f16 v2, v19, v23
	s_nop 0
	v_pk_min_f16 v74, v119, v2
	v_pk_add_f16 v2, v13, v23
	s_nop 0
	v_pk_min_f16 v73, v120, v2
	v_pk_add_f16 v2, v15, v23
	s_nop 0
	v_pk_min_f16 v72, v121, v2
	v_pk_add_f16 v2, v5, v23
	s_nop 0
	v_pk_min_f16 v71, v122, v2
	v_pk_add_f16 v2, v7, v23
	s_nop 0
	v_pk_min_f16 v70, v123, v2
	v_pk_add_f16 v2, v1, v23
	s_nop 0
	v_pk_min_f16 v69, v124, v2
	v_pk_add_f16 v2, v3, v23
	s_nop 0
	v_pk_min_f16 v68, v22, v2
	v_pk_add_f16 v2, v17, v9
	s_nop 0
	v_pk_min_f16 v66, v125, v2
	v_pk_add_f16 v2, v19, v9
	s_nop 0
	v_pk_min_f16 v65, v126, v2
	v_pk_add_f16 v2, v13, v9
	s_nop 0
	v_pk_min_f16 v64, v127, v2
	v_pk_add_f16 v2, v15, v9
	s_nop 0
	v_pk_min_f16 v63, v128, v2
	v_pk_add_f16 v2, v5, v9
	s_nop 0
	v_pk_min_f16 v62, v129, v2
	v_pk_add_f16 v2, v7, v9
	s_nop 0
	v_pk_min_f16 v61, v130, v2
	v_pk_add_f16 v2, v1, v9
	v_pk_add_f16 v1, v1, v11
	v_pk_min_f16 v60, v131, v2
	v_pk_add_f16 v2, v3, v9
	v_pk_min_f16 v53, v4, v1
	v_pk_min_f16 v58, v132, v2
	v_pk_add_f16 v2, v17, v11
	v_pk_add_f16 v1, v3, v11
	v_pk_min_f16 v59, v16, v2
	v_pk_add_f16 v2, v19, v11
	v_pk_min_f16 v67, v0, v1
	v_pk_min_f16 v57, v18, v2
	v_pk_add_f16 v2, v13, v11
	s_nop 0
	v_pk_min_f16 v56, v12, v2
	v_pk_add_f16 v2, v15, v11
	s_nop 0
	;; [unrolled: 3-line block ×4, first 2 shown]
	v_pk_min_f16 v52, v6, v2
	s_cbranch_scc1 .LBB278_42
; %bb.25:
	v_mov_b32_e32 v0, 0x1200
	v_lshl_add_u32 v115, v42, 3, v0
	v_mov_b32_e32 v0, 0x800
	v_lshl_add_u32 v116, v43, 3, v0
	v_lshl_add_u32 v0, s2, 6, v34
	s_lshl_b32 s2, s27, 6
	v_subrev_u32_e32 v0, s2, v0
	v_mad_i64_i32 v[0:1], s[26:27], s26, v0, 0
	v_mov_b32_e32 v33, 0
	v_lshl_add_u64 v[0:1], v[0:1], 1, v[32:33]
	v_lshl_add_u64 v[0:1], v[0:1], 0, s[20:21]
	;; [unrolled: 1-line block ×3, first 2 shown]
	v_add_u32_e32 v0, 12, v38
	v_mad_i64_i32 v[0:1], s[20:21], v0, s12, 0
	v_lshlrev_b64 v[34:35], 1, v[0:1]
	v_add_u32_e32 v0, s25, v36
	v_ashrrev_i32_e32 v1, 31, v0
	v_lshl_add_u64 v[36:37], v[0:1], 1, s[22:23]
	v_add_u32_e32 v0, 8, v38
	s_lshl_b64 s[20:21], s[12:13], 4
	v_mad_i64_i32 v[0:1], s[12:13], v0, s12, 0
	v_add_u32_e32 v48, 0x1000, v39
	v_add_u32_e32 v49, 0x1200, v39
	v_or_b32_e32 v51, 0x800, v46
	s_add_i32 s18, s18, -8
	v_lshlrev_b64 v[38:39], 1, v[0:1]
	s_mov_b32 s2, 0
	s_and_b64 s[6:7], exec, s[6:7]
	s_branch .LBB278_28
.LBB278_26:                             ;   in Loop: Header=BB278_28 Depth=1
	flat_load_ushort v0, v[40:41] offset:256
	flat_load_ushort v1, v[40:41] offset:384
	s_waitcnt vmcnt(0) lgkmcnt(0)
	v_mul_f16_e32 v28, s19, v0
	v_mul_f16_e32 v29, s19, v1
.LBB278_27:                             ;   in Loop: Header=BB278_28 Depth=1
	ds_read2_b64 v[8:11], v47 offset1:8
	ds_read2_b64 v[4:7], v47 offset0:16 offset1:24
	ds_read2_b64 v[0:3], v47 offset0:32 offset1:40
	ds_read2_b64 v[120:123], v45 offset1:32
	ds_read2_b64 v[12:15], v47 offset0:48 offset1:56
	ds_read2_b64 v[24:27], v45 offset0:64 offset1:96
	;; [unrolled: 1-line block ×4, first 2 shown]
	s_waitcnt lgkmcnt(4)
	v_pk_add_f16 v40, v8, v120
	v_pk_max_f16 v41, v112, v112
	v_pk_max_f16 v111, v111, v111
	v_pk_min_f16 v40, v41, v40
	v_pk_add_f16 v41, v10, v120
	v_pk_max_f16 v110, v110, v110
	v_pk_min_f16 v41, v111, v41
	v_pk_add_f16 v111, v4, v120
	;; [unrolled: 3-line block ×5, first 2 shown]
	v_pk_max_f16 v106, v106, v106
	v_pk_min_f16 v107, v107, v111
	s_waitcnt lgkmcnt(3)
	v_pk_add_f16 v111, v12, v120
	v_pk_max_f16 v105, v105, v105
	v_pk_min_f16 v106, v106, v111
	v_pk_add_f16 v111, v14, v120
	v_pk_max_f16 v104, v104, v104
	v_pk_min_f16 v105, v105, v111
	;; [unrolled: 3-line block ×10, first 2 shown]
	s_waitcnt lgkmcnt(2)
	v_pk_add_f16 v111, v8, v24
	v_pk_max_f16 v95, v95, v95
	v_pk_min_f16 v96, v96, v111
	v_pk_add_f16 v111, v10, v24
	v_pk_max_f16 v94, v94, v94
	v_pk_min_f16 v95, v95, v111
	;; [unrolled: 3-line block ×6, first 2 shown]
	v_pk_add_f16 v111, v12, v24
	v_pk_add_f16 v24, v14, v24
	v_pk_max_f16 v88, v88, v88
	v_pk_min_f16 v24, v89, v24
	v_pk_add_f16 v89, v8, v26
	v_pk_max_f16 v87, v87, v87
	v_pk_min_f16 v88, v88, v89
	;; [unrolled: 3-line block ×7, first 2 shown]
	v_pk_add_f16 v89, v12, v26
	v_pk_add_f16 v26, v14, v26
	v_pk_max_f16 v80, v80, v80
	v_pk_min_f16 v26, v81, v26
	s_waitcnt lgkmcnt(1)
	v_pk_add_f16 v81, v8, v20
	v_pk_max_f16 v79, v79, v79
	v_pk_min_f16 v80, v80, v81
	v_pk_add_f16 v81, v10, v20
	v_pk_max_f16 v78, v78, v78
	v_pk_min_f16 v79, v79, v81
	;; [unrolled: 3-line block ×6, first 2 shown]
	v_pk_add_f16 v81, v12, v20
	v_pk_add_f16 v20, v14, v20
	v_pk_max_f16 v72, v72, v72
	v_pk_min_f16 v20, v73, v20
	v_pk_add_f16 v73, v8, v22
	v_pk_max_f16 v71, v71, v71
	v_pk_min_f16 v72, v72, v73
	;; [unrolled: 3-line block ×7, first 2 shown]
	v_pk_add_f16 v73, v12, v22
	v_pk_add_f16 v22, v14, v22
	v_pk_max_f16 v64, v64, v64
	v_pk_min_f16 v22, v65, v22
	s_waitcnt lgkmcnt(0)
	v_pk_add_f16 v65, v8, v16
	v_pk_max_f16 v63, v63, v63
	v_pk_min_f16 v64, v64, v65
	v_pk_add_f16 v65, v10, v16
	v_pk_max_f16 v62, v62, v62
	v_pk_min_f16 v63, v63, v65
	;; [unrolled: 3-line block ×5, first 2 shown]
	v_pk_add_f16 v65, v2, v16
	v_pk_add_f16 v8, v8, v18
	v_pk_min_f16 v59, v59, v65
	v_pk_add_f16 v65, v12, v16
	v_pk_add_f16 v16, v14, v16
	;; [unrolled: 1-line block ×9, first 2 shown]
	v_pk_max_f16 v18, v50, v50
	v_pk_max_f16 v90, v90, v90
	v_pk_min_f16 v14, v18, v14
	v_pk_add_f16 v18, v9, v121
	v_pk_min_f16 v90, v90, v111
	v_pk_min_f16 v50, v40, v18
	v_pk_add_f16 v18, v11, v121
	v_pk_max_f16 v82, v82, v82
	v_pk_min_f16 v114, v41, v18
	v_pk_add_f16 v18, v5, v121
	v_pk_min_f16 v82, v82, v89
	v_pk_min_f16 v113, v110, v18
	v_pk_add_f16 v18, v7, v121
	;; [unrolled: 6-line block ×5, first 2 shown]
	v_pk_max_f16 v52, v52, v52
	v_pk_min_f16 v106, v103, v18
	v_pk_add_f16 v18, v5, v123
	v_pk_max_f16 v54, v54, v54
	v_pk_min_f16 v105, v102, v18
	v_pk_add_f16 v18, v7, v123
	v_pk_min_f16 v0, v52, v0
	v_pk_min_f16 v104, v101, v18
	v_pk_add_f16 v18, v1, v123
	v_pk_max_f16 v31, v31, v31
	v_pk_min_f16 v103, v100, v18
	v_pk_add_f16 v18, v3, v123
	v_pk_max_f16 v56, v56, v56
	v_pk_min_f16 v102, v99, v18
	v_pk_add_f16 v18, v13, v123
	v_pk_min_f16 v4, v54, v4
	v_pk_min_f16 v101, v98, v18
	v_pk_add_f16 v18, v15, v123
	v_pk_min_f16 v2, v31, v2
	v_pk_min_f16 v100, v97, v18
	v_pk_add_f16 v18, v9, v25
	v_pk_max_f16 v30, v30, v30
	v_pk_min_f16 v99, v96, v18
	v_pk_add_f16 v18, v11, v25
	v_pk_max_f16 v57, v57, v57
	v_pk_min_f16 v98, v95, v18
	v_pk_add_f16 v18, v5, v25
	v_pk_min_f16 v8, v56, v8
	v_pk_min_f16 v97, v94, v18
	v_pk_add_f16 v18, v7, v25
	v_pk_max_f16 v55, v55, v55
	v_pk_min_f16 v96, v93, v18
	v_pk_add_f16 v18, v1, v25
	v_pk_max_f16 v53, v53, v53
	v_pk_min_f16 v95, v92, v18
	v_pk_add_f16 v18, v3, v25
	v_pk_min_f16 v12, v30, v12
	v_pk_min_f16 v94, v91, v18
	v_pk_add_f16 v18, v13, v25
	v_pk_min_f16 v16, v57, v16
	;; [unrolled: 3-line block ×4, first 2 shown]
	v_pk_min_f16 v91, v88, v18
	v_pk_add_f16 v18, v11, v27
	s_add_i32 s2, s2, 8
	v_pk_min_f16 v90, v87, v18
	v_pk_add_f16 v18, v5, v27
	v_lshl_add_u64 v[32:33], v[32:33], 0, 16
	v_pk_min_f16 v89, v86, v18
	v_pk_add_f16 v18, v7, v27
	s_cmp_ge_i32 s2, s18
	v_pk_min_f16 v88, v85, v18
	v_pk_add_f16 v18, v1, v27
	v_lshl_add_u64 v[36:37], v[36:37], 0, s[20:21]
	v_pk_min_f16 v87, v84, v18
	v_pk_add_f16 v18, v3, v27
	ds_write_b16 v49, v117
	ds_write_b16 v51, v118
	ds_write_b16 v51, v119 offset:512
	ds_write_b16 v51, v28 offset:1024
	ds_write_b16 v51, v29 offset:1536
	v_pk_min_f16 v86, v83, v18
	v_pk_add_f16 v18, v13, v27
	s_waitcnt lgkmcnt(0)
	v_pk_min_f16 v85, v82, v18
	v_pk_add_f16 v18, v15, v27
	s_barrier
	v_pk_min_f16 v83, v26, v18
	v_pk_add_f16 v18, v9, v21
	s_nop 0
	v_pk_min_f16 v84, v80, v18
	v_pk_add_f16 v18, v11, v21
	s_nop 0
	;; [unrolled: 3-line block ×16, first 2 shown]
	v_pk_min_f16 v68, v22, v18
	v_pk_add_f16 v18, v9, v17
	v_pk_add_f16 v9, v9, v19
	v_pk_min_f16 v66, v64, v18
	v_pk_add_f16 v18, v11, v17
	s_nop 0
	v_pk_min_f16 v65, v63, v18
	v_pk_add_f16 v18, v5, v17
	v_pk_add_f16 v5, v5, v19
	v_pk_min_f16 v64, v62, v18
	v_pk_add_f16 v18, v7, v17
	v_pk_min_f16 v56, v4, v5
	v_pk_min_f16 v63, v61, v18
	v_pk_add_f16 v18, v1, v17
	v_pk_add_f16 v1, v1, v19
	v_pk_min_f16 v62, v60, v18
	v_pk_min_f16 v54, v0, v1
	v_pk_add_f16 v0, v3, v19
	v_pk_add_f16 v18, v3, v17
	v_pk_min_f16 v52, v2, v0
	v_pk_add_f16 v0, v13, v19
	v_pk_min_f16 v61, v59, v18
	v_pk_add_f16 v18, v13, v17
	v_pk_add_f16 v17, v15, v17
	v_pk_min_f16 v59, v8, v9
	v_pk_add_f16 v8, v11, v19
	;; [unrolled: 3-line block ×3, first 2 shown]
	v_pk_min_f16 v60, v58, v18
	v_pk_min_f16 v58, v16, v17
	;; [unrolled: 1-line block ×5, first 2 shown]
	s_cbranch_scc1 .LBB278_42
.LBB278_28:                             ; =>This Inner Loop Header: Depth=1
	s_and_b64 vcc, exec, s[4:5]
	v_mov_b32_e32 v40, 0
	s_cbranch_vccnz .LBB278_30
; %bb.29:                               ;   in Loop: Header=BB278_28 Depth=1
	flat_load_ushort v0, v[32:33]
	s_waitcnt vmcnt(0) lgkmcnt(0)
	v_mul_f16_e32 v40, s19, v0
.LBB278_30:                             ;   in Loop: Header=BB278_28 Depth=1
	s_and_b64 vcc, exec, s[4:5]
	v_lshl_add_u64 v[0:1], v[36:37], 0, v[38:39]
	s_cbranch_vccnz .LBB278_33
; %bb.31:                               ;   in Loop: Header=BB278_28 Depth=1
	flat_load_ushort v2, v[0:1]
	flat_load_ushort v3, v[0:1] offset:128
	s_waitcnt vmcnt(0) lgkmcnt(0)
	v_mul_f16_e32 v41, s19, v2
	v_mul_f16_e32 v117, s19, v3
	s_and_b64 vcc, exec, s[4:5]
	s_cbranch_vccnz .LBB278_34
.LBB278_32:                             ;   in Loop: Header=BB278_28 Depth=1
	flat_load_ushort v2, v[0:1] offset:256
	flat_load_ushort v3, v[0:1] offset:384
	s_waitcnt vmcnt(0) lgkmcnt(0)
	v_mul_f16_e32 v118, s19, v2
	v_mul_f16_e32 v119, s19, v3
	s_branch .LBB278_35
.LBB278_33:                             ;   in Loop: Header=BB278_28 Depth=1
	v_mov_b32_e32 v41, 0
	v_mov_b32_e32 v117, 0
	s_and_b64 vcc, exec, s[4:5]
	s_cbranch_vccz .LBB278_32
.LBB278_34:                             ;   in Loop: Header=BB278_28 Depth=1
	v_mov_b32_e32 v118, 0
	v_mov_b32_e32 v119, 0
.LBB278_35:                             ;   in Loop: Header=BB278_28 Depth=1
	ds_read2_b64 v[12:15], v115 offset1:8
	ds_read2_b64 v[8:11], v115 offset0:16 offset1:24
	ds_read2_b64 v[4:7], v115 offset0:32 offset1:40
	;; [unrolled: 1-line block ×3, first 2 shown]
	ds_read2_b64 v[28:31], v116 offset1:32
	ds_read2_b64 v[24:27], v116 offset0:64 offset1:96
	ds_read2_b64 v[20:23], v116 offset0:128 offset1:160
	;; [unrolled: 1-line block ×3, first 2 shown]
	s_mov_b64 vcc, s[6:7]
	ds_write_b16 v48, v40
	ds_write_b16 v46, v41
	ds_write_b16 v46, v117 offset:512
	ds_write_b16 v46, v118 offset:1024
	;; [unrolled: 1-line block ×3, first 2 shown]
	s_waitcnt lgkmcnt(0)
	s_barrier
	s_cbranch_vccz .LBB278_38
; %bb.36:                               ;   in Loop: Header=BB278_28 Depth=1
	flat_load_ushort v40, v[32:33] offset:8
	s_waitcnt vmcnt(0) lgkmcnt(0)
	v_mul_f16_e32 v117, s19, v40
	s_and_b64 vcc, exec, s[4:5]
	v_lshl_add_u64 v[40:41], v[36:37], 0, v[34:35]
	s_cbranch_vccnz .LBB278_39
.LBB278_37:                             ;   in Loop: Header=BB278_28 Depth=1
	flat_load_ushort v118, v[40:41]
	flat_load_ushort v119, v[40:41] offset:128
	s_waitcnt vmcnt(0) lgkmcnt(0)
	v_mul_f16_e32 v118, s19, v118
	v_mul_f16_e32 v119, s19, v119
	s_branch .LBB278_40
.LBB278_38:                             ;   in Loop: Header=BB278_28 Depth=1
	v_mov_b32_e32 v117, 0
	s_and_b64 vcc, exec, s[4:5]
	v_lshl_add_u64 v[40:41], v[36:37], 0, v[34:35]
	s_cbranch_vccz .LBB278_37
.LBB278_39:                             ;   in Loop: Header=BB278_28 Depth=1
	v_mov_b32_e32 v118, 0
	v_mov_b32_e32 v119, 0
.LBB278_40:                             ;   in Loop: Header=BB278_28 Depth=1
	v_pk_add_f16 v120, v12, v28
	v_pk_max_f16 v50, v50, v50
	v_pk_max_f16 v114, v114, v114
	v_pk_min_f16 v50, v50, v120
	v_pk_add_f16 v120, v14, v28
	v_pk_max_f16 v113, v113, v113
	v_pk_min_f16 v114, v114, v120
	v_pk_add_f16 v120, v8, v28
	v_pk_max_f16 v112, v112, v112
	v_pk_min_f16 v113, v113, v120
	v_pk_add_f16 v120, v10, v28
	v_pk_max_f16 v111, v111, v111
	v_pk_min_f16 v120, v112, v120
	v_pk_add_f16 v112, v4, v28
	v_pk_max_f16 v110, v110, v110
	v_pk_min_f16 v121, v111, v112
	v_pk_add_f16 v111, v6, v28
	v_pk_max_f16 v108, v108, v108
	v_pk_min_f16 v122, v110, v111
	v_pk_add_f16 v110, v0, v28
	v_pk_add_f16 v28, v2, v28
	v_pk_max_f16 v107, v107, v107
	v_pk_min_f16 v28, v108, v28
	v_pk_add_f16 v108, v12, v30
	v_pk_max_f16 v106, v106, v106
	v_pk_min_f16 v124, v107, v108
	v_pk_add_f16 v107, v14, v30
	v_pk_max_f16 v105, v105, v105
	v_pk_min_f16 v125, v106, v107
	v_pk_add_f16 v106, v8, v30
	v_pk_max_f16 v104, v104, v104
	v_pk_min_f16 v126, v105, v106
	v_pk_add_f16 v105, v10, v30
	v_pk_max_f16 v103, v103, v103
	v_pk_min_f16 v127, v104, v105
	v_pk_add_f16 v104, v4, v30
	v_pk_max_f16 v102, v102, v102
	v_pk_min_f16 v128, v103, v104
	v_pk_add_f16 v103, v6, v30
	v_pk_max_f16 v100, v100, v100
	v_pk_min_f16 v129, v102, v103
	v_pk_add_f16 v102, v0, v30
	v_pk_add_f16 v30, v2, v30
	v_pk_max_f16 v99, v99, v99
	v_pk_min_f16 v30, v100, v30
	v_pk_add_f16 v100, v12, v24
	;; [unrolled: 22-line block ×6, first 2 shown]
	v_pk_max_f16 v65, v65, v65
	v_pk_min_f16 v159, v66, v68
	v_pk_add_f16 v66, v14, v16
	v_pk_max_f16 v64, v64, v64
	v_pk_min_f16 v160, v65, v66
	v_pk_add_f16 v65, v8, v16
	;; [unrolled: 3-line block ×5, first 2 shown]
	v_pk_add_f16 v12, v12, v18
	v_pk_min_f16 v164, v61, v62
	v_pk_add_f16 v61, v0, v16
	v_pk_add_f16 v16, v2, v16
	;; [unrolled: 1-line block ×9, first 2 shown]
	v_pk_max_f16 v18, v67, v67
	v_pk_max_f16 v109, v109, v109
	v_pk_min_f16 v2, v18, v2
	v_pk_add_f16 v18, v13, v29
	v_pk_min_f16 v123, v109, v110
	v_pk_min_f16 v112, v50, v18
	v_pk_add_f16 v18, v15, v29
	v_pk_max_f16 v101, v101, v101
	v_pk_min_f16 v111, v114, v18
	v_pk_add_f16 v18, v9, v29
	v_pk_min_f16 v130, v101, v102
	v_pk_min_f16 v110, v113, v18
	v_pk_add_f16 v18, v11, v29
	;; [unrolled: 6-line block ×7, first 2 shown]
	v_pk_max_f16 v58, v58, v58
	v_pk_min_f16 v99, v129, v18
	v_pk_add_f16 v18, v1, v31
	v_pk_max_f16 v52, v52, v52
	v_pk_min_f16 v98, v130, v18
	v_pk_add_f16 v18, v3, v31
	v_pk_min_f16 v16, v58, v16
	v_pk_min_f16 v97, v30, v18
	v_pk_add_f16 v18, v13, v25
	v_pk_max_f16 v58, v59, v59
	v_pk_min_f16 v96, v131, v18
	v_pk_add_f16 v18, v15, v25
	v_pk_max_f16 v56, v56, v56
	;; [unrolled: 3-line block ×3, first 2 shown]
	v_pk_min_f16 v94, v133, v18
	v_pk_add_f16 v18, v11, v25
	v_pk_min_f16 v6, v52, v6
	v_pk_min_f16 v93, v134, v18
	v_pk_add_f16 v18, v5, v25
	v_pk_max_f16 v52, v53, v53
	v_pk_min_f16 v92, v135, v18
	v_pk_add_f16 v18, v7, v25
	v_pk_min_f16 v12, v58, v12
	v_pk_min_f16 v91, v136, v18
	v_pk_add_f16 v18, v1, v25
	v_pk_max_f16 v57, v57, v57
	;; [unrolled: 6-line block ×3, first 2 shown]
	v_pk_min_f16 v88, v138, v18
	v_pk_add_f16 v18, v15, v27
	v_pk_min_f16 v4, v54, v4
	v_pk_min_f16 v87, v139, v18
	v_pk_add_f16 v18, v9, v27
	v_pk_min_f16 v0, v52, v0
	;; [unrolled: 3-line block ×4, first 2 shown]
	v_pk_min_f16 v84, v142, v18
	v_pk_add_f16 v18, v7, v27
	s_and_b64 vcc, exec, s[4:5]
	v_pk_min_f16 v83, v143, v18
	v_pk_add_f16 v18, v1, v27
	s_nop 0
	v_pk_min_f16 v82, v144, v18
	v_pk_add_f16 v18, v3, v27
	s_nop 0
	;; [unrolled: 3-line block ×18, first 2 shown]
	v_pk_min_f16 v65, v22, v18
	v_pk_add_f16 v18, v13, v17
	v_pk_add_f16 v13, v13, v19
	v_pk_min_f16 v64, v159, v18
	v_pk_add_f16 v18, v15, v17
	v_pk_min_f16 v56, v12, v13
	v_pk_min_f16 v63, v160, v18
	v_pk_add_f16 v18, v9, v17
	v_pk_add_f16 v9, v9, v19
	v_pk_min_f16 v62, v161, v18
	v_pk_add_f16 v18, v11, v17
	v_pk_add_f16 v12, v15, v19
	v_pk_min_f16 v61, v162, v18
	v_pk_add_f16 v18, v5, v17
	v_pk_add_f16 v5, v5, v19
	v_pk_min_f16 v60, v163, v18
	v_pk_add_f16 v18, v7, v17
	v_pk_min_f16 v54, v8, v9
	v_pk_min_f16 v59, v164, v18
	v_pk_add_f16 v18, v1, v17
	v_pk_add_f16 v1, v1, v19
	;; [unrolled: 1-line block ×4, first 2 shown]
	v_pk_min_f16 v52, v4, v5
	v_pk_add_f16 v4, v7, v19
	v_pk_min_f16 v30, v0, v1
	v_pk_add_f16 v0, v3, v19
	v_pk_min_f16 v58, v165, v18
	v_pk_min_f16 v57, v16, v17
	;; [unrolled: 1-line block ×6, first 2 shown]
	s_cbranch_vccz .LBB278_26
; %bb.41:                               ;   in Loop: Header=BB278_28 Depth=1
	v_mov_b32_e32 v28, 0
	v_mov_b32_e32 v29, 0
	s_branch .LBB278_27
.LBB278_42:
	s_load_dword s6, s[0:1], 0x50
	ds_read_b64 v[30:31], v44 offset:4608
	ds_read_b64 v[46:47], v45 offset:2048
	v_add_u32_e32 v115, s25, v43
	v_cmp_neq_f16_e64 s[4:5], s16, 0
	v_add_u32_e32 v28, s24, v42
	s_waitcnt lgkmcnt(0)
	v_mad_i64_i32 v[0:1], s[12:13], v115, s6, 0
	v_ashrrev_i32_e32 v29, 31, v28
	v_lshl_add_u64 v[48:49], v[0:1], 1, s[10:11]
	s_and_b64 vcc, exec, s[4:5]
	v_mov_b32_e32 v36, 0
	v_mov_b32_e32 v34, 0
	s_cbranch_vccz .LBB278_44
; %bb.43:
	v_lshl_add_u64 v[0:1], v[28:29], 1, v[48:49]
	flat_load_ushort v0, v[0:1]
	s_waitcnt vmcnt(0) lgkmcnt(0)
	v_mul_f16_e32 v34, s16, v0
.LBB278_44:
	v_add_u32_e32 v0, 0x1000, v44
	ds_read2_b64 v[8:11], v0 offset0:72 offset1:80
	ds_read2_b64 v[4:7], v0 offset0:88 offset1:96
	;; [unrolled: 1-line block ×3, first 2 shown]
	ds_read_b64 v[24:25], v44 offset:5056
	s_load_dword s7, s[0:1], 0x68
	s_load_dwordx2 s[12:13], s[0:1], 0x70
	v_add_u32_e32 v12, 0x800, v45
	ds_read2_b64 v[20:23], v12 offset0:32 offset1:64
	ds_read2_b64 v[16:19], v12 offset0:96 offset1:128
	;; [unrolled: 1-line block ×3, first 2 shown]
	ds_read_b64 v[26:27], v45 offset:3840
	v_pk_add_f16 v32, v30, v46
	v_pk_max_f16 v33, v50, v50
	s_waitcnt lgkmcnt(0)
	s_mul_i32 s0, s3, s13
	s_mul_hi_u32 s1, s3, s12
	s_add_i32 s0, s1, s0
	s_mul_i32 s1, s17, s12
	s_add_i32 s1, s0, s1
	s_mul_i32 s0, s3, s12
	s_lshl_b64 s[0:1], s[0:1], 1
	s_add_u32 s2, s14, s0
	v_pk_min_f16 v32, v33, v32
	v_pk_add_f16 v33, v31, v47
	s_addc_u32 s3, s15, s1
	v_pk_min_f16 v35, v32, v33
	v_mad_i64_i32 v[38:39], s[0:1], v115, s7, 0
	v_add_u32_e32 v32, 8, v28
	v_lshl_add_u64 v[50:51], v[38:39], 1, s[2:3]
	v_lshrrev_b32_e32 v37, 16, v35
	v_cndmask_b32_e64 v38, 0, 1, s[4:5]
	v_ashrrev_i32_e32 v33, 31, v32
	v_min3_f16 v37, v34, v35, v37
	v_lshl_add_u64 v[34:35], v[28:29], 1, v[50:51]
	v_cmp_ne_u32_e64 s[0:1], 1, v38
	s_andn2_b64 vcc, exec, s[4:5]
	global_store_short v[34:35], v37, off
	s_cbranch_vccnz .LBB278_46
; %bb.45:
	v_lshl_add_u64 v[34:35], v[32:33], 1, v[48:49]
	flat_load_ushort v34, v[34:35]
	s_waitcnt vmcnt(0) lgkmcnt(0)
	v_mul_f16_e32 v36, s16, v34
.LBB278_46:
	v_pk_add_f16 v34, v8, v46
	v_pk_max_f16 v35, v114, v114
	s_and_b64 vcc, exec, s[0:1]
	v_pk_min_f16 v34, v35, v34
	v_pk_add_f16 v35, v9, v47
	v_mov_b32_e32 v39, 0
	v_pk_min_f16 v37, v34, v35
	v_add_u32_e32 v34, 16, v28
	v_lshrrev_b32_e32 v38, 16, v37
	v_min3_f16 v38, v36, v37, v38
	v_lshl_add_u64 v[36:37], v[32:33], 1, v[50:51]
	v_ashrrev_i32_e32 v35, 31, v34
	global_store_short v[36:37], v38, off
	v_mov_b32_e32 v38, 0
	s_cbranch_vccnz .LBB278_48
; %bb.47:
	v_lshl_add_u64 v[36:37], v[34:35], 1, v[48:49]
	flat_load_ushort v36, v[36:37]
	s_waitcnt vmcnt(0) lgkmcnt(0)
	v_mul_f16_e32 v39, s16, v36
.LBB278_48:
	v_pk_add_f16 v36, v10, v46
	v_pk_max_f16 v37, v113, v113
	s_and_b64 vcc, exec, s[0:1]
	v_pk_min_f16 v36, v37, v36
	v_pk_add_f16 v37, v11, v47
	s_nop 0
	v_pk_min_f16 v40, v36, v37
	v_add_u32_e32 v36, 24, v28
	v_lshrrev_b32_e32 v41, 16, v40
	v_ashrrev_i32_e32 v37, 31, v36
	v_min3_f16 v39, v39, v40, v41
	v_lshl_add_u64 v[40:41], v[34:35], 1, v[50:51]
	global_store_short v[40:41], v39, off
	s_cbranch_vccnz .LBB278_50
; %bb.49:
	v_lshl_add_u64 v[38:39], v[36:37], 1, v[48:49]
	flat_load_ushort v38, v[38:39]
	s_waitcnt vmcnt(0) lgkmcnt(0)
	v_mul_f16_e32 v38, s16, v38
.LBB278_50:
	v_pk_add_f16 v39, v4, v46
	v_pk_max_f16 v40, v112, v112
	v_add_u32_e32 v44, 32, v28
	v_pk_min_f16 v39, v40, v39
	v_pk_add_f16 v40, v5, v47
	v_ashrrev_i32_e32 v45, 31, v44
	v_pk_min_f16 v39, v39, v40
	s_and_b64 vcc, exec, s[0:1]
	v_lshrrev_b32_e32 v40, 16, v39
	v_min3_f16 v40, v38, v39, v40
	v_lshl_add_u64 v[38:39], v[36:37], 1, v[50:51]
	global_store_short v[38:39], v40, off
	v_mov_b32_e32 v38, 0
	v_mov_b32_e32 v39, 0
	s_cbranch_vccnz .LBB278_52
; %bb.51:
	v_lshl_add_u64 v[40:41], v[44:45], 1, v[48:49]
	flat_load_ushort v39, v[40:41]
	s_waitcnt vmcnt(0) lgkmcnt(0)
	v_mul_f16_e32 v39, s16, v39
.LBB278_52:
	v_pk_add_f16 v40, v6, v46
	v_pk_max_f16 v41, v111, v111
	v_add_u32_e32 v42, 40, v28
	v_pk_min_f16 v40, v41, v40
	v_pk_add_f16 v41, v7, v47
	v_ashrrev_i32_e32 v43, 31, v42
	v_pk_min_f16 v40, v40, v41
	s_and_b64 vcc, exec, s[0:1]
	v_lshrrev_b32_e32 v41, 16, v40
	v_min3_f16 v39, v39, v40, v41
	v_lshl_add_u64 v[40:41], v[44:45], 1, v[50:51]
	global_store_short v[40:41], v39, off
	s_cbranch_vccnz .LBB278_54
; %bb.53:
	v_lshl_add_u64 v[38:39], v[42:43], 1, v[48:49]
	flat_load_ushort v38, v[38:39]
	s_waitcnt vmcnt(0) lgkmcnt(0)
	v_mul_f16_e32 v38, s16, v38
.LBB278_54:
	v_pk_add_f16 v39, v0, v46
	v_pk_max_f16 v40, v110, v110
	s_and_b64 vcc, exec, s[0:1]
	v_pk_min_f16 v39, v40, v39
	v_pk_add_f16 v40, v1, v47
	v_mov_b32_e32 v111, 0
	v_pk_min_f16 v39, v39, v40
	v_add_u32_e32 v40, 48, v28
	v_lshrrev_b32_e32 v110, 16, v39
	v_min3_f16 v110, v38, v39, v110
	v_lshl_add_u64 v[38:39], v[42:43], 1, v[50:51]
	v_ashrrev_i32_e32 v41, 31, v40
	global_store_short v[38:39], v110, off
	v_mov_b32_e32 v110, 0
	s_cbranch_vccnz .LBB278_56
; %bb.55:
	v_lshl_add_u64 v[38:39], v[40:41], 1, v[48:49]
	flat_load_ushort v38, v[38:39]
	s_waitcnt vmcnt(0) lgkmcnt(0)
	v_mul_f16_e32 v111, s16, v38
.LBB278_56:
	v_pk_add_f16 v38, v2, v46
	v_pk_max_f16 v39, v109, v109
	s_and_b64 vcc, exec, s[0:1]
	v_pk_min_f16 v38, v39, v38
	v_pk_add_f16 v39, v3, v47
	s_nop 0
	v_pk_min_f16 v109, v38, v39
	v_add_u32_e32 v38, 56, v28
	v_lshrrev_b32_e32 v112, 16, v109
	v_ashrrev_i32_e32 v39, 31, v38
	v_min3_f16 v109, v111, v109, v112
	v_lshl_add_u64 v[112:113], v[40:41], 1, v[50:51]
	global_store_short v[112:113], v109, off
	s_cbranch_vccnz .LBB278_58
; %bb.57:
	v_lshl_add_u64 v[48:49], v[38:39], 1, v[48:49]
	flat_load_ushort v48, v[48:49]
	s_waitcnt vmcnt(0) lgkmcnt(0)
	v_mul_f16_e32 v110, s16, v48
.LBB278_58:
	v_pk_add_f16 v46, v24, v46
	v_pk_max_f16 v48, v108, v108
	v_pk_add_f16 v47, v25, v47
	v_pk_min_f16 v46, v48, v46
	s_and_b64 vcc, exec, s[0:1]
	v_pk_min_f16 v46, v46, v47
	s_nop 0
	v_lshrrev_b32_e32 v47, 16, v46
	v_min3_f16 v48, v110, v46, v47
	v_lshl_add_u64 v[46:47], v[38:39], 1, v[50:51]
	global_store_short v[46:47], v48, off
	v_add_u32_e32 v48, 32, v115
	v_mad_i64_i32 v[46:47], s[4:5], v48, s6, 0
	v_lshl_add_u64 v[46:47], v[46:47], 1, s[10:11]
	v_mov_b32_e32 v50, 0
	v_mov_b32_e32 v51, 0
	s_cbranch_vccnz .LBB278_60
; %bb.59:
	v_lshl_add_u64 v[108:109], v[28:29], 1, v[46:47]
	flat_load_ushort v49, v[108:109]
	s_waitcnt vmcnt(0) lgkmcnt(0)
	v_mul_f16_e32 v51, s16, v49
.LBB278_60:
	v_pk_add_f16 v49, v30, v20
	v_pk_max_f16 v107, v107, v107
	s_and_b64 vcc, exec, s[0:1]
	v_pk_min_f16 v49, v107, v49
	v_pk_add_f16 v107, v31, v21
	s_nop 0
	v_pk_min_f16 v107, v49, v107
	v_mad_i64_i32 v[48:49], s[4:5], v48, s7, 0
	v_lshl_add_u64 v[48:49], v[48:49], 1, s[2:3]
	v_lshrrev_b32_e32 v108, 16, v107
	v_min3_f16 v51, v51, v107, v108
	v_lshl_add_u64 v[108:109], v[28:29], 1, v[48:49]
	global_store_short v[108:109], v51, off
	s_cbranch_vccnz .LBB278_62
; %bb.61:
	v_lshl_add_u64 v[50:51], v[32:33], 1, v[46:47]
	flat_load_ushort v50, v[50:51]
	s_waitcnt vmcnt(0) lgkmcnt(0)
	v_mul_f16_e32 v50, s16, v50
.LBB278_62:
	v_pk_add_f16 v51, v8, v20
	v_pk_max_f16 v106, v106, v106
	s_and_b64 vcc, exec, s[0:1]
	v_pk_min_f16 v51, v106, v51
	v_pk_add_f16 v106, v9, v21
	s_nop 0
	v_pk_min_f16 v51, v51, v106
	s_nop 0
	v_lshrrev_b32_e32 v106, 16, v51
	v_min3_f16 v106, v50, v51, v106
	v_lshl_add_u64 v[50:51], v[32:33], 1, v[48:49]
	global_store_short v[50:51], v106, off
	v_mov_b32_e32 v50, 0
	v_mov_b32_e32 v51, 0
	s_cbranch_vccnz .LBB278_64
; %bb.63:
	v_lshl_add_u64 v[106:107], v[34:35], 1, v[46:47]
	flat_load_ushort v51, v[106:107]
	s_waitcnt vmcnt(0) lgkmcnt(0)
	v_mul_f16_e32 v51, s16, v51
.LBB278_64:
	v_pk_add_f16 v106, v10, v20
	v_pk_max_f16 v105, v105, v105
	s_and_b64 vcc, exec, s[0:1]
	v_pk_min_f16 v105, v105, v106
	v_pk_add_f16 v106, v11, v21
	s_nop 0
	v_pk_min_f16 v105, v105, v106
	s_nop 0
	v_lshrrev_b32_e32 v106, 16, v105
	v_min3_f16 v51, v51, v105, v106
	v_lshl_add_u64 v[106:107], v[34:35], 1, v[48:49]
	global_store_short v[106:107], v51, off
	s_cbranch_vccnz .LBB278_66
; %bb.65:
	v_lshl_add_u64 v[50:51], v[36:37], 1, v[46:47]
	flat_load_ushort v50, v[50:51]
	s_waitcnt vmcnt(0) lgkmcnt(0)
	v_mul_f16_e32 v50, s16, v50
.LBB278_66:
	v_pk_add_f16 v51, v4, v20
	v_pk_max_f16 v104, v104, v104
	s_and_b64 vcc, exec, s[0:1]
	v_pk_min_f16 v51, v104, v51
	v_pk_add_f16 v104, v5, v21
	s_nop 0
	v_pk_min_f16 v51, v51, v104
	s_nop 0
	v_lshrrev_b32_e32 v104, 16, v51
	v_min3_f16 v104, v50, v51, v104
	v_lshl_add_u64 v[50:51], v[36:37], 1, v[48:49]
	global_store_short v[50:51], v104, off
	v_mov_b32_e32 v50, 0
	v_mov_b32_e32 v51, 0
	s_cbranch_vccnz .LBB278_68
; %bb.67:
	v_lshl_add_u64 v[104:105], v[44:45], 1, v[46:47]
	flat_load_ushort v51, v[104:105]
	s_waitcnt vmcnt(0) lgkmcnt(0)
	v_mul_f16_e32 v51, s16, v51
.LBB278_68:
	v_pk_add_f16 v104, v6, v20
	v_pk_max_f16 v103, v103, v103
	s_and_b64 vcc, exec, s[0:1]
	v_pk_min_f16 v103, v103, v104
	v_pk_add_f16 v104, v7, v21
	s_nop 0
	v_pk_min_f16 v103, v103, v104
	s_nop 0
	;; [unrolled: 40-line block ×3, first 2 shown]
	v_lshrrev_b32_e32 v102, 16, v101
	v_min3_f16 v51, v51, v101, v102
	v_lshl_add_u64 v[102:103], v[40:41], 1, v[48:49]
	global_store_short v[102:103], v51, off
	s_cbranch_vccnz .LBB278_74
; %bb.73:
	v_lshl_add_u64 v[46:47], v[38:39], 1, v[46:47]
	flat_load_ushort v46, v[46:47]
	s_waitcnt vmcnt(0) lgkmcnt(0)
	v_mul_f16_e32 v50, s16, v46
.LBB278_74:
	v_pk_add_f16 v20, v24, v20
	v_pk_max_f16 v46, v100, v100
	v_pk_add_f16 v21, v25, v21
	v_pk_min_f16 v20, v46, v20
	s_and_b64 vcc, exec, s[0:1]
	v_pk_min_f16 v20, v20, v21
	s_nop 0
	v_lshrrev_b32_e32 v21, 16, v20
	v_min3_f16 v46, v50, v20, v21
	v_lshl_add_u64 v[20:21], v[38:39], 1, v[48:49]
	global_store_short v[20:21], v46, off
	v_add_u32_e32 v46, 64, v115
	v_mad_i64_i32 v[20:21], s[4:5], v46, s6, 0
	v_lshl_add_u64 v[20:21], v[20:21], 1, s[10:11]
	v_mov_b32_e32 v48, 0
	v_mov_b32_e32 v49, 0
	s_cbranch_vccnz .LBB278_76
; %bb.75:
	v_lshl_add_u64 v[50:51], v[28:29], 1, v[20:21]
	flat_load_ushort v47, v[50:51]
	s_waitcnt vmcnt(0) lgkmcnt(0)
	v_mul_f16_e32 v49, s16, v47
.LBB278_76:
	v_pk_add_f16 v47, v30, v22
	v_pk_max_f16 v50, v99, v99
	s_and_b64 vcc, exec, s[0:1]
	v_pk_min_f16 v47, v50, v47
	v_pk_add_f16 v50, v31, v23
	s_nop 0
	v_pk_min_f16 v50, v47, v50
	v_mad_i64_i32 v[46:47], s[4:5], v46, s7, 0
	v_lshl_add_u64 v[46:47], v[46:47], 1, s[2:3]
	v_lshrrev_b32_e32 v51, 16, v50
	v_min3_f16 v49, v49, v50, v51
	v_lshl_add_u64 v[50:51], v[28:29], 1, v[46:47]
	global_store_short v[50:51], v49, off
	s_cbranch_vccnz .LBB278_78
; %bb.77:
	v_lshl_add_u64 v[48:49], v[32:33], 1, v[20:21]
	flat_load_ushort v48, v[48:49]
	s_waitcnt vmcnt(0) lgkmcnt(0)
	v_mul_f16_e32 v48, s16, v48
.LBB278_78:
	v_pk_add_f16 v49, v8, v22
	v_pk_max_f16 v50, v98, v98
	s_and_b64 vcc, exec, s[0:1]
	v_pk_min_f16 v49, v50, v49
	v_pk_add_f16 v50, v9, v23
	s_nop 0
	v_pk_min_f16 v49, v49, v50
	s_nop 0
	v_lshrrev_b32_e32 v50, 16, v49
	v_min3_f16 v50, v48, v49, v50
	v_lshl_add_u64 v[48:49], v[32:33], 1, v[46:47]
	global_store_short v[48:49], v50, off
	v_mov_b32_e32 v48, 0
	v_mov_b32_e32 v49, 0
	s_cbranch_vccnz .LBB278_80
; %bb.79:
	v_lshl_add_u64 v[50:51], v[34:35], 1, v[20:21]
	flat_load_ushort v49, v[50:51]
	s_waitcnt vmcnt(0) lgkmcnt(0)
	v_mul_f16_e32 v49, s16, v49
.LBB278_80:
	v_pk_add_f16 v50, v10, v22
	v_pk_max_f16 v51, v97, v97
	s_and_b64 vcc, exec, s[0:1]
	v_pk_min_f16 v50, v51, v50
	v_pk_add_f16 v51, v11, v23
	s_nop 0
	v_pk_min_f16 v50, v50, v51
	s_nop 0
	v_lshrrev_b32_e32 v51, 16, v50
	v_min3_f16 v49, v49, v50, v51
	v_lshl_add_u64 v[50:51], v[34:35], 1, v[46:47]
	global_store_short v[50:51], v49, off
	s_cbranch_vccnz .LBB278_82
; %bb.81:
	v_lshl_add_u64 v[48:49], v[36:37], 1, v[20:21]
	flat_load_ushort v48, v[48:49]
	s_waitcnt vmcnt(0) lgkmcnt(0)
	v_mul_f16_e32 v48, s16, v48
.LBB278_82:
	v_pk_add_f16 v49, v4, v22
	v_pk_max_f16 v50, v96, v96
	s_and_b64 vcc, exec, s[0:1]
	v_pk_min_f16 v49, v50, v49
	v_pk_add_f16 v50, v5, v23
	s_nop 0
	v_pk_min_f16 v49, v49, v50
	s_nop 0
	v_lshrrev_b32_e32 v50, 16, v49
	v_min3_f16 v50, v48, v49, v50
	v_lshl_add_u64 v[48:49], v[36:37], 1, v[46:47]
	global_store_short v[48:49], v50, off
	v_mov_b32_e32 v48, 0
	v_mov_b32_e32 v49, 0
	s_cbranch_vccnz .LBB278_84
; %bb.83:
	v_lshl_add_u64 v[50:51], v[44:45], 1, v[20:21]
	flat_load_ushort v49, v[50:51]
	s_waitcnt vmcnt(0) lgkmcnt(0)
	v_mul_f16_e32 v49, s16, v49
.LBB278_84:
	v_pk_add_f16 v50, v6, v22
	v_pk_max_f16 v51, v95, v95
	s_and_b64 vcc, exec, s[0:1]
	v_pk_min_f16 v50, v51, v50
	v_pk_add_f16 v51, v7, v23
	s_nop 0
	v_pk_min_f16 v50, v50, v51
	s_nop 0
	;; [unrolled: 40-line block ×3, first 2 shown]
	v_lshrrev_b32_e32 v51, 16, v50
	v_min3_f16 v49, v49, v50, v51
	v_lshl_add_u64 v[50:51], v[40:41], 1, v[46:47]
	global_store_short v[50:51], v49, off
	s_cbranch_vccnz .LBB278_90
; %bb.89:
	v_lshl_add_u64 v[20:21], v[38:39], 1, v[20:21]
	flat_load_ushort v20, v[20:21]
	s_waitcnt vmcnt(0) lgkmcnt(0)
	v_mul_f16_e32 v48, s16, v20
.LBB278_90:
	v_pk_add_f16 v20, v24, v22
	v_pk_max_f16 v21, v92, v92
	s_and_b64 vcc, exec, s[0:1]
	v_pk_min_f16 v20, v21, v20
	v_pk_add_f16 v21, v25, v23
	s_nop 0
	v_pk_min_f16 v20, v20, v21
	s_nop 0
	v_lshrrev_b32_e32 v21, 16, v20
	v_min3_f16 v22, v48, v20, v21
	v_lshl_add_u64 v[20:21], v[38:39], 1, v[46:47]
	global_store_short v[20:21], v22, off
	v_add_u32_e32 v22, 0x60, v115
	v_mad_i64_i32 v[20:21], s[4:5], v22, s6, 0
	v_lshl_add_u64 v[20:21], v[20:21], 1, s[10:11]
	v_mov_b32_e32 v46, 0
	v_mov_b32_e32 v47, 0
	s_cbranch_vccnz .LBB278_92
; %bb.91:
	v_lshl_add_u64 v[48:49], v[28:29], 1, v[20:21]
	flat_load_ushort v23, v[48:49]
	s_waitcnt vmcnt(0) lgkmcnt(0)
	v_mul_f16_e32 v47, s16, v23
.LBB278_92:
	v_pk_add_f16 v23, v30, v16
	v_pk_max_f16 v48, v91, v91
	s_and_b64 vcc, exec, s[0:1]
	v_pk_min_f16 v23, v48, v23
	v_pk_add_f16 v48, v31, v17
	s_nop 0
	v_pk_min_f16 v48, v23, v48
	v_mad_i64_i32 v[22:23], s[4:5], v22, s7, 0
	v_lshl_add_u64 v[22:23], v[22:23], 1, s[2:3]
	v_lshrrev_b32_e32 v49, 16, v48
	v_min3_f16 v47, v47, v48, v49
	v_lshl_add_u64 v[48:49], v[28:29], 1, v[22:23]
	global_store_short v[48:49], v47, off
	s_cbranch_vccnz .LBB278_94
; %bb.93:
	v_lshl_add_u64 v[46:47], v[32:33], 1, v[20:21]
	flat_load_ushort v46, v[46:47]
	s_waitcnt vmcnt(0) lgkmcnt(0)
	v_mul_f16_e32 v46, s16, v46
.LBB278_94:
	v_pk_add_f16 v47, v8, v16
	v_pk_max_f16 v48, v90, v90
	s_and_b64 vcc, exec, s[0:1]
	v_pk_min_f16 v47, v48, v47
	v_pk_add_f16 v48, v9, v17
	s_nop 0
	v_pk_min_f16 v47, v47, v48
	s_nop 0
	v_lshrrev_b32_e32 v48, 16, v47
	v_min3_f16 v48, v46, v47, v48
	v_lshl_add_u64 v[46:47], v[32:33], 1, v[22:23]
	global_store_short v[46:47], v48, off
	v_mov_b32_e32 v46, 0
	v_mov_b32_e32 v47, 0
	s_cbranch_vccnz .LBB278_96
; %bb.95:
	v_lshl_add_u64 v[48:49], v[34:35], 1, v[20:21]
	flat_load_ushort v47, v[48:49]
	s_waitcnt vmcnt(0) lgkmcnt(0)
	v_mul_f16_e32 v47, s16, v47
.LBB278_96:
	v_pk_add_f16 v48, v10, v16
	v_pk_max_f16 v49, v89, v89
	s_and_b64 vcc, exec, s[0:1]
	v_pk_min_f16 v48, v49, v48
	v_pk_add_f16 v49, v11, v17
	s_nop 0
	v_pk_min_f16 v48, v48, v49
	s_nop 0
	v_lshrrev_b32_e32 v49, 16, v48
	v_min3_f16 v47, v47, v48, v49
	v_lshl_add_u64 v[48:49], v[34:35], 1, v[22:23]
	global_store_short v[48:49], v47, off
	s_cbranch_vccnz .LBB278_98
; %bb.97:
	v_lshl_add_u64 v[46:47], v[36:37], 1, v[20:21]
	flat_load_ushort v46, v[46:47]
	s_waitcnt vmcnt(0) lgkmcnt(0)
	v_mul_f16_e32 v46, s16, v46
.LBB278_98:
	v_pk_add_f16 v47, v4, v16
	v_pk_max_f16 v48, v88, v88
	s_and_b64 vcc, exec, s[0:1]
	v_pk_min_f16 v47, v48, v47
	v_pk_add_f16 v48, v5, v17
	s_nop 0
	v_pk_min_f16 v47, v47, v48
	s_nop 0
	v_lshrrev_b32_e32 v48, 16, v47
	v_min3_f16 v48, v46, v47, v48
	v_lshl_add_u64 v[46:47], v[36:37], 1, v[22:23]
	global_store_short v[46:47], v48, off
	v_mov_b32_e32 v46, 0
	v_mov_b32_e32 v47, 0
	s_cbranch_vccnz .LBB278_100
; %bb.99:
	v_lshl_add_u64 v[48:49], v[44:45], 1, v[20:21]
	flat_load_ushort v47, v[48:49]
	s_waitcnt vmcnt(0) lgkmcnt(0)
	v_mul_f16_e32 v47, s16, v47
.LBB278_100:
	v_pk_add_f16 v48, v6, v16
	v_pk_max_f16 v49, v87, v87
	s_and_b64 vcc, exec, s[0:1]
	v_pk_min_f16 v48, v49, v48
	v_pk_add_f16 v49, v7, v17
	s_nop 0
	v_pk_min_f16 v48, v48, v49
	s_nop 0
	;; [unrolled: 40-line block ×3, first 2 shown]
	v_lshrrev_b32_e32 v49, 16, v48
	v_min3_f16 v47, v47, v48, v49
	v_lshl_add_u64 v[48:49], v[40:41], 1, v[22:23]
	global_store_short v[48:49], v47, off
	s_cbranch_vccnz .LBB278_106
; %bb.105:
	v_lshl_add_u64 v[20:21], v[38:39], 1, v[20:21]
	flat_load_ushort v20, v[20:21]
	s_waitcnt vmcnt(0) lgkmcnt(0)
	v_mul_f16_e32 v46, s16, v20
.LBB278_106:
	v_pk_add_f16 v16, v24, v16
	v_pk_max_f16 v20, v83, v83
	v_pk_add_f16 v17, v25, v17
	v_pk_min_f16 v16, v20, v16
	s_and_b64 vcc, exec, s[0:1]
	v_pk_min_f16 v16, v16, v17
	s_nop 0
	v_lshrrev_b32_e32 v17, 16, v16
	v_min3_f16 v20, v46, v16, v17
	v_lshl_add_u64 v[16:17], v[38:39], 1, v[22:23]
	global_store_short v[16:17], v20, off
	v_add_u32_e32 v20, 0x80, v115
	v_mad_i64_i32 v[16:17], s[4:5], v20, s6, 0
	v_lshl_add_u64 v[16:17], v[16:17], 1, s[10:11]
	v_mov_b32_e32 v22, 0
	v_mov_b32_e32 v23, 0
	s_cbranch_vccnz .LBB278_108
; %bb.107:
	v_lshl_add_u64 v[46:47], v[28:29], 1, v[16:17]
	flat_load_ushort v21, v[46:47]
	s_waitcnt vmcnt(0) lgkmcnt(0)
	v_mul_f16_e32 v23, s16, v21
.LBB278_108:
	v_pk_add_f16 v21, v30, v18
	v_pk_max_f16 v46, v84, v84
	s_and_b64 vcc, exec, s[0:1]
	v_pk_min_f16 v21, v46, v21
	v_pk_add_f16 v46, v31, v19
	s_nop 0
	v_pk_min_f16 v46, v21, v46
	v_mad_i64_i32 v[20:21], s[4:5], v20, s7, 0
	v_lshl_add_u64 v[20:21], v[20:21], 1, s[2:3]
	v_lshrrev_b32_e32 v47, 16, v46
	v_min3_f16 v23, v23, v46, v47
	v_lshl_add_u64 v[46:47], v[28:29], 1, v[20:21]
	global_store_short v[46:47], v23, off
	s_cbranch_vccnz .LBB278_110
; %bb.109:
	v_lshl_add_u64 v[22:23], v[32:33], 1, v[16:17]
	flat_load_ushort v22, v[22:23]
	s_waitcnt vmcnt(0) lgkmcnt(0)
	v_mul_f16_e32 v22, s16, v22
.LBB278_110:
	v_pk_add_f16 v23, v8, v18
	v_pk_max_f16 v46, v82, v82
	s_and_b64 vcc, exec, s[0:1]
	v_pk_min_f16 v23, v46, v23
	v_pk_add_f16 v46, v9, v19
	s_nop 0
	v_pk_min_f16 v23, v23, v46
	s_nop 0
	v_lshrrev_b32_e32 v46, 16, v23
	v_min3_f16 v46, v22, v23, v46
	v_lshl_add_u64 v[22:23], v[32:33], 1, v[20:21]
	global_store_short v[22:23], v46, off
	v_mov_b32_e32 v22, 0
	v_mov_b32_e32 v23, 0
	s_cbranch_vccnz .LBB278_112
; %bb.111:
	v_lshl_add_u64 v[46:47], v[34:35], 1, v[16:17]
	flat_load_ushort v23, v[46:47]
	s_waitcnt vmcnt(0) lgkmcnt(0)
	v_mul_f16_e32 v23, s16, v23
.LBB278_112:
	v_pk_add_f16 v46, v10, v18
	v_pk_max_f16 v47, v81, v81
	s_and_b64 vcc, exec, s[0:1]
	v_pk_min_f16 v46, v47, v46
	v_pk_add_f16 v47, v11, v19
	s_nop 0
	v_pk_min_f16 v46, v46, v47
	s_nop 0
	v_lshrrev_b32_e32 v47, 16, v46
	v_min3_f16 v23, v23, v46, v47
	v_lshl_add_u64 v[46:47], v[34:35], 1, v[20:21]
	global_store_short v[46:47], v23, off
	s_cbranch_vccnz .LBB278_114
; %bb.113:
	v_lshl_add_u64 v[22:23], v[36:37], 1, v[16:17]
	flat_load_ushort v22, v[22:23]
	s_waitcnt vmcnt(0) lgkmcnt(0)
	v_mul_f16_e32 v22, s16, v22
.LBB278_114:
	v_pk_add_f16 v23, v4, v18
	v_pk_max_f16 v46, v80, v80
	s_and_b64 vcc, exec, s[0:1]
	v_pk_min_f16 v23, v46, v23
	v_pk_add_f16 v46, v5, v19
	s_nop 0
	v_pk_min_f16 v23, v23, v46
	s_nop 0
	v_lshrrev_b32_e32 v46, 16, v23
	v_min3_f16 v46, v22, v23, v46
	v_lshl_add_u64 v[22:23], v[36:37], 1, v[20:21]
	global_store_short v[22:23], v46, off
	v_mov_b32_e32 v22, 0
	v_mov_b32_e32 v23, 0
	s_cbranch_vccnz .LBB278_116
; %bb.115:
	v_lshl_add_u64 v[46:47], v[44:45], 1, v[16:17]
	flat_load_ushort v23, v[46:47]
	s_waitcnt vmcnt(0) lgkmcnt(0)
	v_mul_f16_e32 v23, s16, v23
.LBB278_116:
	v_pk_add_f16 v46, v6, v18
	v_pk_max_f16 v47, v79, v79
	s_and_b64 vcc, exec, s[0:1]
	v_pk_min_f16 v46, v47, v46
	v_pk_add_f16 v47, v7, v19
	s_nop 0
	v_pk_min_f16 v46, v46, v47
	s_nop 0
	;; [unrolled: 40-line block ×3, first 2 shown]
	v_lshrrev_b32_e32 v47, 16, v46
	v_min3_f16 v23, v23, v46, v47
	v_lshl_add_u64 v[46:47], v[40:41], 1, v[20:21]
	global_store_short v[46:47], v23, off
	s_cbranch_vccnz .LBB278_122
; %bb.121:
	v_lshl_add_u64 v[16:17], v[38:39], 1, v[16:17]
	flat_load_ushort v16, v[16:17]
	s_waitcnt vmcnt(0) lgkmcnt(0)
	v_mul_f16_e32 v22, s16, v16
.LBB278_122:
	v_pk_add_f16 v16, v24, v18
	v_pk_max_f16 v17, v76, v76
	s_and_b64 vcc, exec, s[0:1]
	v_pk_min_f16 v16, v17, v16
	v_pk_add_f16 v17, v25, v19
	s_nop 0
	v_pk_min_f16 v16, v16, v17
	s_nop 0
	v_lshrrev_b32_e32 v17, 16, v16
	v_min3_f16 v18, v22, v16, v17
	v_lshl_add_u64 v[16:17], v[38:39], 1, v[20:21]
	global_store_short v[16:17], v18, off
	v_add_u32_e32 v18, 0xa0, v115
	v_mad_i64_i32 v[16:17], s[4:5], v18, s6, 0
	v_lshl_add_u64 v[16:17], v[16:17], 1, s[10:11]
	v_mov_b32_e32 v20, 0
	v_mov_b32_e32 v21, 0
	s_cbranch_vccnz .LBB278_124
; %bb.123:
	v_lshl_add_u64 v[22:23], v[28:29], 1, v[16:17]
	flat_load_ushort v19, v[22:23]
	s_waitcnt vmcnt(0) lgkmcnt(0)
	v_mul_f16_e32 v21, s16, v19
.LBB278_124:
	v_pk_add_f16 v19, v30, v12
	v_pk_max_f16 v22, v75, v75
	s_and_b64 vcc, exec, s[0:1]
	v_pk_min_f16 v19, v22, v19
	v_pk_add_f16 v22, v31, v13
	s_nop 0
	v_pk_min_f16 v22, v19, v22
	v_mad_i64_i32 v[18:19], s[4:5], v18, s7, 0
	v_lshl_add_u64 v[18:19], v[18:19], 1, s[2:3]
	v_lshrrev_b32_e32 v23, 16, v22
	v_min3_f16 v21, v21, v22, v23
	v_lshl_add_u64 v[22:23], v[28:29], 1, v[18:19]
	global_store_short v[22:23], v21, off
	s_cbranch_vccnz .LBB278_126
; %bb.125:
	v_lshl_add_u64 v[20:21], v[32:33], 1, v[16:17]
	flat_load_ushort v20, v[20:21]
	s_waitcnt vmcnt(0) lgkmcnt(0)
	v_mul_f16_e32 v20, s16, v20
.LBB278_126:
	v_pk_add_f16 v21, v8, v12
	v_pk_max_f16 v22, v74, v74
	s_and_b64 vcc, exec, s[0:1]
	v_pk_min_f16 v21, v22, v21
	v_pk_add_f16 v22, v9, v13
	s_nop 0
	v_pk_min_f16 v21, v21, v22
	s_nop 0
	v_lshrrev_b32_e32 v22, 16, v21
	v_min3_f16 v22, v20, v21, v22
	v_lshl_add_u64 v[20:21], v[32:33], 1, v[18:19]
	global_store_short v[20:21], v22, off
	v_mov_b32_e32 v20, 0
	v_mov_b32_e32 v21, 0
	s_cbranch_vccnz .LBB278_128
; %bb.127:
	v_lshl_add_u64 v[22:23], v[34:35], 1, v[16:17]
	flat_load_ushort v21, v[22:23]
	s_waitcnt vmcnt(0) lgkmcnt(0)
	v_mul_f16_e32 v21, s16, v21
.LBB278_128:
	v_pk_add_f16 v22, v10, v12
	v_pk_max_f16 v23, v73, v73
	s_and_b64 vcc, exec, s[0:1]
	v_pk_min_f16 v22, v23, v22
	v_pk_add_f16 v23, v11, v13
	s_nop 0
	v_pk_min_f16 v22, v22, v23
	s_nop 0
	v_lshrrev_b32_e32 v23, 16, v22
	v_min3_f16 v21, v21, v22, v23
	v_lshl_add_u64 v[22:23], v[34:35], 1, v[18:19]
	global_store_short v[22:23], v21, off
	s_cbranch_vccnz .LBB278_130
; %bb.129:
	v_lshl_add_u64 v[20:21], v[36:37], 1, v[16:17]
	flat_load_ushort v20, v[20:21]
	s_waitcnt vmcnt(0) lgkmcnt(0)
	v_mul_f16_e32 v20, s16, v20
.LBB278_130:
	v_pk_add_f16 v21, v4, v12
	v_pk_max_f16 v22, v72, v72
	s_and_b64 vcc, exec, s[0:1]
	v_pk_min_f16 v21, v22, v21
	v_pk_add_f16 v22, v5, v13
	s_nop 0
	v_pk_min_f16 v21, v21, v22
	s_nop 0
	v_lshrrev_b32_e32 v22, 16, v21
	v_min3_f16 v22, v20, v21, v22
	v_lshl_add_u64 v[20:21], v[36:37], 1, v[18:19]
	global_store_short v[20:21], v22, off
	v_mov_b32_e32 v20, 0
	v_mov_b32_e32 v21, 0
	s_cbranch_vccnz .LBB278_132
; %bb.131:
	v_lshl_add_u64 v[22:23], v[44:45], 1, v[16:17]
	flat_load_ushort v21, v[22:23]
	s_waitcnt vmcnt(0) lgkmcnt(0)
	v_mul_f16_e32 v21, s16, v21
.LBB278_132:
	v_pk_add_f16 v22, v6, v12
	v_pk_max_f16 v23, v71, v71
	s_and_b64 vcc, exec, s[0:1]
	v_pk_min_f16 v22, v23, v22
	v_pk_add_f16 v23, v7, v13
	s_nop 0
	v_pk_min_f16 v22, v22, v23
	s_nop 0
	;; [unrolled: 40-line block ×3, first 2 shown]
	v_lshrrev_b32_e32 v23, 16, v22
	v_min3_f16 v21, v21, v22, v23
	v_lshl_add_u64 v[22:23], v[40:41], 1, v[18:19]
	global_store_short v[22:23], v21, off
	s_cbranch_vccnz .LBB278_138
; %bb.137:
	v_lshl_add_u64 v[16:17], v[38:39], 1, v[16:17]
	flat_load_ushort v16, v[16:17]
	s_waitcnt vmcnt(0) lgkmcnt(0)
	v_mul_f16_e32 v20, s16, v16
.LBB278_138:
	v_pk_add_f16 v12, v24, v12
	v_pk_max_f16 v16, v68, v68
	v_pk_add_f16 v13, v25, v13
	v_pk_min_f16 v12, v16, v12
	s_and_b64 vcc, exec, s[0:1]
	v_pk_min_f16 v12, v12, v13
	s_nop 0
	v_lshrrev_b32_e32 v13, 16, v12
	v_min3_f16 v16, v20, v12, v13
	v_lshl_add_u64 v[12:13], v[38:39], 1, v[18:19]
	global_store_short v[12:13], v16, off
	v_add_u32_e32 v16, 0xc0, v115
	v_mad_i64_i32 v[12:13], s[4:5], v16, s6, 0
	v_lshl_add_u64 v[12:13], v[12:13], 1, s[10:11]
	v_mov_b32_e32 v18, 0
	v_mov_b32_e32 v19, 0
	s_cbranch_vccnz .LBB278_140
; %bb.139:
	v_lshl_add_u64 v[20:21], v[28:29], 1, v[12:13]
	flat_load_ushort v17, v[20:21]
	s_waitcnt vmcnt(0) lgkmcnt(0)
	v_mul_f16_e32 v19, s16, v17
.LBB278_140:
	v_pk_add_f16 v17, v30, v14
	v_pk_max_f16 v20, v66, v66
	s_and_b64 vcc, exec, s[0:1]
	v_pk_min_f16 v17, v20, v17
	v_pk_add_f16 v20, v31, v15
	s_nop 0
	v_pk_min_f16 v20, v17, v20
	v_mad_i64_i32 v[16:17], s[4:5], v16, s7, 0
	v_lshl_add_u64 v[16:17], v[16:17], 1, s[2:3]
	v_lshrrev_b32_e32 v21, 16, v20
	v_min3_f16 v19, v19, v20, v21
	v_lshl_add_u64 v[20:21], v[28:29], 1, v[16:17]
	global_store_short v[20:21], v19, off
	s_cbranch_vccnz .LBB278_142
; %bb.141:
	v_lshl_add_u64 v[18:19], v[32:33], 1, v[12:13]
	flat_load_ushort v18, v[18:19]
	s_waitcnt vmcnt(0) lgkmcnt(0)
	v_mul_f16_e32 v18, s16, v18
.LBB278_142:
	v_pk_add_f16 v19, v8, v14
	v_pk_max_f16 v20, v65, v65
	s_and_b64 vcc, exec, s[0:1]
	v_pk_min_f16 v19, v20, v19
	v_pk_add_f16 v20, v9, v15
	s_nop 0
	v_pk_min_f16 v19, v19, v20
	s_nop 0
	v_lshrrev_b32_e32 v20, 16, v19
	v_min3_f16 v20, v18, v19, v20
	v_lshl_add_u64 v[18:19], v[32:33], 1, v[16:17]
	global_store_short v[18:19], v20, off
	v_mov_b32_e32 v18, 0
	v_mov_b32_e32 v19, 0
	s_cbranch_vccnz .LBB278_144
; %bb.143:
	v_lshl_add_u64 v[20:21], v[34:35], 1, v[12:13]
	flat_load_ushort v19, v[20:21]
	s_waitcnt vmcnt(0) lgkmcnt(0)
	v_mul_f16_e32 v19, s16, v19
.LBB278_144:
	v_pk_add_f16 v20, v10, v14
	v_pk_max_f16 v21, v64, v64
	s_and_b64 vcc, exec, s[0:1]
	v_pk_min_f16 v20, v21, v20
	v_pk_add_f16 v21, v11, v15
	s_nop 0
	v_pk_min_f16 v20, v20, v21
	s_nop 0
	v_lshrrev_b32_e32 v21, 16, v20
	v_min3_f16 v19, v19, v20, v21
	v_lshl_add_u64 v[20:21], v[34:35], 1, v[16:17]
	global_store_short v[20:21], v19, off
	s_cbranch_vccnz .LBB278_146
; %bb.145:
	v_lshl_add_u64 v[18:19], v[36:37], 1, v[12:13]
	flat_load_ushort v18, v[18:19]
	s_waitcnt vmcnt(0) lgkmcnt(0)
	v_mul_f16_e32 v18, s16, v18
.LBB278_146:
	v_pk_add_f16 v19, v4, v14
	v_pk_max_f16 v20, v63, v63
	s_and_b64 vcc, exec, s[0:1]
	v_pk_min_f16 v19, v20, v19
	v_pk_add_f16 v20, v5, v15
	s_nop 0
	v_pk_min_f16 v19, v19, v20
	s_nop 0
	v_lshrrev_b32_e32 v20, 16, v19
	v_min3_f16 v20, v18, v19, v20
	v_lshl_add_u64 v[18:19], v[36:37], 1, v[16:17]
	global_store_short v[18:19], v20, off
	v_mov_b32_e32 v18, 0
	v_mov_b32_e32 v19, 0
	s_cbranch_vccnz .LBB278_148
; %bb.147:
	v_lshl_add_u64 v[20:21], v[44:45], 1, v[12:13]
	flat_load_ushort v19, v[20:21]
	s_waitcnt vmcnt(0) lgkmcnt(0)
	v_mul_f16_e32 v19, s16, v19
.LBB278_148:
	v_pk_add_f16 v20, v6, v14
	v_pk_max_f16 v21, v62, v62
	s_and_b64 vcc, exec, s[0:1]
	v_pk_min_f16 v20, v21, v20
	v_pk_add_f16 v21, v7, v15
	s_nop 0
	v_pk_min_f16 v20, v20, v21
	s_nop 0
	;; [unrolled: 40-line block ×3, first 2 shown]
	v_lshrrev_b32_e32 v21, 16, v20
	v_min3_f16 v19, v19, v20, v21
	v_lshl_add_u64 v[20:21], v[40:41], 1, v[16:17]
	global_store_short v[20:21], v19, off
	s_cbranch_vccnz .LBB278_154
; %bb.153:
	v_lshl_add_u64 v[12:13], v[38:39], 1, v[12:13]
	flat_load_ushort v12, v[12:13]
	s_waitcnt vmcnt(0) lgkmcnt(0)
	v_mul_f16_e32 v18, s16, v12
.LBB278_154:
	v_pk_add_f16 v12, v24, v14
	v_pk_max_f16 v13, v58, v58
	s_and_b64 vcc, exec, s[0:1]
	v_pk_min_f16 v12, v13, v12
	v_pk_add_f16 v13, v25, v15
	s_nop 0
	v_pk_min_f16 v12, v12, v13
	s_nop 0
	v_lshrrev_b32_e32 v13, 16, v12
	v_min3_f16 v14, v18, v12, v13
	v_lshl_add_u64 v[12:13], v[38:39], 1, v[16:17]
	global_store_short v[12:13], v14, off
	v_add_u32_e32 v14, 0xe0, v115
	v_mad_i64_i32 v[12:13], s[4:5], v14, s6, 0
	v_lshl_add_u64 v[12:13], v[12:13], 1, s[10:11]
	v_mov_b32_e32 v16, 0
	v_mov_b32_e32 v17, 0
	s_cbranch_vccnz .LBB278_156
; %bb.155:
	v_lshl_add_u64 v[18:19], v[28:29], 1, v[12:13]
	flat_load_ushort v15, v[18:19]
	s_waitcnt vmcnt(0) lgkmcnt(0)
	v_mul_f16_e32 v17, s16, v15
.LBB278_156:
	v_pk_add_f16 v15, v30, v26
	v_pk_max_f16 v18, v59, v59
	s_and_b64 vcc, exec, s[0:1]
	v_pk_min_f16 v15, v18, v15
	v_pk_add_f16 v18, v31, v27
	s_nop 0
	v_pk_min_f16 v18, v15, v18
	v_mad_i64_i32 v[14:15], s[4:5], v14, s7, 0
	v_lshl_add_u64 v[14:15], v[14:15], 1, s[2:3]
	v_lshrrev_b32_e32 v19, 16, v18
	v_min3_f16 v17, v17, v18, v19
	v_lshl_add_u64 v[18:19], v[28:29], 1, v[14:15]
	global_store_short v[18:19], v17, off
	s_cbranch_vccnz .LBB278_158
; %bb.157:
	v_lshl_add_u64 v[16:17], v[32:33], 1, v[12:13]
	flat_load_ushort v16, v[16:17]
	s_waitcnt vmcnt(0) lgkmcnt(0)
	v_mul_f16_e32 v16, s16, v16
.LBB278_158:
	v_pk_add_f16 v8, v8, v26
	v_pk_max_f16 v17, v57, v57
	v_pk_add_f16 v9, v9, v27
	v_pk_min_f16 v8, v17, v8
	s_and_b64 vcc, exec, s[0:1]
	v_pk_min_f16 v8, v8, v9
	s_nop 0
	v_lshrrev_b32_e32 v9, 16, v8
	v_min3_f16 v16, v16, v8, v9
	v_lshl_add_u64 v[8:9], v[32:33], 1, v[14:15]
	global_store_short v[8:9], v16, off
	v_mov_b32_e32 v8, 0
	v_mov_b32_e32 v9, 0
	s_cbranch_vccnz .LBB278_160
; %bb.159:
	v_lshl_add_u64 v[16:17], v[34:35], 1, v[12:13]
	flat_load_ushort v9, v[16:17]
	s_waitcnt vmcnt(0) lgkmcnt(0)
	v_mul_f16_e32 v9, s16, v9
.LBB278_160:
	v_pk_add_f16 v10, v10, v26
	v_pk_max_f16 v16, v56, v56
	v_pk_add_f16 v11, v11, v27
	v_pk_min_f16 v10, v16, v10
	s_and_b64 vcc, exec, s[0:1]
	v_pk_min_f16 v10, v10, v11
	s_nop 0
	v_lshrrev_b32_e32 v11, 16, v10
	v_min3_f16 v9, v9, v10, v11
	v_lshl_add_u64 v[10:11], v[34:35], 1, v[14:15]
	global_store_short v[10:11], v9, off
	s_cbranch_vccnz .LBB278_162
; %bb.161:
	v_lshl_add_u64 v[8:9], v[36:37], 1, v[12:13]
	flat_load_ushort v8, v[8:9]
	s_waitcnt vmcnt(0) lgkmcnt(0)
	v_mul_f16_e32 v8, s16, v8
.LBB278_162:
	v_pk_add_f16 v4, v4, v26
	v_pk_max_f16 v9, v55, v55
	v_pk_add_f16 v5, v5, v27
	v_pk_min_f16 v4, v9, v4
	s_and_b64 vcc, exec, s[0:1]
	v_pk_min_f16 v4, v4, v5
	s_nop 0
	v_lshrrev_b32_e32 v5, 16, v4
	v_min3_f16 v8, v8, v4, v5
	v_lshl_add_u64 v[4:5], v[36:37], 1, v[14:15]
	global_store_short v[4:5], v8, off
	v_mov_b32_e32 v4, 0
	v_mov_b32_e32 v5, 0
	s_cbranch_vccnz .LBB278_164
; %bb.163:
	v_lshl_add_u64 v[8:9], v[44:45], 1, v[12:13]
	flat_load_ushort v5, v[8:9]
	s_waitcnt vmcnt(0) lgkmcnt(0)
	v_mul_f16_e32 v5, s16, v5
.LBB278_164:
	v_pk_add_f16 v6, v6, v26
	v_pk_max_f16 v8, v54, v54
	v_pk_add_f16 v7, v7, v27
	v_pk_min_f16 v6, v8, v6
	s_and_b64 vcc, exec, s[0:1]
	v_pk_min_f16 v6, v6, v7
	s_nop 0
	v_lshrrev_b32_e32 v7, 16, v6
	v_min3_f16 v5, v5, v6, v7
	v_lshl_add_u64 v[6:7], v[44:45], 1, v[14:15]
	global_store_short v[6:7], v5, off
	s_cbranch_vccnz .LBB278_166
; %bb.165:
	v_lshl_add_u64 v[4:5], v[42:43], 1, v[12:13]
	flat_load_ushort v4, v[4:5]
	s_waitcnt vmcnt(0) lgkmcnt(0)
	v_mul_f16_e32 v4, s16, v4
.LBB278_166:
	v_pk_add_f16 v0, v0, v26
	v_pk_max_f16 v5, v52, v52
	v_pk_add_f16 v2, v2, v26
	v_pk_min_f16 v0, v5, v0
	v_pk_max_f16 v5, v53, v53
	v_pk_add_f16 v1, v1, v27
	v_pk_min_f16 v2, v5, v2
	v_pk_min_f16 v0, v0, v1
	v_pk_add_f16 v1, v3, v27
	s_mov_b64 vcc, s[8:9]
	v_pk_min_f16 v2, v2, v1
	v_lshrrev_b32_e32 v1, 16, v0
	v_min3_f16 v3, v4, v0, v1
	v_lshl_add_u64 v[0:1], v[42:43], 1, v[14:15]
	global_store_short v[0:1], v3, off
	v_min_f16_sdwa v0, v2, v2 dst_sel:DWORD dst_unused:UNUSED_PAD src0_sel:DWORD src1_sel:WORD_1
	v_max_f16_e32 v0, v0, v0
	s_cbranch_vccz .LBB278_169
; %bb.167:
	v_min_f16_e32 v1, 0, v0
	v_lshl_add_u64 v[2:3], v[40:41], 1, v[14:15]
	s_mov_b32 s2, 0
	global_store_short v[2:3], v1, off
	s_cbranch_execz .LBB278_170
; %bb.168:
	v_mov_b32_e32 v0, s2
	s_branch .LBB278_171
.LBB278_169:
                                        ; implicit-def: $sgpr2
.LBB278_170:
	v_lshlrev_b64 v[2:3], 1, v[40:41]
	v_lshl_add_u64 v[4:5], v[12:13], 0, v[2:3]
	flat_load_ushort v1, v[4:5]
	v_lshl_add_u64 v[2:3], v[14:15], 0, v[2:3]
	s_waitcnt vmcnt(0) lgkmcnt(0)
	v_mul_f16_e32 v1, s16, v1
	v_min_f16_e32 v0, v1, v0
	global_store_short v[2:3], v0, off
	v_lshl_add_u64 v[0:1], v[38:39], 1, v[12:13]
	flat_load_ushort v0, v[0:1]
	s_waitcnt vmcnt(0) lgkmcnt(0)
	v_mul_f16_e32 v0, s16, v0
.LBB278_171:
	v_pk_add_f16 v1, v24, v26
	v_pk_max_f16 v2, v67, v67
	s_nop 0
	v_pk_min_f16 v1, v2, v1
	v_pk_add_f16 v2, v25, v27
	s_nop 0
	v_pk_min_f16 v1, v1, v2
	s_nop 0
	v_lshrrev_b32_e32 v2, 16, v1
	v_min3_f16 v2, v0, v1, v2
	v_lshl_add_u64 v[0:1], v[38:39], 1, v[14:15]
	global_store_short v[0:1], v2, off
	s_endpgm
	.section	.rodata,"a",@progbits
	.p2align	6, 0x0
	.amdhsa_kernel _ZN12_GLOBAL__N_120geam_min_plus_kernelIDF16_Dv2_DF16_S1_Li8ELi32ELi64ELi256ELi4ELi4ELi64ELi64ELi4ELc84ELc84ELb0ELb0ELb1EDF16_KDF16_DF16_EEviiiT16_PT17_ilS5_ilS3_S5_ilPT18_ili26rocblas_geam_ex_operation_
		.amdhsa_group_segment_fixed_size 5120
		.amdhsa_private_segment_fixed_size 0
		.amdhsa_kernarg_size 128
		.amdhsa_user_sgpr_count 2
		.amdhsa_user_sgpr_dispatch_ptr 0
		.amdhsa_user_sgpr_queue_ptr 0
		.amdhsa_user_sgpr_kernarg_segment_ptr 1
		.amdhsa_user_sgpr_dispatch_id 0
		.amdhsa_user_sgpr_kernarg_preload_length 0
		.amdhsa_user_sgpr_kernarg_preload_offset 0
		.amdhsa_user_sgpr_private_segment_size 0
		.amdhsa_uses_dynamic_stack 0
		.amdhsa_enable_private_segment 0
		.amdhsa_system_sgpr_workgroup_id_x 1
		.amdhsa_system_sgpr_workgroup_id_y 0
		.amdhsa_system_sgpr_workgroup_id_z 1
		.amdhsa_system_sgpr_workgroup_info 0
		.amdhsa_system_vgpr_workitem_id 1
		.amdhsa_next_free_vgpr 166
		.amdhsa_next_free_sgpr 30
		.amdhsa_accum_offset 168
		.amdhsa_reserve_vcc 1
		.amdhsa_float_round_mode_32 0
		.amdhsa_float_round_mode_16_64 0
		.amdhsa_float_denorm_mode_32 3
		.amdhsa_float_denorm_mode_16_64 3
		.amdhsa_dx10_clamp 1
		.amdhsa_ieee_mode 1
		.amdhsa_fp16_overflow 0
		.amdhsa_tg_split 0
		.amdhsa_exception_fp_ieee_invalid_op 0
		.amdhsa_exception_fp_denorm_src 0
		.amdhsa_exception_fp_ieee_div_zero 0
		.amdhsa_exception_fp_ieee_overflow 0
		.amdhsa_exception_fp_ieee_underflow 0
		.amdhsa_exception_fp_ieee_inexact 0
		.amdhsa_exception_int_div_zero 0
	.end_amdhsa_kernel
	.section	.text._ZN12_GLOBAL__N_120geam_min_plus_kernelIDF16_Dv2_DF16_S1_Li8ELi32ELi64ELi256ELi4ELi4ELi64ELi64ELi4ELc84ELc84ELb0ELb0ELb1EDF16_KDF16_DF16_EEviiiT16_PT17_ilS5_ilS3_S5_ilPT18_ili26rocblas_geam_ex_operation_,"axG",@progbits,_ZN12_GLOBAL__N_120geam_min_plus_kernelIDF16_Dv2_DF16_S1_Li8ELi32ELi64ELi256ELi4ELi4ELi64ELi64ELi4ELc84ELc84ELb0ELb0ELb1EDF16_KDF16_DF16_EEviiiT16_PT17_ilS5_ilS3_S5_ilPT18_ili26rocblas_geam_ex_operation_,comdat
.Lfunc_end278:
	.size	_ZN12_GLOBAL__N_120geam_min_plus_kernelIDF16_Dv2_DF16_S1_Li8ELi32ELi64ELi256ELi4ELi4ELi64ELi64ELi4ELc84ELc84ELb0ELb0ELb1EDF16_KDF16_DF16_EEviiiT16_PT17_ilS5_ilS3_S5_ilPT18_ili26rocblas_geam_ex_operation_, .Lfunc_end278-_ZN12_GLOBAL__N_120geam_min_plus_kernelIDF16_Dv2_DF16_S1_Li8ELi32ELi64ELi256ELi4ELi4ELi64ELi64ELi4ELc84ELc84ELb0ELb0ELb1EDF16_KDF16_DF16_EEviiiT16_PT17_ilS5_ilS3_S5_ilPT18_ili26rocblas_geam_ex_operation_
                                        ; -- End function
	.section	.AMDGPU.csdata,"",@progbits
; Kernel info:
; codeLenInByte = 17140
; NumSgprs: 36
; NumVgprs: 166
; NumAgprs: 0
; TotalNumVgprs: 166
; ScratchSize: 0
; MemoryBound: 0
; FloatMode: 240
; IeeeMode: 1
; LDSByteSize: 5120 bytes/workgroup (compile time only)
; SGPRBlocks: 4
; VGPRBlocks: 20
; NumSGPRsForWavesPerEU: 36
; NumVGPRsForWavesPerEU: 166
; AccumOffset: 168
; Occupancy: 3
; WaveLimiterHint : 1
; COMPUTE_PGM_RSRC2:SCRATCH_EN: 0
; COMPUTE_PGM_RSRC2:USER_SGPR: 2
; COMPUTE_PGM_RSRC2:TRAP_HANDLER: 0
; COMPUTE_PGM_RSRC2:TGID_X_EN: 1
; COMPUTE_PGM_RSRC2:TGID_Y_EN: 0
; COMPUTE_PGM_RSRC2:TGID_Z_EN: 1
; COMPUTE_PGM_RSRC2:TIDIG_COMP_CNT: 1
; COMPUTE_PGM_RSRC3_GFX90A:ACCUM_OFFSET: 41
; COMPUTE_PGM_RSRC3_GFX90A:TG_SPLIT: 0
	.section	.text._ZN12_GLOBAL__N_120geam_min_plus_kernelIDF16_Dv2_DF16_S1_Li8ELi32ELi64ELi256ELi4ELi4ELi64ELi64ELi4ELc84ELc84ELb0ELb1ELb1EPKDF16_S2_DF16_EEviiiT16_PT17_ilS6_ilS4_S6_ilPT18_ili26rocblas_geam_ex_operation_,"axG",@progbits,_ZN12_GLOBAL__N_120geam_min_plus_kernelIDF16_Dv2_DF16_S1_Li8ELi32ELi64ELi256ELi4ELi4ELi64ELi64ELi4ELc84ELc84ELb0ELb1ELb1EPKDF16_S2_DF16_EEviiiT16_PT17_ilS6_ilS4_S6_ilPT18_ili26rocblas_geam_ex_operation_,comdat
	.globl	_ZN12_GLOBAL__N_120geam_min_plus_kernelIDF16_Dv2_DF16_S1_Li8ELi32ELi64ELi256ELi4ELi4ELi64ELi64ELi4ELc84ELc84ELb0ELb1ELb1EPKDF16_S2_DF16_EEviiiT16_PT17_ilS6_ilS4_S6_ilPT18_ili26rocblas_geam_ex_operation_ ; -- Begin function _ZN12_GLOBAL__N_120geam_min_plus_kernelIDF16_Dv2_DF16_S1_Li8ELi32ELi64ELi256ELi4ELi4ELi64ELi64ELi4ELc84ELc84ELb0ELb1ELb1EPKDF16_S2_DF16_EEviiiT16_PT17_ilS6_ilS4_S6_ilPT18_ili26rocblas_geam_ex_operation_
	.p2align	8
	.type	_ZN12_GLOBAL__N_120geam_min_plus_kernelIDF16_Dv2_DF16_S1_Li8ELi32ELi64ELi256ELi4ELi4ELi64ELi64ELi4ELc84ELc84ELb0ELb1ELb1EPKDF16_S2_DF16_EEviiiT16_PT17_ilS6_ilS4_S6_ilPT18_ili26rocblas_geam_ex_operation_,@function
_ZN12_GLOBAL__N_120geam_min_plus_kernelIDF16_Dv2_DF16_S1_Li8ELi32ELi64ELi256ELi4ELi4ELi64ELi64ELi4ELc84ELc84ELb0ELb1ELb1EPKDF16_S2_DF16_EEviiiT16_PT17_ilS6_ilS4_S6_ilPT18_ili26rocblas_geam_ex_operation_: ; @_ZN12_GLOBAL__N_120geam_min_plus_kernelIDF16_Dv2_DF16_S1_Li8ELi32ELi64ELi256ELi4ELi4ELi64ELi64ELi4ELc84ELc84ELb0ELb1ELb1EPKDF16_S2_DF16_EEviiiT16_PT17_ilS6_ilS4_S6_ilPT18_ili26rocblas_geam_ex_operation_
; %bb.0:
	s_load_dwordx4 s[16:19], s[0:1], 0x10
	s_load_dwordx4 s[8:11], s[0:1], 0x28
	;; [unrolled: 1-line block ×3, first 2 shown]
	s_load_dwordx2 s[20:21], s[0:1], 0x50
	s_mov_b32 s28, s3
	s_mov_b32 s29, 0
	s_lshl_b64 s[4:5], s[28:29], 1
	s_waitcnt lgkmcnt(0)
	s_add_u32 s6, s16, s4
	s_addc_u32 s7, s17, s5
	v_mov_b32_e32 v1, 0
	global_load_ushort v46, v1, s[6:7]
	s_add_u32 s4, s14, s4
	s_addc_u32 s5, s15, s5
	global_load_ushort v52, v1, s[4:5]
	s_mov_b64 s[30:31], 0
	s_mov_b64 s[34:35], 0
	s_waitcnt vmcnt(1)
	v_cmp_eq_f16_e64 s[4:5], 0, v46
	v_cmp_neq_f16_e64 s[6:7], 0, v46
	s_and_b64 vcc, exec, s[4:5]
	s_cbranch_vccnz .LBB279_2
; %bb.1:
	s_mul_i32 s3, s28, s9
	s_mul_hi_u32 s9, s28, s8
	s_add_i32 s9, s9, s3
	s_mul_i32 s8, s28, s8
	s_lshl_b64 s[8:9], s[8:9], 1
	s_add_u32 s34, s18, s8
	s_addc_u32 s35, s19, s9
.LBB279_2:
	s_andn2_b64 vcc, exec, s[6:7]
	s_cbranch_vccnz .LBB279_4
; %bb.3:
	s_mul_i32 s3, s28, s13
	s_mul_hi_u32 s6, s28, s12
	s_add_i32 s7, s6, s3
	s_mul_i32 s6, s28, s12
	s_lshl_b64 s[6:7], s[6:7], 1
	s_add_u32 s30, s10, s6
	s_addc_u32 s31, s11, s7
.LBB279_4:
	s_load_dwordx4 s[24:27], s[0:1], 0x60
	s_waitcnt vmcnt(0)
	v_cmp_eq_f16_e32 vcc, 0, v52
	v_cmp_neq_f16_e64 s[16:17], 0, v52
	s_cbranch_vccnz .LBB279_6
; %bb.5:
	s_waitcnt lgkmcnt(0)
	s_mul_i32 s3, s28, s25
	s_mul_hi_u32 s6, s28, s24
	s_add_i32 s7, s6, s3
	s_mul_i32 s6, s28, s24
	s_lshl_b64 s[6:7], s[6:7], 1
	s_add_u32 s24, s20, s6
	s_addc_u32 s25, s21, s7
	s_branch .LBB279_7
.LBB279_6:
	s_waitcnt lgkmcnt(0)
	s_mov_b64 s[24:25], 0
.LBB279_7:
	s_load_dwordx4 s[20:23], s[0:1], 0x0
	s_load_dword s36, s[0:1], 0x20
	v_and_b32_e32 v44, 0x3ff, v0
	v_bfe_u32 v45, v0, 10, 10
	v_lshl_add_u32 v0, v45, 3, v44
	s_waitcnt lgkmcnt(0)
	s_add_i32 s3, s20, -1
	s_ashr_i32 s6, s3, 31
	s_lshr_b32 s6, s6, 26
	s_add_i32 s6, s3, s6
	s_ashr_i32 s8, s6, 6
	s_add_i32 s9, s8, 1
	v_cvt_f32_u32_e32 v1, s9
	s_not_b32 s8, s8
	v_lshrrev_b32_e32 v2, 2, v0
	v_and_b32_e32 v47, 3, v44
	v_rcp_iflag_f32_e32 v1, v1
	v_cmp_le_i32_e64 s[6:7], s22, v47
	v_mov_b32_e32 v5, 0x7c00
	v_lshlrev_b32_e32 v40, 1, v47
	v_mul_f32_e32 v1, 0x4f7ffffe, v1
	v_cvt_u32_f32_e32 v1, v1
	s_nop 0
	v_readfirstlane_b32 s10, v1
	s_mul_i32 s8, s8, s10
	s_mul_hi_u32 s8, s10, s8
	s_add_i32 s10, s10, s8
	s_mul_hi_u32 s8, s2, s10
	s_mul_i32 s10, s8, s9
	s_sub_i32 s10, s2, s10
	s_add_i32 s11, s8, 1
	s_sub_i32 s12, s10, s9
	s_cmp_ge_u32 s10, s9
	s_cselect_b32 s8, s11, s8
	s_cselect_b32 s10, s12, s10
	s_add_i32 s11, s8, 1
	s_cmp_ge_u32 s10, s9
	s_cselect_b32 s8, s11, s8
	s_mul_i32 s9, s8, s9
	s_sub_i32 s2, s2, s9
	s_lshl_b32 s18, s2, 6
	v_add_u32_e32 v1, s18, v2
	v_cmp_le_i32_e32 vcc, s20, v1
	v_min_i32_e32 v42, s3, v1
	s_or_b64 s[2:3], s[6:7], vcc
	v_cndmask_b32_e64 v3, 0, v5, s[2:3]
	s_or_b64 s[2:3], s[4:5], s[2:3]
	s_xor_b64 s[6:7], s[2:3], -1
	s_and_saveexec_b64 s[2:3], s[6:7]
	s_cbranch_execz .LBB279_9
; %bb.8:
	v_mad_i64_i32 v[6:7], s[6:7], v42, s36, 0
	v_lshl_add_u64 v[6:7], v[6:7], 1, s[34:35]
	v_mov_b32_e32 v41, 0
	v_lshl_add_u64 v[6:7], v[6:7], 0, v[40:41]
	flat_load_ushort v1, v[6:7]
	s_waitcnt vmcnt(0) lgkmcnt(0)
	v_mul_f16_e32 v3, v46, v1
.LBB279_9:
	s_or_b64 exec, exec, s[2:3]
	s_load_dword s23, s[0:1], 0x38
	v_and_b32_e32 v4, 63, v0
	v_lshrrev_b32_e32 v48, 6, v0
	s_lshl_b32 s19, s8, 8
	s_add_i32 s29, s22, -1
	v_or_b32_e32 v32, s19, v4
	v_min_i32_e32 v0, s29, v48
	v_cmp_le_i32_e64 s[14:15], s22, v48
	s_waitcnt lgkmcnt(0)
	v_mad_i64_i32 v[0:1], s[2:3], s23, v0, 0
	v_cmp_le_i32_e64 s[6:7], s21, v32
	s_or_b64 s[2:3], s[6:7], s[14:15]
	v_cndmask_b32_e64 v5, 0, v5, s[2:3]
	s_or_b64 s[2:3], s[4:5], s[2:3]
	v_lshl_add_u64 v[0:1], v[0:1], 1, s[30:31]
	s_xor_b64 s[8:9], s[2:3], -1
	v_ashrrev_i32_e32 v33, 31, v32
	s_and_saveexec_b64 s[2:3], s[8:9]
	s_cbranch_execz .LBB279_11
; %bb.10:
	v_lshl_add_u64 v[6:7], v[32:33], 1, v[0:1]
	flat_load_ushort v5, v[6:7]
	s_waitcnt vmcnt(0) lgkmcnt(0)
	v_mul_f16_e32 v5, v46, v5
.LBB279_11:
	s_or_b64 exec, exec, s[2:3]
	v_or_b32_e32 v6, 64, v32
	v_cmp_le_i32_e64 s[8:9], s21, v6
	s_add_i32 s33, s21, -1
	v_mov_b32_e32 v7, 0x7c00
	s_or_b64 s[2:3], s[8:9], s[14:15]
	v_min_i32_e32 v34, s33, v6
	v_cndmask_b32_e64 v6, 0, v7, s[2:3]
	s_or_b64 s[2:3], s[4:5], s[2:3]
	s_xor_b64 s[10:11], s[2:3], -1
	v_ashrrev_i32_e32 v35, 31, v34
	s_and_saveexec_b64 s[2:3], s[10:11]
	s_cbranch_execz .LBB279_13
; %bb.12:
	v_lshl_add_u64 v[8:9], v[34:35], 1, v[0:1]
	flat_load_ushort v6, v[8:9]
	s_waitcnt vmcnt(0) lgkmcnt(0)
	v_mul_f16_e32 v6, v46, v6
.LBB279_13:
	s_or_b64 exec, exec, s[2:3]
	v_or_b32_e32 v8, 0x80, v32
	v_cmp_le_i32_e64 s[10:11], s21, v8
	s_or_b64 s[2:3], s[10:11], s[14:15]
	v_min_i32_e32 v36, s33, v8
	v_cndmask_b32_e64 v7, 0, v7, s[2:3]
	s_or_b64 s[2:3], s[4:5], s[2:3]
	s_xor_b64 s[12:13], s[2:3], -1
	v_ashrrev_i32_e32 v37, 31, v36
	s_and_saveexec_b64 s[2:3], s[12:13]
	s_cbranch_execz .LBB279_15
; %bb.14:
	v_lshl_add_u64 v[8:9], v[36:37], 1, v[0:1]
	flat_load_ushort v7, v[8:9]
	s_waitcnt vmcnt(0) lgkmcnt(0)
	v_mul_f16_e32 v7, v46, v7
.LBB279_15:
	s_or_b64 exec, exec, s[2:3]
	v_or_b32_e32 v8, 0xc0, v32
	v_cmp_le_i32_e64 s[12:13], s21, v8
	v_mov_b32_e32 v9, 0x7c00
	s_or_b64 s[2:3], s[12:13], s[14:15]
	v_min_i32_e32 v38, s33, v8
	v_cndmask_b32_e64 v8, 0, v9, s[2:3]
	s_or_b64 s[2:3], s[4:5], s[2:3]
	s_xor_b64 s[14:15], s[2:3], -1
	v_ashrrev_i32_e32 v39, 31, v38
	s_and_saveexec_b64 s[2:3], s[14:15]
	s_cbranch_execz .LBB279_17
; %bb.16:
	v_lshl_add_u64 v[0:1], v[38:39], 1, v[0:1]
	flat_load_ushort v0, v[0:1]
	s_waitcnt vmcnt(0) lgkmcnt(0)
	v_mul_f16_e32 v8, v46, v0
.LBB279_17:
	s_or_b64 exec, exec, s[2:3]
	v_or_b32_e32 v0, 4, v47
	v_cmp_le_i32_e64 s[2:3], s22, v0
	s_or_b64 s[2:3], s[2:3], vcc
	s_nop 0
	v_cndmask_b32_e64 v41, 0, v9, s[2:3]
	s_or_b64 s[2:3], s[4:5], s[2:3]
	s_xor_b64 s[14:15], s[2:3], -1
	s_and_saveexec_b64 s[2:3], s[14:15]
	s_cbranch_execz .LBB279_19
; %bb.18:
	v_mad_i64_i32 v[0:1], s[14:15], v42, s36, 0
	v_lshl_add_u64 v[0:1], v[0:1], 1, s[34:35]
	v_mov_b32_e32 v41, 0
	v_lshl_add_u64 v[0:1], v[0:1], 0, v[40:41]
	flat_load_ushort v0, v[0:1] offset:8
	s_waitcnt vmcnt(0) lgkmcnt(0)
	v_mul_f16_e32 v41, v46, v0
.LBB279_19:
	s_or_b64 exec, exec, s[2:3]
	v_add_u32_e32 v0, 4, v48
	v_cmp_le_i32_e64 s[14:15], s22, v0
	v_min_i32_e32 v0, s29, v0
	v_mad_i64_i32 v[0:1], s[2:3], s23, v0, 0
	v_mov_b32_e32 v9, 0x7c00
	s_or_b64 s[2:3], s[6:7], s[14:15]
	v_cndmask_b32_e64 v43, 0, v9, s[2:3]
	s_or_b64 s[2:3], s[4:5], s[2:3]
	v_lshl_add_u64 v[0:1], v[0:1], 1, s[30:31]
	s_xor_b64 s[38:39], s[2:3], -1
	s_and_saveexec_b64 s[2:3], s[38:39]
	s_cbranch_execz .LBB279_21
; %bb.20:
	v_lshl_add_u64 v[10:11], v[32:33], 1, v[0:1]
	flat_load_ushort v10, v[10:11]
	s_waitcnt vmcnt(0) lgkmcnt(0)
	v_mul_f16_e32 v43, v46, v10
.LBB279_21:
	s_or_b64 exec, exec, s[2:3]
	s_or_b64 s[2:3], s[8:9], s[14:15]
	v_cndmask_b32_e64 v118, 0, v9, s[2:3]
	s_or_b64 s[2:3], s[4:5], s[2:3]
	s_xor_b64 s[38:39], s[2:3], -1
	s_and_saveexec_b64 s[2:3], s[38:39]
	s_cbranch_execz .LBB279_23
; %bb.22:
	v_lshl_add_u64 v[10:11], v[34:35], 1, v[0:1]
	flat_load_ushort v9, v[10:11]
	s_waitcnt vmcnt(0) lgkmcnt(0)
	v_mul_f16_e32 v118, v46, v9
.LBB279_23:
	s_or_b64 exec, exec, s[2:3]
	v_mov_b32_e32 v9, 0x7c00
	s_or_b64 s[2:3], s[10:11], s[14:15]
	v_cndmask_b32_e64 v119, 0, v9, s[2:3]
	s_or_b64 s[2:3], s[4:5], s[2:3]
	s_xor_b64 s[38:39], s[2:3], -1
	s_and_saveexec_b64 s[2:3], s[38:39]
	s_cbranch_execz .LBB279_25
; %bb.24:
	v_lshl_add_u64 v[10:11], v[36:37], 1, v[0:1]
	flat_load_ushort v10, v[10:11]
	s_waitcnt vmcnt(0) lgkmcnt(0)
	v_mul_f16_e32 v119, v46, v10
.LBB279_25:
	s_or_b64 exec, exec, s[2:3]
	s_or_b64 s[2:3], s[12:13], s[14:15]
	v_cndmask_b32_e64 v120, 0, v9, s[2:3]
	s_or_b64 s[2:3], s[4:5], s[2:3]
	s_xor_b64 s[38:39], s[2:3], -1
	s_movk_i32 s14, 0x7c00
	s_and_saveexec_b64 s[2:3], s[38:39]
	s_cbranch_execz .LBB279_27
; %bb.26:
	v_lshl_add_u64 v[0:1], v[38:39], 1, v[0:1]
	flat_load_ushort v0, v[0:1]
	s_waitcnt vmcnt(0) lgkmcnt(0)
	v_mul_f16_e32 v120, v46, v0
.LBB279_27:
	s_or_b64 exec, exec, s[2:3]
	v_lshlrev_b32_e32 v0, 1, v48
	v_lshlrev_b32_e32 v49, 3, v44
	v_lshl_or_b32 v121, v2, 3, v40
	v_lshl_add_u32 v51, v4, 3, v0
	v_add_u32_e32 v94, 0x1000, v49
	v_lshlrev_b32_e32 v50, 3, v45
	ds_write_b16 v121, v3 offset:4096
	ds_write_b16 v51, v5
	ds_write_b16 v51, v6 offset:512
	ds_write_b16 v51, v7 offset:1024
	ds_write_b16 v51, v8 offset:1536
	s_waitcnt lgkmcnt(0)
	s_barrier
	ds_read2_b64 v[16:19], v94 offset1:8
	ds_read2_b64 v[12:15], v94 offset0:16 offset1:24
	ds_read2_b64 v[0:3], v94 offset0:32 offset1:40
	ds_read2_b64 v[28:31], v50 offset1:32
	ds_read2_b64 v[4:7], v94 offset0:48 offset1:56
	ds_read2_b64 v[24:27], v50 offset0:64 offset1:96
	;; [unrolled: 1-line block ×4, first 2 shown]
	s_cmp_lt_i32 s22, 9
	s_waitcnt lgkmcnt(4)
	v_pk_add_f16 v53, v16, v28
	v_pk_add_f16 v54, v18, v28
	s_waitcnt lgkmcnt(1)
	v_pk_add_f16 v83, v12, v20
	v_pk_min_f16 v53, v53, s14 op_sel_hi:[1,0]
	v_pk_min_f16 v122, v83, s14 op_sel_hi:[1,0]
	v_pk_add_f16 v83, v14, v20
	v_pk_add_f16 v55, v12, v28
	v_pk_min_f16 v123, v83, s14 op_sel_hi:[1,0]
	v_pk_add_f16 v83, v0, v20
	v_pk_add_f16 v56, v14, v28
	;; [unrolled: 3-line block ×11, first 2 shown]
	v_pk_min_f16 v133, v83, s14 op_sel_hi:[1,0]
	s_waitcnt lgkmcnt(0)
	v_pk_add_f16 v83, v16, v8
	v_pk_add_f16 v65, v2, v30
	v_pk_min_f16 v134, v83, s14 op_sel_hi:[1,0]
	v_pk_add_f16 v83, v18, v8
	v_pk_add_f16 v66, v4, v30
	v_pk_min_f16 v135, v83, s14 op_sel_hi:[1,0]
	;; [unrolled: 3-line block ×5, first 2 shown]
	v_pk_add_f16 v83, v2, v8
	v_pk_add_f16 v69, v12, v24
	;; [unrolled: 1-line block ×19, first 2 shown]
	v_pk_min_f16 v139, v83, s14 op_sel_hi:[1,0]
	v_pk_add_f16 v83, v4, v8
	v_pk_add_f16 v8, v6, v8
	;; [unrolled: 1-line block ×11, first 2 shown]
	v_pk_min_f16 v54, v54, s14 op_sel_hi:[1,0]
	v_pk_min_f16 v117, v53, v10
	v_pk_add_f16 v10, v19, v29
	v_pk_min_f16 v55, v55, s14 op_sel_hi:[1,0]
	v_pk_min_f16 v116, v54, v10
	v_pk_add_f16 v10, v13, v29
	;; [unrolled: 3-line block ×45, first 2 shown]
	ds_write_b16 v121, v41 offset:4608
	ds_write_b16 v51, v43 offset:2048
	;; [unrolled: 1-line block ×5, first 2 shown]
	v_pk_min_f16 v71, v132, v10
	v_pk_add_f16 v10, v5, v23
	s_waitcnt lgkmcnt(0)
	v_pk_min_f16 v70, v133, v10
	v_pk_add_f16 v10, v7, v23
	s_barrier
	v_pk_min_f16 v69, v22, v10
	v_pk_add_f16 v10, v17, v9
	s_nop 0
	v_pk_min_f16 v68, v134, v10
	v_pk_add_f16 v10, v19, v9
	s_nop 0
	;; [unrolled: 3-line block ×4, first 2 shown]
	v_pk_min_f16 v65, v137, v10
	v_pk_add_f16 v10, v1, v9
	v_pk_add_f16 v1, v1, v11
	v_pk_min_f16 v64, v138, v10
	v_pk_add_f16 v10, v3, v9
	v_pk_min_f16 v55, v0, v1
	v_pk_min_f16 v63, v139, v10
	v_pk_add_f16 v10, v5, v9
	v_pk_add_f16 v9, v7, v9
	;; [unrolled: 1-line block ×3, first 2 shown]
	v_pk_min_f16 v61, v8, v9
	v_pk_add_f16 v8, v17, v11
	v_pk_min_f16 v54, v2, v0
	v_pk_min_f16 v60, v16, v8
	v_pk_add_f16 v8, v19, v11
	v_pk_add_f16 v0, v5, v11
	v_pk_min_f16 v59, v18, v8
	v_pk_add_f16 v8, v13, v11
	v_pk_min_f16 v53, v4, v0
	v_pk_min_f16 v58, v12, v8
	v_pk_add_f16 v8, v15, v11
	v_pk_add_f16 v0, v7, v11
	v_pk_min_f16 v62, v140, v10
	v_pk_min_f16 v56, v14, v8
	;; [unrolled: 1-line block ×3, first 2 shown]
	s_cbranch_scc1 .LBB279_50
; %bb.28:
	v_mov_b32_e32 v0, 0x1200
	v_add_u32_e32 v118, 0x1000, v121
	v_add_u32_e32 v119, 0x1200, v121
	v_lshl_add_u32 v121, v44, 3, v0
	v_mov_b32_e32 v0, 0x800
	v_lshl_add_u32 v122, v45, 3, v0
	v_mad_i64_i32 v[0:1], s[2:3], v42, s36, 0
	v_mov_b32_e32 v41, 0
	v_lshl_add_u64 v[0:1], v[0:1], 1, v[40:41]
	v_lshl_add_u64 v[0:1], v[0:1], 0, s[34:35]
	v_or_b32_e32 v120, 0x800, v51
	s_add_i32 s33, s22, -8
	v_lshl_add_u64 v[40:41], v[0:1], 0, 24
	s_mov_b32 s34, 0
	v_mov_b32_e32 v123, 0x7c00
	s_branch .LBB279_30
.LBB279_29:                             ;   in Loop: Header=BB279_30 Depth=1
	s_or_b64 exec, exec, s[2:3]
	ds_read2_b64 v[8:11], v94 offset1:8
	ds_read2_b64 v[4:7], v94 offset0:16 offset1:24
	ds_read2_b64 v[0:3], v94 offset0:32 offset1:40
	ds_read2_b64 v[128:131], v50 offset1:32
	ds_read2_b64 v[12:15], v94 offset0:48 offset1:56
	ds_read2_b64 v[24:27], v50 offset0:64 offset1:96
	;; [unrolled: 1-line block ×4, first 2 shown]
	s_waitcnt lgkmcnt(4)
	v_pk_add_f16 v42, v8, v128
	v_pk_max_f16 v43, v114, v114
	v_pk_max_f16 v113, v113, v113
	v_pk_min_f16 v42, v43, v42
	v_pk_add_f16 v43, v10, v128
	v_pk_max_f16 v112, v112, v112
	v_pk_min_f16 v43, v113, v43
	v_pk_add_f16 v113, v4, v128
	;; [unrolled: 3-line block ×5, first 2 shown]
	v_pk_max_f16 v108, v108, v108
	v_pk_min_f16 v109, v109, v113
	s_waitcnt lgkmcnt(3)
	v_pk_add_f16 v113, v12, v128
	v_pk_max_f16 v107, v107, v107
	v_pk_min_f16 v108, v108, v113
	v_pk_add_f16 v113, v14, v128
	v_pk_max_f16 v106, v106, v106
	v_pk_min_f16 v107, v107, v113
	;; [unrolled: 3-line block ×10, first 2 shown]
	s_waitcnt lgkmcnt(2)
	v_pk_add_f16 v113, v8, v24
	v_pk_max_f16 v97, v97, v97
	v_pk_min_f16 v98, v98, v113
	v_pk_add_f16 v113, v10, v24
	v_pk_max_f16 v96, v96, v96
	v_pk_min_f16 v97, v97, v113
	;; [unrolled: 3-line block ×6, first 2 shown]
	v_pk_add_f16 v113, v12, v24
	v_pk_add_f16 v24, v14, v24
	v_pk_max_f16 v89, v89, v89
	v_pk_min_f16 v24, v90, v24
	v_pk_add_f16 v90, v8, v26
	v_pk_max_f16 v88, v88, v88
	v_pk_min_f16 v89, v89, v90
	;; [unrolled: 3-line block ×7, first 2 shown]
	v_pk_add_f16 v90, v12, v26
	v_pk_add_f16 v26, v14, v26
	v_pk_max_f16 v81, v81, v81
	v_pk_min_f16 v26, v82, v26
	s_waitcnt lgkmcnt(1)
	v_pk_add_f16 v82, v8, v20
	v_pk_max_f16 v80, v80, v80
	v_pk_min_f16 v81, v81, v82
	v_pk_add_f16 v82, v10, v20
	v_pk_max_f16 v79, v79, v79
	v_pk_min_f16 v80, v80, v82
	;; [unrolled: 3-line block ×6, first 2 shown]
	v_pk_add_f16 v82, v12, v20
	v_pk_add_f16 v20, v14, v20
	v_pk_max_f16 v73, v73, v73
	v_pk_min_f16 v20, v74, v20
	v_pk_add_f16 v74, v8, v22
	v_pk_max_f16 v72, v72, v72
	v_pk_min_f16 v73, v73, v74
	;; [unrolled: 3-line block ×7, first 2 shown]
	v_pk_add_f16 v74, v12, v22
	v_pk_add_f16 v22, v14, v22
	v_pk_max_f16 v65, v65, v65
	v_pk_min_f16 v22, v66, v22
	s_waitcnt lgkmcnt(0)
	v_pk_add_f16 v66, v8, v16
	v_pk_max_f16 v64, v64, v64
	v_pk_min_f16 v65, v65, v66
	v_pk_add_f16 v66, v10, v16
	v_pk_max_f16 v63, v63, v63
	v_pk_min_f16 v64, v64, v66
	;; [unrolled: 3-line block ×5, first 2 shown]
	v_pk_add_f16 v66, v2, v16
	v_pk_add_f16 v8, v8, v18
	v_pk_min_f16 v60, v60, v66
	v_pk_add_f16 v66, v12, v16
	v_pk_add_f16 v16, v14, v16
	;; [unrolled: 1-line block ×9, first 2 shown]
	v_pk_max_f16 v18, v29, v29
	v_pk_max_f16 v91, v91, v91
	v_pk_min_f16 v14, v18, v14
	v_pk_add_f16 v18, v9, v129
	v_pk_min_f16 v91, v91, v113
	v_pk_min_f16 v117, v42, v18
	v_pk_add_f16 v18, v11, v129
	v_pk_max_f16 v83, v83, v83
	v_pk_min_f16 v116, v43, v18
	v_pk_add_f16 v18, v5, v129
	v_pk_min_f16 v83, v83, v90
	v_pk_min_f16 v115, v112, v18
	v_pk_add_f16 v18, v7, v129
	;; [unrolled: 6-line block ×5, first 2 shown]
	v_pk_max_f16 v53, v53, v53
	v_pk_min_f16 v108, v105, v18
	v_pk_add_f16 v18, v5, v131
	v_pk_max_f16 v55, v55, v55
	v_pk_min_f16 v107, v104, v18
	v_pk_add_f16 v18, v7, v131
	v_pk_min_f16 v0, v53, v0
	v_pk_min_f16 v106, v103, v18
	v_pk_add_f16 v18, v1, v131
	v_pk_max_f16 v31, v31, v31
	v_pk_min_f16 v105, v102, v18
	v_pk_add_f16 v18, v3, v131
	v_pk_max_f16 v57, v57, v57
	v_pk_min_f16 v104, v101, v18
	v_pk_add_f16 v18, v13, v131
	v_pk_min_f16 v4, v55, v4
	v_pk_min_f16 v103, v100, v18
	v_pk_add_f16 v18, v15, v131
	v_pk_max_f16 v54, v54, v54
	v_pk_min_f16 v102, v99, v18
	v_pk_add_f16 v18, v9, v25
	v_pk_min_f16 v2, v31, v2
	v_pk_min_f16 v101, v98, v18
	v_pk_add_f16 v18, v11, v25
	v_pk_max_f16 v30, v30, v30
	v_pk_min_f16 v100, v97, v18
	v_pk_add_f16 v18, v5, v25
	v_pk_max_f16 v58, v58, v58
	v_pk_min_f16 v99, v96, v18
	v_pk_add_f16 v18, v7, v25
	v_pk_min_f16 v8, v57, v8
	v_pk_min_f16 v98, v95, v18
	v_pk_add_f16 v18, v1, v25
	v_pk_max_f16 v56, v56, v56
	v_pk_min_f16 v97, v93, v18
	v_pk_add_f16 v18, v3, v25
	v_pk_min_f16 v6, v54, v6
	v_pk_min_f16 v96, v92, v18
	v_pk_add_f16 v18, v13, v25
	v_pk_min_f16 v12, v30, v12
	;; [unrolled: 3-line block ×4, first 2 shown]
	v_pk_min_f16 v92, v89, v18
	v_pk_add_f16 v18, v11, v27
	s_add_i32 s34, s34, 8
	v_pk_min_f16 v91, v88, v18
	v_pk_add_f16 v18, v5, v27
	s_cmp_ge_i32 s34, s33
	v_pk_min_f16 v90, v87, v18
	v_pk_add_f16 v18, v7, v27
	v_lshl_add_u64 v[40:41], v[40:41], 0, 16
	v_pk_min_f16 v89, v86, v18
	v_pk_add_f16 v18, v1, v27
	ds_write_b16 v119, v124
	ds_write_b16 v120, v125
	ds_write_b16 v120, v126 offset:512
	ds_write_b16 v120, v127 offset:1024
	ds_write_b16 v120, v28 offset:1536
	v_pk_min_f16 v88, v85, v18
	v_pk_add_f16 v18, v3, v27
	s_waitcnt lgkmcnt(0)
	v_pk_min_f16 v87, v84, v18
	v_pk_add_f16 v18, v13, v27
	s_barrier
	v_pk_min_f16 v86, v83, v18
	v_pk_add_f16 v18, v15, v27
	s_nop 0
	v_pk_min_f16 v85, v26, v18
	v_pk_add_f16 v18, v9, v21
	s_nop 0
	;; [unrolled: 3-line block ×17, first 2 shown]
	v_pk_min_f16 v69, v22, v18
	v_pk_add_f16 v18, v9, v17
	v_pk_add_f16 v9, v9, v19
	v_pk_min_f16 v68, v65, v18
	v_pk_add_f16 v18, v11, v17
	s_nop 0
	v_pk_min_f16 v67, v64, v18
	v_pk_add_f16 v18, v5, v17
	v_pk_add_f16 v5, v5, v19
	v_pk_min_f16 v66, v63, v18
	v_pk_add_f16 v18, v7, v17
	v_pk_min_f16 v58, v4, v5
	v_pk_min_f16 v65, v62, v18
	v_pk_add_f16 v18, v1, v17
	v_pk_add_f16 v1, v1, v19
	v_pk_min_f16 v64, v61, v18
	v_pk_min_f16 v55, v0, v1
	v_pk_add_f16 v0, v3, v19
	v_pk_add_f16 v18, v3, v17
	v_pk_min_f16 v54, v2, v0
	v_pk_add_f16 v0, v13, v19
	v_pk_min_f16 v63, v60, v18
	v_pk_add_f16 v18, v13, v17
	v_pk_add_f16 v17, v15, v17
	v_pk_min_f16 v60, v8, v9
	v_pk_add_f16 v8, v11, v19
	;; [unrolled: 3-line block ×3, first 2 shown]
	v_pk_min_f16 v62, v59, v18
	v_pk_min_f16 v61, v16, v17
	;; [unrolled: 1-line block ×5, first 2 shown]
	s_cbranch_scc1 .LBB279_50
.LBB279_30:                             ; =>This Inner Loop Header: Depth=1
	v_add_u32_e32 v42, s34, v47
	v_add_u32_e32 v0, 8, v42
	v_cmp_le_i32_e64 s[2:3], s22, v0
	s_or_b64 s[2:3], s[2:3], vcc
	s_nop 0
	v_cndmask_b32_e64 v124, 0, v123, s[2:3]
	s_or_b64 s[2:3], s[4:5], s[2:3]
	s_xor_b64 s[2:3], s[2:3], -1
	s_and_saveexec_b64 s[14:15], s[2:3]
	s_cbranch_execz .LBB279_32
; %bb.31:                               ;   in Loop: Header=BB279_30 Depth=1
	v_add_co_u32_e64 v0, s[2:3], -8, v40
	s_nop 1
	v_addc_co_u32_e64 v1, s[2:3], -1, v41, s[2:3]
	flat_load_ushort v0, v[0:1]
	s_waitcnt vmcnt(0) lgkmcnt(0)
	v_mul_f16_e32 v124, v46, v0
.LBB279_32:                             ;   in Loop: Header=BB279_30 Depth=1
	s_or_b64 exec, exec, s[14:15]
	v_add_u32_e32 v43, s34, v48
	v_add_u32_e32 v0, 8, v43
	v_cmp_le_i32_e64 s[14:15], s22, v0
	v_min_i32_e32 v0, s29, v0
	v_mad_i64_i32 v[0:1], s[2:3], v0, s23, 0
	s_or_b64 s[2:3], s[6:7], s[14:15]
	s_nop 0
	v_cndmask_b32_e64 v125, 0, v123, s[2:3]
	s_or_b64 s[2:3], s[4:5], s[2:3]
	v_lshl_add_u64 v[0:1], v[0:1], 1, s[30:31]
	s_xor_b64 s[36:37], s[2:3], -1
	s_and_saveexec_b64 s[2:3], s[36:37]
	s_cbranch_execz .LBB279_34
; %bb.33:                               ;   in Loop: Header=BB279_30 Depth=1
	v_lshl_add_u64 v[2:3], v[32:33], 1, v[0:1]
	flat_load_ushort v2, v[2:3]
	s_waitcnt vmcnt(0) lgkmcnt(0)
	v_mul_f16_e32 v125, v46, v2
.LBB279_34:                             ;   in Loop: Header=BB279_30 Depth=1
	s_or_b64 exec, exec, s[2:3]
	s_or_b64 s[2:3], s[8:9], s[14:15]
	v_cndmask_b32_e64 v126, 0, v123, s[2:3]
	s_or_b64 s[2:3], s[4:5], s[2:3]
	s_xor_b64 s[36:37], s[2:3], -1
	s_and_saveexec_b64 s[2:3], s[36:37]
	s_cbranch_execz .LBB279_36
; %bb.35:                               ;   in Loop: Header=BB279_30 Depth=1
	v_lshl_add_u64 v[2:3], v[34:35], 1, v[0:1]
	flat_load_ushort v2, v[2:3]
	s_waitcnt vmcnt(0) lgkmcnt(0)
	v_mul_f16_e32 v126, v46, v2
.LBB279_36:                             ;   in Loop: Header=BB279_30 Depth=1
	s_or_b64 exec, exec, s[2:3]
	s_or_b64 s[2:3], s[10:11], s[14:15]
	v_cndmask_b32_e64 v127, 0, v123, s[2:3]
	s_or_b64 s[2:3], s[4:5], s[2:3]
	;; [unrolled: 13-line block ×3, first 2 shown]
	s_xor_b64 s[14:15], s[2:3], -1
	s_and_saveexec_b64 s[2:3], s[14:15]
	s_cbranch_execz .LBB279_40
; %bb.39:                               ;   in Loop: Header=BB279_30 Depth=1
	v_lshl_add_u64 v[0:1], v[38:39], 1, v[0:1]
	flat_load_ushort v0, v[0:1]
	s_waitcnt vmcnt(0) lgkmcnt(0)
	v_mul_f16_e32 v128, v46, v0
.LBB279_40:                             ;   in Loop: Header=BB279_30 Depth=1
	s_or_b64 exec, exec, s[2:3]
	ds_read2_b64 v[12:15], v121 offset1:8
	ds_read2_b64 v[8:11], v121 offset0:16 offset1:24
	ds_read2_b64 v[4:7], v121 offset0:32 offset1:40
	ds_read2_b64 v[0:3], v121 offset0:48 offset1:56
	ds_read2_b64 v[28:31], v122 offset1:32
	ds_read2_b64 v[24:27], v122 offset0:64 offset1:96
	ds_read2_b64 v[20:23], v122 offset0:128 offset1:160
	;; [unrolled: 1-line block ×3, first 2 shown]
	v_add_u32_e32 v42, 12, v42
	v_cmp_le_i32_e64 s[2:3], s22, v42
	s_or_b64 s[2:3], s[2:3], vcc
	ds_write_b16 v118, v124
	ds_write_b16 v51, v125
	ds_write_b16 v51, v126 offset:512
	ds_write_b16 v51, v127 offset:1024
	;; [unrolled: 1-line block ×3, first 2 shown]
	v_cndmask_b32_e64 v124, 0, v123, s[2:3]
	s_or_b64 s[2:3], s[4:5], s[2:3]
	s_xor_b64 s[2:3], s[2:3], -1
	s_waitcnt lgkmcnt(0)
	s_barrier
	s_and_saveexec_b64 s[14:15], s[2:3]
	s_xor_b64 s[2:3], exec, s[14:15]
	s_cbranch_execz .LBB279_42
; %bb.41:                               ;   in Loop: Header=BB279_30 Depth=1
	flat_load_ushort v42, v[40:41]
	s_waitcnt vmcnt(0) lgkmcnt(0)
	v_mul_f16_e32 v124, v46, v42
.LBB279_42:                             ;   in Loop: Header=BB279_30 Depth=1
	s_or_b64 exec, exec, s[2:3]
	v_add_u32_e32 v42, 12, v43
	v_cmp_le_i32_e64 s[14:15], s22, v42
	v_min_i32_e32 v42, s29, v42
	v_mad_i64_i32 v[42:43], s[2:3], v42, s23, 0
	s_or_b64 s[2:3], s[6:7], s[14:15]
	s_nop 0
	v_cndmask_b32_e64 v125, 0, v123, s[2:3]
	s_or_b64 s[2:3], s[4:5], s[2:3]
	v_lshl_add_u64 v[42:43], v[42:43], 1, s[30:31]
	s_xor_b64 s[36:37], s[2:3], -1
	s_and_saveexec_b64 s[2:3], s[36:37]
	s_cbranch_execz .LBB279_44
; %bb.43:                               ;   in Loop: Header=BB279_30 Depth=1
	v_lshl_add_u64 v[126:127], v[32:33], 1, v[42:43]
	flat_load_ushort v125, v[126:127]
	s_waitcnt vmcnt(0) lgkmcnt(0)
	v_mul_f16_e32 v125, v46, v125
.LBB279_44:                             ;   in Loop: Header=BB279_30 Depth=1
	s_or_b64 exec, exec, s[2:3]
	s_or_b64 s[2:3], s[8:9], s[14:15]
	v_cndmask_b32_e64 v126, 0, v123, s[2:3]
	s_or_b64 s[2:3], s[4:5], s[2:3]
	s_xor_b64 s[36:37], s[2:3], -1
	s_and_saveexec_b64 s[2:3], s[36:37]
	s_cbranch_execz .LBB279_46
; %bb.45:                               ;   in Loop: Header=BB279_30 Depth=1
	v_lshl_add_u64 v[126:127], v[34:35], 1, v[42:43]
	flat_load_ushort v126, v[126:127]
	s_waitcnt vmcnt(0) lgkmcnt(0)
	v_mul_f16_e32 v126, v46, v126
.LBB279_46:                             ;   in Loop: Header=BB279_30 Depth=1
	s_or_b64 exec, exec, s[2:3]
	s_or_b64 s[2:3], s[10:11], s[14:15]
	v_cndmask_b32_e64 v127, 0, v123, s[2:3]
	s_or_b64 s[2:3], s[4:5], s[2:3]
	s_xor_b64 s[36:37], s[2:3], -1
	s_and_saveexec_b64 s[2:3], s[36:37]
	s_cbranch_execz .LBB279_48
; %bb.47:                               ;   in Loop: Header=BB279_30 Depth=1
	v_lshl_add_u64 v[128:129], v[36:37], 1, v[42:43]
	flat_load_ushort v127, v[128:129]
	s_waitcnt vmcnt(0) lgkmcnt(0)
	v_mul_f16_e32 v127, v46, v127
.LBB279_48:                             ;   in Loop: Header=BB279_30 Depth=1
	s_or_b64 exec, exec, s[2:3]
	v_pk_add_f16 v128, v12, v28
	v_pk_max_f16 v117, v117, v117
	v_pk_max_f16 v116, v116, v116
	v_pk_min_f16 v117, v117, v128
	v_pk_add_f16 v128, v14, v28
	v_pk_max_f16 v115, v115, v115
	v_pk_min_f16 v116, v116, v128
	v_pk_add_f16 v128, v8, v28
	v_pk_max_f16 v114, v114, v114
	v_pk_min_f16 v115, v115, v128
	v_pk_add_f16 v128, v10, v28
	v_pk_max_f16 v113, v113, v113
	v_pk_min_f16 v128, v114, v128
	v_pk_add_f16 v114, v4, v28
	v_pk_max_f16 v112, v112, v112
	v_pk_min_f16 v129, v113, v114
	v_pk_add_f16 v113, v6, v28
	v_pk_max_f16 v110, v110, v110
	v_pk_min_f16 v130, v112, v113
	v_pk_add_f16 v112, v0, v28
	v_pk_add_f16 v28, v2, v28
	v_pk_max_f16 v109, v109, v109
	v_pk_min_f16 v28, v110, v28
	v_pk_add_f16 v110, v12, v30
	v_pk_max_f16 v108, v108, v108
	v_pk_min_f16 v132, v109, v110
	v_pk_add_f16 v109, v14, v30
	v_pk_max_f16 v107, v107, v107
	v_pk_min_f16 v133, v108, v109
	v_pk_add_f16 v108, v8, v30
	v_pk_max_f16 v106, v106, v106
	v_pk_min_f16 v134, v107, v108
	v_pk_add_f16 v107, v10, v30
	v_pk_max_f16 v105, v105, v105
	v_pk_min_f16 v135, v106, v107
	v_pk_add_f16 v106, v4, v30
	v_pk_max_f16 v104, v104, v104
	v_pk_min_f16 v136, v105, v106
	v_pk_add_f16 v105, v6, v30
	v_pk_max_f16 v102, v102, v102
	v_pk_min_f16 v137, v104, v105
	v_pk_add_f16 v104, v0, v30
	v_pk_add_f16 v30, v2, v30
	v_pk_max_f16 v101, v101, v101
	v_pk_min_f16 v30, v102, v30
	v_pk_add_f16 v102, v12, v24
	;; [unrolled: 22-line block ×6, first 2 shown]
	v_pk_max_f16 v67, v67, v67
	v_pk_min_f16 v167, v68, v69
	v_pk_add_f16 v68, v14, v16
	v_pk_max_f16 v66, v66, v66
	v_pk_min_f16 v168, v67, v68
	v_pk_add_f16 v67, v8, v16
	;; [unrolled: 3-line block ×5, first 2 shown]
	v_pk_add_f16 v12, v12, v18
	v_pk_min_f16 v172, v63, v64
	v_pk_add_f16 v63, v0, v16
	v_pk_add_f16 v16, v2, v16
	;; [unrolled: 1-line block ×9, first 2 shown]
	v_pk_max_f16 v18, v57, v57
	v_pk_max_f16 v111, v111, v111
	v_pk_min_f16 v2, v18, v2
	v_pk_add_f16 v18, v13, v29
	v_pk_min_f16 v131, v111, v112
	v_pk_min_f16 v114, v117, v18
	v_pk_add_f16 v18, v15, v29
	v_pk_max_f16 v103, v103, v103
	v_pk_min_f16 v113, v116, v18
	v_pk_add_f16 v18, v9, v29
	v_pk_min_f16 v138, v103, v104
	v_pk_min_f16 v112, v115, v18
	v_pk_add_f16 v18, v11, v29
	;; [unrolled: 6-line block ×8, first 2 shown]
	v_pk_max_f16 v60, v60, v60
	v_pk_min_f16 v99, v30, v18
	v_pk_add_f16 v18, v13, v25
	v_pk_max_f16 v58, v58, v58
	v_pk_min_f16 v98, v139, v18
	v_pk_add_f16 v18, v15, v25
	;; [unrolled: 3-line block ×4, first 2 shown]
	v_pk_min_f16 v12, v60, v12
	v_pk_min_f16 v95, v142, v18
	v_pk_add_f16 v18, v5, v25
	v_pk_max_f16 v59, v59, v59
	v_pk_min_f16 v93, v143, v18
	v_pk_add_f16 v18, v7, v25
	v_pk_min_f16 v8, v58, v8
	v_pk_min_f16 v92, v144, v18
	v_pk_add_f16 v18, v1, v25
	v_pk_max_f16 v56, v56, v56
	v_pk_min_f16 v91, v145, v18
	v_pk_add_f16 v18, v3, v25
	;; [unrolled: 6-line block ×3, first 2 shown]
	v_pk_min_f16 v0, v53, v0
	v_pk_min_f16 v88, v147, v18
	v_pk_add_f16 v18, v9, v27
	s_or_b64 s[2:3], s[12:13], s[14:15]
	v_pk_min_f16 v87, v148, v18
	v_pk_add_f16 v18, v11, v27
	v_pk_min_f16 v14, v59, v14
	v_pk_min_f16 v86, v149, v18
	v_pk_add_f16 v18, v5, v27
	v_pk_min_f16 v10, v56, v10
	;; [unrolled: 3-line block ×3, first 2 shown]
	v_pk_min_f16 v84, v151, v18
	v_pk_add_f16 v18, v1, v27
	v_cndmask_b32_e64 v28, 0, v123, s[2:3]
	v_pk_min_f16 v83, v152, v18
	v_pk_add_f16 v18, v3, v27
	s_or_b64 s[2:3], s[4:5], s[2:3]
	v_pk_min_f16 v82, v26, v18
	v_pk_add_f16 v18, v13, v21
	s_xor_b64 s[14:15], s[2:3], -1
	v_pk_min_f16 v81, v153, v18
	v_pk_add_f16 v18, v15, v21
	s_nop 0
	v_pk_min_f16 v80, v154, v18
	v_pk_add_f16 v18, v9, v21
	s_nop 0
	;; [unrolled: 3-line block ×15, first 2 shown]
	v_pk_min_f16 v66, v22, v18
	v_pk_add_f16 v18, v13, v17
	v_pk_add_f16 v13, v13, v19
	v_pk_min_f16 v65, v167, v18
	v_pk_add_f16 v18, v15, v17
	v_pk_min_f16 v57, v12, v13
	v_pk_min_f16 v64, v168, v18
	v_pk_add_f16 v18, v9, v17
	v_pk_add_f16 v9, v9, v19
	v_pk_min_f16 v63, v169, v18
	v_pk_add_f16 v18, v11, v17
	v_pk_add_f16 v12, v15, v19
	;; [unrolled: 3-line block ×3, first 2 shown]
	v_pk_min_f16 v61, v171, v18
	v_pk_add_f16 v18, v7, v17
	v_pk_min_f16 v55, v8, v9
	v_pk_min_f16 v60, v172, v18
	v_pk_add_f16 v18, v1, v17
	v_pk_add_f16 v1, v1, v19
	;; [unrolled: 1-line block ×4, first 2 shown]
	v_pk_min_f16 v53, v4, v5
	v_pk_add_f16 v4, v7, v19
	v_pk_min_f16 v30, v0, v1
	v_pk_add_f16 v0, v3, v19
	v_pk_min_f16 v59, v173, v18
	v_pk_min_f16 v58, v16, v17
	;; [unrolled: 1-line block ×6, first 2 shown]
	s_and_saveexec_b64 s[2:3], s[14:15]
	s_cbranch_execz .LBB279_29
; %bb.49:                               ;   in Loop: Header=BB279_30 Depth=1
	v_lshl_add_u64 v[0:1], v[38:39], 1, v[42:43]
	flat_load_ushort v0, v[0:1]
	s_waitcnt vmcnt(0) lgkmcnt(0)
	v_mul_f16_e32 v28, v46, v0
	s_branch .LBB279_29
.LBB279_50:
	s_load_dwordx2 s[2:3], s[0:1], 0x78
	s_load_dword s30, s[0:1], 0x58
	s_load_dword s29, s[0:1], 0x70
	v_add_u32_e32 v0, 0x1000, v49
	v_add_u32_e32 v4, 0x800, v50
	s_waitcnt lgkmcnt(0)
	s_mul_i32 s1, s28, s3
	s_mul_hi_u32 s3, s28, s2
	s_mul_i32 s0, s28, s2
	s_add_i32 s1, s3, s1
	ds_read2_b64 v[16:19], v0 offset0:64 offset1:72
	ds_read2_b64 v[12:15], v0 offset0:80 offset1:88
	;; [unrolled: 1-line block ×4, first 2 shown]
	ds_read2_b64 v[28:31], v4 offset1:32
	ds_read2_b64 v[24:27], v4 offset0:64 offset1:96
	ds_read2_b64 v[20:23], v4 offset0:128 offset1:160
	;; [unrolled: 1-line block ×3, first 2 shown]
	s_lshl_b64 s[0:1], s[0:1], 1
	s_add_u32 s22, s26, s0
	v_add_u32_e32 v94, s19, v45
	s_addc_u32 s23, s27, s1
	v_mad_i64_i32 v[34:35], s[0:1], v94, s30, 0
	v_add_u32_e32 v32, s18, v44
	v_lshl_add_u64 v[50:51], v[34:35], 1, s[24:25]
	v_mad_i64_i32 v[34:35], s[0:1], v94, s29, 0
	v_cmp_gt_i32_e64 s[4:5], s20, v32
	v_cmp_gt_i32_e64 s[18:19], s21, v94
	v_lshl_add_u64 v[48:49], v[34:35], 1, s[22:23]
	v_cndmask_b32_e64 v34, 0, 1, s[16:17]
	v_ashrrev_i32_e32 v33, 31, v32
	s_and_b64 s[2:3], s[4:5], s[18:19]
	v_cmp_ne_u32_e64 s[0:1], 1, v34
	s_and_saveexec_b64 s[6:7], s[2:3]
	s_xor_b64 s[2:3], exec, s[6:7]
	s_cbranch_execz .LBB279_55
; %bb.51:
	s_and_b64 vcc, exec, s[0:1]
	s_cbranch_vccnz .LBB279_53
; %bb.52:
	v_lshl_add_u64 v[34:35], v[32:33], 1, v[50:51]
	flat_load_ushort v34, v[34:35]
	s_waitcnt vmcnt(0) lgkmcnt(0)
	v_mul_f16_e32 v34, v52, v34
	s_branch .LBB279_54
.LBB279_53:
	v_mov_b32_e32 v34, 0
.LBB279_54:
	s_waitcnt lgkmcnt(3)
	v_pk_add_f16 v35, v16, v28
	v_pk_max_f16 v36, v117, v117
	s_nop 0
	v_pk_min_f16 v35, v36, v35
	v_pk_add_f16 v36, v17, v29
	s_nop 0
	v_pk_min_f16 v35, v35, v36
	s_nop 0
	v_lshrrev_b32_e32 v36, 16, v35
	v_min3_f16 v36, v34, v35, v36
	v_lshl_add_u64 v[34:35], v[32:33], 1, v[48:49]
	global_store_short v[34:35], v36, off
.LBB279_55:
	s_or_b64 exec, exec, s[2:3]
	v_add_u32_e32 v34, 8, v32
	v_cmp_gt_i32_e64 s[2:3], s20, v34
	v_ashrrev_i32_e32 v35, 31, v34
	s_and_b64 s[8:9], s[2:3], s[18:19]
	s_and_saveexec_b64 s[6:7], s[8:9]
	s_cbranch_execz .LBB279_60
; %bb.56:
	s_and_b64 vcc, exec, s[0:1]
	s_cbranch_vccnz .LBB279_58
; %bb.57:
	v_lshl_add_u64 v[36:37], v[34:35], 1, v[50:51]
	flat_load_ushort v36, v[36:37]
	s_waitcnt vmcnt(0) lgkmcnt(0)
	v_mul_f16_e32 v36, v52, v36
	s_branch .LBB279_59
.LBB279_58:
	v_mov_b32_e32 v36, 0
.LBB279_59:
	s_waitcnt lgkmcnt(3)
	v_pk_add_f16 v37, v18, v28
	v_pk_max_f16 v38, v116, v116
	s_nop 0
	v_pk_min_f16 v37, v38, v37
	v_pk_add_f16 v38, v19, v29
	s_nop 0
	v_pk_min_f16 v37, v37, v38
	s_nop 0
	v_lshrrev_b32_e32 v38, 16, v37
	v_min3_f16 v38, v36, v37, v38
	v_lshl_add_u64 v[36:37], v[34:35], 1, v[48:49]
	global_store_short v[36:37], v38, off
.LBB279_60:
	s_or_b64 exec, exec, s[6:7]
	v_add_u32_e32 v36, 16, v32
	v_cmp_gt_i32_e64 s[6:7], s20, v36
	v_ashrrev_i32_e32 v37, 31, v36
	s_and_b64 s[10:11], s[6:7], s[18:19]
	s_and_saveexec_b64 s[8:9], s[10:11]
	s_cbranch_execz .LBB279_65
; %bb.61:
	s_and_b64 vcc, exec, s[0:1]
	s_cbranch_vccnz .LBB279_63
; %bb.62:
	v_lshl_add_u64 v[38:39], v[36:37], 1, v[50:51]
	flat_load_ushort v38, v[38:39]
	s_waitcnt vmcnt(0) lgkmcnt(0)
	v_mul_f16_e32 v38, v52, v38
	s_branch .LBB279_64
.LBB279_63:
	v_mov_b32_e32 v38, 0
.LBB279_64:
	s_waitcnt lgkmcnt(3)
	v_pk_add_f16 v39, v12, v28
	v_pk_max_f16 v40, v115, v115
	s_nop 0
	v_pk_min_f16 v39, v40, v39
	v_pk_add_f16 v40, v13, v29
	s_nop 0
	v_pk_min_f16 v39, v39, v40
	s_nop 0
	v_lshrrev_b32_e32 v40, 16, v39
	v_min3_f16 v40, v38, v39, v40
	v_lshl_add_u64 v[38:39], v[36:37], 1, v[48:49]
	global_store_short v[38:39], v40, off
.LBB279_65:
	s_or_b64 exec, exec, s[8:9]
	v_add_u32_e32 v38, 24, v32
	v_cmp_gt_i32_e64 s[8:9], s20, v38
	v_ashrrev_i32_e32 v39, 31, v38
	s_and_b64 s[12:13], s[8:9], s[18:19]
	s_and_saveexec_b64 s[10:11], s[12:13]
	s_cbranch_execz .LBB279_70
; %bb.66:
	s_and_b64 vcc, exec, s[0:1]
	s_cbranch_vccnz .LBB279_68
; %bb.67:
	v_lshl_add_u64 v[40:41], v[38:39], 1, v[50:51]
	flat_load_ushort v40, v[40:41]
	s_waitcnt vmcnt(0) lgkmcnt(0)
	v_mul_f16_e32 v40, v52, v40
	s_branch .LBB279_69
.LBB279_68:
	v_mov_b32_e32 v40, 0
.LBB279_69:
	s_waitcnt lgkmcnt(3)
	v_pk_add_f16 v41, v14, v28
	v_pk_max_f16 v42, v114, v114
	s_nop 0
	v_pk_min_f16 v41, v42, v41
	v_pk_add_f16 v42, v15, v29
	s_nop 0
	v_pk_min_f16 v41, v41, v42
	s_nop 0
	v_lshrrev_b32_e32 v42, 16, v41
	v_min3_f16 v42, v40, v41, v42
	v_lshl_add_u64 v[40:41], v[38:39], 1, v[48:49]
	global_store_short v[40:41], v42, off
.LBB279_70:
	s_or_b64 exec, exec, s[10:11]
	v_add_u32_e32 v40, 32, v32
	v_cmp_gt_i32_e64 s[10:11], s20, v40
	v_ashrrev_i32_e32 v41, 31, v40
	s_and_b64 s[14:15], s[10:11], s[18:19]
	s_and_saveexec_b64 s[12:13], s[14:15]
	s_cbranch_execz .LBB279_75
; %bb.71:
	s_and_b64 vcc, exec, s[0:1]
	s_cbranch_vccnz .LBB279_73
; %bb.72:
	v_lshl_add_u64 v[42:43], v[40:41], 1, v[50:51]
	flat_load_ushort v42, v[42:43]
	s_waitcnt vmcnt(0) lgkmcnt(0)
	v_mul_f16_e32 v42, v52, v42
	s_branch .LBB279_74
.LBB279_73:
	v_mov_b32_e32 v42, 0
.LBB279_74:
	s_waitcnt lgkmcnt(3)
	v_pk_add_f16 v43, v8, v28
	v_pk_max_f16 v44, v113, v113
	s_nop 0
	v_pk_min_f16 v43, v44, v43
	v_pk_add_f16 v44, v9, v29
	s_nop 0
	v_pk_min_f16 v43, v43, v44
	s_nop 0
	v_lshrrev_b32_e32 v44, 16, v43
	v_min3_f16 v44, v42, v43, v44
	v_lshl_add_u64 v[42:43], v[40:41], 1, v[48:49]
	global_store_short v[42:43], v44, off
.LBB279_75:
	s_or_b64 exec, exec, s[12:13]
	v_add_u32_e32 v42, 40, v32
	v_cmp_gt_i32_e64 s[12:13], s20, v42
	v_ashrrev_i32_e32 v43, 31, v42
	s_and_b64 s[16:17], s[12:13], s[18:19]
	s_and_saveexec_b64 s[14:15], s[16:17]
	s_cbranch_execz .LBB279_80
; %bb.76:
	s_and_b64 vcc, exec, s[0:1]
	s_cbranch_vccnz .LBB279_78
; %bb.77:
	v_lshl_add_u64 v[44:45], v[42:43], 1, v[50:51]
	flat_load_ushort v44, v[44:45]
	s_waitcnt vmcnt(0) lgkmcnt(0)
	v_mul_f16_e32 v44, v52, v44
	s_branch .LBB279_79
.LBB279_78:
	v_mov_b32_e32 v44, 0
.LBB279_79:
	s_waitcnt lgkmcnt(3)
	v_pk_add_f16 v45, v10, v28
	v_pk_max_f16 v46, v112, v112
	s_nop 0
	v_pk_min_f16 v45, v46, v45
	v_pk_add_f16 v46, v11, v29
	s_nop 0
	v_pk_min_f16 v45, v45, v46
	s_nop 0
	v_lshrrev_b32_e32 v46, 16, v45
	v_min3_f16 v46, v44, v45, v46
	v_lshl_add_u64 v[44:45], v[42:43], 1, v[48:49]
	global_store_short v[44:45], v46, off
.LBB279_80:
	s_or_b64 exec, exec, s[14:15]
	v_add_u32_e32 v44, 48, v32
	v_cmp_gt_i32_e64 s[14:15], s20, v44
	v_ashrrev_i32_e32 v45, 31, v44
	s_and_b64 s[26:27], s[14:15], s[18:19]
	s_and_saveexec_b64 s[16:17], s[26:27]
	s_cbranch_execz .LBB279_85
; %bb.81:
	s_and_b64 vcc, exec, s[0:1]
	s_cbranch_vccnz .LBB279_83
; %bb.82:
	v_lshl_add_u64 v[46:47], v[44:45], 1, v[50:51]
	flat_load_ushort v46, v[46:47]
	s_waitcnt vmcnt(0) lgkmcnt(0)
	v_mul_f16_e32 v46, v52, v46
	s_branch .LBB279_84
.LBB279_83:
	v_mov_b32_e32 v46, 0
.LBB279_84:
	s_waitcnt lgkmcnt(3)
	v_pk_add_f16 v47, v0, v28
	v_pk_max_f16 v111, v111, v111
	s_nop 0
	v_pk_min_f16 v47, v111, v47
	v_pk_add_f16 v111, v1, v29
	s_nop 0
	v_pk_min_f16 v47, v47, v111
	s_nop 0
	v_lshrrev_b32_e32 v111, 16, v47
	v_min3_f16 v111, v46, v47, v111
	v_lshl_add_u64 v[46:47], v[44:45], 1, v[48:49]
	global_store_short v[46:47], v111, off
.LBB279_85:
	s_or_b64 exec, exec, s[16:17]
	v_add_u32_e32 v46, 56, v32
	v_cmp_gt_i32_e64 s[16:17], s20, v46
	v_ashrrev_i32_e32 v47, 31, v46
	s_and_b64 s[26:27], s[16:17], s[18:19]
	s_and_saveexec_b64 s[18:19], s[26:27]
	s_cbranch_execz .LBB279_90
; %bb.86:
	s_and_b64 vcc, exec, s[0:1]
	s_cbranch_vccnz .LBB279_88
; %bb.87:
	v_lshl_add_u64 v[50:51], v[46:47], 1, v[50:51]
	flat_load_ushort v50, v[50:51]
	s_waitcnt vmcnt(0) lgkmcnt(0)
	v_mul_f16_e32 v50, v52, v50
	s_branch .LBB279_89
.LBB279_88:
	v_mov_b32_e32 v50, 0
.LBB279_89:
	s_waitcnt lgkmcnt(3)
	v_pk_add_f16 v28, v2, v28
	v_pk_max_f16 v51, v110, v110
	v_pk_add_f16 v29, v3, v29
	v_pk_min_f16 v28, v51, v28
	s_nop 0
	v_pk_min_f16 v28, v28, v29
	s_nop 0
	v_lshrrev_b32_e32 v29, 16, v28
	v_min3_f16 v50, v50, v28, v29
	v_lshl_add_u64 v[28:29], v[46:47], 1, v[48:49]
	global_store_short v[28:29], v50, off
.LBB279_90:
	s_or_b64 exec, exec, s[18:19]
	v_add_u32_e32 v50, 32, v94
	s_waitcnt lgkmcnt(3)
	v_mad_i64_i32 v[28:29], s[26:27], v50, s30, 0
	v_cmp_gt_i32_e64 s[18:19], s21, v50
	v_lshl_add_u64 v[48:49], v[28:29], 1, s[24:25]
	v_mad_i64_i32 v[28:29], s[26:27], v50, s29, 0
	v_lshl_add_u64 v[28:29], v[28:29], 1, s[22:23]
	s_and_b64 s[34:35], s[4:5], s[18:19]
	s_and_saveexec_b64 s[26:27], s[34:35]
	s_cbranch_execnz .LBB279_98
; %bb.91:
	s_or_b64 exec, exec, s[26:27]
	s_and_b64 s[34:35], s[2:3], s[18:19]
	s_and_saveexec_b64 s[26:27], s[34:35]
	s_cbranch_execnz .LBB279_102
.LBB279_92:
	s_or_b64 exec, exec, s[26:27]
	s_and_b64 s[34:35], s[6:7], s[18:19]
	s_and_saveexec_b64 s[26:27], s[34:35]
	s_cbranch_execnz .LBB279_106
.LBB279_93:
	s_or_b64 exec, exec, s[26:27]
	s_and_b64 s[34:35], s[8:9], s[18:19]
	s_and_saveexec_b64 s[26:27], s[34:35]
	s_cbranch_execnz .LBB279_110
.LBB279_94:
	s_or_b64 exec, exec, s[26:27]
	s_and_b64 s[34:35], s[10:11], s[18:19]
	s_and_saveexec_b64 s[26:27], s[34:35]
	s_cbranch_execnz .LBB279_114
.LBB279_95:
	s_or_b64 exec, exec, s[26:27]
	s_and_b64 s[34:35], s[12:13], s[18:19]
	s_and_saveexec_b64 s[26:27], s[34:35]
	s_cbranch_execnz .LBB279_118
.LBB279_96:
	s_or_b64 exec, exec, s[26:27]
	s_and_b64 s[34:35], s[14:15], s[18:19]
	s_and_saveexec_b64 s[26:27], s[34:35]
	s_cbranch_execnz .LBB279_122
.LBB279_97:
	s_or_b64 exec, exec, s[26:27]
	s_and_b64 s[26:27], s[16:17], s[18:19]
	s_and_saveexec_b64 s[18:19], s[26:27]
	s_cbranch_execnz .LBB279_126
	s_branch .LBB279_130
.LBB279_98:
	s_and_b64 vcc, exec, s[0:1]
	s_cbranch_vccnz .LBB279_100
; %bb.99:
	v_lshl_add_u64 v[50:51], v[32:33], 1, v[48:49]
	flat_load_ushort v50, v[50:51]
	s_waitcnt vmcnt(0) lgkmcnt(0)
	v_mul_f16_e32 v50, v52, v50
	s_branch .LBB279_101
.LBB279_100:
	v_mov_b32_e32 v50, 0
.LBB279_101:
	v_pk_add_f16 v51, v16, v30
	v_pk_max_f16 v109, v109, v109
	s_nop 0
	v_pk_min_f16 v51, v109, v51
	v_pk_add_f16 v109, v17, v31
	s_nop 0
	v_pk_min_f16 v51, v51, v109
	s_nop 0
	v_lshrrev_b32_e32 v109, 16, v51
	v_min3_f16 v109, v50, v51, v109
	v_lshl_add_u64 v[50:51], v[32:33], 1, v[28:29]
	global_store_short v[50:51], v109, off
	s_or_b64 exec, exec, s[26:27]
	s_and_b64 s[34:35], s[2:3], s[18:19]
	s_and_saveexec_b64 s[26:27], s[34:35]
	s_cbranch_execz .LBB279_92
.LBB279_102:
	s_and_b64 vcc, exec, s[0:1]
	s_cbranch_vccnz .LBB279_104
; %bb.103:
	v_lshl_add_u64 v[50:51], v[34:35], 1, v[48:49]
	flat_load_ushort v50, v[50:51]
	s_waitcnt vmcnt(0) lgkmcnt(0)
	v_mul_f16_e32 v50, v52, v50
	s_branch .LBB279_105
.LBB279_104:
	v_mov_b32_e32 v50, 0
.LBB279_105:
	v_pk_add_f16 v51, v18, v30
	v_pk_max_f16 v108, v108, v108
	s_nop 0
	v_pk_min_f16 v51, v108, v51
	v_pk_add_f16 v108, v19, v31
	s_nop 0
	v_pk_min_f16 v51, v51, v108
	s_nop 0
	v_lshrrev_b32_e32 v108, 16, v51
	v_min3_f16 v108, v50, v51, v108
	v_lshl_add_u64 v[50:51], v[34:35], 1, v[28:29]
	global_store_short v[50:51], v108, off
	s_or_b64 exec, exec, s[26:27]
	s_and_b64 s[34:35], s[6:7], s[18:19]
	s_and_saveexec_b64 s[26:27], s[34:35]
	s_cbranch_execz .LBB279_93
.LBB279_106:
	s_and_b64 vcc, exec, s[0:1]
	s_cbranch_vccnz .LBB279_108
; %bb.107:
	v_lshl_add_u64 v[50:51], v[36:37], 1, v[48:49]
	flat_load_ushort v50, v[50:51]
	s_waitcnt vmcnt(0) lgkmcnt(0)
	v_mul_f16_e32 v50, v52, v50
	s_branch .LBB279_109
.LBB279_108:
	v_mov_b32_e32 v50, 0
.LBB279_109:
	v_pk_add_f16 v51, v12, v30
	v_pk_max_f16 v107, v107, v107
	s_nop 0
	v_pk_min_f16 v51, v107, v51
	v_pk_add_f16 v107, v13, v31
	s_nop 0
	v_pk_min_f16 v51, v51, v107
	s_nop 0
	v_lshrrev_b32_e32 v107, 16, v51
	v_min3_f16 v107, v50, v51, v107
	v_lshl_add_u64 v[50:51], v[36:37], 1, v[28:29]
	global_store_short v[50:51], v107, off
	s_or_b64 exec, exec, s[26:27]
	s_and_b64 s[34:35], s[8:9], s[18:19]
	s_and_saveexec_b64 s[26:27], s[34:35]
	s_cbranch_execz .LBB279_94
.LBB279_110:
	s_and_b64 vcc, exec, s[0:1]
	s_cbranch_vccnz .LBB279_112
; %bb.111:
	v_lshl_add_u64 v[50:51], v[38:39], 1, v[48:49]
	flat_load_ushort v50, v[50:51]
	s_waitcnt vmcnt(0) lgkmcnt(0)
	v_mul_f16_e32 v50, v52, v50
	s_branch .LBB279_113
.LBB279_112:
	v_mov_b32_e32 v50, 0
.LBB279_113:
	v_pk_add_f16 v51, v14, v30
	v_pk_max_f16 v106, v106, v106
	s_nop 0
	v_pk_min_f16 v51, v106, v51
	v_pk_add_f16 v106, v15, v31
	s_nop 0
	v_pk_min_f16 v51, v51, v106
	s_nop 0
	v_lshrrev_b32_e32 v106, 16, v51
	v_min3_f16 v106, v50, v51, v106
	v_lshl_add_u64 v[50:51], v[38:39], 1, v[28:29]
	global_store_short v[50:51], v106, off
	s_or_b64 exec, exec, s[26:27]
	s_and_b64 s[34:35], s[10:11], s[18:19]
	s_and_saveexec_b64 s[26:27], s[34:35]
	s_cbranch_execz .LBB279_95
.LBB279_114:
	s_and_b64 vcc, exec, s[0:1]
	s_cbranch_vccnz .LBB279_116
; %bb.115:
	v_lshl_add_u64 v[50:51], v[40:41], 1, v[48:49]
	flat_load_ushort v50, v[50:51]
	s_waitcnt vmcnt(0) lgkmcnt(0)
	v_mul_f16_e32 v50, v52, v50
	s_branch .LBB279_117
.LBB279_116:
	v_mov_b32_e32 v50, 0
.LBB279_117:
	v_pk_add_f16 v51, v8, v30
	v_pk_max_f16 v105, v105, v105
	s_nop 0
	v_pk_min_f16 v51, v105, v51
	v_pk_add_f16 v105, v9, v31
	s_nop 0
	v_pk_min_f16 v51, v51, v105
	s_nop 0
	v_lshrrev_b32_e32 v105, 16, v51
	v_min3_f16 v105, v50, v51, v105
	v_lshl_add_u64 v[50:51], v[40:41], 1, v[28:29]
	global_store_short v[50:51], v105, off
	s_or_b64 exec, exec, s[26:27]
	s_and_b64 s[34:35], s[12:13], s[18:19]
	s_and_saveexec_b64 s[26:27], s[34:35]
	s_cbranch_execz .LBB279_96
.LBB279_118:
	s_and_b64 vcc, exec, s[0:1]
	s_cbranch_vccnz .LBB279_120
; %bb.119:
	v_lshl_add_u64 v[50:51], v[42:43], 1, v[48:49]
	flat_load_ushort v50, v[50:51]
	s_waitcnt vmcnt(0) lgkmcnt(0)
	v_mul_f16_e32 v50, v52, v50
	s_branch .LBB279_121
.LBB279_120:
	v_mov_b32_e32 v50, 0
.LBB279_121:
	v_pk_add_f16 v51, v10, v30
	v_pk_max_f16 v104, v104, v104
	s_nop 0
	v_pk_min_f16 v51, v104, v51
	v_pk_add_f16 v104, v11, v31
	s_nop 0
	v_pk_min_f16 v51, v51, v104
	s_nop 0
	v_lshrrev_b32_e32 v104, 16, v51
	v_min3_f16 v104, v50, v51, v104
	v_lshl_add_u64 v[50:51], v[42:43], 1, v[28:29]
	global_store_short v[50:51], v104, off
	s_or_b64 exec, exec, s[26:27]
	s_and_b64 s[34:35], s[14:15], s[18:19]
	s_and_saveexec_b64 s[26:27], s[34:35]
	s_cbranch_execz .LBB279_97
.LBB279_122:
	s_and_b64 vcc, exec, s[0:1]
	s_cbranch_vccnz .LBB279_124
; %bb.123:
	v_lshl_add_u64 v[50:51], v[44:45], 1, v[48:49]
	flat_load_ushort v50, v[50:51]
	s_waitcnt vmcnt(0) lgkmcnt(0)
	v_mul_f16_e32 v50, v52, v50
	s_branch .LBB279_125
.LBB279_124:
	v_mov_b32_e32 v50, 0
.LBB279_125:
	v_pk_add_f16 v51, v0, v30
	v_pk_max_f16 v103, v103, v103
	s_nop 0
	v_pk_min_f16 v51, v103, v51
	v_pk_add_f16 v103, v1, v31
	s_nop 0
	v_pk_min_f16 v51, v51, v103
	s_nop 0
	v_lshrrev_b32_e32 v103, 16, v51
	v_min3_f16 v103, v50, v51, v103
	v_lshl_add_u64 v[50:51], v[44:45], 1, v[28:29]
	global_store_short v[50:51], v103, off
	s_or_b64 exec, exec, s[26:27]
	s_and_b64 s[26:27], s[16:17], s[18:19]
	s_and_saveexec_b64 s[18:19], s[26:27]
	s_cbranch_execz .LBB279_130
.LBB279_126:
	s_and_b64 vcc, exec, s[0:1]
	s_cbranch_vccnz .LBB279_128
; %bb.127:
	v_lshl_add_u64 v[48:49], v[46:47], 1, v[48:49]
	flat_load_ushort v48, v[48:49]
	s_waitcnt vmcnt(0) lgkmcnt(0)
	v_mul_f16_e32 v48, v52, v48
	s_branch .LBB279_129
.LBB279_128:
	v_mov_b32_e32 v48, 0
.LBB279_129:
	v_pk_add_f16 v30, v2, v30
	v_pk_max_f16 v49, v102, v102
	v_pk_add_f16 v31, v3, v31
	v_pk_min_f16 v30, v49, v30
	v_lshl_add_u64 v[28:29], v[46:47], 1, v[28:29]
	v_pk_min_f16 v30, v30, v31
	s_nop 0
	v_lshrrev_b32_e32 v31, 16, v30
	v_min3_f16 v30, v48, v30, v31
	global_store_short v[28:29], v30, off
.LBB279_130:
	s_or_b64 exec, exec, s[18:19]
	v_add_u32_e32 v48, 64, v94
	v_mad_i64_i32 v[28:29], s[26:27], v48, s30, 0
	v_cmp_gt_i32_e64 s[18:19], s21, v48
	v_lshl_add_u64 v[30:31], v[28:29], 1, s[24:25]
	v_mad_i64_i32 v[28:29], s[26:27], v48, s29, 0
	v_lshl_add_u64 v[28:29], v[28:29], 1, s[22:23]
	s_and_b64 s[34:35], s[4:5], s[18:19]
	s_and_saveexec_b64 s[26:27], s[34:35]
	s_cbranch_execnz .LBB279_138
; %bb.131:
	s_or_b64 exec, exec, s[26:27]
	s_and_b64 s[34:35], s[2:3], s[18:19]
	s_and_saveexec_b64 s[26:27], s[34:35]
	s_cbranch_execnz .LBB279_142
.LBB279_132:
	s_or_b64 exec, exec, s[26:27]
	s_and_b64 s[34:35], s[6:7], s[18:19]
	s_and_saveexec_b64 s[26:27], s[34:35]
	s_cbranch_execnz .LBB279_146
.LBB279_133:
	s_or_b64 exec, exec, s[26:27]
	s_and_b64 s[34:35], s[8:9], s[18:19]
	s_and_saveexec_b64 s[26:27], s[34:35]
	s_cbranch_execnz .LBB279_150
.LBB279_134:
	s_or_b64 exec, exec, s[26:27]
	s_and_b64 s[34:35], s[10:11], s[18:19]
	s_and_saveexec_b64 s[26:27], s[34:35]
	s_cbranch_execnz .LBB279_154
.LBB279_135:
	s_or_b64 exec, exec, s[26:27]
	s_and_b64 s[34:35], s[12:13], s[18:19]
	s_and_saveexec_b64 s[26:27], s[34:35]
	s_cbranch_execnz .LBB279_158
.LBB279_136:
	s_or_b64 exec, exec, s[26:27]
	s_and_b64 s[34:35], s[14:15], s[18:19]
	s_and_saveexec_b64 s[26:27], s[34:35]
	s_cbranch_execnz .LBB279_162
.LBB279_137:
	s_or_b64 exec, exec, s[26:27]
	s_and_b64 s[26:27], s[16:17], s[18:19]
	s_and_saveexec_b64 s[18:19], s[26:27]
	s_cbranch_execnz .LBB279_166
	s_branch .LBB279_170
.LBB279_138:
	s_and_b64 vcc, exec, s[0:1]
	s_cbranch_vccnz .LBB279_140
; %bb.139:
	v_lshl_add_u64 v[48:49], v[32:33], 1, v[30:31]
	flat_load_ushort v48, v[48:49]
	s_waitcnt vmcnt(0) lgkmcnt(0)
	v_mul_f16_e32 v48, v52, v48
	s_branch .LBB279_141
.LBB279_140:
	v_mov_b32_e32 v48, 0
.LBB279_141:
	s_waitcnt lgkmcnt(2)
	v_pk_add_f16 v49, v16, v24
	v_pk_max_f16 v50, v101, v101
	s_nop 0
	v_pk_min_f16 v49, v50, v49
	v_pk_add_f16 v50, v17, v25
	s_nop 0
	v_pk_min_f16 v49, v49, v50
	s_nop 0
	v_lshrrev_b32_e32 v50, 16, v49
	v_min3_f16 v50, v48, v49, v50
	v_lshl_add_u64 v[48:49], v[32:33], 1, v[28:29]
	global_store_short v[48:49], v50, off
	s_or_b64 exec, exec, s[26:27]
	s_and_b64 s[34:35], s[2:3], s[18:19]
	s_and_saveexec_b64 s[26:27], s[34:35]
	s_cbranch_execz .LBB279_132
.LBB279_142:
	s_and_b64 vcc, exec, s[0:1]
	s_cbranch_vccnz .LBB279_144
; %bb.143:
	v_lshl_add_u64 v[48:49], v[34:35], 1, v[30:31]
	flat_load_ushort v48, v[48:49]
	s_waitcnt vmcnt(0) lgkmcnt(0)
	v_mul_f16_e32 v48, v52, v48
	s_branch .LBB279_145
.LBB279_144:
	v_mov_b32_e32 v48, 0
.LBB279_145:
	s_waitcnt lgkmcnt(2)
	v_pk_add_f16 v49, v18, v24
	v_pk_max_f16 v50, v100, v100
	s_nop 0
	v_pk_min_f16 v49, v50, v49
	v_pk_add_f16 v50, v19, v25
	s_nop 0
	v_pk_min_f16 v49, v49, v50
	s_nop 0
	v_lshrrev_b32_e32 v50, 16, v49
	v_min3_f16 v50, v48, v49, v50
	v_lshl_add_u64 v[48:49], v[34:35], 1, v[28:29]
	global_store_short v[48:49], v50, off
	s_or_b64 exec, exec, s[26:27]
	s_and_b64 s[34:35], s[6:7], s[18:19]
	s_and_saveexec_b64 s[26:27], s[34:35]
	s_cbranch_execz .LBB279_133
.LBB279_146:
	s_and_b64 vcc, exec, s[0:1]
	s_cbranch_vccnz .LBB279_148
; %bb.147:
	v_lshl_add_u64 v[48:49], v[36:37], 1, v[30:31]
	flat_load_ushort v48, v[48:49]
	s_waitcnt vmcnt(0) lgkmcnt(0)
	v_mul_f16_e32 v48, v52, v48
	s_branch .LBB279_149
.LBB279_148:
	v_mov_b32_e32 v48, 0
.LBB279_149:
	s_waitcnt lgkmcnt(2)
	v_pk_add_f16 v49, v12, v24
	v_pk_max_f16 v50, v99, v99
	s_nop 0
	v_pk_min_f16 v49, v50, v49
	v_pk_add_f16 v50, v13, v25
	s_nop 0
	v_pk_min_f16 v49, v49, v50
	s_nop 0
	v_lshrrev_b32_e32 v50, 16, v49
	v_min3_f16 v50, v48, v49, v50
	v_lshl_add_u64 v[48:49], v[36:37], 1, v[28:29]
	global_store_short v[48:49], v50, off
	s_or_b64 exec, exec, s[26:27]
	s_and_b64 s[34:35], s[8:9], s[18:19]
	s_and_saveexec_b64 s[26:27], s[34:35]
	s_cbranch_execz .LBB279_134
.LBB279_150:
	s_and_b64 vcc, exec, s[0:1]
	s_cbranch_vccnz .LBB279_152
; %bb.151:
	v_lshl_add_u64 v[48:49], v[38:39], 1, v[30:31]
	flat_load_ushort v48, v[48:49]
	s_waitcnt vmcnt(0) lgkmcnt(0)
	v_mul_f16_e32 v48, v52, v48
	s_branch .LBB279_153
.LBB279_152:
	v_mov_b32_e32 v48, 0
.LBB279_153:
	s_waitcnt lgkmcnt(2)
	v_pk_add_f16 v49, v14, v24
	v_pk_max_f16 v50, v98, v98
	s_nop 0
	v_pk_min_f16 v49, v50, v49
	v_pk_add_f16 v50, v15, v25
	s_nop 0
	v_pk_min_f16 v49, v49, v50
	s_nop 0
	v_lshrrev_b32_e32 v50, 16, v49
	v_min3_f16 v50, v48, v49, v50
	v_lshl_add_u64 v[48:49], v[38:39], 1, v[28:29]
	global_store_short v[48:49], v50, off
	s_or_b64 exec, exec, s[26:27]
	s_and_b64 s[34:35], s[10:11], s[18:19]
	s_and_saveexec_b64 s[26:27], s[34:35]
	s_cbranch_execz .LBB279_135
.LBB279_154:
	s_and_b64 vcc, exec, s[0:1]
	s_cbranch_vccnz .LBB279_156
; %bb.155:
	v_lshl_add_u64 v[48:49], v[40:41], 1, v[30:31]
	flat_load_ushort v48, v[48:49]
	s_waitcnt vmcnt(0) lgkmcnt(0)
	v_mul_f16_e32 v48, v52, v48
	s_branch .LBB279_157
.LBB279_156:
	v_mov_b32_e32 v48, 0
.LBB279_157:
	s_waitcnt lgkmcnt(2)
	v_pk_add_f16 v49, v8, v24
	v_pk_max_f16 v50, v97, v97
	s_nop 0
	v_pk_min_f16 v49, v50, v49
	v_pk_add_f16 v50, v9, v25
	s_nop 0
	v_pk_min_f16 v49, v49, v50
	s_nop 0
	v_lshrrev_b32_e32 v50, 16, v49
	v_min3_f16 v50, v48, v49, v50
	v_lshl_add_u64 v[48:49], v[40:41], 1, v[28:29]
	global_store_short v[48:49], v50, off
	s_or_b64 exec, exec, s[26:27]
	s_and_b64 s[34:35], s[12:13], s[18:19]
	s_and_saveexec_b64 s[26:27], s[34:35]
	s_cbranch_execz .LBB279_136
.LBB279_158:
	s_and_b64 vcc, exec, s[0:1]
	s_cbranch_vccnz .LBB279_160
; %bb.159:
	v_lshl_add_u64 v[48:49], v[42:43], 1, v[30:31]
	flat_load_ushort v48, v[48:49]
	s_waitcnt vmcnt(0) lgkmcnt(0)
	v_mul_f16_e32 v48, v52, v48
	s_branch .LBB279_161
.LBB279_160:
	v_mov_b32_e32 v48, 0
.LBB279_161:
	s_waitcnt lgkmcnt(2)
	v_pk_add_f16 v49, v10, v24
	v_pk_max_f16 v50, v96, v96
	s_nop 0
	v_pk_min_f16 v49, v50, v49
	v_pk_add_f16 v50, v11, v25
	s_nop 0
	v_pk_min_f16 v49, v49, v50
	s_nop 0
	v_lshrrev_b32_e32 v50, 16, v49
	v_min3_f16 v50, v48, v49, v50
	v_lshl_add_u64 v[48:49], v[42:43], 1, v[28:29]
	global_store_short v[48:49], v50, off
	s_or_b64 exec, exec, s[26:27]
	s_and_b64 s[34:35], s[14:15], s[18:19]
	s_and_saveexec_b64 s[26:27], s[34:35]
	s_cbranch_execz .LBB279_137
.LBB279_162:
	s_and_b64 vcc, exec, s[0:1]
	s_cbranch_vccnz .LBB279_164
; %bb.163:
	v_lshl_add_u64 v[48:49], v[44:45], 1, v[30:31]
	flat_load_ushort v48, v[48:49]
	s_waitcnt vmcnt(0) lgkmcnt(0)
	v_mul_f16_e32 v48, v52, v48
	s_branch .LBB279_165
.LBB279_164:
	v_mov_b32_e32 v48, 0
.LBB279_165:
	s_waitcnt lgkmcnt(2)
	v_pk_add_f16 v49, v0, v24
	v_pk_max_f16 v50, v95, v95
	s_nop 0
	v_pk_min_f16 v49, v50, v49
	v_pk_add_f16 v50, v1, v25
	s_nop 0
	v_pk_min_f16 v49, v49, v50
	s_nop 0
	v_lshrrev_b32_e32 v50, 16, v49
	v_min3_f16 v50, v48, v49, v50
	v_lshl_add_u64 v[48:49], v[44:45], 1, v[28:29]
	global_store_short v[48:49], v50, off
	s_or_b64 exec, exec, s[26:27]
	s_and_b64 s[26:27], s[16:17], s[18:19]
	s_and_saveexec_b64 s[18:19], s[26:27]
	s_cbranch_execz .LBB279_170
.LBB279_166:
	s_and_b64 vcc, exec, s[0:1]
	s_cbranch_vccnz .LBB279_168
; %bb.167:
	v_lshl_add_u64 v[30:31], v[46:47], 1, v[30:31]
	flat_load_ushort v30, v[30:31]
	s_waitcnt vmcnt(0) lgkmcnt(0)
	v_mul_f16_e32 v30, v52, v30
	s_branch .LBB279_169
.LBB279_168:
	v_mov_b32_e32 v30, 0
.LBB279_169:
	s_waitcnt lgkmcnt(2)
	v_pk_add_f16 v24, v2, v24
	v_pk_max_f16 v31, v93, v93
	v_pk_add_f16 v25, v3, v25
	v_pk_min_f16 v24, v31, v24
	s_nop 0
	v_pk_min_f16 v24, v24, v25
	s_nop 0
	v_lshrrev_b32_e32 v25, 16, v24
	v_min3_f16 v30, v30, v24, v25
	v_lshl_add_u64 v[24:25], v[46:47], 1, v[28:29]
	global_store_short v[24:25], v30, off
.LBB279_170:
	s_or_b64 exec, exec, s[18:19]
	v_add_u32_e32 v30, 0x60, v94
	s_waitcnt lgkmcnt(2)
	v_mad_i64_i32 v[24:25], s[26:27], v30, s30, 0
	v_cmp_gt_i32_e64 s[18:19], s21, v30
	v_lshl_add_u64 v[28:29], v[24:25], 1, s[24:25]
	v_mad_i64_i32 v[24:25], s[26:27], v30, s29, 0
	v_lshl_add_u64 v[24:25], v[24:25], 1, s[22:23]
	s_and_b64 s[34:35], s[4:5], s[18:19]
	s_and_saveexec_b64 s[26:27], s[34:35]
	s_cbranch_execnz .LBB279_178
; %bb.171:
	s_or_b64 exec, exec, s[26:27]
	s_and_b64 s[34:35], s[2:3], s[18:19]
	s_and_saveexec_b64 s[26:27], s[34:35]
	s_cbranch_execnz .LBB279_182
.LBB279_172:
	s_or_b64 exec, exec, s[26:27]
	s_and_b64 s[34:35], s[6:7], s[18:19]
	s_and_saveexec_b64 s[26:27], s[34:35]
	s_cbranch_execnz .LBB279_186
.LBB279_173:
	s_or_b64 exec, exec, s[26:27]
	s_and_b64 s[34:35], s[8:9], s[18:19]
	s_and_saveexec_b64 s[26:27], s[34:35]
	s_cbranch_execnz .LBB279_190
.LBB279_174:
	s_or_b64 exec, exec, s[26:27]
	s_and_b64 s[34:35], s[10:11], s[18:19]
	s_and_saveexec_b64 s[26:27], s[34:35]
	s_cbranch_execnz .LBB279_194
.LBB279_175:
	s_or_b64 exec, exec, s[26:27]
	s_and_b64 s[34:35], s[12:13], s[18:19]
	s_and_saveexec_b64 s[26:27], s[34:35]
	s_cbranch_execnz .LBB279_198
.LBB279_176:
	s_or_b64 exec, exec, s[26:27]
	s_and_b64 s[34:35], s[14:15], s[18:19]
	s_and_saveexec_b64 s[26:27], s[34:35]
	s_cbranch_execnz .LBB279_202
.LBB279_177:
	s_or_b64 exec, exec, s[26:27]
	s_and_b64 s[26:27], s[16:17], s[18:19]
	s_and_saveexec_b64 s[18:19], s[26:27]
	s_cbranch_execnz .LBB279_206
	s_branch .LBB279_210
.LBB279_178:
	s_and_b64 vcc, exec, s[0:1]
	s_cbranch_vccnz .LBB279_180
; %bb.179:
	v_lshl_add_u64 v[30:31], v[32:33], 1, v[28:29]
	flat_load_ushort v30, v[30:31]
	s_waitcnt vmcnt(0) lgkmcnt(0)
	v_mul_f16_e32 v30, v52, v30
	s_branch .LBB279_181
.LBB279_180:
	v_mov_b32_e32 v30, 0
.LBB279_181:
	v_pk_add_f16 v31, v16, v26
	v_pk_max_f16 v48, v92, v92
	s_nop 0
	v_pk_min_f16 v31, v48, v31
	v_pk_add_f16 v48, v17, v27
	s_nop 0
	v_pk_min_f16 v31, v31, v48
	s_nop 0
	v_lshrrev_b32_e32 v48, 16, v31
	v_min3_f16 v48, v30, v31, v48
	v_lshl_add_u64 v[30:31], v[32:33], 1, v[24:25]
	global_store_short v[30:31], v48, off
	s_or_b64 exec, exec, s[26:27]
	s_and_b64 s[34:35], s[2:3], s[18:19]
	s_and_saveexec_b64 s[26:27], s[34:35]
	s_cbranch_execz .LBB279_172
.LBB279_182:
	s_and_b64 vcc, exec, s[0:1]
	s_cbranch_vccnz .LBB279_184
; %bb.183:
	v_lshl_add_u64 v[30:31], v[34:35], 1, v[28:29]
	flat_load_ushort v30, v[30:31]
	s_waitcnt vmcnt(0) lgkmcnt(0)
	v_mul_f16_e32 v30, v52, v30
	s_branch .LBB279_185
.LBB279_184:
	v_mov_b32_e32 v30, 0
.LBB279_185:
	v_pk_add_f16 v31, v18, v26
	v_pk_max_f16 v48, v91, v91
	s_nop 0
	v_pk_min_f16 v31, v48, v31
	v_pk_add_f16 v48, v19, v27
	s_nop 0
	v_pk_min_f16 v31, v31, v48
	s_nop 0
	v_lshrrev_b32_e32 v48, 16, v31
	v_min3_f16 v48, v30, v31, v48
	v_lshl_add_u64 v[30:31], v[34:35], 1, v[24:25]
	global_store_short v[30:31], v48, off
	s_or_b64 exec, exec, s[26:27]
	s_and_b64 s[34:35], s[6:7], s[18:19]
	s_and_saveexec_b64 s[26:27], s[34:35]
	s_cbranch_execz .LBB279_173
.LBB279_186:
	s_and_b64 vcc, exec, s[0:1]
	s_cbranch_vccnz .LBB279_188
; %bb.187:
	v_lshl_add_u64 v[30:31], v[36:37], 1, v[28:29]
	flat_load_ushort v30, v[30:31]
	s_waitcnt vmcnt(0) lgkmcnt(0)
	v_mul_f16_e32 v30, v52, v30
	s_branch .LBB279_189
.LBB279_188:
	v_mov_b32_e32 v30, 0
.LBB279_189:
	v_pk_add_f16 v31, v12, v26
	v_pk_max_f16 v48, v90, v90
	s_nop 0
	v_pk_min_f16 v31, v48, v31
	v_pk_add_f16 v48, v13, v27
	s_nop 0
	v_pk_min_f16 v31, v31, v48
	s_nop 0
	v_lshrrev_b32_e32 v48, 16, v31
	v_min3_f16 v48, v30, v31, v48
	v_lshl_add_u64 v[30:31], v[36:37], 1, v[24:25]
	global_store_short v[30:31], v48, off
	s_or_b64 exec, exec, s[26:27]
	s_and_b64 s[34:35], s[8:9], s[18:19]
	s_and_saveexec_b64 s[26:27], s[34:35]
	s_cbranch_execz .LBB279_174
.LBB279_190:
	s_and_b64 vcc, exec, s[0:1]
	s_cbranch_vccnz .LBB279_192
; %bb.191:
	v_lshl_add_u64 v[30:31], v[38:39], 1, v[28:29]
	flat_load_ushort v30, v[30:31]
	s_waitcnt vmcnt(0) lgkmcnt(0)
	v_mul_f16_e32 v30, v52, v30
	s_branch .LBB279_193
.LBB279_192:
	v_mov_b32_e32 v30, 0
.LBB279_193:
	v_pk_add_f16 v31, v14, v26
	v_pk_max_f16 v48, v89, v89
	s_nop 0
	v_pk_min_f16 v31, v48, v31
	v_pk_add_f16 v48, v15, v27
	s_nop 0
	v_pk_min_f16 v31, v31, v48
	s_nop 0
	v_lshrrev_b32_e32 v48, 16, v31
	v_min3_f16 v48, v30, v31, v48
	v_lshl_add_u64 v[30:31], v[38:39], 1, v[24:25]
	global_store_short v[30:31], v48, off
	s_or_b64 exec, exec, s[26:27]
	s_and_b64 s[34:35], s[10:11], s[18:19]
	s_and_saveexec_b64 s[26:27], s[34:35]
	s_cbranch_execz .LBB279_175
.LBB279_194:
	s_and_b64 vcc, exec, s[0:1]
	s_cbranch_vccnz .LBB279_196
; %bb.195:
	v_lshl_add_u64 v[30:31], v[40:41], 1, v[28:29]
	flat_load_ushort v30, v[30:31]
	s_waitcnt vmcnt(0) lgkmcnt(0)
	v_mul_f16_e32 v30, v52, v30
	s_branch .LBB279_197
.LBB279_196:
	v_mov_b32_e32 v30, 0
.LBB279_197:
	v_pk_add_f16 v31, v8, v26
	v_pk_max_f16 v48, v88, v88
	s_nop 0
	v_pk_min_f16 v31, v48, v31
	v_pk_add_f16 v48, v9, v27
	s_nop 0
	v_pk_min_f16 v31, v31, v48
	s_nop 0
	v_lshrrev_b32_e32 v48, 16, v31
	v_min3_f16 v48, v30, v31, v48
	v_lshl_add_u64 v[30:31], v[40:41], 1, v[24:25]
	global_store_short v[30:31], v48, off
	s_or_b64 exec, exec, s[26:27]
	s_and_b64 s[34:35], s[12:13], s[18:19]
	s_and_saveexec_b64 s[26:27], s[34:35]
	s_cbranch_execz .LBB279_176
.LBB279_198:
	s_and_b64 vcc, exec, s[0:1]
	s_cbranch_vccnz .LBB279_200
; %bb.199:
	v_lshl_add_u64 v[30:31], v[42:43], 1, v[28:29]
	flat_load_ushort v30, v[30:31]
	s_waitcnt vmcnt(0) lgkmcnt(0)
	v_mul_f16_e32 v30, v52, v30
	s_branch .LBB279_201
.LBB279_200:
	v_mov_b32_e32 v30, 0
.LBB279_201:
	v_pk_add_f16 v31, v10, v26
	v_pk_max_f16 v48, v87, v87
	s_nop 0
	v_pk_min_f16 v31, v48, v31
	v_pk_add_f16 v48, v11, v27
	s_nop 0
	v_pk_min_f16 v31, v31, v48
	s_nop 0
	v_lshrrev_b32_e32 v48, 16, v31
	v_min3_f16 v48, v30, v31, v48
	v_lshl_add_u64 v[30:31], v[42:43], 1, v[24:25]
	global_store_short v[30:31], v48, off
	s_or_b64 exec, exec, s[26:27]
	s_and_b64 s[34:35], s[14:15], s[18:19]
	s_and_saveexec_b64 s[26:27], s[34:35]
	s_cbranch_execz .LBB279_177
.LBB279_202:
	s_and_b64 vcc, exec, s[0:1]
	s_cbranch_vccnz .LBB279_204
; %bb.203:
	v_lshl_add_u64 v[30:31], v[44:45], 1, v[28:29]
	flat_load_ushort v30, v[30:31]
	s_waitcnt vmcnt(0) lgkmcnt(0)
	v_mul_f16_e32 v30, v52, v30
	s_branch .LBB279_205
.LBB279_204:
	v_mov_b32_e32 v30, 0
.LBB279_205:
	v_pk_add_f16 v31, v0, v26
	v_pk_max_f16 v48, v86, v86
	s_nop 0
	v_pk_min_f16 v31, v48, v31
	v_pk_add_f16 v48, v1, v27
	s_nop 0
	v_pk_min_f16 v31, v31, v48
	s_nop 0
	v_lshrrev_b32_e32 v48, 16, v31
	v_min3_f16 v48, v30, v31, v48
	v_lshl_add_u64 v[30:31], v[44:45], 1, v[24:25]
	global_store_short v[30:31], v48, off
	s_or_b64 exec, exec, s[26:27]
	s_and_b64 s[26:27], s[16:17], s[18:19]
	s_and_saveexec_b64 s[18:19], s[26:27]
	s_cbranch_execz .LBB279_210
.LBB279_206:
	s_and_b64 vcc, exec, s[0:1]
	s_cbranch_vccnz .LBB279_208
; %bb.207:
	v_lshl_add_u64 v[28:29], v[46:47], 1, v[28:29]
	flat_load_ushort v28, v[28:29]
	s_waitcnt vmcnt(0) lgkmcnt(0)
	v_mul_f16_e32 v28, v52, v28
	s_branch .LBB279_209
.LBB279_208:
	v_mov_b32_e32 v28, 0
.LBB279_209:
	v_pk_add_f16 v26, v2, v26
	v_pk_max_f16 v29, v85, v85
	v_pk_add_f16 v27, v3, v27
	v_pk_min_f16 v26, v29, v26
	v_lshl_add_u64 v[24:25], v[46:47], 1, v[24:25]
	v_pk_min_f16 v26, v26, v27
	s_nop 0
	v_lshrrev_b32_e32 v27, 16, v26
	v_min3_f16 v26, v28, v26, v27
	global_store_short v[24:25], v26, off
.LBB279_210:
	s_or_b64 exec, exec, s[18:19]
	v_add_u32_e32 v28, 0x80, v94
	v_mad_i64_i32 v[24:25], s[26:27], v28, s30, 0
	v_cmp_gt_i32_e64 s[18:19], s21, v28
	v_lshl_add_u64 v[26:27], v[24:25], 1, s[24:25]
	v_mad_i64_i32 v[24:25], s[26:27], v28, s29, 0
	v_lshl_add_u64 v[24:25], v[24:25], 1, s[22:23]
	s_and_b64 s[34:35], s[4:5], s[18:19]
	s_and_saveexec_b64 s[26:27], s[34:35]
	s_cbranch_execnz .LBB279_218
; %bb.211:
	s_or_b64 exec, exec, s[26:27]
	s_and_b64 s[34:35], s[2:3], s[18:19]
	s_and_saveexec_b64 s[26:27], s[34:35]
	s_cbranch_execnz .LBB279_222
.LBB279_212:
	s_or_b64 exec, exec, s[26:27]
	s_and_b64 s[34:35], s[6:7], s[18:19]
	s_and_saveexec_b64 s[26:27], s[34:35]
	s_cbranch_execnz .LBB279_226
.LBB279_213:
	s_or_b64 exec, exec, s[26:27]
	s_and_b64 s[34:35], s[8:9], s[18:19]
	s_and_saveexec_b64 s[26:27], s[34:35]
	s_cbranch_execnz .LBB279_230
.LBB279_214:
	s_or_b64 exec, exec, s[26:27]
	s_and_b64 s[34:35], s[10:11], s[18:19]
	s_and_saveexec_b64 s[26:27], s[34:35]
	s_cbranch_execnz .LBB279_234
.LBB279_215:
	s_or_b64 exec, exec, s[26:27]
	s_and_b64 s[34:35], s[12:13], s[18:19]
	s_and_saveexec_b64 s[26:27], s[34:35]
	s_cbranch_execnz .LBB279_238
.LBB279_216:
	s_or_b64 exec, exec, s[26:27]
	s_and_b64 s[34:35], s[14:15], s[18:19]
	s_and_saveexec_b64 s[26:27], s[34:35]
	s_cbranch_execnz .LBB279_242
.LBB279_217:
	s_or_b64 exec, exec, s[26:27]
	s_and_b64 s[26:27], s[16:17], s[18:19]
	s_and_saveexec_b64 s[18:19], s[26:27]
	s_cbranch_execnz .LBB279_246
	s_branch .LBB279_250
.LBB279_218:
	s_and_b64 vcc, exec, s[0:1]
	s_cbranch_vccnz .LBB279_220
; %bb.219:
	v_lshl_add_u64 v[28:29], v[32:33], 1, v[26:27]
	flat_load_ushort v28, v[28:29]
	s_waitcnt vmcnt(0) lgkmcnt(0)
	v_mul_f16_e32 v28, v52, v28
	s_branch .LBB279_221
.LBB279_220:
	v_mov_b32_e32 v28, 0
.LBB279_221:
	s_waitcnt lgkmcnt(1)
	v_pk_add_f16 v29, v16, v20
	v_pk_max_f16 v30, v84, v84
	s_nop 0
	v_pk_min_f16 v29, v30, v29
	v_pk_add_f16 v30, v17, v21
	s_nop 0
	v_pk_min_f16 v29, v29, v30
	s_nop 0
	v_lshrrev_b32_e32 v30, 16, v29
	v_min3_f16 v30, v28, v29, v30
	v_lshl_add_u64 v[28:29], v[32:33], 1, v[24:25]
	global_store_short v[28:29], v30, off
	s_or_b64 exec, exec, s[26:27]
	s_and_b64 s[34:35], s[2:3], s[18:19]
	s_and_saveexec_b64 s[26:27], s[34:35]
	s_cbranch_execz .LBB279_212
.LBB279_222:
	s_and_b64 vcc, exec, s[0:1]
	s_cbranch_vccnz .LBB279_224
; %bb.223:
	v_lshl_add_u64 v[28:29], v[34:35], 1, v[26:27]
	flat_load_ushort v28, v[28:29]
	s_waitcnt vmcnt(0) lgkmcnt(0)
	v_mul_f16_e32 v28, v52, v28
	s_branch .LBB279_225
.LBB279_224:
	v_mov_b32_e32 v28, 0
.LBB279_225:
	s_waitcnt lgkmcnt(1)
	v_pk_add_f16 v29, v18, v20
	v_pk_max_f16 v30, v83, v83
	s_nop 0
	v_pk_min_f16 v29, v30, v29
	v_pk_add_f16 v30, v19, v21
	s_nop 0
	v_pk_min_f16 v29, v29, v30
	s_nop 0
	v_lshrrev_b32_e32 v30, 16, v29
	v_min3_f16 v30, v28, v29, v30
	v_lshl_add_u64 v[28:29], v[34:35], 1, v[24:25]
	global_store_short v[28:29], v30, off
	s_or_b64 exec, exec, s[26:27]
	s_and_b64 s[34:35], s[6:7], s[18:19]
	s_and_saveexec_b64 s[26:27], s[34:35]
	s_cbranch_execz .LBB279_213
.LBB279_226:
	s_and_b64 vcc, exec, s[0:1]
	s_cbranch_vccnz .LBB279_228
; %bb.227:
	v_lshl_add_u64 v[28:29], v[36:37], 1, v[26:27]
	flat_load_ushort v28, v[28:29]
	s_waitcnt vmcnt(0) lgkmcnt(0)
	v_mul_f16_e32 v28, v52, v28
	s_branch .LBB279_229
.LBB279_228:
	v_mov_b32_e32 v28, 0
.LBB279_229:
	s_waitcnt lgkmcnt(1)
	v_pk_add_f16 v29, v12, v20
	v_pk_max_f16 v30, v82, v82
	s_nop 0
	v_pk_min_f16 v29, v30, v29
	v_pk_add_f16 v30, v13, v21
	s_nop 0
	v_pk_min_f16 v29, v29, v30
	s_nop 0
	v_lshrrev_b32_e32 v30, 16, v29
	v_min3_f16 v30, v28, v29, v30
	v_lshl_add_u64 v[28:29], v[36:37], 1, v[24:25]
	global_store_short v[28:29], v30, off
	s_or_b64 exec, exec, s[26:27]
	s_and_b64 s[34:35], s[8:9], s[18:19]
	s_and_saveexec_b64 s[26:27], s[34:35]
	s_cbranch_execz .LBB279_214
.LBB279_230:
	s_and_b64 vcc, exec, s[0:1]
	s_cbranch_vccnz .LBB279_232
; %bb.231:
	v_lshl_add_u64 v[28:29], v[38:39], 1, v[26:27]
	flat_load_ushort v28, v[28:29]
	s_waitcnt vmcnt(0) lgkmcnt(0)
	v_mul_f16_e32 v28, v52, v28
	s_branch .LBB279_233
.LBB279_232:
	v_mov_b32_e32 v28, 0
.LBB279_233:
	s_waitcnt lgkmcnt(1)
	v_pk_add_f16 v29, v14, v20
	v_pk_max_f16 v30, v81, v81
	s_nop 0
	v_pk_min_f16 v29, v30, v29
	v_pk_add_f16 v30, v15, v21
	s_nop 0
	v_pk_min_f16 v29, v29, v30
	s_nop 0
	v_lshrrev_b32_e32 v30, 16, v29
	v_min3_f16 v30, v28, v29, v30
	v_lshl_add_u64 v[28:29], v[38:39], 1, v[24:25]
	global_store_short v[28:29], v30, off
	s_or_b64 exec, exec, s[26:27]
	s_and_b64 s[34:35], s[10:11], s[18:19]
	s_and_saveexec_b64 s[26:27], s[34:35]
	s_cbranch_execz .LBB279_215
.LBB279_234:
	s_and_b64 vcc, exec, s[0:1]
	s_cbranch_vccnz .LBB279_236
; %bb.235:
	v_lshl_add_u64 v[28:29], v[40:41], 1, v[26:27]
	flat_load_ushort v28, v[28:29]
	s_waitcnt vmcnt(0) lgkmcnt(0)
	v_mul_f16_e32 v28, v52, v28
	s_branch .LBB279_237
.LBB279_236:
	v_mov_b32_e32 v28, 0
.LBB279_237:
	s_waitcnt lgkmcnt(1)
	v_pk_add_f16 v29, v8, v20
	v_pk_max_f16 v30, v80, v80
	s_nop 0
	v_pk_min_f16 v29, v30, v29
	v_pk_add_f16 v30, v9, v21
	s_nop 0
	v_pk_min_f16 v29, v29, v30
	s_nop 0
	v_lshrrev_b32_e32 v30, 16, v29
	v_min3_f16 v30, v28, v29, v30
	v_lshl_add_u64 v[28:29], v[40:41], 1, v[24:25]
	global_store_short v[28:29], v30, off
	s_or_b64 exec, exec, s[26:27]
	s_and_b64 s[34:35], s[12:13], s[18:19]
	s_and_saveexec_b64 s[26:27], s[34:35]
	s_cbranch_execz .LBB279_216
.LBB279_238:
	s_and_b64 vcc, exec, s[0:1]
	s_cbranch_vccnz .LBB279_240
; %bb.239:
	v_lshl_add_u64 v[28:29], v[42:43], 1, v[26:27]
	flat_load_ushort v28, v[28:29]
	s_waitcnt vmcnt(0) lgkmcnt(0)
	v_mul_f16_e32 v28, v52, v28
	s_branch .LBB279_241
.LBB279_240:
	v_mov_b32_e32 v28, 0
.LBB279_241:
	s_waitcnt lgkmcnt(1)
	v_pk_add_f16 v29, v10, v20
	v_pk_max_f16 v30, v79, v79
	s_nop 0
	v_pk_min_f16 v29, v30, v29
	v_pk_add_f16 v30, v11, v21
	s_nop 0
	v_pk_min_f16 v29, v29, v30
	s_nop 0
	v_lshrrev_b32_e32 v30, 16, v29
	v_min3_f16 v30, v28, v29, v30
	v_lshl_add_u64 v[28:29], v[42:43], 1, v[24:25]
	global_store_short v[28:29], v30, off
	s_or_b64 exec, exec, s[26:27]
	s_and_b64 s[34:35], s[14:15], s[18:19]
	s_and_saveexec_b64 s[26:27], s[34:35]
	s_cbranch_execz .LBB279_217
.LBB279_242:
	s_and_b64 vcc, exec, s[0:1]
	s_cbranch_vccnz .LBB279_244
; %bb.243:
	v_lshl_add_u64 v[28:29], v[44:45], 1, v[26:27]
	flat_load_ushort v28, v[28:29]
	s_waitcnt vmcnt(0) lgkmcnt(0)
	v_mul_f16_e32 v28, v52, v28
	s_branch .LBB279_245
.LBB279_244:
	v_mov_b32_e32 v28, 0
.LBB279_245:
	s_waitcnt lgkmcnt(1)
	v_pk_add_f16 v29, v0, v20
	v_pk_max_f16 v30, v78, v78
	s_nop 0
	v_pk_min_f16 v29, v30, v29
	v_pk_add_f16 v30, v1, v21
	s_nop 0
	v_pk_min_f16 v29, v29, v30
	s_nop 0
	v_lshrrev_b32_e32 v30, 16, v29
	v_min3_f16 v30, v28, v29, v30
	v_lshl_add_u64 v[28:29], v[44:45], 1, v[24:25]
	global_store_short v[28:29], v30, off
	s_or_b64 exec, exec, s[26:27]
	s_and_b64 s[26:27], s[16:17], s[18:19]
	s_and_saveexec_b64 s[18:19], s[26:27]
	s_cbranch_execz .LBB279_250
.LBB279_246:
	s_and_b64 vcc, exec, s[0:1]
	s_cbranch_vccnz .LBB279_248
; %bb.247:
	v_lshl_add_u64 v[26:27], v[46:47], 1, v[26:27]
	flat_load_ushort v26, v[26:27]
	s_waitcnt vmcnt(0) lgkmcnt(0)
	v_mul_f16_e32 v26, v52, v26
	s_branch .LBB279_249
.LBB279_248:
	v_mov_b32_e32 v26, 0
.LBB279_249:
	s_waitcnt lgkmcnt(1)
	v_pk_add_f16 v20, v2, v20
	v_pk_max_f16 v27, v77, v77
	v_pk_add_f16 v21, v3, v21
	v_pk_min_f16 v20, v27, v20
	s_nop 0
	v_pk_min_f16 v20, v20, v21
	s_nop 0
	v_lshrrev_b32_e32 v21, 16, v20
	v_min3_f16 v26, v26, v20, v21
	v_lshl_add_u64 v[20:21], v[46:47], 1, v[24:25]
	global_store_short v[20:21], v26, off
.LBB279_250:
	s_or_b64 exec, exec, s[18:19]
	v_add_u32_e32 v26, 0xa0, v94
	s_waitcnt lgkmcnt(1)
	v_mad_i64_i32 v[20:21], s[26:27], v26, s30, 0
	v_cmp_gt_i32_e64 s[18:19], s21, v26
	v_lshl_add_u64 v[24:25], v[20:21], 1, s[24:25]
	v_mad_i64_i32 v[20:21], s[26:27], v26, s29, 0
	v_lshl_add_u64 v[20:21], v[20:21], 1, s[22:23]
	s_and_b64 s[34:35], s[4:5], s[18:19]
	s_and_saveexec_b64 s[26:27], s[34:35]
	s_cbranch_execnz .LBB279_258
; %bb.251:
	s_or_b64 exec, exec, s[26:27]
	s_and_b64 s[34:35], s[2:3], s[18:19]
	s_and_saveexec_b64 s[26:27], s[34:35]
	s_cbranch_execnz .LBB279_262
.LBB279_252:
	s_or_b64 exec, exec, s[26:27]
	s_and_b64 s[34:35], s[6:7], s[18:19]
	s_and_saveexec_b64 s[26:27], s[34:35]
	s_cbranch_execnz .LBB279_266
.LBB279_253:
	s_or_b64 exec, exec, s[26:27]
	s_and_b64 s[34:35], s[8:9], s[18:19]
	s_and_saveexec_b64 s[26:27], s[34:35]
	s_cbranch_execnz .LBB279_270
.LBB279_254:
	s_or_b64 exec, exec, s[26:27]
	s_and_b64 s[34:35], s[10:11], s[18:19]
	s_and_saveexec_b64 s[26:27], s[34:35]
	s_cbranch_execnz .LBB279_274
.LBB279_255:
	s_or_b64 exec, exec, s[26:27]
	s_and_b64 s[34:35], s[12:13], s[18:19]
	s_and_saveexec_b64 s[26:27], s[34:35]
	s_cbranch_execnz .LBB279_278
.LBB279_256:
	s_or_b64 exec, exec, s[26:27]
	s_and_b64 s[34:35], s[14:15], s[18:19]
	s_and_saveexec_b64 s[26:27], s[34:35]
	s_cbranch_execnz .LBB279_282
.LBB279_257:
	s_or_b64 exec, exec, s[26:27]
	s_and_b64 s[26:27], s[16:17], s[18:19]
	s_and_saveexec_b64 s[18:19], s[26:27]
	s_cbranch_execnz .LBB279_286
	s_branch .LBB279_290
.LBB279_258:
	s_and_b64 vcc, exec, s[0:1]
	s_cbranch_vccnz .LBB279_260
; %bb.259:
	v_lshl_add_u64 v[26:27], v[32:33], 1, v[24:25]
	flat_load_ushort v26, v[26:27]
	s_waitcnt vmcnt(0) lgkmcnt(0)
	v_mul_f16_e32 v26, v52, v26
	s_branch .LBB279_261
.LBB279_260:
	v_mov_b32_e32 v26, 0
.LBB279_261:
	v_pk_add_f16 v27, v16, v22
	v_pk_max_f16 v28, v76, v76
	s_nop 0
	v_pk_min_f16 v27, v28, v27
	v_pk_add_f16 v28, v17, v23
	s_nop 0
	v_pk_min_f16 v27, v27, v28
	s_nop 0
	v_lshrrev_b32_e32 v28, 16, v27
	v_min3_f16 v28, v26, v27, v28
	v_lshl_add_u64 v[26:27], v[32:33], 1, v[20:21]
	global_store_short v[26:27], v28, off
	s_or_b64 exec, exec, s[26:27]
	s_and_b64 s[34:35], s[2:3], s[18:19]
	s_and_saveexec_b64 s[26:27], s[34:35]
	s_cbranch_execz .LBB279_252
.LBB279_262:
	s_and_b64 vcc, exec, s[0:1]
	s_cbranch_vccnz .LBB279_264
; %bb.263:
	v_lshl_add_u64 v[26:27], v[34:35], 1, v[24:25]
	flat_load_ushort v26, v[26:27]
	s_waitcnt vmcnt(0) lgkmcnt(0)
	v_mul_f16_e32 v26, v52, v26
	s_branch .LBB279_265
.LBB279_264:
	v_mov_b32_e32 v26, 0
.LBB279_265:
	v_pk_add_f16 v27, v18, v22
	v_pk_max_f16 v28, v75, v75
	s_nop 0
	v_pk_min_f16 v27, v28, v27
	v_pk_add_f16 v28, v19, v23
	s_nop 0
	v_pk_min_f16 v27, v27, v28
	s_nop 0
	v_lshrrev_b32_e32 v28, 16, v27
	v_min3_f16 v28, v26, v27, v28
	v_lshl_add_u64 v[26:27], v[34:35], 1, v[20:21]
	global_store_short v[26:27], v28, off
	s_or_b64 exec, exec, s[26:27]
	s_and_b64 s[34:35], s[6:7], s[18:19]
	s_and_saveexec_b64 s[26:27], s[34:35]
	s_cbranch_execz .LBB279_253
.LBB279_266:
	s_and_b64 vcc, exec, s[0:1]
	s_cbranch_vccnz .LBB279_268
; %bb.267:
	v_lshl_add_u64 v[26:27], v[36:37], 1, v[24:25]
	flat_load_ushort v26, v[26:27]
	s_waitcnt vmcnt(0) lgkmcnt(0)
	v_mul_f16_e32 v26, v52, v26
	s_branch .LBB279_269
.LBB279_268:
	v_mov_b32_e32 v26, 0
.LBB279_269:
	v_pk_add_f16 v27, v12, v22
	v_pk_max_f16 v28, v74, v74
	s_nop 0
	v_pk_min_f16 v27, v28, v27
	v_pk_add_f16 v28, v13, v23
	s_nop 0
	v_pk_min_f16 v27, v27, v28
	s_nop 0
	v_lshrrev_b32_e32 v28, 16, v27
	v_min3_f16 v28, v26, v27, v28
	v_lshl_add_u64 v[26:27], v[36:37], 1, v[20:21]
	global_store_short v[26:27], v28, off
	s_or_b64 exec, exec, s[26:27]
	s_and_b64 s[34:35], s[8:9], s[18:19]
	s_and_saveexec_b64 s[26:27], s[34:35]
	s_cbranch_execz .LBB279_254
.LBB279_270:
	s_and_b64 vcc, exec, s[0:1]
	s_cbranch_vccnz .LBB279_272
; %bb.271:
	v_lshl_add_u64 v[26:27], v[38:39], 1, v[24:25]
	flat_load_ushort v26, v[26:27]
	s_waitcnt vmcnt(0) lgkmcnt(0)
	v_mul_f16_e32 v26, v52, v26
	s_branch .LBB279_273
.LBB279_272:
	v_mov_b32_e32 v26, 0
.LBB279_273:
	v_pk_add_f16 v27, v14, v22
	v_pk_max_f16 v28, v73, v73
	s_nop 0
	v_pk_min_f16 v27, v28, v27
	v_pk_add_f16 v28, v15, v23
	s_nop 0
	v_pk_min_f16 v27, v27, v28
	s_nop 0
	v_lshrrev_b32_e32 v28, 16, v27
	v_min3_f16 v28, v26, v27, v28
	v_lshl_add_u64 v[26:27], v[38:39], 1, v[20:21]
	global_store_short v[26:27], v28, off
	s_or_b64 exec, exec, s[26:27]
	s_and_b64 s[34:35], s[10:11], s[18:19]
	s_and_saveexec_b64 s[26:27], s[34:35]
	s_cbranch_execz .LBB279_255
.LBB279_274:
	s_and_b64 vcc, exec, s[0:1]
	s_cbranch_vccnz .LBB279_276
; %bb.275:
	v_lshl_add_u64 v[26:27], v[40:41], 1, v[24:25]
	flat_load_ushort v26, v[26:27]
	s_waitcnt vmcnt(0) lgkmcnt(0)
	v_mul_f16_e32 v26, v52, v26
	s_branch .LBB279_277
.LBB279_276:
	v_mov_b32_e32 v26, 0
.LBB279_277:
	v_pk_add_f16 v27, v8, v22
	v_pk_max_f16 v28, v72, v72
	s_nop 0
	v_pk_min_f16 v27, v28, v27
	v_pk_add_f16 v28, v9, v23
	s_nop 0
	v_pk_min_f16 v27, v27, v28
	s_nop 0
	v_lshrrev_b32_e32 v28, 16, v27
	v_min3_f16 v28, v26, v27, v28
	v_lshl_add_u64 v[26:27], v[40:41], 1, v[20:21]
	global_store_short v[26:27], v28, off
	s_or_b64 exec, exec, s[26:27]
	s_and_b64 s[34:35], s[12:13], s[18:19]
	s_and_saveexec_b64 s[26:27], s[34:35]
	s_cbranch_execz .LBB279_256
.LBB279_278:
	s_and_b64 vcc, exec, s[0:1]
	s_cbranch_vccnz .LBB279_280
; %bb.279:
	v_lshl_add_u64 v[26:27], v[42:43], 1, v[24:25]
	flat_load_ushort v26, v[26:27]
	s_waitcnt vmcnt(0) lgkmcnt(0)
	v_mul_f16_e32 v26, v52, v26
	s_branch .LBB279_281
.LBB279_280:
	v_mov_b32_e32 v26, 0
.LBB279_281:
	v_pk_add_f16 v27, v10, v22
	v_pk_max_f16 v28, v71, v71
	s_nop 0
	v_pk_min_f16 v27, v28, v27
	v_pk_add_f16 v28, v11, v23
	s_nop 0
	v_pk_min_f16 v27, v27, v28
	s_nop 0
	v_lshrrev_b32_e32 v28, 16, v27
	v_min3_f16 v28, v26, v27, v28
	v_lshl_add_u64 v[26:27], v[42:43], 1, v[20:21]
	global_store_short v[26:27], v28, off
	s_or_b64 exec, exec, s[26:27]
	s_and_b64 s[34:35], s[14:15], s[18:19]
	s_and_saveexec_b64 s[26:27], s[34:35]
	s_cbranch_execz .LBB279_257
.LBB279_282:
	s_and_b64 vcc, exec, s[0:1]
	s_cbranch_vccnz .LBB279_284
; %bb.283:
	v_lshl_add_u64 v[26:27], v[44:45], 1, v[24:25]
	flat_load_ushort v26, v[26:27]
	s_waitcnt vmcnt(0) lgkmcnt(0)
	v_mul_f16_e32 v26, v52, v26
	s_branch .LBB279_285
.LBB279_284:
	v_mov_b32_e32 v26, 0
.LBB279_285:
	v_pk_add_f16 v27, v0, v22
	v_pk_max_f16 v28, v70, v70
	s_nop 0
	v_pk_min_f16 v27, v28, v27
	v_pk_add_f16 v28, v1, v23
	s_nop 0
	v_pk_min_f16 v27, v27, v28
	s_nop 0
	v_lshrrev_b32_e32 v28, 16, v27
	v_min3_f16 v28, v26, v27, v28
	v_lshl_add_u64 v[26:27], v[44:45], 1, v[20:21]
	global_store_short v[26:27], v28, off
	s_or_b64 exec, exec, s[26:27]
	s_and_b64 s[26:27], s[16:17], s[18:19]
	s_and_saveexec_b64 s[18:19], s[26:27]
	s_cbranch_execz .LBB279_290
.LBB279_286:
	s_and_b64 vcc, exec, s[0:1]
	s_cbranch_vccnz .LBB279_288
; %bb.287:
	v_lshl_add_u64 v[24:25], v[46:47], 1, v[24:25]
	flat_load_ushort v24, v[24:25]
	s_waitcnt vmcnt(0) lgkmcnt(0)
	v_mul_f16_e32 v24, v52, v24
	s_branch .LBB279_289
.LBB279_288:
	v_mov_b32_e32 v24, 0
.LBB279_289:
	v_pk_add_f16 v22, v2, v22
	v_pk_max_f16 v25, v69, v69
	v_pk_add_f16 v23, v3, v23
	v_pk_min_f16 v22, v25, v22
	v_lshl_add_u64 v[20:21], v[46:47], 1, v[20:21]
	v_pk_min_f16 v22, v22, v23
	s_nop 0
	v_lshrrev_b32_e32 v23, 16, v22
	v_min3_f16 v22, v24, v22, v23
	global_store_short v[20:21], v22, off
.LBB279_290:
	s_or_b64 exec, exec, s[18:19]
	v_add_u32_e32 v24, 0xc0, v94
	v_mad_i64_i32 v[20:21], s[26:27], v24, s30, 0
	v_cmp_gt_i32_e64 s[18:19], s21, v24
	v_lshl_add_u64 v[22:23], v[20:21], 1, s[24:25]
	v_mad_i64_i32 v[20:21], s[26:27], v24, s29, 0
	v_lshl_add_u64 v[20:21], v[20:21], 1, s[22:23]
	s_and_b64 s[34:35], s[4:5], s[18:19]
	s_and_saveexec_b64 s[26:27], s[34:35]
	s_cbranch_execnz .LBB279_298
; %bb.291:
	s_or_b64 exec, exec, s[26:27]
	s_and_b64 s[34:35], s[2:3], s[18:19]
	s_and_saveexec_b64 s[26:27], s[34:35]
	s_cbranch_execnz .LBB279_302
.LBB279_292:
	s_or_b64 exec, exec, s[26:27]
	s_and_b64 s[34:35], s[6:7], s[18:19]
	s_and_saveexec_b64 s[26:27], s[34:35]
	s_cbranch_execnz .LBB279_306
.LBB279_293:
	s_or_b64 exec, exec, s[26:27]
	s_and_b64 s[34:35], s[8:9], s[18:19]
	s_and_saveexec_b64 s[26:27], s[34:35]
	s_cbranch_execnz .LBB279_310
.LBB279_294:
	s_or_b64 exec, exec, s[26:27]
	s_and_b64 s[34:35], s[10:11], s[18:19]
	s_and_saveexec_b64 s[26:27], s[34:35]
	s_cbranch_execnz .LBB279_314
.LBB279_295:
	s_or_b64 exec, exec, s[26:27]
	s_and_b64 s[34:35], s[12:13], s[18:19]
	s_and_saveexec_b64 s[26:27], s[34:35]
	s_cbranch_execnz .LBB279_318
.LBB279_296:
	s_or_b64 exec, exec, s[26:27]
	s_and_b64 s[34:35], s[14:15], s[18:19]
	s_and_saveexec_b64 s[26:27], s[34:35]
	s_cbranch_execnz .LBB279_322
.LBB279_297:
	s_or_b64 exec, exec, s[26:27]
	s_and_b64 s[26:27], s[16:17], s[18:19]
	s_and_saveexec_b64 s[18:19], s[26:27]
	s_cbranch_execnz .LBB279_326
	s_branch .LBB279_330
.LBB279_298:
	s_and_b64 vcc, exec, s[0:1]
	s_cbranch_vccnz .LBB279_300
; %bb.299:
	v_lshl_add_u64 v[24:25], v[32:33], 1, v[22:23]
	flat_load_ushort v24, v[24:25]
	s_waitcnt vmcnt(0) lgkmcnt(0)
	v_mul_f16_e32 v24, v52, v24
	s_branch .LBB279_301
.LBB279_300:
	v_mov_b32_e32 v24, 0
.LBB279_301:
	s_waitcnt lgkmcnt(0)
	v_pk_add_f16 v25, v16, v4
	v_pk_max_f16 v26, v68, v68
	s_nop 0
	v_pk_min_f16 v25, v26, v25
	v_pk_add_f16 v26, v17, v5
	s_nop 0
	v_pk_min_f16 v25, v25, v26
	s_nop 0
	v_lshrrev_b32_e32 v26, 16, v25
	v_min3_f16 v26, v24, v25, v26
	v_lshl_add_u64 v[24:25], v[32:33], 1, v[20:21]
	global_store_short v[24:25], v26, off
	s_or_b64 exec, exec, s[26:27]
	s_and_b64 s[34:35], s[2:3], s[18:19]
	s_and_saveexec_b64 s[26:27], s[34:35]
	s_cbranch_execz .LBB279_292
.LBB279_302:
	s_and_b64 vcc, exec, s[0:1]
	s_cbranch_vccnz .LBB279_304
; %bb.303:
	v_lshl_add_u64 v[24:25], v[34:35], 1, v[22:23]
	flat_load_ushort v24, v[24:25]
	s_waitcnt vmcnt(0) lgkmcnt(0)
	v_mul_f16_e32 v24, v52, v24
	s_branch .LBB279_305
.LBB279_304:
	v_mov_b32_e32 v24, 0
.LBB279_305:
	s_waitcnt lgkmcnt(0)
	v_pk_add_f16 v25, v18, v4
	v_pk_max_f16 v26, v67, v67
	s_nop 0
	v_pk_min_f16 v25, v26, v25
	v_pk_add_f16 v26, v19, v5
	s_nop 0
	v_pk_min_f16 v25, v25, v26
	s_nop 0
	v_lshrrev_b32_e32 v26, 16, v25
	v_min3_f16 v26, v24, v25, v26
	v_lshl_add_u64 v[24:25], v[34:35], 1, v[20:21]
	global_store_short v[24:25], v26, off
	s_or_b64 exec, exec, s[26:27]
	s_and_b64 s[34:35], s[6:7], s[18:19]
	s_and_saveexec_b64 s[26:27], s[34:35]
	s_cbranch_execz .LBB279_293
.LBB279_306:
	s_and_b64 vcc, exec, s[0:1]
	s_cbranch_vccnz .LBB279_308
; %bb.307:
	v_lshl_add_u64 v[24:25], v[36:37], 1, v[22:23]
	flat_load_ushort v24, v[24:25]
	s_waitcnt vmcnt(0) lgkmcnt(0)
	v_mul_f16_e32 v24, v52, v24
	s_branch .LBB279_309
.LBB279_308:
	v_mov_b32_e32 v24, 0
.LBB279_309:
	s_waitcnt lgkmcnt(0)
	v_pk_add_f16 v25, v12, v4
	v_pk_max_f16 v26, v66, v66
	s_nop 0
	v_pk_min_f16 v25, v26, v25
	v_pk_add_f16 v26, v13, v5
	s_nop 0
	v_pk_min_f16 v25, v25, v26
	s_nop 0
	v_lshrrev_b32_e32 v26, 16, v25
	v_min3_f16 v26, v24, v25, v26
	v_lshl_add_u64 v[24:25], v[36:37], 1, v[20:21]
	global_store_short v[24:25], v26, off
	s_or_b64 exec, exec, s[26:27]
	s_and_b64 s[34:35], s[8:9], s[18:19]
	s_and_saveexec_b64 s[26:27], s[34:35]
	s_cbranch_execz .LBB279_294
.LBB279_310:
	s_and_b64 vcc, exec, s[0:1]
	s_cbranch_vccnz .LBB279_312
; %bb.311:
	v_lshl_add_u64 v[24:25], v[38:39], 1, v[22:23]
	flat_load_ushort v24, v[24:25]
	s_waitcnt vmcnt(0) lgkmcnt(0)
	v_mul_f16_e32 v24, v52, v24
	s_branch .LBB279_313
.LBB279_312:
	v_mov_b32_e32 v24, 0
.LBB279_313:
	s_waitcnt lgkmcnt(0)
	v_pk_add_f16 v25, v14, v4
	v_pk_max_f16 v26, v65, v65
	s_nop 0
	v_pk_min_f16 v25, v26, v25
	v_pk_add_f16 v26, v15, v5
	s_nop 0
	v_pk_min_f16 v25, v25, v26
	s_nop 0
	v_lshrrev_b32_e32 v26, 16, v25
	v_min3_f16 v26, v24, v25, v26
	v_lshl_add_u64 v[24:25], v[38:39], 1, v[20:21]
	global_store_short v[24:25], v26, off
	s_or_b64 exec, exec, s[26:27]
	s_and_b64 s[34:35], s[10:11], s[18:19]
	s_and_saveexec_b64 s[26:27], s[34:35]
	s_cbranch_execz .LBB279_295
.LBB279_314:
	s_and_b64 vcc, exec, s[0:1]
	s_cbranch_vccnz .LBB279_316
; %bb.315:
	v_lshl_add_u64 v[24:25], v[40:41], 1, v[22:23]
	flat_load_ushort v24, v[24:25]
	s_waitcnt vmcnt(0) lgkmcnt(0)
	v_mul_f16_e32 v24, v52, v24
	s_branch .LBB279_317
.LBB279_316:
	v_mov_b32_e32 v24, 0
.LBB279_317:
	s_waitcnt lgkmcnt(0)
	v_pk_add_f16 v25, v8, v4
	v_pk_max_f16 v26, v64, v64
	s_nop 0
	v_pk_min_f16 v25, v26, v25
	v_pk_add_f16 v26, v9, v5
	s_nop 0
	v_pk_min_f16 v25, v25, v26
	s_nop 0
	v_lshrrev_b32_e32 v26, 16, v25
	v_min3_f16 v26, v24, v25, v26
	v_lshl_add_u64 v[24:25], v[40:41], 1, v[20:21]
	global_store_short v[24:25], v26, off
	s_or_b64 exec, exec, s[26:27]
	s_and_b64 s[34:35], s[12:13], s[18:19]
	s_and_saveexec_b64 s[26:27], s[34:35]
	s_cbranch_execz .LBB279_296
.LBB279_318:
	s_and_b64 vcc, exec, s[0:1]
	s_cbranch_vccnz .LBB279_320
; %bb.319:
	v_lshl_add_u64 v[24:25], v[42:43], 1, v[22:23]
	flat_load_ushort v24, v[24:25]
	s_waitcnt vmcnt(0) lgkmcnt(0)
	v_mul_f16_e32 v24, v52, v24
	s_branch .LBB279_321
.LBB279_320:
	v_mov_b32_e32 v24, 0
.LBB279_321:
	s_waitcnt lgkmcnt(0)
	v_pk_add_f16 v25, v10, v4
	v_pk_max_f16 v26, v63, v63
	s_nop 0
	v_pk_min_f16 v25, v26, v25
	v_pk_add_f16 v26, v11, v5
	s_nop 0
	v_pk_min_f16 v25, v25, v26
	s_nop 0
	v_lshrrev_b32_e32 v26, 16, v25
	v_min3_f16 v26, v24, v25, v26
	v_lshl_add_u64 v[24:25], v[42:43], 1, v[20:21]
	global_store_short v[24:25], v26, off
	s_or_b64 exec, exec, s[26:27]
	s_and_b64 s[34:35], s[14:15], s[18:19]
	s_and_saveexec_b64 s[26:27], s[34:35]
	s_cbranch_execz .LBB279_297
.LBB279_322:
	s_and_b64 vcc, exec, s[0:1]
	s_cbranch_vccnz .LBB279_324
; %bb.323:
	v_lshl_add_u64 v[24:25], v[44:45], 1, v[22:23]
	flat_load_ushort v24, v[24:25]
	s_waitcnt vmcnt(0) lgkmcnt(0)
	v_mul_f16_e32 v24, v52, v24
	s_branch .LBB279_325
.LBB279_324:
	v_mov_b32_e32 v24, 0
.LBB279_325:
	s_waitcnt lgkmcnt(0)
	v_pk_add_f16 v25, v0, v4
	v_pk_max_f16 v26, v62, v62
	s_nop 0
	v_pk_min_f16 v25, v26, v25
	v_pk_add_f16 v26, v1, v5
	s_nop 0
	v_pk_min_f16 v25, v25, v26
	s_nop 0
	v_lshrrev_b32_e32 v26, 16, v25
	v_min3_f16 v26, v24, v25, v26
	v_lshl_add_u64 v[24:25], v[44:45], 1, v[20:21]
	global_store_short v[24:25], v26, off
	s_or_b64 exec, exec, s[26:27]
	s_and_b64 s[26:27], s[16:17], s[18:19]
	s_and_saveexec_b64 s[18:19], s[26:27]
	s_cbranch_execz .LBB279_330
.LBB279_326:
	s_and_b64 vcc, exec, s[0:1]
	s_cbranch_vccnz .LBB279_328
; %bb.327:
	v_lshl_add_u64 v[22:23], v[46:47], 1, v[22:23]
	flat_load_ushort v22, v[22:23]
	s_waitcnt vmcnt(0) lgkmcnt(0)
	v_mul_f16_e32 v22, v52, v22
	s_branch .LBB279_329
.LBB279_328:
	v_mov_b32_e32 v22, 0
.LBB279_329:
	s_waitcnt lgkmcnt(0)
	v_pk_add_f16 v4, v2, v4
	v_pk_max_f16 v23, v61, v61
	v_pk_add_f16 v5, v3, v5
	v_pk_min_f16 v4, v23, v4
	s_nop 0
	v_pk_min_f16 v4, v4, v5
	s_nop 0
	v_lshrrev_b32_e32 v5, 16, v4
	v_min3_f16 v22, v22, v4, v5
	v_lshl_add_u64 v[4:5], v[46:47], 1, v[20:21]
	global_store_short v[4:5], v22, off
.LBB279_330:
	s_or_b64 exec, exec, s[18:19]
	v_add_u32_e32 v22, 0xe0, v94
	v_cmp_gt_i32_e64 s[18:19], s21, v22
	s_waitcnt lgkmcnt(0)
	v_mad_i64_i32 v[4:5], s[20:21], v22, s30, 0
	v_lshl_add_u64 v[20:21], v[4:5], 1, s[24:25]
	v_mad_i64_i32 v[4:5], s[20:21], v22, s29, 0
	v_lshl_add_u64 v[4:5], v[4:5], 1, s[22:23]
	s_and_b64 s[20:21], s[4:5], s[18:19]
	s_and_saveexec_b64 s[4:5], s[20:21]
	s_cbranch_execnz .LBB279_339
; %bb.331:
	s_or_b64 exec, exec, s[4:5]
	s_and_b64 s[4:5], s[2:3], s[18:19]
	s_and_saveexec_b64 s[2:3], s[4:5]
	s_cbranch_execnz .LBB279_343
.LBB279_332:
	s_or_b64 exec, exec, s[2:3]
	s_and_b64 s[4:5], s[6:7], s[18:19]
	s_and_saveexec_b64 s[2:3], s[4:5]
	s_cbranch_execnz .LBB279_347
.LBB279_333:
	s_or_b64 exec, exec, s[2:3]
	s_and_b64 s[4:5], s[8:9], s[18:19]
	s_and_saveexec_b64 s[2:3], s[4:5]
	s_cbranch_execnz .LBB279_351
.LBB279_334:
	s_or_b64 exec, exec, s[2:3]
	s_and_b64 s[4:5], s[10:11], s[18:19]
	s_and_saveexec_b64 s[2:3], s[4:5]
	s_cbranch_execnz .LBB279_355
.LBB279_335:
	s_or_b64 exec, exec, s[2:3]
	s_and_b64 s[4:5], s[12:13], s[18:19]
	s_and_saveexec_b64 s[2:3], s[4:5]
	s_cbranch_execnz .LBB279_359
.LBB279_336:
	s_or_b64 exec, exec, s[2:3]
	s_and_b64 s[4:5], s[14:15], s[18:19]
	s_and_saveexec_b64 s[2:3], s[4:5]
	s_cbranch_execnz .LBB279_363
.LBB279_337:
	s_or_b64 exec, exec, s[2:3]
	s_and_b64 s[2:3], s[16:17], s[18:19]
	s_and_saveexec_b64 s[4:5], s[2:3]
	s_cbranch_execnz .LBB279_367
.LBB279_338:
	s_endpgm
.LBB279_339:
	s_and_b64 vcc, exec, s[0:1]
	s_cbranch_vccnz .LBB279_341
; %bb.340:
	v_lshl_add_u64 v[22:23], v[32:33], 1, v[20:21]
	flat_load_ushort v22, v[22:23]
	s_waitcnt vmcnt(0) lgkmcnt(0)
	v_mul_f16_e32 v22, v52, v22
	s_branch .LBB279_342
.LBB279_341:
	v_mov_b32_e32 v22, 0
.LBB279_342:
	v_pk_add_f16 v16, v16, v6
	v_pk_max_f16 v23, v60, v60
	v_pk_add_f16 v17, v17, v7
	v_pk_min_f16 v16, v23, v16
	s_nop 0
	v_pk_min_f16 v16, v16, v17
	s_nop 0
	v_lshrrev_b32_e32 v17, 16, v16
	v_min3_f16 v22, v22, v16, v17
	v_lshl_add_u64 v[16:17], v[32:33], 1, v[4:5]
	global_store_short v[16:17], v22, off
	s_or_b64 exec, exec, s[4:5]
	s_and_b64 s[4:5], s[2:3], s[18:19]
	s_and_saveexec_b64 s[2:3], s[4:5]
	s_cbranch_execz .LBB279_332
.LBB279_343:
	s_and_b64 vcc, exec, s[0:1]
	s_cbranch_vccnz .LBB279_345
; %bb.344:
	v_lshl_add_u64 v[16:17], v[34:35], 1, v[20:21]
	flat_load_ushort v16, v[16:17]
	s_waitcnt vmcnt(0) lgkmcnt(0)
	v_mul_f16_e32 v16, v52, v16
	s_branch .LBB279_346
.LBB279_345:
	v_mov_b32_e32 v16, 0
.LBB279_346:
	v_pk_add_f16 v17, v18, v6
	v_pk_max_f16 v18, v59, v59
	s_nop 0
	v_pk_min_f16 v17, v18, v17
	v_pk_add_f16 v18, v19, v7
	s_nop 0
	v_pk_min_f16 v17, v17, v18
	s_nop 0
	v_lshrrev_b32_e32 v18, 16, v17
	v_min3_f16 v18, v16, v17, v18
	v_lshl_add_u64 v[16:17], v[34:35], 1, v[4:5]
	global_store_short v[16:17], v18, off
	s_or_b64 exec, exec, s[2:3]
	s_and_b64 s[4:5], s[6:7], s[18:19]
	s_and_saveexec_b64 s[2:3], s[4:5]
	s_cbranch_execz .LBB279_333
.LBB279_347:
	s_and_b64 vcc, exec, s[0:1]
	s_cbranch_vccnz .LBB279_349
; %bb.348:
	v_lshl_add_u64 v[16:17], v[36:37], 1, v[20:21]
	flat_load_ushort v16, v[16:17]
	s_waitcnt vmcnt(0) lgkmcnt(0)
	v_mul_f16_e32 v16, v52, v16
	s_branch .LBB279_350
.LBB279_349:
	v_mov_b32_e32 v16, 0
.LBB279_350:
	v_pk_add_f16 v12, v12, v6
	v_pk_max_f16 v17, v58, v58
	v_pk_add_f16 v13, v13, v7
	v_pk_min_f16 v12, v17, v12
	s_nop 0
	v_pk_min_f16 v12, v12, v13
	s_nop 0
	v_lshrrev_b32_e32 v13, 16, v12
	v_min3_f16 v16, v16, v12, v13
	v_lshl_add_u64 v[12:13], v[36:37], 1, v[4:5]
	global_store_short v[12:13], v16, off
	s_or_b64 exec, exec, s[2:3]
	s_and_b64 s[4:5], s[8:9], s[18:19]
	s_and_saveexec_b64 s[2:3], s[4:5]
	s_cbranch_execz .LBB279_334
.LBB279_351:
	s_and_b64 vcc, exec, s[0:1]
	s_cbranch_vccnz .LBB279_353
; %bb.352:
	v_lshl_add_u64 v[12:13], v[38:39], 1, v[20:21]
	flat_load_ushort v12, v[12:13]
	s_waitcnt vmcnt(0) lgkmcnt(0)
	v_mul_f16_e32 v12, v52, v12
	s_branch .LBB279_354
.LBB279_353:
	v_mov_b32_e32 v12, 0
.LBB279_354:
	v_pk_add_f16 v13, v14, v6
	v_pk_max_f16 v14, v56, v56
	s_nop 0
	v_pk_min_f16 v13, v14, v13
	v_pk_add_f16 v14, v15, v7
	s_nop 0
	v_pk_min_f16 v13, v13, v14
	s_nop 0
	v_lshrrev_b32_e32 v14, 16, v13
	v_min3_f16 v14, v12, v13, v14
	v_lshl_add_u64 v[12:13], v[38:39], 1, v[4:5]
	global_store_short v[12:13], v14, off
	s_or_b64 exec, exec, s[2:3]
	s_and_b64 s[4:5], s[10:11], s[18:19]
	s_and_saveexec_b64 s[2:3], s[4:5]
	s_cbranch_execz .LBB279_335
.LBB279_355:
	s_and_b64 vcc, exec, s[0:1]
	s_cbranch_vccnz .LBB279_357
; %bb.356:
	v_lshl_add_u64 v[12:13], v[40:41], 1, v[20:21]
	flat_load_ushort v12, v[12:13]
	s_waitcnt vmcnt(0) lgkmcnt(0)
	v_mul_f16_e32 v12, v52, v12
	s_branch .LBB279_358
.LBB279_357:
	v_mov_b32_e32 v12, 0
.LBB279_358:
	v_pk_add_f16 v8, v8, v6
	v_pk_max_f16 v13, v55, v55
	v_pk_add_f16 v9, v9, v7
	v_pk_min_f16 v8, v13, v8
	s_nop 0
	v_pk_min_f16 v8, v8, v9
	s_nop 0
	v_lshrrev_b32_e32 v9, 16, v8
	v_min3_f16 v12, v12, v8, v9
	v_lshl_add_u64 v[8:9], v[40:41], 1, v[4:5]
	global_store_short v[8:9], v12, off
	s_or_b64 exec, exec, s[2:3]
	s_and_b64 s[4:5], s[12:13], s[18:19]
	s_and_saveexec_b64 s[2:3], s[4:5]
	s_cbranch_execz .LBB279_336
.LBB279_359:
	s_and_b64 vcc, exec, s[0:1]
	s_cbranch_vccnz .LBB279_361
; %bb.360:
	v_lshl_add_u64 v[8:9], v[42:43], 1, v[20:21]
	flat_load_ushort v8, v[8:9]
	s_waitcnt vmcnt(0) lgkmcnt(0)
	v_mul_f16_e32 v8, v52, v8
	s_branch .LBB279_362
.LBB279_361:
	v_mov_b32_e32 v8, 0
.LBB279_362:
	v_pk_add_f16 v9, v10, v6
	v_pk_max_f16 v10, v54, v54
	s_nop 0
	v_pk_min_f16 v9, v10, v9
	v_pk_add_f16 v10, v11, v7
	s_nop 0
	v_pk_min_f16 v9, v9, v10
	s_nop 0
	v_lshrrev_b32_e32 v10, 16, v9
	v_min3_f16 v10, v8, v9, v10
	v_lshl_add_u64 v[8:9], v[42:43], 1, v[4:5]
	global_store_short v[8:9], v10, off
	s_or_b64 exec, exec, s[2:3]
	s_and_b64 s[4:5], s[14:15], s[18:19]
	s_and_saveexec_b64 s[2:3], s[4:5]
	s_cbranch_execz .LBB279_337
.LBB279_363:
	s_and_b64 vcc, exec, s[0:1]
	s_cbranch_vccnz .LBB279_365
; %bb.364:
	v_lshl_add_u64 v[8:9], v[44:45], 1, v[20:21]
	flat_load_ushort v8, v[8:9]
	s_waitcnt vmcnt(0) lgkmcnt(0)
	v_mul_f16_e32 v8, v52, v8
	s_branch .LBB279_366
.LBB279_365:
	v_mov_b32_e32 v8, 0
.LBB279_366:
	v_pk_add_f16 v0, v0, v6
	v_pk_max_f16 v9, v53, v53
	v_pk_add_f16 v1, v1, v7
	v_pk_min_f16 v0, v9, v0
	s_nop 0
	v_pk_min_f16 v0, v0, v1
	s_nop 0
	v_lshrrev_b32_e32 v1, 16, v0
	v_min3_f16 v8, v8, v0, v1
	v_lshl_add_u64 v[0:1], v[44:45], 1, v[4:5]
	global_store_short v[0:1], v8, off
	s_or_b64 exec, exec, s[2:3]
	s_and_b64 s[2:3], s[16:17], s[18:19]
	s_and_saveexec_b64 s[4:5], s[2:3]
	s_cbranch_execz .LBB279_338
.LBB279_367:
	s_and_b64 vcc, exec, s[0:1]
	s_cbranch_vccnz .LBB279_369
; %bb.368:
	v_lshl_add_u64 v[0:1], v[46:47], 1, v[20:21]
	flat_load_ushort v0, v[0:1]
	s_waitcnt vmcnt(0) lgkmcnt(0)
	v_mul_f16_e32 v0, v52, v0
	s_branch .LBB279_370
.LBB279_369:
	v_mov_b32_e32 v0, 0
.LBB279_370:
	v_pk_add_f16 v1, v2, v6
	v_pk_max_f16 v2, v57, v57
	s_nop 0
	v_pk_min_f16 v1, v2, v1
	v_pk_add_f16 v2, v3, v7
	s_nop 0
	v_pk_min_f16 v1, v1, v2
	s_nop 0
	v_lshrrev_b32_e32 v2, 16, v1
	v_min3_f16 v2, v0, v1, v2
	v_lshl_add_u64 v[0:1], v[46:47], 1, v[4:5]
	global_store_short v[0:1], v2, off
	s_endpgm
	.section	.rodata,"a",@progbits
	.p2align	6, 0x0
	.amdhsa_kernel _ZN12_GLOBAL__N_120geam_min_plus_kernelIDF16_Dv2_DF16_S1_Li8ELi32ELi64ELi256ELi4ELi4ELi64ELi64ELi4ELc84ELc84ELb0ELb1ELb1EPKDF16_S2_DF16_EEviiiT16_PT17_ilS6_ilS4_S6_ilPT18_ili26rocblas_geam_ex_operation_
		.amdhsa_group_segment_fixed_size 5120
		.amdhsa_private_segment_fixed_size 0
		.amdhsa_kernarg_size 136
		.amdhsa_user_sgpr_count 2
		.amdhsa_user_sgpr_dispatch_ptr 0
		.amdhsa_user_sgpr_queue_ptr 0
		.amdhsa_user_sgpr_kernarg_segment_ptr 1
		.amdhsa_user_sgpr_dispatch_id 0
		.amdhsa_user_sgpr_kernarg_preload_length 0
		.amdhsa_user_sgpr_kernarg_preload_offset 0
		.amdhsa_user_sgpr_private_segment_size 0
		.amdhsa_uses_dynamic_stack 0
		.amdhsa_enable_private_segment 0
		.amdhsa_system_sgpr_workgroup_id_x 1
		.amdhsa_system_sgpr_workgroup_id_y 0
		.amdhsa_system_sgpr_workgroup_id_z 1
		.amdhsa_system_sgpr_workgroup_info 0
		.amdhsa_system_vgpr_workitem_id 1
		.amdhsa_next_free_vgpr 174
		.amdhsa_next_free_sgpr 40
		.amdhsa_accum_offset 176
		.amdhsa_reserve_vcc 1
		.amdhsa_float_round_mode_32 0
		.amdhsa_float_round_mode_16_64 0
		.amdhsa_float_denorm_mode_32 3
		.amdhsa_float_denorm_mode_16_64 3
		.amdhsa_dx10_clamp 1
		.amdhsa_ieee_mode 1
		.amdhsa_fp16_overflow 0
		.amdhsa_tg_split 0
		.amdhsa_exception_fp_ieee_invalid_op 0
		.amdhsa_exception_fp_denorm_src 0
		.amdhsa_exception_fp_ieee_div_zero 0
		.amdhsa_exception_fp_ieee_overflow 0
		.amdhsa_exception_fp_ieee_underflow 0
		.amdhsa_exception_fp_ieee_inexact 0
		.amdhsa_exception_int_div_zero 0
	.end_amdhsa_kernel
	.section	.text._ZN12_GLOBAL__N_120geam_min_plus_kernelIDF16_Dv2_DF16_S1_Li8ELi32ELi64ELi256ELi4ELi4ELi64ELi64ELi4ELc84ELc84ELb0ELb1ELb1EPKDF16_S2_DF16_EEviiiT16_PT17_ilS6_ilS4_S6_ilPT18_ili26rocblas_geam_ex_operation_,"axG",@progbits,_ZN12_GLOBAL__N_120geam_min_plus_kernelIDF16_Dv2_DF16_S1_Li8ELi32ELi64ELi256ELi4ELi4ELi64ELi64ELi4ELc84ELc84ELb0ELb1ELb1EPKDF16_S2_DF16_EEviiiT16_PT17_ilS6_ilS4_S6_ilPT18_ili26rocblas_geam_ex_operation_,comdat
.Lfunc_end279:
	.size	_ZN12_GLOBAL__N_120geam_min_plus_kernelIDF16_Dv2_DF16_S1_Li8ELi32ELi64ELi256ELi4ELi4ELi64ELi64ELi4ELc84ELc84ELb0ELb1ELb1EPKDF16_S2_DF16_EEviiiT16_PT17_ilS6_ilS4_S6_ilPT18_ili26rocblas_geam_ex_operation_, .Lfunc_end279-_ZN12_GLOBAL__N_120geam_min_plus_kernelIDF16_Dv2_DF16_S1_Li8ELi32ELi64ELi256ELi4ELi4ELi64ELi64ELi4ELc84ELc84ELb0ELb1ELb1EPKDF16_S2_DF16_EEviiiT16_PT17_ilS6_ilS4_S6_ilPT18_ili26rocblas_geam_ex_operation_
                                        ; -- End function
	.section	.AMDGPU.csdata,"",@progbits
; Kernel info:
; codeLenInByte = 20140
; NumSgprs: 46
; NumVgprs: 174
; NumAgprs: 0
; TotalNumVgprs: 174
; ScratchSize: 0
; MemoryBound: 0
; FloatMode: 240
; IeeeMode: 1
; LDSByteSize: 5120 bytes/workgroup (compile time only)
; SGPRBlocks: 5
; VGPRBlocks: 21
; NumSGPRsForWavesPerEU: 46
; NumVGPRsForWavesPerEU: 174
; AccumOffset: 176
; Occupancy: 2
; WaveLimiterHint : 0
; COMPUTE_PGM_RSRC2:SCRATCH_EN: 0
; COMPUTE_PGM_RSRC2:USER_SGPR: 2
; COMPUTE_PGM_RSRC2:TRAP_HANDLER: 0
; COMPUTE_PGM_RSRC2:TGID_X_EN: 1
; COMPUTE_PGM_RSRC2:TGID_Y_EN: 0
; COMPUTE_PGM_RSRC2:TGID_Z_EN: 1
; COMPUTE_PGM_RSRC2:TIDIG_COMP_CNT: 1
; COMPUTE_PGM_RSRC3_GFX90A:ACCUM_OFFSET: 43
; COMPUTE_PGM_RSRC3_GFX90A:TG_SPLIT: 0
	.section	.text._ZN12_GLOBAL__N_120geam_min_plus_kernelIDF16_Dv2_DF16_S1_Li8ELi32ELi64ELi256ELi4ELi4ELi64ELi64ELi4ELc84ELc84ELb1ELb1ELb1EDF16_KDF16_DF16_EEviiiT16_PT17_ilS5_ilS3_S5_ilPT18_ili26rocblas_geam_ex_operation_,"axG",@progbits,_ZN12_GLOBAL__N_120geam_min_plus_kernelIDF16_Dv2_DF16_S1_Li8ELi32ELi64ELi256ELi4ELi4ELi64ELi64ELi4ELc84ELc84ELb1ELb1ELb1EDF16_KDF16_DF16_EEviiiT16_PT17_ilS5_ilS3_S5_ilPT18_ili26rocblas_geam_ex_operation_,comdat
	.globl	_ZN12_GLOBAL__N_120geam_min_plus_kernelIDF16_Dv2_DF16_S1_Li8ELi32ELi64ELi256ELi4ELi4ELi64ELi64ELi4ELc84ELc84ELb1ELb1ELb1EDF16_KDF16_DF16_EEviiiT16_PT17_ilS5_ilS3_S5_ilPT18_ili26rocblas_geam_ex_operation_ ; -- Begin function _ZN12_GLOBAL__N_120geam_min_plus_kernelIDF16_Dv2_DF16_S1_Li8ELi32ELi64ELi256ELi4ELi4ELi64ELi64ELi4ELc84ELc84ELb1ELb1ELb1EDF16_KDF16_DF16_EEviiiT16_PT17_ilS5_ilS3_S5_ilPT18_ili26rocblas_geam_ex_operation_
	.p2align	8
	.type	_ZN12_GLOBAL__N_120geam_min_plus_kernelIDF16_Dv2_DF16_S1_Li8ELi32ELi64ELi256ELi4ELi4ELi64ELi64ELi4ELc84ELc84ELb1ELb1ELb1EDF16_KDF16_DF16_EEviiiT16_PT17_ilS5_ilS3_S5_ilPT18_ili26rocblas_geam_ex_operation_,@function
_ZN12_GLOBAL__N_120geam_min_plus_kernelIDF16_Dv2_DF16_S1_Li8ELi32ELi64ELi256ELi4ELi4ELi64ELi64ELi4ELc84ELc84ELb1ELb1ELb1EDF16_KDF16_DF16_EEviiiT16_PT17_ilS5_ilS3_S5_ilPT18_ili26rocblas_geam_ex_operation_: ; @_ZN12_GLOBAL__N_120geam_min_plus_kernelIDF16_Dv2_DF16_S1_Li8ELi32ELi64ELi256ELi4ELi4ELi64ELi64ELi4ELc84ELc84ELb1ELb1ELb1EDF16_KDF16_DF16_EEviiiT16_PT17_ilS5_ilS3_S5_ilPT18_ili26rocblas_geam_ex_operation_
; %bb.0:
	s_load_dwordx4 s[20:23], s[0:1], 0x0
	s_load_dwordx4 s[4:7], s[0:1], 0x20
	s_waitcnt lgkmcnt(0)
	v_cmp_eq_f16_e64 s[8:9], s23, 0
	s_and_b64 vcc, exec, s[8:9]
	s_cbranch_vccnz .LBB280_3
; %bb.1:
	s_load_dwordx2 s[10:11], s[0:1], 0x10
	s_mul_i32 s5, s3, s5
	s_mul_hi_u32 s12, s3, s4
	s_add_i32 s5, s12, s5
	s_mul_i32 s4, s3, s4
	s_lshl_b64 s[4:5], s[4:5], 1
	s_waitcnt lgkmcnt(0)
	s_add_u32 s26, s10, s4
	s_addc_u32 s27, s11, s5
	s_andn2_b64 vcc, exec, s[8:9]
	s_cbranch_vccnz .LBB280_4
.LBB280_2:
	s_mov_b32 s19, 0
	s_mov_b64 s[28:29], 0
	s_cbranch_execz .LBB280_5
	s_branch .LBB280_6
.LBB280_3:
	s_mov_b64 s[26:27], 0
	s_andn2_b64 vcc, exec, s[8:9]
	s_cbranch_vccz .LBB280_2
.LBB280_4:
                                        ; implicit-def: $sgpr28_sgpr29
                                        ; implicit-def: $sgpr18_sgpr19
.LBB280_5:
	s_load_dwordx2 s[4:5], s[0:1], 0x38
	s_mov_b32 s19, 0
	s_waitcnt lgkmcnt(0)
	s_mul_i32 s5, s3, s5
	s_mul_hi_u32 s8, s3, s4
	s_add_i32 s5, s8, s5
	s_mul_i32 s4, s3, s4
	s_lshl_b64 s[4:5], s[4:5], 1
	s_add_u32 s28, s6, s4
	s_addc_u32 s29, s7, s5
.LBB280_6:
	s_load_dword s33, s[0:1], 0x40
	s_load_dwordx4 s[12:15], s[0:1], 0x58
	s_waitcnt lgkmcnt(0)
	v_cmp_eq_f16_e64 s[4:5], s33, 0
	v_cmp_neq_f16_e64 s[16:17], s33, 0
	s_and_b64 vcc, exec, s[4:5]
	s_cbranch_vccnz .LBB280_8
; %bb.7:
	s_load_dwordx2 s[4:5], s[0:1], 0x48
	s_mul_i32 s6, s3, s13
	s_mul_hi_u32 s7, s3, s12
	s_add_i32 s6, s7, s6
	s_mul_i32 s7, s19, s12
	s_add_i32 s7, s6, s7
	s_mul_i32 s6, s3, s12
	s_lshl_b64 s[6:7], s[6:7], 1
	s_waitcnt lgkmcnt(0)
	s_add_u32 s24, s4, s6
	s_addc_u32 s25, s5, s7
	s_branch .LBB280_9
.LBB280_8:
	s_mov_b64 s[24:25], 0
.LBB280_9:
	s_add_i32 s4, s20, -1
	s_ashr_i32 s5, s4, 31
	s_lshr_b32 s5, s5, 26
	s_add_i32 s4, s4, s5
	s_ashr_i32 s4, s4, 6
	s_add_i32 s5, s4, 1
	v_cvt_f32_u32_e32 v1, s5
	s_not_b32 s4, s4
	v_and_b32_e32 v42, 0x3ff, v0
	v_bfe_u32 v43, v0, 10, 10
	v_rcp_iflag_f32_e32 v1, v1
	v_lshl_add_u32 v0, v43, 3, v42
	s_load_dword s23, s[0:1], 0x18
	v_lshrrev_b32_e32 v36, 2, v0
	v_mul_f32_e32 v1, 0x4f7ffffe, v1
	v_cvt_u32_f32_e32 v1, v1
	v_and_b32_e32 v44, 3, v42
	v_cmp_gt_i32_e32 vcc, s22, v44
	v_mov_b32_e32 v2, 0x7c00
	v_readfirstlane_b32 s6, v1
	s_mul_i32 s4, s4, s6
	s_mul_hi_u32 s4, s6, s4
	s_add_i32 s6, s6, s4
	s_mul_hi_u32 s4, s2, s6
	s_mul_i32 s6, s4, s5
	s_sub_i32 s6, s2, s6
	s_add_i32 s7, s4, 1
	s_sub_i32 s8, s6, s5
	s_cmp_ge_u32 s6, s5
	s_cselect_b32 s4, s7, s4
	s_cselect_b32 s6, s8, s6
	s_add_i32 s7, s4, 1
	s_cmp_ge_u32 s6, s5
	s_cselect_b32 s6, s7, s4
	s_mul_i32 s37, s6, s5
	s_sub_i32 s4, s2, s37
	s_lshl_b32 s18, s4, 6
	v_add_u32_e32 v7, s18, v36
	v_cmp_le_i32_e64 s[4:5], s20, v7
	s_xor_b64 s[12:13], s[4:5], -1
	s_and_b64 s[8:9], vcc, s[12:13]
	v_lshlrev_b32_e32 v32, 1, v44
	v_mov_b32_e32 v3, 0x7c00
	s_and_saveexec_b64 s[4:5], s[8:9]
	s_cbranch_execz .LBB280_11
; %bb.10:
	s_waitcnt lgkmcnt(0)
	v_mad_i64_i32 v[4:5], s[8:9], v7, s23, 0
	v_lshl_add_u64 v[4:5], v[4:5], 1, s[26:27]
	v_mov_b32_e32 v33, 0
	v_lshl_add_u64 v[4:5], v[4:5], 0, v[32:33]
	flat_load_ushort v3, v[4:5]
.LBB280_11:
	s_or_b64 exec, exec, s[4:5]
	s_load_dword s30, s[0:1], 0x30
	v_and_b32_e32 v4, 63, v0
	s_lshl_b32 s36, s6, 8
	v_lshrrev_b32_e32 v47, 6, v0
	v_or_b32_e32 v34, s36, v4
	v_cmp_le_i32_e64 s[8:9], s22, v47
	s_waitcnt lgkmcnt(0)
	v_mad_i64_i32 v[0:1], s[4:5], s30, v47, 0
	v_cmp_le_i32_e32 vcc, s21, v34
	s_or_b64 s[4:5], vcc, s[8:9]
	v_lshl_add_u64 v[0:1], v[0:1], 1, s[28:29]
	s_xor_b64 s[6:7], s[4:5], -1
	v_ashrrev_i32_e32 v35, 31, v34
	s_and_saveexec_b64 s[4:5], s[6:7]
	s_cbranch_execz .LBB280_13
; %bb.12:
	v_lshl_add_u64 v[8:9], v[34:35], 1, v[0:1]
	flat_load_ushort v2, v[8:9]
.LBB280_13:
	s_or_b64 exec, exec, s[4:5]
	v_or_b32_e32 v5, 64, v34
	v_cmp_le_i32_e64 s[10:11], s21, v5
	s_or_b64 s[4:5], s[10:11], s[8:9]
	s_xor_b64 s[6:7], s[4:5], -1
	v_mov_b32_e32 v5, 0x7c00
	v_mov_b32_e32 v6, 0x7c00
	s_and_saveexec_b64 s[4:5], s[6:7]
	s_cbranch_execz .LBB280_15
; %bb.14:
	v_lshl_add_u64 v[8:9], v[34:35], 1, v[0:1]
	flat_load_ushort v6, v[8:9] offset:128
.LBB280_15:
	s_or_b64 exec, exec, s[4:5]
	v_or_b32_e32 v8, 0x80, v34
	v_cmp_le_i32_e64 s[4:5], s21, v8
	s_or_b64 s[6:7], s[4:5], s[8:9]
	s_ashr_i32 s31, s30, 31
	s_xor_b64 s[34:35], s[6:7], -1
	s_and_saveexec_b64 s[6:7], s[34:35]
	s_cbranch_execz .LBB280_17
; %bb.16:
	v_lshl_add_u64 v[8:9], v[34:35], 1, v[0:1]
	flat_load_ushort v5, v[8:9] offset:256
.LBB280_17:
	s_or_b64 exec, exec, s[6:7]
	v_or_b32_e32 v8, 0xc0, v34
	v_cmp_le_i32_e64 s[6:7], s21, v8
	s_or_b64 s[8:9], s[6:7], s[8:9]
	s_xor_b64 s[34:35], s[8:9], -1
	v_mov_b32_e32 v33, 0x7c00
	v_mov_b32_e32 v8, 0x7c00
	s_and_saveexec_b64 s[8:9], s[34:35]
	s_cbranch_execz .LBB280_19
; %bb.18:
	v_lshl_add_u64 v[0:1], v[34:35], 1, v[0:1]
	flat_load_ushort v8, v[0:1] offset:384
.LBB280_19:
	s_or_b64 exec, exec, s[8:9]
	v_or_b32_e32 v0, 4, v44
	v_cmp_gt_i32_e64 s[8:9], s22, v0
	s_and_b64 s[34:35], s[8:9], s[12:13]
	s_and_saveexec_b64 s[8:9], s[34:35]
	s_cbranch_execz .LBB280_21
; %bb.20:
	v_mad_i64_i32 v[0:1], s[34:35], v7, s23, 0
	v_lshl_add_u64 v[0:1], v[0:1], 1, s[26:27]
	v_mov_b32_e32 v33, 0
	v_lshl_add_u64 v[0:1], v[0:1], 0, v[32:33]
	flat_load_ushort v33, v[0:1] offset:8
.LBB280_21:
	s_or_b64 exec, exec, s[8:9]
	v_add_u32_e32 v0, 4, v47
	v_cmp_le_i32_e64 s[8:9], s22, v0
	v_mad_i64_i32 v[0:1], s[34:35], s30, v0, 0
	s_or_b64 s[34:35], vcc, s[8:9]
	v_lshl_add_u64 v[0:1], v[0:1], 1, s[28:29]
	s_xor_b64 s[38:39], s[34:35], -1
	v_mov_b32_e32 v37, 0x7c00
	v_mov_b32_e32 v38, 0x7c00
	s_and_saveexec_b64 s[34:35], s[38:39]
	s_cbranch_execz .LBB280_23
; %bb.22:
	v_lshl_add_u64 v[10:11], v[34:35], 1, v[0:1]
	flat_load_ushort v38, v[10:11]
.LBB280_23:
	s_or_b64 exec, exec, s[34:35]
	s_or_b64 s[34:35], s[10:11], s[8:9]
	s_xor_b64 s[38:39], s[34:35], -1
	s_and_saveexec_b64 s[34:35], s[38:39]
	s_cbranch_execz .LBB280_25
; %bb.24:
	v_lshl_add_u64 v[10:11], v[34:35], 1, v[0:1]
	flat_load_ushort v37, v[10:11] offset:128
.LBB280_25:
	s_or_b64 exec, exec, s[34:35]
	s_or_b64 s[34:35], s[4:5], s[8:9]
	s_xor_b64 s[38:39], s[34:35], -1
	v_mov_b32_e32 v39, 0x7c00
	v_mov_b32_e32 v40, 0x7c00
	s_and_saveexec_b64 s[34:35], s[38:39]
	s_cbranch_execz .LBB280_27
; %bb.26:
	v_lshl_add_u64 v[10:11], v[34:35], 1, v[0:1]
	flat_load_ushort v40, v[10:11] offset:256
.LBB280_27:
	s_or_b64 exec, exec, s[34:35]
	s_or_b64 s[8:9], s[6:7], s[8:9]
	s_xor_b64 s[34:35], s[8:9], -1
	s_and_saveexec_b64 s[8:9], s[34:35]
	s_cbranch_execz .LBB280_29
; %bb.28:
	v_lshl_add_u64 v[0:1], v[34:35], 1, v[0:1]
	flat_load_ushort v39, v[0:1] offset:384
.LBB280_29:
	s_or_b64 exec, exec, s[8:9]
	v_lshlrev_b32_e32 v0, 1, v47
	v_lshlrev_b32_e32 v45, 3, v42
	v_lshl_or_b32 v41, v36, 3, v32
	v_lshl_add_u32 v48, v4, 3, v0
	v_add_u32_e32 v49, 0x1000, v45
	v_lshlrev_b32_e32 v46, 3, v43
	s_waitcnt vmcnt(0)
	ds_write_b16 v41, v3 offset:4096
	s_waitcnt lgkmcnt(0)
	ds_write_b16 v48, v2
	ds_write_b16 v48, v6 offset:512
	ds_write_b16 v48, v5 offset:1024
	;; [unrolled: 1-line block ×3, first 2 shown]
	s_waitcnt lgkmcnt(0)
	s_barrier
	ds_read2_b64 v[16:19], v49 offset1:8
	ds_read2_b64 v[12:15], v49 offset0:16 offset1:24
	ds_read2_b64 v[4:7], v49 offset0:32 offset1:40
	ds_read2_b64 v[28:31], v46 offset1:32
	ds_read2_b64 v[0:3], v49 offset0:48 offset1:56
	ds_read2_b64 v[24:27], v46 offset0:64 offset1:96
	;; [unrolled: 1-line block ×4, first 2 shown]
	s_movk_i32 s8, 0x7c00
	s_waitcnt lgkmcnt(4)
	v_pk_add_f16 v50, v16, v28
	v_pk_add_f16 v57, v16, v30
	s_waitcnt lgkmcnt(1)
	v_pk_add_f16 v81, v14, v20
	v_pk_add_f16 v64, v16, v24
	v_pk_min_f16 v98, v81, s8 op_sel_hi:[1,0]
	v_pk_add_f16 v81, v4, v20
	v_pk_add_f16 v71, v16, v26
	v_pk_min_f16 v117, v81, s8 op_sel_hi:[1,0]
	;; [unrolled: 3-line block ×11, first 2 shown]
	s_waitcnt lgkmcnt(0)
	v_pk_add_f16 v81, v16, v8
	v_pk_add_f16 v61, v4, v30
	v_pk_min_f16 v127, v81, s8 op_sel_hi:[1,0]
	v_pk_add_f16 v81, v18, v8
	v_pk_add_f16 v66, v12, v24
	v_pk_min_f16 v128, v81, s8 op_sel_hi:[1,0]
	;; [unrolled: 3-line block ×6, first 2 shown]
	v_pk_add_f16 v81, v0, v8
	v_pk_add_f16 v8, v2, v8
	;; [unrolled: 1-line block ×3, first 2 shown]
	v_pk_min_f16 v134, v8, s8 op_sel_hi:[1,0]
	v_pk_add_f16 v8, v16, v10
	v_pk_add_f16 v53, v14, v28
	v_pk_min_f16 v16, v8, s8 op_sel_hi:[1,0]
	v_pk_add_f16 v8, v18, v10
	v_pk_add_f16 v56, v0, v28
	;; [unrolled: 3-line block ×4, first 2 shown]
	v_pk_add_f16 v67, v14, v24
	v_pk_add_f16 v70, v0, v24
	v_pk_add_f16 v74, v14, v26
	v_pk_add_f16 v77, v0, v26
	v_pk_min_f16 v14, v8, s8 op_sel_hi:[1,0]
	v_pk_min_f16 v8, v4, s8 op_sel_hi:[1,0]
	v_pk_add_f16 v4, v6, v10
	v_pk_add_f16 v0, v0, v10
	v_pk_min_f16 v50, v50, s8 op_sel_hi:[1,0]
	v_pk_add_f16 v55, v6, v28
	v_pk_add_f16 v28, v2, v28
	;; [unrolled: 1-line block ×10, first 2 shown]
	v_pk_min_f16 v6, v4, s8 op_sel_hi:[1,0]
	v_pk_min_f16 v4, v0, s8 op_sel_hi:[1,0]
	v_pk_add_f16 v0, v2, v10
	v_pk_add_f16 v2, v17, v29
	v_pk_min_f16 v51, v51, s8 op_sel_hi:[1,0]
	v_pk_min_f16 v116, v50, v2
	v_pk_add_f16 v2, v19, v29
	v_pk_min_f16 v52, v52, s8 op_sel_hi:[1,0]
	v_pk_min_f16 v115, v51, v2
	;; [unrolled: 3-line block ×38, first 2 shown]
	v_pk_add_f16 v2, v1, v21
	s_cmp_lt_i32 s22, 9
	v_pk_min_f16 v77, v119, v2
	v_pk_add_f16 v2, v3, v21
	ds_write_b16 v41, v33 offset:4608
	ds_write_b16 v48, v38 offset:2048
	;; [unrolled: 1-line block ×5, first 2 shown]
	v_pk_min_f16 v76, v20, v2
	v_pk_add_f16 v2, v17, v23
	s_waitcnt lgkmcnt(0)
	v_pk_min_f16 v75, v120, v2
	v_pk_add_f16 v2, v19, v23
	s_barrier
	v_pk_min_f16 v74, v121, v2
	v_pk_add_f16 v2, v13, v23
	s_nop 0
	v_pk_min_f16 v73, v122, v2
	v_pk_add_f16 v2, v15, v23
	s_nop 0
	v_pk_min_f16 v72, v123, v2
	v_pk_add_f16 v2, v5, v23
	s_nop 0
	v_pk_min_f16 v71, v124, v2
	v_pk_add_f16 v2, v7, v23
	s_nop 0
	v_pk_min_f16 v70, v125, v2
	v_pk_add_f16 v2, v1, v23
	s_nop 0
	v_pk_min_f16 v69, v126, v2
	v_pk_add_f16 v2, v3, v23
	s_nop 0
	v_pk_min_f16 v68, v22, v2
	v_pk_add_f16 v2, v17, v9
	s_nop 0
	v_pk_min_f16 v67, v127, v2
	v_pk_add_f16 v2, v19, v9
	s_nop 0
	v_pk_min_f16 v66, v128, v2
	v_pk_add_f16 v2, v13, v9
	s_nop 0
	v_pk_min_f16 v65, v129, v2
	v_pk_add_f16 v2, v15, v9
	s_nop 0
	v_pk_min_f16 v64, v130, v2
	v_pk_add_f16 v2, v5, v9
	s_nop 0
	v_pk_min_f16 v63, v131, v2
	v_pk_add_f16 v2, v7, v9
	s_nop 0
	v_pk_min_f16 v62, v132, v2
	v_pk_add_f16 v2, v1, v9
	v_pk_add_f16 v1, v1, v11
	v_pk_min_f16 v60, v133, v2
	v_pk_add_f16 v2, v3, v9
	v_pk_min_f16 v52, v4, v1
	v_pk_min_f16 v59, v134, v2
	v_pk_add_f16 v2, v17, v11
	v_pk_add_f16 v1, v3, v11
	v_pk_min_f16 v58, v16, v2
	v_pk_add_f16 v2, v19, v11
	v_pk_min_f16 v61, v0, v1
	v_pk_min_f16 v57, v18, v2
	v_pk_add_f16 v2, v13, v11
	s_nop 0
	v_pk_min_f16 v56, v12, v2
	v_pk_add_f16 v2, v15, v11
	s_nop 0
	;; [unrolled: 3-line block ×4, first 2 shown]
	v_pk_min_f16 v53, v6, v2
	s_cbranch_scc1 .LBB280_52
; %bb.30:
	v_mov_b32_e32 v0, 0x1200
	v_lshl_add_u32 v117, v42, 3, v0
	v_mov_b32_e32 v0, 0x800
	v_lshl_add_u32 v118, v43, 3, v0
	v_lshl_add_u32 v0, s2, 6, v36
	s_lshl_b32 s2, s37, 6
	v_subrev_u32_e32 v0, s2, v0
	v_mad_i64_i32 v[0:1], s[8:9], s23, v0, 0
	v_mov_b32_e32 v33, 0
	v_lshl_add_u64 v[0:1], v[0:1], 1, v[32:33]
	v_lshl_add_u64 v[0:1], v[0:1], 0, s[26:27]
	;; [unrolled: 1-line block ×3, first 2 shown]
	v_add_u32_e32 v0, 8, v47
	v_mad_i64_i32 v[0:1], s[8:9], v0, s30, 0
	v_lshlrev_b64 v[36:37], 1, v[0:1]
	v_add_u32_e32 v0, 12, v47
	v_mad_i64_i32 v[0:1], s[8:9], v0, s30, 0
	v_add_u32_e32 v50, 0x1000, v41
	v_add_u32_e32 v51, 0x1200, v41
	v_or_b32_e32 v98, 0x800, v48
	s_add_i32 s34, s22, -8
	v_lshl_add_u64 v[34:35], v[34:35], 1, s[28:29]
	s_lshl_b64 s[26:27], s[30:31], 4
	v_lshlrev_b64 v[38:39], 1, v[0:1]
	s_mov_b32 s2, 0
	s_branch .LBB280_32
.LBB280_31:                             ;   in Loop: Header=BB280_32 Depth=1
	s_or_b64 exec, exec, s[8:9]
	ds_read2_b64 v[8:11], v49 offset1:8
	ds_read2_b64 v[4:7], v49 offset0:16 offset1:24
	ds_read2_b64 v[0:3], v49 offset0:32 offset1:40
	ds_read2_b64 v[124:127], v46 offset1:32
	ds_read2_b64 v[12:15], v49 offset0:48 offset1:56
	ds_read2_b64 v[24:27], v46 offset0:64 offset1:96
	;; [unrolled: 1-line block ×4, first 2 shown]
	s_waitcnt lgkmcnt(0)
	v_pk_add_f16 v40, v8, v124
	v_pk_max_f16 v41, v112, v112
	v_pk_max_f16 v111, v111, v111
	v_pk_min_f16 v40, v41, v40
	v_pk_add_f16 v41, v10, v124
	v_pk_max_f16 v110, v110, v110
	v_pk_min_f16 v41, v111, v41
	v_pk_add_f16 v111, v4, v124
	;; [unrolled: 3-line block ×22, first 2 shown]
	v_pk_add_f16 v24, v14, v24
	v_pk_max_f16 v87, v87, v87
	v_pk_min_f16 v24, v88, v24
	v_pk_add_f16 v88, v8, v26
	v_pk_max_f16 v86, v86, v86
	v_pk_min_f16 v87, v87, v88
	v_pk_add_f16 v88, v10, v26
	v_pk_max_f16 v85, v85, v85
	v_pk_min_f16 v86, v86, v88
	v_pk_add_f16 v88, v4, v26
	v_pk_max_f16 v84, v84, v84
	v_pk_min_f16 v85, v85, v88
	v_pk_add_f16 v88, v6, v26
	v_pk_max_f16 v83, v83, v83
	v_pk_min_f16 v84, v84, v88
	v_pk_add_f16 v88, v0, v26
	v_pk_max_f16 v82, v82, v82
	v_pk_min_f16 v83, v83, v88
	v_pk_add_f16 v88, v2, v26
	v_pk_max_f16 v80, v80, v80
	v_pk_min_f16 v82, v82, v88
	v_pk_add_f16 v88, v12, v26
	v_pk_add_f16 v26, v14, v26
	v_pk_max_f16 v79, v79, v79
	v_pk_min_f16 v26, v80, v26
	v_pk_add_f16 v80, v8, v20
	v_pk_max_f16 v78, v78, v78
	v_pk_min_f16 v79, v79, v80
	v_pk_add_f16 v80, v10, v20
	v_pk_max_f16 v77, v77, v77
	v_pk_min_f16 v78, v78, v80
	v_pk_add_f16 v80, v4, v20
	v_pk_max_f16 v76, v76, v76
	v_pk_min_f16 v77, v77, v80
	v_pk_add_f16 v80, v6, v20
	v_pk_max_f16 v75, v75, v75
	v_pk_min_f16 v76, v76, v80
	v_pk_add_f16 v80, v0, v20
	v_pk_max_f16 v74, v74, v74
	v_pk_min_f16 v75, v75, v80
	v_pk_add_f16 v80, v2, v20
	v_pk_max_f16 v72, v72, v72
	v_pk_min_f16 v74, v74, v80
	v_pk_add_f16 v80, v12, v20
	;; [unrolled: 22-line block ×3, first 2 shown]
	v_pk_add_f16 v22, v14, v22
	v_pk_max_f16 v63, v63, v63
	v_pk_min_f16 v22, v64, v22
	v_pk_add_f16 v64, v8, v16
	v_pk_max_f16 v62, v62, v62
	v_pk_min_f16 v63, v63, v64
	;; [unrolled: 3-line block ×6, first 2 shown]
	v_pk_add_f16 v64, v2, v16
	v_pk_add_f16 v8, v8, v18
	v_pk_min_f16 v58, v58, v64
	v_pk_add_f16 v64, v12, v16
	v_pk_add_f16 v16, v14, v16
	;; [unrolled: 1-line block ×9, first 2 shown]
	v_pk_max_f16 v18, v28, v28
	v_pk_max_f16 v89, v89, v89
	v_pk_min_f16 v14, v18, v14
	v_pk_add_f16 v18, v9, v125
	v_pk_min_f16 v89, v89, v111
	v_pk_min_f16 v116, v40, v18
	v_pk_add_f16 v18, v11, v125
	v_pk_max_f16 v81, v81, v81
	v_pk_min_f16 v115, v41, v18
	v_pk_add_f16 v18, v5, v125
	v_pk_min_f16 v81, v81, v88
	v_pk_min_f16 v114, v110, v18
	v_pk_add_f16 v18, v7, v125
	;; [unrolled: 6-line block ×4, first 2 shown]
	v_pk_max_f16 v57, v57, v57
	v_pk_min_f16 v109, v105, v18
	v_pk_add_f16 v18, v9, v127
	v_pk_max_f16 v31, v31, v31
	v_pk_min_f16 v108, v104, v18
	v_pk_add_f16 v18, v11, v127
	v_pk_min_f16 v57, v57, v64
	v_pk_min_f16 v107, v103, v18
	v_pk_add_f16 v18, v5, v127
	v_pk_max_f16 v54, v54, v54
	v_pk_min_f16 v106, v102, v18
	v_pk_add_f16 v18, v7, v127
	v_pk_min_f16 v0, v31, v0
	v_pk_min_f16 v105, v101, v18
	v_pk_add_f16 v18, v1, v127
	v_pk_max_f16 v30, v30, v30
	v_pk_min_f16 v104, v100, v18
	v_pk_add_f16 v18, v3, v127
	v_pk_max_f16 v55, v55, v55
	v_pk_min_f16 v103, v99, v18
	v_pk_add_f16 v18, v13, v127
	v_pk_min_f16 v10, v54, v10
	v_pk_min_f16 v102, v97, v18
	v_pk_add_f16 v18, v15, v127
	v_pk_max_f16 v53, v53, v53
	v_pk_min_f16 v101, v96, v18
	v_pk_add_f16 v18, v9, v25
	v_pk_min_f16 v2, v30, v2
	v_pk_min_f16 v100, v95, v18
	v_pk_add_f16 v18, v11, v25
	v_pk_max_f16 v29, v29, v29
	v_pk_min_f16 v99, v94, v18
	v_pk_add_f16 v18, v5, v25
	v_pk_max_f16 v56, v56, v56
	v_pk_min_f16 v97, v93, v18
	v_pk_add_f16 v18, v7, v25
	v_pk_min_f16 v8, v55, v8
	v_pk_min_f16 v96, v92, v18
	v_pk_add_f16 v18, v1, v25
	v_pk_min_f16 v4, v53, v4
	v_pk_min_f16 v95, v91, v18
	v_pk_add_f16 v18, v3, v25
	v_pk_max_f16 v52, v52, v52
	v_pk_min_f16 v94, v90, v18
	v_pk_add_f16 v18, v13, v25
	v_pk_min_f16 v12, v29, v12
	v_pk_min_f16 v93, v89, v18
	v_pk_add_f16 v18, v15, v25
	v_pk_min_f16 v16, v56, v16
	;; [unrolled: 3-line block ×3, first 2 shown]
	v_pk_min_f16 v91, v87, v18
	v_pk_add_f16 v18, v11, v27
	s_add_i32 s2, s2, 8
	v_pk_min_f16 v90, v86, v18
	v_pk_add_f16 v18, v5, v27
	v_lshl_add_u64 v[32:33], v[32:33], 0, 16
	v_pk_min_f16 v89, v85, v18
	v_pk_add_f16 v18, v7, v27
	s_cmp_ge_i32 s2, s34
	v_pk_min_f16 v88, v84, v18
	v_pk_add_f16 v18, v1, v27
	v_lshl_add_u64 v[34:35], v[34:35], 0, s[26:27]
	v_pk_min_f16 v87, v83, v18
	v_pk_add_f16 v18, v3, v27
	s_waitcnt vmcnt(0)
	ds_write_b16 v51, v119
	ds_write_b16 v98, v121
	ds_write_b16 v98, v120 offset:512
	ds_write_b16 v98, v123 offset:1024
	;; [unrolled: 1-line block ×3, first 2 shown]
	v_pk_min_f16 v86, v82, v18
	v_pk_add_f16 v18, v13, v27
	s_waitcnt lgkmcnt(0)
	v_pk_min_f16 v85, v81, v18
	v_pk_add_f16 v18, v15, v27
	s_barrier
	v_pk_min_f16 v84, v26, v18
	v_pk_add_f16 v18, v9, v21
	s_nop 0
	v_pk_min_f16 v83, v79, v18
	v_pk_add_f16 v18, v11, v21
	s_nop 0
	;; [unrolled: 3-line block ×16, first 2 shown]
	v_pk_min_f16 v68, v22, v18
	v_pk_add_f16 v18, v9, v17
	v_pk_add_f16 v9, v9, v19
	v_pk_min_f16 v67, v63, v18
	v_pk_add_f16 v18, v11, v17
	s_nop 0
	v_pk_min_f16 v66, v62, v18
	v_pk_add_f16 v18, v5, v17
	v_pk_add_f16 v5, v5, v19
	v_pk_min_f16 v65, v61, v18
	v_pk_add_f16 v18, v7, v17
	v_pk_min_f16 v56, v4, v5
	v_pk_min_f16 v64, v60, v18
	v_pk_add_f16 v18, v1, v17
	v_pk_add_f16 v1, v1, v19
	v_pk_min_f16 v63, v59, v18
	v_pk_min_f16 v54, v0, v1
	v_pk_add_f16 v0, v3, v19
	v_pk_add_f16 v18, v3, v17
	v_pk_min_f16 v53, v2, v0
	v_pk_add_f16 v0, v13, v19
	v_pk_min_f16 v62, v58, v18
	v_pk_add_f16 v18, v13, v17
	v_pk_add_f16 v17, v15, v17
	v_pk_min_f16 v58, v8, v9
	v_pk_add_f16 v8, v11, v19
	;; [unrolled: 3-line block ×3, first 2 shown]
	v_pk_min_f16 v60, v57, v18
	v_pk_min_f16 v59, v16, v17
	;; [unrolled: 1-line block ×5, first 2 shown]
	s_cbranch_scc1 .LBB280_52
.LBB280_32:                             ; =>This Inner Loop Header: Depth=1
	v_add_u32_e32 v40, s2, v44
	v_add_u32_e32 v0, 8, v40
	v_cmp_gt_i32_e64 s[8:9], s22, v0
	s_and_b64 s[28:29], s[8:9], s[12:13]
	v_mov_b32_e32 v120, 0x7c00
	v_mov_b32_e32 v121, 0x7c00
	s_and_saveexec_b64 s[8:9], s[28:29]
	s_cbranch_execz .LBB280_34
; %bb.33:                               ;   in Loop: Header=BB280_32 Depth=1
	flat_load_ushort v121, v[32:33]
.LBB280_34:                             ;   in Loop: Header=BB280_32 Depth=1
	s_or_b64 exec, exec, s[8:9]
	v_add_u32_e32 v41, s2, v47
	v_add_u32_e32 v0, 8, v41
	v_cmp_le_i32_e64 s[8:9], s22, v0
	s_or_b64 s[28:29], vcc, s[8:9]
	s_xor_b64 s[30:31], s[28:29], -1
	v_lshl_add_u64 v[0:1], v[34:35], 0, v[36:37]
	s_and_saveexec_b64 s[28:29], s[30:31]
	s_cbranch_execz .LBB280_36
; %bb.35:                               ;   in Loop: Header=BB280_32 Depth=1
	flat_load_ushort v120, v[0:1]
.LBB280_36:                             ;   in Loop: Header=BB280_32 Depth=1
	s_or_b64 exec, exec, s[28:29]
	s_or_b64 s[28:29], s[10:11], s[8:9]
	s_xor_b64 s[30:31], s[28:29], -1
	v_mov_b32_e32 v122, 0x7c00
	v_mov_b32_e32 v123, 0x7c00
	s_and_saveexec_b64 s[28:29], s[30:31]
	s_cbranch_execz .LBB280_38
; %bb.37:                               ;   in Loop: Header=BB280_32 Depth=1
	flat_load_ushort v123, v[0:1] offset:128
.LBB280_38:                             ;   in Loop: Header=BB280_32 Depth=1
	s_or_b64 exec, exec, s[28:29]
	s_or_b64 s[28:29], s[4:5], s[8:9]
	s_xor_b64 s[30:31], s[28:29], -1
	s_and_saveexec_b64 s[28:29], s[30:31]
	s_cbranch_execz .LBB280_40
; %bb.39:                               ;   in Loop: Header=BB280_32 Depth=1
	flat_load_ushort v122, v[0:1] offset:256
.LBB280_40:                             ;   in Loop: Header=BB280_32 Depth=1
	s_or_b64 exec, exec, s[28:29]
	s_or_b64 s[8:9], s[6:7], s[8:9]
	s_xor_b64 s[28:29], s[8:9], -1
	v_mov_b32_e32 v119, 0x7c00
	v_mov_b32_e32 v124, 0x7c00
	s_and_saveexec_b64 s[8:9], s[28:29]
	s_cbranch_execz .LBB280_42
; %bb.41:                               ;   in Loop: Header=BB280_32 Depth=1
	flat_load_ushort v124, v[0:1] offset:384
.LBB280_42:                             ;   in Loop: Header=BB280_32 Depth=1
	s_or_b64 exec, exec, s[8:9]
	ds_read2_b64 v[12:15], v117 offset1:8
	ds_read2_b64 v[8:11], v117 offset0:16 offset1:24
	ds_read2_b64 v[4:7], v117 offset0:32 offset1:40
	;; [unrolled: 1-line block ×3, first 2 shown]
	ds_read2_b64 v[28:31], v118 offset1:32
	ds_read2_b64 v[24:27], v118 offset0:64 offset1:96
	ds_read2_b64 v[20:23], v118 offset0:128 offset1:160
	ds_read2_b64 v[16:19], v118 offset0:192 offset1:224
	v_add_u32_e32 v40, 12, v40
	v_cmp_gt_i32_e64 s[8:9], s22, v40
	s_and_b64 s[8:9], s[8:9], s[12:13]
	s_waitcnt vmcnt(0) lgkmcnt(0)
	ds_write_b16 v50, v121
	ds_write_b16 v48, v120
	ds_write_b16 v48, v123 offset:512
	ds_write_b16 v48, v122 offset:1024
	;; [unrolled: 1-line block ×3, first 2 shown]
	s_waitcnt lgkmcnt(0)
	s_barrier
	s_and_saveexec_b64 s[28:29], s[8:9]
	s_xor_b64 s[8:9], exec, s[28:29]
	s_cbranch_execz .LBB280_44
; %bb.43:                               ;   in Loop: Header=BB280_32 Depth=1
	flat_load_ushort v119, v[32:33] offset:8
.LBB280_44:                             ;   in Loop: Header=BB280_32 Depth=1
	s_or_b64 exec, exec, s[8:9]
	v_add_u32_e32 v40, 12, v41
	v_cmp_le_i32_e64 s[8:9], s22, v40
	s_or_b64 s[28:29], vcc, s[8:9]
	s_xor_b64 s[30:31], s[28:29], -1
	v_mov_b32_e32 v120, 0x7c00
	v_lshl_add_u64 v[40:41], v[34:35], 0, v[38:39]
	v_mov_b32_e32 v121, 0x7c00
	s_and_saveexec_b64 s[28:29], s[30:31]
	s_cbranch_execz .LBB280_46
; %bb.45:                               ;   in Loop: Header=BB280_32 Depth=1
	flat_load_ushort v121, v[40:41]
.LBB280_46:                             ;   in Loop: Header=BB280_32 Depth=1
	s_or_b64 exec, exec, s[28:29]
	s_or_b64 s[28:29], s[10:11], s[8:9]
	s_xor_b64 s[30:31], s[28:29], -1
	s_and_saveexec_b64 s[28:29], s[30:31]
	s_cbranch_execz .LBB280_48
; %bb.47:                               ;   in Loop: Header=BB280_32 Depth=1
	flat_load_ushort v120, v[40:41] offset:128
.LBB280_48:                             ;   in Loop: Header=BB280_32 Depth=1
	s_or_b64 exec, exec, s[28:29]
	s_or_b64 s[28:29], s[4:5], s[8:9]
	s_xor_b64 s[30:31], s[28:29], -1
	v_mov_b32_e32 v122, 0x7c00
	v_mov_b32_e32 v123, 0x7c00
	s_and_saveexec_b64 s[28:29], s[30:31]
	s_cbranch_execz .LBB280_50
; %bb.49:                               ;   in Loop: Header=BB280_32 Depth=1
	flat_load_ushort v123, v[40:41] offset:256
.LBB280_50:                             ;   in Loop: Header=BB280_32 Depth=1
	s_or_b64 exec, exec, s[28:29]
	v_pk_add_f16 v124, v12, v28
	v_pk_max_f16 v116, v116, v116
	v_pk_max_f16 v115, v115, v115
	v_pk_min_f16 v116, v116, v124
	v_pk_add_f16 v124, v14, v28
	v_pk_max_f16 v114, v114, v114
	v_pk_min_f16 v115, v115, v124
	v_pk_add_f16 v124, v8, v28
	v_pk_max_f16 v113, v113, v113
	v_pk_min_f16 v114, v114, v124
	v_pk_add_f16 v124, v10, v28
	v_pk_max_f16 v112, v112, v112
	v_pk_min_f16 v113, v113, v124
	v_pk_add_f16 v124, v4, v28
	v_pk_max_f16 v111, v111, v111
	v_pk_min_f16 v124, v112, v124
	v_pk_add_f16 v112, v6, v28
	v_pk_max_f16 v109, v109, v109
	v_pk_min_f16 v125, v111, v112
	v_pk_add_f16 v111, v0, v28
	v_pk_add_f16 v28, v2, v28
	v_pk_max_f16 v108, v108, v108
	v_pk_min_f16 v28, v109, v28
	v_pk_add_f16 v109, v12, v30
	v_pk_max_f16 v107, v107, v107
	v_pk_min_f16 v127, v108, v109
	v_pk_add_f16 v108, v14, v30
	v_pk_max_f16 v106, v106, v106
	v_pk_min_f16 v128, v107, v108
	v_pk_add_f16 v107, v8, v30
	v_pk_max_f16 v105, v105, v105
	v_pk_min_f16 v129, v106, v107
	v_pk_add_f16 v106, v10, v30
	v_pk_max_f16 v104, v104, v104
	v_pk_min_f16 v130, v105, v106
	v_pk_add_f16 v105, v4, v30
	v_pk_max_f16 v103, v103, v103
	v_pk_min_f16 v131, v104, v105
	v_pk_add_f16 v104, v6, v30
	v_pk_max_f16 v101, v101, v101
	v_pk_min_f16 v132, v103, v104
	v_pk_add_f16 v103, v0, v30
	v_pk_add_f16 v30, v2, v30
	v_pk_max_f16 v100, v100, v100
	v_pk_min_f16 v30, v101, v30
	v_pk_add_f16 v101, v12, v24
	v_pk_max_f16 v99, v99, v99
	v_pk_min_f16 v134, v100, v101
	v_pk_add_f16 v100, v14, v24
	v_pk_max_f16 v97, v97, v97
	v_pk_min_f16 v135, v99, v100
	v_pk_add_f16 v99, v8, v24
	v_pk_max_f16 v96, v96, v96
	v_pk_min_f16 v136, v97, v99
	v_pk_add_f16 v97, v10, v24
	v_pk_max_f16 v95, v95, v95
	v_pk_min_f16 v137, v96, v97
	v_pk_add_f16 v96, v4, v24
	v_pk_max_f16 v94, v94, v94
	v_pk_min_f16 v138, v95, v96
	v_pk_add_f16 v95, v6, v24
	v_pk_max_f16 v92, v92, v92
	v_pk_min_f16 v139, v94, v95
	v_pk_add_f16 v94, v0, v24
	v_pk_add_f16 v24, v2, v24
	v_pk_max_f16 v91, v91, v91
	v_pk_min_f16 v24, v92, v24
	v_pk_add_f16 v92, v12, v26
	v_pk_max_f16 v90, v90, v90
	v_pk_min_f16 v141, v91, v92
	v_pk_add_f16 v91, v14, v26
	v_pk_max_f16 v89, v89, v89
	v_pk_min_f16 v142, v90, v91
	v_pk_add_f16 v90, v8, v26
	v_pk_max_f16 v88, v88, v88
	v_pk_min_f16 v143, v89, v90
	v_pk_add_f16 v89, v10, v26
	v_pk_max_f16 v87, v87, v87
	v_pk_min_f16 v144, v88, v89
	v_pk_add_f16 v88, v4, v26
	v_pk_max_f16 v86, v86, v86
	v_pk_min_f16 v145, v87, v88
	v_pk_add_f16 v87, v6, v26
	v_pk_max_f16 v84, v84, v84
	v_pk_min_f16 v146, v86, v87
	v_pk_add_f16 v86, v0, v26
	v_pk_add_f16 v26, v2, v26
	v_pk_max_f16 v83, v83, v83
	v_pk_min_f16 v26, v84, v26
	v_pk_add_f16 v84, v12, v20
	v_pk_max_f16 v82, v82, v82
	v_pk_min_f16 v148, v83, v84
	v_pk_add_f16 v83, v14, v20
	v_pk_max_f16 v81, v81, v81
	v_pk_min_f16 v149, v82, v83
	v_pk_add_f16 v82, v8, v20
	v_pk_max_f16 v80, v80, v80
	v_pk_min_f16 v150, v81, v82
	v_pk_add_f16 v81, v10, v20
	v_pk_max_f16 v79, v79, v79
	v_pk_min_f16 v151, v80, v81
	v_pk_add_f16 v80, v4, v20
	v_pk_max_f16 v78, v78, v78
	v_pk_min_f16 v152, v79, v80
	v_pk_add_f16 v79, v6, v20
	v_pk_max_f16 v76, v76, v76
	v_pk_min_f16 v153, v78, v79
	v_pk_add_f16 v78, v0, v20
	v_pk_add_f16 v20, v2, v20
	v_pk_max_f16 v75, v75, v75
	v_pk_min_f16 v20, v76, v20
	v_pk_add_f16 v76, v12, v22
	v_pk_max_f16 v74, v74, v74
	v_pk_min_f16 v155, v75, v76
	v_pk_add_f16 v75, v14, v22
	v_pk_max_f16 v73, v73, v73
	v_pk_min_f16 v156, v74, v75
	v_pk_add_f16 v74, v8, v22
	v_pk_max_f16 v72, v72, v72
	v_pk_min_f16 v157, v73, v74
	v_pk_add_f16 v73, v10, v22
	v_pk_max_f16 v71, v71, v71
	v_pk_min_f16 v158, v72, v73
	v_pk_add_f16 v72, v4, v22
	v_pk_max_f16 v70, v70, v70
	v_pk_min_f16 v159, v71, v72
	v_pk_add_f16 v71, v6, v22
	v_pk_max_f16 v68, v68, v68
	v_pk_min_f16 v160, v70, v71
	v_pk_add_f16 v70, v0, v22
	v_pk_add_f16 v22, v2, v22
	v_pk_max_f16 v67, v67, v67
	v_pk_min_f16 v22, v68, v22
	v_pk_add_f16 v68, v12, v16
	v_pk_max_f16 v66, v66, v66
	v_pk_min_f16 v162, v67, v68
	v_pk_add_f16 v67, v14, v16
	v_pk_max_f16 v65, v65, v65
	v_pk_min_f16 v163, v66, v67
	v_pk_add_f16 v66, v8, v16
	;; [unrolled: 3-line block ×5, first 2 shown]
	v_pk_add_f16 v12, v12, v18
	v_pk_min_f16 v167, v62, v63
	v_pk_add_f16 v62, v0, v16
	v_pk_add_f16 v16, v2, v16
	;; [unrolled: 1-line block ×9, first 2 shown]
	v_pk_max_f16 v18, v61, v61
	v_pk_max_f16 v110, v110, v110
	v_pk_min_f16 v2, v18, v2
	v_pk_add_f16 v18, v13, v29
	v_pk_min_f16 v126, v110, v111
	v_pk_min_f16 v112, v116, v18
	v_pk_add_f16 v18, v15, v29
	v_pk_max_f16 v102, v102, v102
	v_pk_min_f16 v111, v115, v18
	v_pk_add_f16 v18, v9, v29
	v_pk_min_f16 v133, v102, v103
	v_pk_min_f16 v110, v114, v18
	v_pk_add_f16 v18, v11, v29
	;; [unrolled: 6-line block ×8, first 2 shown]
	v_pk_max_f16 v58, v58, v58
	v_pk_min_f16 v96, v30, v18
	v_pk_add_f16 v18, v13, v25
	v_pk_max_f16 v56, v56, v56
	v_pk_min_f16 v95, v134, v18
	v_pk_add_f16 v18, v15, v25
	;; [unrolled: 3-line block ×4, first 2 shown]
	v_pk_min_f16 v12, v58, v12
	v_pk_min_f16 v92, v137, v18
	v_pk_add_f16 v18, v5, v25
	v_pk_max_f16 v57, v57, v57
	v_pk_min_f16 v91, v138, v18
	v_pk_add_f16 v18, v7, v25
	v_pk_min_f16 v8, v56, v8
	v_pk_min_f16 v90, v139, v18
	v_pk_add_f16 v18, v1, v25
	v_pk_max_f16 v55, v55, v55
	v_pk_min_f16 v89, v140, v18
	v_pk_add_f16 v18, v3, v25
	;; [unrolled: 6-line block ×3, first 2 shown]
	v_pk_min_f16 v0, v52, v0
	v_pk_min_f16 v86, v142, v18
	v_pk_add_f16 v18, v9, v27
	v_pk_min_f16 v14, v57, v14
	v_pk_min_f16 v85, v143, v18
	v_pk_add_f16 v18, v11, v27
	;; [unrolled: 3-line block ×4, first 2 shown]
	s_or_b64 s[8:9], s[6:7], s[8:9]
	v_pk_min_f16 v82, v146, v18
	v_pk_add_f16 v18, v1, v27
	s_xor_b64 s[28:29], s[8:9], -1
	v_pk_min_f16 v81, v147, v18
	v_pk_add_f16 v18, v3, v27
	s_nop 0
	v_pk_min_f16 v80, v26, v18
	v_pk_add_f16 v18, v13, v21
	s_nop 0
	;; [unrolled: 3-line block ×17, first 2 shown]
	v_pk_min_f16 v64, v22, v18
	v_pk_add_f16 v18, v13, v17
	v_pk_add_f16 v13, v13, v19
	v_pk_min_f16 v63, v162, v18
	v_pk_add_f16 v18, v15, v17
	v_pk_min_f16 v55, v12, v13
	v_pk_min_f16 v62, v163, v18
	v_pk_add_f16 v18, v9, v17
	v_pk_add_f16 v9, v9, v19
	v_pk_min_f16 v61, v164, v18
	v_pk_add_f16 v18, v11, v17
	v_pk_add_f16 v12, v15, v19
	;; [unrolled: 3-line block ×3, first 2 shown]
	v_pk_min_f16 v59, v166, v18
	v_pk_add_f16 v18, v7, v17
	v_pk_min_f16 v53, v8, v9
	v_pk_min_f16 v58, v167, v18
	v_pk_add_f16 v18, v1, v17
	v_pk_add_f16 v1, v1, v19
	v_pk_add_f16 v17, v3, v17
	v_pk_add_f16 v8, v11, v19
	v_pk_min_f16 v31, v4, v5
	v_pk_add_f16 v4, v7, v19
	v_pk_min_f16 v29, v0, v1
	v_pk_add_f16 v0, v3, v19
	v_pk_min_f16 v57, v168, v18
	v_pk_min_f16 v56, v16, v17
	;; [unrolled: 1-line block ×6, first 2 shown]
	s_and_saveexec_b64 s[8:9], s[28:29]
	s_cbranch_execz .LBB280_31
; %bb.51:                               ;   in Loop: Header=BB280_32 Depth=1
	flat_load_ushort v122, v[40:41] offset:384
	s_branch .LBB280_31
.LBB280_52:
	s_load_dwordx2 s[4:5], s[0:1], 0x70
	s_load_dword s29, s[0:1], 0x50
	s_load_dword s28, s[0:1], 0x68
	v_add_u32_e32 v0, 0x1000, v45
	v_add_u32_e32 v4, 0x800, v46
	s_waitcnt lgkmcnt(0)
	s_mul_i32 s0, s3, s5
	s_mul_hi_u32 s1, s3, s4
	s_mul_i32 s2, s19, s4
	s_add_i32 s0, s1, s0
	s_add_i32 s1, s0, s2
	s_mul_i32 s0, s3, s4
	ds_read2_b64 v[16:19], v0 offset0:64 offset1:72
	ds_read2_b64 v[12:15], v0 offset0:80 offset1:88
	;; [unrolled: 1-line block ×4, first 2 shown]
	ds_read2_b64 v[28:31], v4 offset1:32
	ds_read2_b64 v[24:27], v4 offset0:64 offset1:96
	ds_read2_b64 v[20:23], v4 offset0:128 offset1:160
	;; [unrolled: 1-line block ×3, first 2 shown]
	s_lshl_b64 s[0:1], s[0:1], 1
	s_add_u32 s22, s14, s0
	v_add_u32_e32 v98, s36, v43
	s_addc_u32 s23, s15, s1
	v_mad_i64_i32 v[34:35], s[0:1], v98, s29, 0
	v_add_u32_e32 v32, s18, v42
	v_lshl_add_u64 v[50:51], v[34:35], 1, s[24:25]
	v_mad_i64_i32 v[34:35], s[0:1], v98, s28, 0
	v_cmp_gt_i32_e64 s[2:3], s20, v32
	v_cmp_gt_i32_e64 s[18:19], s21, v98
	v_lshl_add_u64 v[48:49], v[34:35], 1, s[22:23]
	v_cndmask_b32_e64 v34, 0, 1, s[16:17]
	v_ashrrev_i32_e32 v33, 31, v32
	s_and_b64 s[4:5], s[2:3], s[18:19]
	v_cmp_ne_u32_e64 s[0:1], 1, v34
	s_and_saveexec_b64 s[6:7], s[4:5]
	s_xor_b64 s[4:5], exec, s[6:7]
	s_cbranch_execz .LBB280_57
; %bb.53:
	s_and_b64 vcc, exec, s[0:1]
	s_cbranch_vccnz .LBB280_55
; %bb.54:
	v_lshl_add_u64 v[34:35], v[32:33], 1, v[50:51]
	flat_load_ushort v34, v[34:35]
	s_waitcnt vmcnt(0) lgkmcnt(0)
	v_mul_f16_e32 v34, s33, v34
	s_branch .LBB280_56
.LBB280_55:
	v_mov_b32_e32 v34, 0
.LBB280_56:
	s_waitcnt lgkmcnt(3)
	v_pk_add_f16 v35, v16, v28
	v_pk_max_f16 v36, v116, v116
	s_nop 0
	v_pk_min_f16 v35, v36, v35
	v_pk_add_f16 v36, v17, v29
	s_nop 0
	v_pk_min_f16 v35, v35, v36
	s_nop 0
	v_lshrrev_b32_e32 v36, 16, v35
	v_min3_f16 v36, v34, v35, v36
	v_lshl_add_u64 v[34:35], v[32:33], 1, v[48:49]
	global_store_short v[34:35], v36, off
.LBB280_57:
	s_or_b64 exec, exec, s[4:5]
	v_add_u32_e32 v34, 8, v32
	v_cmp_gt_i32_e64 s[4:5], s20, v34
	v_ashrrev_i32_e32 v35, 31, v34
	s_and_b64 s[8:9], s[4:5], s[18:19]
	s_and_saveexec_b64 s[6:7], s[8:9]
	s_cbranch_execz .LBB280_62
; %bb.58:
	s_and_b64 vcc, exec, s[0:1]
	s_cbranch_vccnz .LBB280_60
; %bb.59:
	v_lshl_add_u64 v[36:37], v[34:35], 1, v[50:51]
	flat_load_ushort v36, v[36:37]
	s_waitcnt vmcnt(0) lgkmcnt(0)
	v_mul_f16_e32 v36, s33, v36
	s_branch .LBB280_61
.LBB280_60:
	v_mov_b32_e32 v36, 0
.LBB280_61:
	s_waitcnt lgkmcnt(3)
	v_pk_add_f16 v37, v18, v28
	v_pk_max_f16 v38, v115, v115
	s_nop 0
	v_pk_min_f16 v37, v38, v37
	v_pk_add_f16 v38, v19, v29
	s_nop 0
	v_pk_min_f16 v37, v37, v38
	s_nop 0
	v_lshrrev_b32_e32 v38, 16, v37
	v_min3_f16 v38, v36, v37, v38
	v_lshl_add_u64 v[36:37], v[34:35], 1, v[48:49]
	global_store_short v[36:37], v38, off
.LBB280_62:
	s_or_b64 exec, exec, s[6:7]
	v_add_u32_e32 v36, 16, v32
	v_cmp_gt_i32_e64 s[6:7], s20, v36
	v_ashrrev_i32_e32 v37, 31, v36
	s_and_b64 s[10:11], s[6:7], s[18:19]
	s_and_saveexec_b64 s[8:9], s[10:11]
	;; [unrolled: 33-line block ×7, first 2 shown]
	s_cbranch_execz .LBB280_92
; %bb.88:
	s_and_b64 vcc, exec, s[0:1]
	s_cbranch_vccnz .LBB280_90
; %bb.89:
	v_lshl_add_u64 v[50:51], v[46:47], 1, v[50:51]
	flat_load_ushort v50, v[50:51]
	s_waitcnt vmcnt(0) lgkmcnt(0)
	v_mul_f16_e32 v50, s33, v50
	s_branch .LBB280_91
.LBB280_90:
	v_mov_b32_e32 v50, 0
.LBB280_91:
	s_waitcnt lgkmcnt(3)
	v_pk_add_f16 v28, v2, v28
	v_pk_max_f16 v51, v109, v109
	v_pk_add_f16 v29, v3, v29
	v_pk_min_f16 v28, v51, v28
	s_nop 0
	v_pk_min_f16 v28, v28, v29
	s_nop 0
	v_lshrrev_b32_e32 v29, 16, v28
	v_min3_f16 v50, v50, v28, v29
	v_lshl_add_u64 v[28:29], v[46:47], 1, v[48:49]
	global_store_short v[28:29], v50, off
.LBB280_92:
	s_or_b64 exec, exec, s[18:19]
	v_add_u32_e32 v50, 32, v98
	s_waitcnt lgkmcnt(3)
	v_mad_i64_i32 v[28:29], s[26:27], v50, s29, 0
	v_cmp_gt_i32_e64 s[18:19], s21, v50
	v_lshl_add_u64 v[48:49], v[28:29], 1, s[24:25]
	v_mad_i64_i32 v[28:29], s[26:27], v50, s28, 0
	v_lshl_add_u64 v[28:29], v[28:29], 1, s[22:23]
	s_and_b64 s[30:31], s[2:3], s[18:19]
	s_and_saveexec_b64 s[26:27], s[30:31]
	s_cbranch_execnz .LBB280_100
; %bb.93:
	s_or_b64 exec, exec, s[26:27]
	s_and_b64 s[30:31], s[4:5], s[18:19]
	s_and_saveexec_b64 s[26:27], s[30:31]
	s_cbranch_execnz .LBB280_104
.LBB280_94:
	s_or_b64 exec, exec, s[26:27]
	s_and_b64 s[30:31], s[6:7], s[18:19]
	s_and_saveexec_b64 s[26:27], s[30:31]
	s_cbranch_execnz .LBB280_108
.LBB280_95:
	s_or_b64 exec, exec, s[26:27]
	s_and_b64 s[30:31], s[8:9], s[18:19]
	s_and_saveexec_b64 s[26:27], s[30:31]
	s_cbranch_execnz .LBB280_112
.LBB280_96:
	s_or_b64 exec, exec, s[26:27]
	s_and_b64 s[30:31], s[10:11], s[18:19]
	s_and_saveexec_b64 s[26:27], s[30:31]
	s_cbranch_execnz .LBB280_116
.LBB280_97:
	s_or_b64 exec, exec, s[26:27]
	s_and_b64 s[30:31], s[12:13], s[18:19]
	s_and_saveexec_b64 s[26:27], s[30:31]
	s_cbranch_execnz .LBB280_120
.LBB280_98:
	s_or_b64 exec, exec, s[26:27]
	s_and_b64 s[30:31], s[14:15], s[18:19]
	s_and_saveexec_b64 s[26:27], s[30:31]
	s_cbranch_execnz .LBB280_124
.LBB280_99:
	s_or_b64 exec, exec, s[26:27]
	s_and_b64 s[26:27], s[16:17], s[18:19]
	s_and_saveexec_b64 s[18:19], s[26:27]
	s_cbranch_execnz .LBB280_128
	s_branch .LBB280_132
.LBB280_100:
	s_and_b64 vcc, exec, s[0:1]
	s_cbranch_vccnz .LBB280_102
; %bb.101:
	v_lshl_add_u64 v[50:51], v[32:33], 1, v[48:49]
	flat_load_ushort v50, v[50:51]
	s_waitcnt vmcnt(0) lgkmcnt(0)
	v_mul_f16_e32 v50, s33, v50
	s_branch .LBB280_103
.LBB280_102:
	v_mov_b32_e32 v50, 0
.LBB280_103:
	v_pk_add_f16 v51, v16, v30
	v_pk_max_f16 v108, v108, v108
	s_nop 0
	v_pk_min_f16 v51, v108, v51
	v_pk_add_f16 v108, v17, v31
	s_nop 0
	v_pk_min_f16 v51, v51, v108
	s_nop 0
	v_lshrrev_b32_e32 v108, 16, v51
	v_min3_f16 v108, v50, v51, v108
	v_lshl_add_u64 v[50:51], v[32:33], 1, v[28:29]
	global_store_short v[50:51], v108, off
	s_or_b64 exec, exec, s[26:27]
	s_and_b64 s[30:31], s[4:5], s[18:19]
	s_and_saveexec_b64 s[26:27], s[30:31]
	s_cbranch_execz .LBB280_94
.LBB280_104:
	s_and_b64 vcc, exec, s[0:1]
	s_cbranch_vccnz .LBB280_106
; %bb.105:
	v_lshl_add_u64 v[50:51], v[34:35], 1, v[48:49]
	flat_load_ushort v50, v[50:51]
	s_waitcnt vmcnt(0) lgkmcnt(0)
	v_mul_f16_e32 v50, s33, v50
	s_branch .LBB280_107
.LBB280_106:
	v_mov_b32_e32 v50, 0
.LBB280_107:
	v_pk_add_f16 v51, v18, v30
	v_pk_max_f16 v107, v107, v107
	s_nop 0
	v_pk_min_f16 v51, v107, v51
	v_pk_add_f16 v107, v19, v31
	s_nop 0
	v_pk_min_f16 v51, v51, v107
	s_nop 0
	v_lshrrev_b32_e32 v107, 16, v51
	v_min3_f16 v107, v50, v51, v107
	v_lshl_add_u64 v[50:51], v[34:35], 1, v[28:29]
	global_store_short v[50:51], v107, off
	s_or_b64 exec, exec, s[26:27]
	s_and_b64 s[30:31], s[6:7], s[18:19]
	s_and_saveexec_b64 s[26:27], s[30:31]
	s_cbranch_execz .LBB280_95
.LBB280_108:
	s_and_b64 vcc, exec, s[0:1]
	s_cbranch_vccnz .LBB280_110
; %bb.109:
	v_lshl_add_u64 v[50:51], v[36:37], 1, v[48:49]
	flat_load_ushort v50, v[50:51]
	s_waitcnt vmcnt(0) lgkmcnt(0)
	v_mul_f16_e32 v50, s33, v50
	s_branch .LBB280_111
.LBB280_110:
	v_mov_b32_e32 v50, 0
.LBB280_111:
	v_pk_add_f16 v51, v12, v30
	v_pk_max_f16 v106, v106, v106
	s_nop 0
	v_pk_min_f16 v51, v106, v51
	v_pk_add_f16 v106, v13, v31
	s_nop 0
	v_pk_min_f16 v51, v51, v106
	s_nop 0
	v_lshrrev_b32_e32 v106, 16, v51
	v_min3_f16 v106, v50, v51, v106
	v_lshl_add_u64 v[50:51], v[36:37], 1, v[28:29]
	global_store_short v[50:51], v106, off
	s_or_b64 exec, exec, s[26:27]
	s_and_b64 s[30:31], s[8:9], s[18:19]
	s_and_saveexec_b64 s[26:27], s[30:31]
	s_cbranch_execz .LBB280_96
.LBB280_112:
	s_and_b64 vcc, exec, s[0:1]
	s_cbranch_vccnz .LBB280_114
; %bb.113:
	v_lshl_add_u64 v[50:51], v[38:39], 1, v[48:49]
	flat_load_ushort v50, v[50:51]
	s_waitcnt vmcnt(0) lgkmcnt(0)
	v_mul_f16_e32 v50, s33, v50
	s_branch .LBB280_115
.LBB280_114:
	v_mov_b32_e32 v50, 0
.LBB280_115:
	v_pk_add_f16 v51, v14, v30
	v_pk_max_f16 v105, v105, v105
	s_nop 0
	v_pk_min_f16 v51, v105, v51
	v_pk_add_f16 v105, v15, v31
	s_nop 0
	v_pk_min_f16 v51, v51, v105
	s_nop 0
	v_lshrrev_b32_e32 v105, 16, v51
	v_min3_f16 v105, v50, v51, v105
	v_lshl_add_u64 v[50:51], v[38:39], 1, v[28:29]
	global_store_short v[50:51], v105, off
	s_or_b64 exec, exec, s[26:27]
	s_and_b64 s[30:31], s[10:11], s[18:19]
	s_and_saveexec_b64 s[26:27], s[30:31]
	s_cbranch_execz .LBB280_97
.LBB280_116:
	s_and_b64 vcc, exec, s[0:1]
	s_cbranch_vccnz .LBB280_118
; %bb.117:
	v_lshl_add_u64 v[50:51], v[40:41], 1, v[48:49]
	flat_load_ushort v50, v[50:51]
	s_waitcnt vmcnt(0) lgkmcnt(0)
	v_mul_f16_e32 v50, s33, v50
	s_branch .LBB280_119
.LBB280_118:
	v_mov_b32_e32 v50, 0
.LBB280_119:
	v_pk_add_f16 v51, v8, v30
	v_pk_max_f16 v104, v104, v104
	s_nop 0
	v_pk_min_f16 v51, v104, v51
	v_pk_add_f16 v104, v9, v31
	s_nop 0
	v_pk_min_f16 v51, v51, v104
	s_nop 0
	v_lshrrev_b32_e32 v104, 16, v51
	v_min3_f16 v104, v50, v51, v104
	v_lshl_add_u64 v[50:51], v[40:41], 1, v[28:29]
	global_store_short v[50:51], v104, off
	s_or_b64 exec, exec, s[26:27]
	s_and_b64 s[30:31], s[12:13], s[18:19]
	s_and_saveexec_b64 s[26:27], s[30:31]
	s_cbranch_execz .LBB280_98
.LBB280_120:
	s_and_b64 vcc, exec, s[0:1]
	s_cbranch_vccnz .LBB280_122
; %bb.121:
	v_lshl_add_u64 v[50:51], v[42:43], 1, v[48:49]
	flat_load_ushort v50, v[50:51]
	s_waitcnt vmcnt(0) lgkmcnt(0)
	v_mul_f16_e32 v50, s33, v50
	s_branch .LBB280_123
.LBB280_122:
	v_mov_b32_e32 v50, 0
.LBB280_123:
	v_pk_add_f16 v51, v10, v30
	v_pk_max_f16 v103, v103, v103
	s_nop 0
	v_pk_min_f16 v51, v103, v51
	v_pk_add_f16 v103, v11, v31
	s_nop 0
	v_pk_min_f16 v51, v51, v103
	s_nop 0
	v_lshrrev_b32_e32 v103, 16, v51
	v_min3_f16 v103, v50, v51, v103
	v_lshl_add_u64 v[50:51], v[42:43], 1, v[28:29]
	global_store_short v[50:51], v103, off
	s_or_b64 exec, exec, s[26:27]
	s_and_b64 s[30:31], s[14:15], s[18:19]
	s_and_saveexec_b64 s[26:27], s[30:31]
	s_cbranch_execz .LBB280_99
.LBB280_124:
	s_and_b64 vcc, exec, s[0:1]
	s_cbranch_vccnz .LBB280_126
; %bb.125:
	v_lshl_add_u64 v[50:51], v[44:45], 1, v[48:49]
	flat_load_ushort v50, v[50:51]
	s_waitcnt vmcnt(0) lgkmcnt(0)
	v_mul_f16_e32 v50, s33, v50
	s_branch .LBB280_127
.LBB280_126:
	v_mov_b32_e32 v50, 0
.LBB280_127:
	v_pk_add_f16 v51, v0, v30
	v_pk_max_f16 v102, v102, v102
	s_nop 0
	v_pk_min_f16 v51, v102, v51
	v_pk_add_f16 v102, v1, v31
	s_nop 0
	v_pk_min_f16 v51, v51, v102
	s_nop 0
	v_lshrrev_b32_e32 v102, 16, v51
	v_min3_f16 v102, v50, v51, v102
	v_lshl_add_u64 v[50:51], v[44:45], 1, v[28:29]
	global_store_short v[50:51], v102, off
	s_or_b64 exec, exec, s[26:27]
	s_and_b64 s[26:27], s[16:17], s[18:19]
	s_and_saveexec_b64 s[18:19], s[26:27]
	s_cbranch_execz .LBB280_132
.LBB280_128:
	s_and_b64 vcc, exec, s[0:1]
	s_cbranch_vccnz .LBB280_130
; %bb.129:
	v_lshl_add_u64 v[48:49], v[46:47], 1, v[48:49]
	flat_load_ushort v48, v[48:49]
	s_waitcnt vmcnt(0) lgkmcnt(0)
	v_mul_f16_e32 v48, s33, v48
	s_branch .LBB280_131
.LBB280_130:
	v_mov_b32_e32 v48, 0
.LBB280_131:
	v_pk_add_f16 v30, v2, v30
	v_pk_max_f16 v49, v101, v101
	v_pk_add_f16 v31, v3, v31
	v_pk_min_f16 v30, v49, v30
	v_lshl_add_u64 v[28:29], v[46:47], 1, v[28:29]
	v_pk_min_f16 v30, v30, v31
	s_nop 0
	v_lshrrev_b32_e32 v31, 16, v30
	v_min3_f16 v30, v48, v30, v31
	global_store_short v[28:29], v30, off
.LBB280_132:
	s_or_b64 exec, exec, s[18:19]
	v_add_u32_e32 v48, 64, v98
	v_mad_i64_i32 v[28:29], s[26:27], v48, s29, 0
	v_cmp_gt_i32_e64 s[18:19], s21, v48
	v_lshl_add_u64 v[30:31], v[28:29], 1, s[24:25]
	v_mad_i64_i32 v[28:29], s[26:27], v48, s28, 0
	v_lshl_add_u64 v[28:29], v[28:29], 1, s[22:23]
	s_and_b64 s[30:31], s[2:3], s[18:19]
	s_and_saveexec_b64 s[26:27], s[30:31]
	s_cbranch_execnz .LBB280_140
; %bb.133:
	s_or_b64 exec, exec, s[26:27]
	s_and_b64 s[30:31], s[4:5], s[18:19]
	s_and_saveexec_b64 s[26:27], s[30:31]
	s_cbranch_execnz .LBB280_144
.LBB280_134:
	s_or_b64 exec, exec, s[26:27]
	s_and_b64 s[30:31], s[6:7], s[18:19]
	s_and_saveexec_b64 s[26:27], s[30:31]
	s_cbranch_execnz .LBB280_148
.LBB280_135:
	s_or_b64 exec, exec, s[26:27]
	s_and_b64 s[30:31], s[8:9], s[18:19]
	s_and_saveexec_b64 s[26:27], s[30:31]
	s_cbranch_execnz .LBB280_152
.LBB280_136:
	s_or_b64 exec, exec, s[26:27]
	s_and_b64 s[30:31], s[10:11], s[18:19]
	s_and_saveexec_b64 s[26:27], s[30:31]
	s_cbranch_execnz .LBB280_156
.LBB280_137:
	s_or_b64 exec, exec, s[26:27]
	s_and_b64 s[30:31], s[12:13], s[18:19]
	s_and_saveexec_b64 s[26:27], s[30:31]
	s_cbranch_execnz .LBB280_160
.LBB280_138:
	s_or_b64 exec, exec, s[26:27]
	s_and_b64 s[30:31], s[14:15], s[18:19]
	s_and_saveexec_b64 s[26:27], s[30:31]
	s_cbranch_execnz .LBB280_164
.LBB280_139:
	s_or_b64 exec, exec, s[26:27]
	s_and_b64 s[26:27], s[16:17], s[18:19]
	s_and_saveexec_b64 s[18:19], s[26:27]
	s_cbranch_execnz .LBB280_168
	s_branch .LBB280_172
.LBB280_140:
	s_and_b64 vcc, exec, s[0:1]
	s_cbranch_vccnz .LBB280_142
; %bb.141:
	v_lshl_add_u64 v[48:49], v[32:33], 1, v[30:31]
	flat_load_ushort v48, v[48:49]
	s_waitcnt vmcnt(0) lgkmcnt(0)
	v_mul_f16_e32 v48, s33, v48
	s_branch .LBB280_143
.LBB280_142:
	v_mov_b32_e32 v48, 0
.LBB280_143:
	s_waitcnt lgkmcnt(2)
	v_pk_add_f16 v49, v16, v24
	v_pk_max_f16 v50, v100, v100
	s_nop 0
	v_pk_min_f16 v49, v50, v49
	v_pk_add_f16 v50, v17, v25
	s_nop 0
	v_pk_min_f16 v49, v49, v50
	s_nop 0
	v_lshrrev_b32_e32 v50, 16, v49
	v_min3_f16 v50, v48, v49, v50
	v_lshl_add_u64 v[48:49], v[32:33], 1, v[28:29]
	global_store_short v[48:49], v50, off
	s_or_b64 exec, exec, s[26:27]
	s_and_b64 s[30:31], s[4:5], s[18:19]
	s_and_saveexec_b64 s[26:27], s[30:31]
	s_cbranch_execz .LBB280_134
.LBB280_144:
	s_and_b64 vcc, exec, s[0:1]
	s_cbranch_vccnz .LBB280_146
; %bb.145:
	v_lshl_add_u64 v[48:49], v[34:35], 1, v[30:31]
	flat_load_ushort v48, v[48:49]
	s_waitcnt vmcnt(0) lgkmcnt(0)
	v_mul_f16_e32 v48, s33, v48
	s_branch .LBB280_147
.LBB280_146:
	v_mov_b32_e32 v48, 0
.LBB280_147:
	s_waitcnt lgkmcnt(2)
	v_pk_add_f16 v49, v18, v24
	v_pk_max_f16 v50, v99, v99
	s_nop 0
	v_pk_min_f16 v49, v50, v49
	v_pk_add_f16 v50, v19, v25
	s_nop 0
	v_pk_min_f16 v49, v49, v50
	s_nop 0
	v_lshrrev_b32_e32 v50, 16, v49
	v_min3_f16 v50, v48, v49, v50
	v_lshl_add_u64 v[48:49], v[34:35], 1, v[28:29]
	global_store_short v[48:49], v50, off
	s_or_b64 exec, exec, s[26:27]
	s_and_b64 s[30:31], s[6:7], s[18:19]
	s_and_saveexec_b64 s[26:27], s[30:31]
	s_cbranch_execz .LBB280_135
.LBB280_148:
	s_and_b64 vcc, exec, s[0:1]
	s_cbranch_vccnz .LBB280_150
; %bb.149:
	v_lshl_add_u64 v[48:49], v[36:37], 1, v[30:31]
	flat_load_ushort v48, v[48:49]
	s_waitcnt vmcnt(0) lgkmcnt(0)
	v_mul_f16_e32 v48, s33, v48
	s_branch .LBB280_151
.LBB280_150:
	v_mov_b32_e32 v48, 0
.LBB280_151:
	s_waitcnt lgkmcnt(2)
	v_pk_add_f16 v49, v12, v24
	v_pk_max_f16 v50, v97, v97
	s_nop 0
	v_pk_min_f16 v49, v50, v49
	v_pk_add_f16 v50, v13, v25
	s_nop 0
	v_pk_min_f16 v49, v49, v50
	s_nop 0
	v_lshrrev_b32_e32 v50, 16, v49
	v_min3_f16 v50, v48, v49, v50
	v_lshl_add_u64 v[48:49], v[36:37], 1, v[28:29]
	global_store_short v[48:49], v50, off
	s_or_b64 exec, exec, s[26:27]
	s_and_b64 s[30:31], s[8:9], s[18:19]
	s_and_saveexec_b64 s[26:27], s[30:31]
	s_cbranch_execz .LBB280_136
.LBB280_152:
	s_and_b64 vcc, exec, s[0:1]
	s_cbranch_vccnz .LBB280_154
; %bb.153:
	v_lshl_add_u64 v[48:49], v[38:39], 1, v[30:31]
	flat_load_ushort v48, v[48:49]
	s_waitcnt vmcnt(0) lgkmcnt(0)
	v_mul_f16_e32 v48, s33, v48
	s_branch .LBB280_155
.LBB280_154:
	v_mov_b32_e32 v48, 0
.LBB280_155:
	s_waitcnt lgkmcnt(2)
	v_pk_add_f16 v49, v14, v24
	v_pk_max_f16 v50, v96, v96
	s_nop 0
	v_pk_min_f16 v49, v50, v49
	v_pk_add_f16 v50, v15, v25
	s_nop 0
	v_pk_min_f16 v49, v49, v50
	s_nop 0
	v_lshrrev_b32_e32 v50, 16, v49
	v_min3_f16 v50, v48, v49, v50
	v_lshl_add_u64 v[48:49], v[38:39], 1, v[28:29]
	global_store_short v[48:49], v50, off
	s_or_b64 exec, exec, s[26:27]
	s_and_b64 s[30:31], s[10:11], s[18:19]
	s_and_saveexec_b64 s[26:27], s[30:31]
	s_cbranch_execz .LBB280_137
.LBB280_156:
	s_and_b64 vcc, exec, s[0:1]
	s_cbranch_vccnz .LBB280_158
; %bb.157:
	v_lshl_add_u64 v[48:49], v[40:41], 1, v[30:31]
	flat_load_ushort v48, v[48:49]
	s_waitcnt vmcnt(0) lgkmcnt(0)
	v_mul_f16_e32 v48, s33, v48
	s_branch .LBB280_159
.LBB280_158:
	v_mov_b32_e32 v48, 0
.LBB280_159:
	s_waitcnt lgkmcnt(2)
	v_pk_add_f16 v49, v8, v24
	v_pk_max_f16 v50, v95, v95
	s_nop 0
	v_pk_min_f16 v49, v50, v49
	v_pk_add_f16 v50, v9, v25
	s_nop 0
	v_pk_min_f16 v49, v49, v50
	s_nop 0
	v_lshrrev_b32_e32 v50, 16, v49
	v_min3_f16 v50, v48, v49, v50
	v_lshl_add_u64 v[48:49], v[40:41], 1, v[28:29]
	global_store_short v[48:49], v50, off
	s_or_b64 exec, exec, s[26:27]
	s_and_b64 s[30:31], s[12:13], s[18:19]
	s_and_saveexec_b64 s[26:27], s[30:31]
	s_cbranch_execz .LBB280_138
.LBB280_160:
	s_and_b64 vcc, exec, s[0:1]
	s_cbranch_vccnz .LBB280_162
; %bb.161:
	v_lshl_add_u64 v[48:49], v[42:43], 1, v[30:31]
	flat_load_ushort v48, v[48:49]
	s_waitcnt vmcnt(0) lgkmcnt(0)
	v_mul_f16_e32 v48, s33, v48
	s_branch .LBB280_163
.LBB280_162:
	v_mov_b32_e32 v48, 0
.LBB280_163:
	s_waitcnt lgkmcnt(2)
	v_pk_add_f16 v49, v10, v24
	v_pk_max_f16 v50, v94, v94
	s_nop 0
	v_pk_min_f16 v49, v50, v49
	v_pk_add_f16 v50, v11, v25
	s_nop 0
	v_pk_min_f16 v49, v49, v50
	s_nop 0
	v_lshrrev_b32_e32 v50, 16, v49
	v_min3_f16 v50, v48, v49, v50
	v_lshl_add_u64 v[48:49], v[42:43], 1, v[28:29]
	global_store_short v[48:49], v50, off
	s_or_b64 exec, exec, s[26:27]
	s_and_b64 s[30:31], s[14:15], s[18:19]
	s_and_saveexec_b64 s[26:27], s[30:31]
	s_cbranch_execz .LBB280_139
.LBB280_164:
	s_and_b64 vcc, exec, s[0:1]
	s_cbranch_vccnz .LBB280_166
; %bb.165:
	v_lshl_add_u64 v[48:49], v[44:45], 1, v[30:31]
	flat_load_ushort v48, v[48:49]
	s_waitcnt vmcnt(0) lgkmcnt(0)
	v_mul_f16_e32 v48, s33, v48
	s_branch .LBB280_167
.LBB280_166:
	v_mov_b32_e32 v48, 0
.LBB280_167:
	s_waitcnt lgkmcnt(2)
	v_pk_add_f16 v49, v0, v24
	v_pk_max_f16 v50, v93, v93
	s_nop 0
	v_pk_min_f16 v49, v50, v49
	v_pk_add_f16 v50, v1, v25
	s_nop 0
	v_pk_min_f16 v49, v49, v50
	s_nop 0
	v_lshrrev_b32_e32 v50, 16, v49
	v_min3_f16 v50, v48, v49, v50
	v_lshl_add_u64 v[48:49], v[44:45], 1, v[28:29]
	global_store_short v[48:49], v50, off
	s_or_b64 exec, exec, s[26:27]
	s_and_b64 s[26:27], s[16:17], s[18:19]
	s_and_saveexec_b64 s[18:19], s[26:27]
	s_cbranch_execz .LBB280_172
.LBB280_168:
	s_and_b64 vcc, exec, s[0:1]
	s_cbranch_vccnz .LBB280_170
; %bb.169:
	v_lshl_add_u64 v[30:31], v[46:47], 1, v[30:31]
	flat_load_ushort v30, v[30:31]
	s_waitcnt vmcnt(0) lgkmcnt(0)
	v_mul_f16_e32 v30, s33, v30
	s_branch .LBB280_171
.LBB280_170:
	v_mov_b32_e32 v30, 0
.LBB280_171:
	s_waitcnt lgkmcnt(2)
	v_pk_add_f16 v24, v2, v24
	v_pk_max_f16 v31, v92, v92
	v_pk_add_f16 v25, v3, v25
	v_pk_min_f16 v24, v31, v24
	s_nop 0
	v_pk_min_f16 v24, v24, v25
	s_nop 0
	v_lshrrev_b32_e32 v25, 16, v24
	v_min3_f16 v30, v30, v24, v25
	v_lshl_add_u64 v[24:25], v[46:47], 1, v[28:29]
	global_store_short v[24:25], v30, off
.LBB280_172:
	s_or_b64 exec, exec, s[18:19]
	v_add_u32_e32 v30, 0x60, v98
	s_waitcnt lgkmcnt(2)
	v_mad_i64_i32 v[24:25], s[26:27], v30, s29, 0
	v_cmp_gt_i32_e64 s[18:19], s21, v30
	v_lshl_add_u64 v[28:29], v[24:25], 1, s[24:25]
	v_mad_i64_i32 v[24:25], s[26:27], v30, s28, 0
	v_lshl_add_u64 v[24:25], v[24:25], 1, s[22:23]
	s_and_b64 s[30:31], s[2:3], s[18:19]
	s_and_saveexec_b64 s[26:27], s[30:31]
	s_cbranch_execnz .LBB280_180
; %bb.173:
	s_or_b64 exec, exec, s[26:27]
	s_and_b64 s[30:31], s[4:5], s[18:19]
	s_and_saveexec_b64 s[26:27], s[30:31]
	s_cbranch_execnz .LBB280_184
.LBB280_174:
	s_or_b64 exec, exec, s[26:27]
	s_and_b64 s[30:31], s[6:7], s[18:19]
	s_and_saveexec_b64 s[26:27], s[30:31]
	s_cbranch_execnz .LBB280_188
.LBB280_175:
	s_or_b64 exec, exec, s[26:27]
	s_and_b64 s[30:31], s[8:9], s[18:19]
	s_and_saveexec_b64 s[26:27], s[30:31]
	s_cbranch_execnz .LBB280_192
.LBB280_176:
	s_or_b64 exec, exec, s[26:27]
	s_and_b64 s[30:31], s[10:11], s[18:19]
	s_and_saveexec_b64 s[26:27], s[30:31]
	s_cbranch_execnz .LBB280_196
.LBB280_177:
	s_or_b64 exec, exec, s[26:27]
	s_and_b64 s[30:31], s[12:13], s[18:19]
	s_and_saveexec_b64 s[26:27], s[30:31]
	s_cbranch_execnz .LBB280_200
.LBB280_178:
	s_or_b64 exec, exec, s[26:27]
	s_and_b64 s[30:31], s[14:15], s[18:19]
	s_and_saveexec_b64 s[26:27], s[30:31]
	s_cbranch_execnz .LBB280_204
.LBB280_179:
	s_or_b64 exec, exec, s[26:27]
	s_and_b64 s[26:27], s[16:17], s[18:19]
	s_and_saveexec_b64 s[18:19], s[26:27]
	s_cbranch_execnz .LBB280_208
	s_branch .LBB280_212
.LBB280_180:
	s_and_b64 vcc, exec, s[0:1]
	s_cbranch_vccnz .LBB280_182
; %bb.181:
	v_lshl_add_u64 v[30:31], v[32:33], 1, v[28:29]
	flat_load_ushort v30, v[30:31]
	s_waitcnt vmcnt(0) lgkmcnt(0)
	v_mul_f16_e32 v30, s33, v30
	s_branch .LBB280_183
.LBB280_182:
	v_mov_b32_e32 v30, 0
.LBB280_183:
	v_pk_add_f16 v31, v16, v26
	v_pk_max_f16 v48, v91, v91
	s_nop 0
	v_pk_min_f16 v31, v48, v31
	v_pk_add_f16 v48, v17, v27
	s_nop 0
	v_pk_min_f16 v31, v31, v48
	s_nop 0
	v_lshrrev_b32_e32 v48, 16, v31
	v_min3_f16 v48, v30, v31, v48
	v_lshl_add_u64 v[30:31], v[32:33], 1, v[24:25]
	global_store_short v[30:31], v48, off
	s_or_b64 exec, exec, s[26:27]
	s_and_b64 s[30:31], s[4:5], s[18:19]
	s_and_saveexec_b64 s[26:27], s[30:31]
	s_cbranch_execz .LBB280_174
.LBB280_184:
	s_and_b64 vcc, exec, s[0:1]
	s_cbranch_vccnz .LBB280_186
; %bb.185:
	v_lshl_add_u64 v[30:31], v[34:35], 1, v[28:29]
	flat_load_ushort v30, v[30:31]
	s_waitcnt vmcnt(0) lgkmcnt(0)
	v_mul_f16_e32 v30, s33, v30
	s_branch .LBB280_187
.LBB280_186:
	v_mov_b32_e32 v30, 0
.LBB280_187:
	v_pk_add_f16 v31, v18, v26
	v_pk_max_f16 v48, v90, v90
	s_nop 0
	v_pk_min_f16 v31, v48, v31
	v_pk_add_f16 v48, v19, v27
	s_nop 0
	v_pk_min_f16 v31, v31, v48
	s_nop 0
	v_lshrrev_b32_e32 v48, 16, v31
	v_min3_f16 v48, v30, v31, v48
	v_lshl_add_u64 v[30:31], v[34:35], 1, v[24:25]
	global_store_short v[30:31], v48, off
	s_or_b64 exec, exec, s[26:27]
	s_and_b64 s[30:31], s[6:7], s[18:19]
	s_and_saveexec_b64 s[26:27], s[30:31]
	s_cbranch_execz .LBB280_175
.LBB280_188:
	s_and_b64 vcc, exec, s[0:1]
	s_cbranch_vccnz .LBB280_190
; %bb.189:
	v_lshl_add_u64 v[30:31], v[36:37], 1, v[28:29]
	flat_load_ushort v30, v[30:31]
	s_waitcnt vmcnt(0) lgkmcnt(0)
	v_mul_f16_e32 v30, s33, v30
	s_branch .LBB280_191
.LBB280_190:
	v_mov_b32_e32 v30, 0
.LBB280_191:
	v_pk_add_f16 v31, v12, v26
	v_pk_max_f16 v48, v89, v89
	s_nop 0
	v_pk_min_f16 v31, v48, v31
	v_pk_add_f16 v48, v13, v27
	s_nop 0
	v_pk_min_f16 v31, v31, v48
	s_nop 0
	v_lshrrev_b32_e32 v48, 16, v31
	v_min3_f16 v48, v30, v31, v48
	v_lshl_add_u64 v[30:31], v[36:37], 1, v[24:25]
	global_store_short v[30:31], v48, off
	s_or_b64 exec, exec, s[26:27]
	s_and_b64 s[30:31], s[8:9], s[18:19]
	s_and_saveexec_b64 s[26:27], s[30:31]
	s_cbranch_execz .LBB280_176
.LBB280_192:
	s_and_b64 vcc, exec, s[0:1]
	s_cbranch_vccnz .LBB280_194
; %bb.193:
	v_lshl_add_u64 v[30:31], v[38:39], 1, v[28:29]
	flat_load_ushort v30, v[30:31]
	s_waitcnt vmcnt(0) lgkmcnt(0)
	v_mul_f16_e32 v30, s33, v30
	s_branch .LBB280_195
.LBB280_194:
	v_mov_b32_e32 v30, 0
.LBB280_195:
	v_pk_add_f16 v31, v14, v26
	v_pk_max_f16 v48, v88, v88
	s_nop 0
	v_pk_min_f16 v31, v48, v31
	v_pk_add_f16 v48, v15, v27
	s_nop 0
	v_pk_min_f16 v31, v31, v48
	s_nop 0
	v_lshrrev_b32_e32 v48, 16, v31
	v_min3_f16 v48, v30, v31, v48
	v_lshl_add_u64 v[30:31], v[38:39], 1, v[24:25]
	global_store_short v[30:31], v48, off
	s_or_b64 exec, exec, s[26:27]
	s_and_b64 s[30:31], s[10:11], s[18:19]
	s_and_saveexec_b64 s[26:27], s[30:31]
	s_cbranch_execz .LBB280_177
.LBB280_196:
	s_and_b64 vcc, exec, s[0:1]
	s_cbranch_vccnz .LBB280_198
; %bb.197:
	v_lshl_add_u64 v[30:31], v[40:41], 1, v[28:29]
	flat_load_ushort v30, v[30:31]
	s_waitcnt vmcnt(0) lgkmcnt(0)
	v_mul_f16_e32 v30, s33, v30
	s_branch .LBB280_199
.LBB280_198:
	v_mov_b32_e32 v30, 0
.LBB280_199:
	v_pk_add_f16 v31, v8, v26
	v_pk_max_f16 v48, v87, v87
	s_nop 0
	v_pk_min_f16 v31, v48, v31
	v_pk_add_f16 v48, v9, v27
	s_nop 0
	v_pk_min_f16 v31, v31, v48
	s_nop 0
	v_lshrrev_b32_e32 v48, 16, v31
	v_min3_f16 v48, v30, v31, v48
	v_lshl_add_u64 v[30:31], v[40:41], 1, v[24:25]
	global_store_short v[30:31], v48, off
	s_or_b64 exec, exec, s[26:27]
	s_and_b64 s[30:31], s[12:13], s[18:19]
	s_and_saveexec_b64 s[26:27], s[30:31]
	s_cbranch_execz .LBB280_178
.LBB280_200:
	s_and_b64 vcc, exec, s[0:1]
	s_cbranch_vccnz .LBB280_202
; %bb.201:
	v_lshl_add_u64 v[30:31], v[42:43], 1, v[28:29]
	flat_load_ushort v30, v[30:31]
	s_waitcnt vmcnt(0) lgkmcnt(0)
	v_mul_f16_e32 v30, s33, v30
	s_branch .LBB280_203
.LBB280_202:
	v_mov_b32_e32 v30, 0
.LBB280_203:
	v_pk_add_f16 v31, v10, v26
	v_pk_max_f16 v48, v86, v86
	s_nop 0
	v_pk_min_f16 v31, v48, v31
	v_pk_add_f16 v48, v11, v27
	s_nop 0
	v_pk_min_f16 v31, v31, v48
	s_nop 0
	v_lshrrev_b32_e32 v48, 16, v31
	v_min3_f16 v48, v30, v31, v48
	v_lshl_add_u64 v[30:31], v[42:43], 1, v[24:25]
	global_store_short v[30:31], v48, off
	s_or_b64 exec, exec, s[26:27]
	s_and_b64 s[30:31], s[14:15], s[18:19]
	s_and_saveexec_b64 s[26:27], s[30:31]
	s_cbranch_execz .LBB280_179
.LBB280_204:
	s_and_b64 vcc, exec, s[0:1]
	s_cbranch_vccnz .LBB280_206
; %bb.205:
	v_lshl_add_u64 v[30:31], v[44:45], 1, v[28:29]
	flat_load_ushort v30, v[30:31]
	s_waitcnt vmcnt(0) lgkmcnt(0)
	v_mul_f16_e32 v30, s33, v30
	s_branch .LBB280_207
.LBB280_206:
	v_mov_b32_e32 v30, 0
.LBB280_207:
	v_pk_add_f16 v31, v0, v26
	v_pk_max_f16 v48, v85, v85
	s_nop 0
	v_pk_min_f16 v31, v48, v31
	v_pk_add_f16 v48, v1, v27
	s_nop 0
	v_pk_min_f16 v31, v31, v48
	s_nop 0
	v_lshrrev_b32_e32 v48, 16, v31
	v_min3_f16 v48, v30, v31, v48
	v_lshl_add_u64 v[30:31], v[44:45], 1, v[24:25]
	global_store_short v[30:31], v48, off
	s_or_b64 exec, exec, s[26:27]
	s_and_b64 s[26:27], s[16:17], s[18:19]
	s_and_saveexec_b64 s[18:19], s[26:27]
	s_cbranch_execz .LBB280_212
.LBB280_208:
	s_and_b64 vcc, exec, s[0:1]
	s_cbranch_vccnz .LBB280_210
; %bb.209:
	v_lshl_add_u64 v[28:29], v[46:47], 1, v[28:29]
	flat_load_ushort v28, v[28:29]
	s_waitcnt vmcnt(0) lgkmcnt(0)
	v_mul_f16_e32 v28, s33, v28
	s_branch .LBB280_211
.LBB280_210:
	v_mov_b32_e32 v28, 0
.LBB280_211:
	v_pk_add_f16 v26, v2, v26
	v_pk_max_f16 v29, v84, v84
	v_pk_add_f16 v27, v3, v27
	v_pk_min_f16 v26, v29, v26
	v_lshl_add_u64 v[24:25], v[46:47], 1, v[24:25]
	v_pk_min_f16 v26, v26, v27
	s_nop 0
	v_lshrrev_b32_e32 v27, 16, v26
	v_min3_f16 v26, v28, v26, v27
	global_store_short v[24:25], v26, off
.LBB280_212:
	s_or_b64 exec, exec, s[18:19]
	v_add_u32_e32 v28, 0x80, v98
	v_mad_i64_i32 v[24:25], s[26:27], v28, s29, 0
	v_cmp_gt_i32_e64 s[18:19], s21, v28
	v_lshl_add_u64 v[26:27], v[24:25], 1, s[24:25]
	v_mad_i64_i32 v[24:25], s[26:27], v28, s28, 0
	v_lshl_add_u64 v[24:25], v[24:25], 1, s[22:23]
	s_and_b64 s[30:31], s[2:3], s[18:19]
	s_and_saveexec_b64 s[26:27], s[30:31]
	s_cbranch_execnz .LBB280_220
; %bb.213:
	s_or_b64 exec, exec, s[26:27]
	s_and_b64 s[30:31], s[4:5], s[18:19]
	s_and_saveexec_b64 s[26:27], s[30:31]
	s_cbranch_execnz .LBB280_224
.LBB280_214:
	s_or_b64 exec, exec, s[26:27]
	s_and_b64 s[30:31], s[6:7], s[18:19]
	s_and_saveexec_b64 s[26:27], s[30:31]
	s_cbranch_execnz .LBB280_228
.LBB280_215:
	s_or_b64 exec, exec, s[26:27]
	s_and_b64 s[30:31], s[8:9], s[18:19]
	s_and_saveexec_b64 s[26:27], s[30:31]
	s_cbranch_execnz .LBB280_232
.LBB280_216:
	s_or_b64 exec, exec, s[26:27]
	s_and_b64 s[30:31], s[10:11], s[18:19]
	s_and_saveexec_b64 s[26:27], s[30:31]
	s_cbranch_execnz .LBB280_236
.LBB280_217:
	s_or_b64 exec, exec, s[26:27]
	s_and_b64 s[30:31], s[12:13], s[18:19]
	s_and_saveexec_b64 s[26:27], s[30:31]
	s_cbranch_execnz .LBB280_240
.LBB280_218:
	s_or_b64 exec, exec, s[26:27]
	s_and_b64 s[30:31], s[14:15], s[18:19]
	s_and_saveexec_b64 s[26:27], s[30:31]
	s_cbranch_execnz .LBB280_244
.LBB280_219:
	s_or_b64 exec, exec, s[26:27]
	s_and_b64 s[26:27], s[16:17], s[18:19]
	s_and_saveexec_b64 s[18:19], s[26:27]
	s_cbranch_execnz .LBB280_248
	s_branch .LBB280_252
.LBB280_220:
	s_and_b64 vcc, exec, s[0:1]
	s_cbranch_vccnz .LBB280_222
; %bb.221:
	v_lshl_add_u64 v[28:29], v[32:33], 1, v[26:27]
	flat_load_ushort v28, v[28:29]
	s_waitcnt vmcnt(0) lgkmcnt(0)
	v_mul_f16_e32 v28, s33, v28
	s_branch .LBB280_223
.LBB280_222:
	v_mov_b32_e32 v28, 0
.LBB280_223:
	s_waitcnt lgkmcnt(1)
	v_pk_add_f16 v29, v16, v20
	v_pk_max_f16 v30, v83, v83
	s_nop 0
	v_pk_min_f16 v29, v30, v29
	v_pk_add_f16 v30, v17, v21
	s_nop 0
	v_pk_min_f16 v29, v29, v30
	s_nop 0
	v_lshrrev_b32_e32 v30, 16, v29
	v_min3_f16 v30, v28, v29, v30
	v_lshl_add_u64 v[28:29], v[32:33], 1, v[24:25]
	global_store_short v[28:29], v30, off
	s_or_b64 exec, exec, s[26:27]
	s_and_b64 s[30:31], s[4:5], s[18:19]
	s_and_saveexec_b64 s[26:27], s[30:31]
	s_cbranch_execz .LBB280_214
.LBB280_224:
	s_and_b64 vcc, exec, s[0:1]
	s_cbranch_vccnz .LBB280_226
; %bb.225:
	v_lshl_add_u64 v[28:29], v[34:35], 1, v[26:27]
	flat_load_ushort v28, v[28:29]
	s_waitcnt vmcnt(0) lgkmcnt(0)
	v_mul_f16_e32 v28, s33, v28
	s_branch .LBB280_227
.LBB280_226:
	v_mov_b32_e32 v28, 0
.LBB280_227:
	s_waitcnt lgkmcnt(1)
	v_pk_add_f16 v29, v18, v20
	v_pk_max_f16 v30, v82, v82
	s_nop 0
	v_pk_min_f16 v29, v30, v29
	v_pk_add_f16 v30, v19, v21
	s_nop 0
	v_pk_min_f16 v29, v29, v30
	s_nop 0
	v_lshrrev_b32_e32 v30, 16, v29
	v_min3_f16 v30, v28, v29, v30
	v_lshl_add_u64 v[28:29], v[34:35], 1, v[24:25]
	global_store_short v[28:29], v30, off
	s_or_b64 exec, exec, s[26:27]
	s_and_b64 s[30:31], s[6:7], s[18:19]
	s_and_saveexec_b64 s[26:27], s[30:31]
	s_cbranch_execz .LBB280_215
.LBB280_228:
	s_and_b64 vcc, exec, s[0:1]
	s_cbranch_vccnz .LBB280_230
; %bb.229:
	v_lshl_add_u64 v[28:29], v[36:37], 1, v[26:27]
	flat_load_ushort v28, v[28:29]
	s_waitcnt vmcnt(0) lgkmcnt(0)
	v_mul_f16_e32 v28, s33, v28
	s_branch .LBB280_231
.LBB280_230:
	v_mov_b32_e32 v28, 0
.LBB280_231:
	s_waitcnt lgkmcnt(1)
	v_pk_add_f16 v29, v12, v20
	v_pk_max_f16 v30, v81, v81
	s_nop 0
	v_pk_min_f16 v29, v30, v29
	v_pk_add_f16 v30, v13, v21
	s_nop 0
	v_pk_min_f16 v29, v29, v30
	s_nop 0
	v_lshrrev_b32_e32 v30, 16, v29
	v_min3_f16 v30, v28, v29, v30
	v_lshl_add_u64 v[28:29], v[36:37], 1, v[24:25]
	global_store_short v[28:29], v30, off
	s_or_b64 exec, exec, s[26:27]
	s_and_b64 s[30:31], s[8:9], s[18:19]
	s_and_saveexec_b64 s[26:27], s[30:31]
	s_cbranch_execz .LBB280_216
.LBB280_232:
	s_and_b64 vcc, exec, s[0:1]
	s_cbranch_vccnz .LBB280_234
; %bb.233:
	v_lshl_add_u64 v[28:29], v[38:39], 1, v[26:27]
	flat_load_ushort v28, v[28:29]
	s_waitcnt vmcnt(0) lgkmcnt(0)
	v_mul_f16_e32 v28, s33, v28
	s_branch .LBB280_235
.LBB280_234:
	v_mov_b32_e32 v28, 0
.LBB280_235:
	s_waitcnt lgkmcnt(1)
	v_pk_add_f16 v29, v14, v20
	v_pk_max_f16 v30, v80, v80
	s_nop 0
	v_pk_min_f16 v29, v30, v29
	v_pk_add_f16 v30, v15, v21
	s_nop 0
	v_pk_min_f16 v29, v29, v30
	s_nop 0
	v_lshrrev_b32_e32 v30, 16, v29
	v_min3_f16 v30, v28, v29, v30
	v_lshl_add_u64 v[28:29], v[38:39], 1, v[24:25]
	global_store_short v[28:29], v30, off
	s_or_b64 exec, exec, s[26:27]
	s_and_b64 s[30:31], s[10:11], s[18:19]
	s_and_saveexec_b64 s[26:27], s[30:31]
	s_cbranch_execz .LBB280_217
.LBB280_236:
	s_and_b64 vcc, exec, s[0:1]
	s_cbranch_vccnz .LBB280_238
; %bb.237:
	v_lshl_add_u64 v[28:29], v[40:41], 1, v[26:27]
	flat_load_ushort v28, v[28:29]
	s_waitcnt vmcnt(0) lgkmcnt(0)
	v_mul_f16_e32 v28, s33, v28
	s_branch .LBB280_239
.LBB280_238:
	v_mov_b32_e32 v28, 0
.LBB280_239:
	s_waitcnt lgkmcnt(1)
	v_pk_add_f16 v29, v8, v20
	v_pk_max_f16 v30, v79, v79
	s_nop 0
	v_pk_min_f16 v29, v30, v29
	v_pk_add_f16 v30, v9, v21
	s_nop 0
	v_pk_min_f16 v29, v29, v30
	s_nop 0
	v_lshrrev_b32_e32 v30, 16, v29
	v_min3_f16 v30, v28, v29, v30
	v_lshl_add_u64 v[28:29], v[40:41], 1, v[24:25]
	global_store_short v[28:29], v30, off
	s_or_b64 exec, exec, s[26:27]
	s_and_b64 s[30:31], s[12:13], s[18:19]
	s_and_saveexec_b64 s[26:27], s[30:31]
	s_cbranch_execz .LBB280_218
.LBB280_240:
	s_and_b64 vcc, exec, s[0:1]
	s_cbranch_vccnz .LBB280_242
; %bb.241:
	v_lshl_add_u64 v[28:29], v[42:43], 1, v[26:27]
	flat_load_ushort v28, v[28:29]
	s_waitcnt vmcnt(0) lgkmcnt(0)
	v_mul_f16_e32 v28, s33, v28
	s_branch .LBB280_243
.LBB280_242:
	v_mov_b32_e32 v28, 0
.LBB280_243:
	s_waitcnt lgkmcnt(1)
	v_pk_add_f16 v29, v10, v20
	v_pk_max_f16 v30, v78, v78
	s_nop 0
	v_pk_min_f16 v29, v30, v29
	v_pk_add_f16 v30, v11, v21
	s_nop 0
	v_pk_min_f16 v29, v29, v30
	s_nop 0
	v_lshrrev_b32_e32 v30, 16, v29
	v_min3_f16 v30, v28, v29, v30
	v_lshl_add_u64 v[28:29], v[42:43], 1, v[24:25]
	global_store_short v[28:29], v30, off
	s_or_b64 exec, exec, s[26:27]
	s_and_b64 s[30:31], s[14:15], s[18:19]
	s_and_saveexec_b64 s[26:27], s[30:31]
	s_cbranch_execz .LBB280_219
.LBB280_244:
	s_and_b64 vcc, exec, s[0:1]
	s_cbranch_vccnz .LBB280_246
; %bb.245:
	v_lshl_add_u64 v[28:29], v[44:45], 1, v[26:27]
	flat_load_ushort v28, v[28:29]
	s_waitcnt vmcnt(0) lgkmcnt(0)
	v_mul_f16_e32 v28, s33, v28
	s_branch .LBB280_247
.LBB280_246:
	v_mov_b32_e32 v28, 0
.LBB280_247:
	s_waitcnt lgkmcnt(1)
	v_pk_add_f16 v29, v0, v20
	v_pk_max_f16 v30, v77, v77
	s_nop 0
	v_pk_min_f16 v29, v30, v29
	v_pk_add_f16 v30, v1, v21
	s_nop 0
	v_pk_min_f16 v29, v29, v30
	s_nop 0
	v_lshrrev_b32_e32 v30, 16, v29
	v_min3_f16 v30, v28, v29, v30
	v_lshl_add_u64 v[28:29], v[44:45], 1, v[24:25]
	global_store_short v[28:29], v30, off
	s_or_b64 exec, exec, s[26:27]
	s_and_b64 s[26:27], s[16:17], s[18:19]
	s_and_saveexec_b64 s[18:19], s[26:27]
	s_cbranch_execz .LBB280_252
.LBB280_248:
	s_and_b64 vcc, exec, s[0:1]
	s_cbranch_vccnz .LBB280_250
; %bb.249:
	v_lshl_add_u64 v[26:27], v[46:47], 1, v[26:27]
	flat_load_ushort v26, v[26:27]
	s_waitcnt vmcnt(0) lgkmcnt(0)
	v_mul_f16_e32 v26, s33, v26
	s_branch .LBB280_251
.LBB280_250:
	v_mov_b32_e32 v26, 0
.LBB280_251:
	s_waitcnt lgkmcnt(1)
	v_pk_add_f16 v20, v2, v20
	v_pk_max_f16 v27, v76, v76
	v_pk_add_f16 v21, v3, v21
	v_pk_min_f16 v20, v27, v20
	s_nop 0
	v_pk_min_f16 v20, v20, v21
	s_nop 0
	v_lshrrev_b32_e32 v21, 16, v20
	v_min3_f16 v26, v26, v20, v21
	v_lshl_add_u64 v[20:21], v[46:47], 1, v[24:25]
	global_store_short v[20:21], v26, off
.LBB280_252:
	s_or_b64 exec, exec, s[18:19]
	v_add_u32_e32 v26, 0xa0, v98
	s_waitcnt lgkmcnt(1)
	v_mad_i64_i32 v[20:21], s[26:27], v26, s29, 0
	v_cmp_gt_i32_e64 s[18:19], s21, v26
	v_lshl_add_u64 v[24:25], v[20:21], 1, s[24:25]
	v_mad_i64_i32 v[20:21], s[26:27], v26, s28, 0
	v_lshl_add_u64 v[20:21], v[20:21], 1, s[22:23]
	s_and_b64 s[30:31], s[2:3], s[18:19]
	s_and_saveexec_b64 s[26:27], s[30:31]
	s_cbranch_execnz .LBB280_260
; %bb.253:
	s_or_b64 exec, exec, s[26:27]
	s_and_b64 s[30:31], s[4:5], s[18:19]
	s_and_saveexec_b64 s[26:27], s[30:31]
	s_cbranch_execnz .LBB280_264
.LBB280_254:
	s_or_b64 exec, exec, s[26:27]
	s_and_b64 s[30:31], s[6:7], s[18:19]
	s_and_saveexec_b64 s[26:27], s[30:31]
	s_cbranch_execnz .LBB280_268
.LBB280_255:
	s_or_b64 exec, exec, s[26:27]
	s_and_b64 s[30:31], s[8:9], s[18:19]
	s_and_saveexec_b64 s[26:27], s[30:31]
	s_cbranch_execnz .LBB280_272
.LBB280_256:
	s_or_b64 exec, exec, s[26:27]
	s_and_b64 s[30:31], s[10:11], s[18:19]
	s_and_saveexec_b64 s[26:27], s[30:31]
	s_cbranch_execnz .LBB280_276
.LBB280_257:
	s_or_b64 exec, exec, s[26:27]
	s_and_b64 s[30:31], s[12:13], s[18:19]
	s_and_saveexec_b64 s[26:27], s[30:31]
	s_cbranch_execnz .LBB280_280
.LBB280_258:
	s_or_b64 exec, exec, s[26:27]
	s_and_b64 s[30:31], s[14:15], s[18:19]
	s_and_saveexec_b64 s[26:27], s[30:31]
	s_cbranch_execnz .LBB280_284
.LBB280_259:
	s_or_b64 exec, exec, s[26:27]
	s_and_b64 s[26:27], s[16:17], s[18:19]
	s_and_saveexec_b64 s[18:19], s[26:27]
	s_cbranch_execnz .LBB280_288
	s_branch .LBB280_292
.LBB280_260:
	s_and_b64 vcc, exec, s[0:1]
	s_cbranch_vccnz .LBB280_262
; %bb.261:
	v_lshl_add_u64 v[26:27], v[32:33], 1, v[24:25]
	flat_load_ushort v26, v[26:27]
	s_waitcnt vmcnt(0) lgkmcnt(0)
	v_mul_f16_e32 v26, s33, v26
	s_branch .LBB280_263
.LBB280_262:
	v_mov_b32_e32 v26, 0
.LBB280_263:
	v_pk_add_f16 v27, v16, v22
	v_pk_max_f16 v28, v75, v75
	s_nop 0
	v_pk_min_f16 v27, v28, v27
	v_pk_add_f16 v28, v17, v23
	s_nop 0
	v_pk_min_f16 v27, v27, v28
	s_nop 0
	v_lshrrev_b32_e32 v28, 16, v27
	v_min3_f16 v28, v26, v27, v28
	v_lshl_add_u64 v[26:27], v[32:33], 1, v[20:21]
	global_store_short v[26:27], v28, off
	s_or_b64 exec, exec, s[26:27]
	s_and_b64 s[30:31], s[4:5], s[18:19]
	s_and_saveexec_b64 s[26:27], s[30:31]
	s_cbranch_execz .LBB280_254
.LBB280_264:
	s_and_b64 vcc, exec, s[0:1]
	s_cbranch_vccnz .LBB280_266
; %bb.265:
	v_lshl_add_u64 v[26:27], v[34:35], 1, v[24:25]
	flat_load_ushort v26, v[26:27]
	s_waitcnt vmcnt(0) lgkmcnt(0)
	v_mul_f16_e32 v26, s33, v26
	s_branch .LBB280_267
.LBB280_266:
	v_mov_b32_e32 v26, 0
.LBB280_267:
	v_pk_add_f16 v27, v18, v22
	v_pk_max_f16 v28, v74, v74
	s_nop 0
	v_pk_min_f16 v27, v28, v27
	v_pk_add_f16 v28, v19, v23
	s_nop 0
	v_pk_min_f16 v27, v27, v28
	s_nop 0
	v_lshrrev_b32_e32 v28, 16, v27
	v_min3_f16 v28, v26, v27, v28
	v_lshl_add_u64 v[26:27], v[34:35], 1, v[20:21]
	global_store_short v[26:27], v28, off
	s_or_b64 exec, exec, s[26:27]
	s_and_b64 s[30:31], s[6:7], s[18:19]
	s_and_saveexec_b64 s[26:27], s[30:31]
	s_cbranch_execz .LBB280_255
.LBB280_268:
	s_and_b64 vcc, exec, s[0:1]
	s_cbranch_vccnz .LBB280_270
; %bb.269:
	v_lshl_add_u64 v[26:27], v[36:37], 1, v[24:25]
	flat_load_ushort v26, v[26:27]
	s_waitcnt vmcnt(0) lgkmcnt(0)
	v_mul_f16_e32 v26, s33, v26
	s_branch .LBB280_271
.LBB280_270:
	v_mov_b32_e32 v26, 0
.LBB280_271:
	v_pk_add_f16 v27, v12, v22
	v_pk_max_f16 v28, v73, v73
	s_nop 0
	v_pk_min_f16 v27, v28, v27
	v_pk_add_f16 v28, v13, v23
	s_nop 0
	v_pk_min_f16 v27, v27, v28
	s_nop 0
	v_lshrrev_b32_e32 v28, 16, v27
	v_min3_f16 v28, v26, v27, v28
	v_lshl_add_u64 v[26:27], v[36:37], 1, v[20:21]
	global_store_short v[26:27], v28, off
	s_or_b64 exec, exec, s[26:27]
	s_and_b64 s[30:31], s[8:9], s[18:19]
	s_and_saveexec_b64 s[26:27], s[30:31]
	s_cbranch_execz .LBB280_256
.LBB280_272:
	s_and_b64 vcc, exec, s[0:1]
	s_cbranch_vccnz .LBB280_274
; %bb.273:
	v_lshl_add_u64 v[26:27], v[38:39], 1, v[24:25]
	flat_load_ushort v26, v[26:27]
	s_waitcnt vmcnt(0) lgkmcnt(0)
	v_mul_f16_e32 v26, s33, v26
	s_branch .LBB280_275
.LBB280_274:
	v_mov_b32_e32 v26, 0
.LBB280_275:
	v_pk_add_f16 v27, v14, v22
	v_pk_max_f16 v28, v72, v72
	s_nop 0
	v_pk_min_f16 v27, v28, v27
	v_pk_add_f16 v28, v15, v23
	s_nop 0
	v_pk_min_f16 v27, v27, v28
	s_nop 0
	v_lshrrev_b32_e32 v28, 16, v27
	v_min3_f16 v28, v26, v27, v28
	v_lshl_add_u64 v[26:27], v[38:39], 1, v[20:21]
	global_store_short v[26:27], v28, off
	s_or_b64 exec, exec, s[26:27]
	s_and_b64 s[30:31], s[10:11], s[18:19]
	s_and_saveexec_b64 s[26:27], s[30:31]
	s_cbranch_execz .LBB280_257
.LBB280_276:
	s_and_b64 vcc, exec, s[0:1]
	s_cbranch_vccnz .LBB280_278
; %bb.277:
	v_lshl_add_u64 v[26:27], v[40:41], 1, v[24:25]
	flat_load_ushort v26, v[26:27]
	s_waitcnt vmcnt(0) lgkmcnt(0)
	v_mul_f16_e32 v26, s33, v26
	s_branch .LBB280_279
.LBB280_278:
	v_mov_b32_e32 v26, 0
.LBB280_279:
	v_pk_add_f16 v27, v8, v22
	v_pk_max_f16 v28, v71, v71
	s_nop 0
	v_pk_min_f16 v27, v28, v27
	v_pk_add_f16 v28, v9, v23
	s_nop 0
	v_pk_min_f16 v27, v27, v28
	s_nop 0
	v_lshrrev_b32_e32 v28, 16, v27
	v_min3_f16 v28, v26, v27, v28
	v_lshl_add_u64 v[26:27], v[40:41], 1, v[20:21]
	global_store_short v[26:27], v28, off
	s_or_b64 exec, exec, s[26:27]
	s_and_b64 s[30:31], s[12:13], s[18:19]
	s_and_saveexec_b64 s[26:27], s[30:31]
	s_cbranch_execz .LBB280_258
.LBB280_280:
	s_and_b64 vcc, exec, s[0:1]
	s_cbranch_vccnz .LBB280_282
; %bb.281:
	v_lshl_add_u64 v[26:27], v[42:43], 1, v[24:25]
	flat_load_ushort v26, v[26:27]
	s_waitcnt vmcnt(0) lgkmcnt(0)
	v_mul_f16_e32 v26, s33, v26
	s_branch .LBB280_283
.LBB280_282:
	v_mov_b32_e32 v26, 0
.LBB280_283:
	v_pk_add_f16 v27, v10, v22
	v_pk_max_f16 v28, v70, v70
	s_nop 0
	v_pk_min_f16 v27, v28, v27
	v_pk_add_f16 v28, v11, v23
	s_nop 0
	v_pk_min_f16 v27, v27, v28
	s_nop 0
	v_lshrrev_b32_e32 v28, 16, v27
	v_min3_f16 v28, v26, v27, v28
	v_lshl_add_u64 v[26:27], v[42:43], 1, v[20:21]
	global_store_short v[26:27], v28, off
	s_or_b64 exec, exec, s[26:27]
	s_and_b64 s[30:31], s[14:15], s[18:19]
	s_and_saveexec_b64 s[26:27], s[30:31]
	s_cbranch_execz .LBB280_259
.LBB280_284:
	s_and_b64 vcc, exec, s[0:1]
	s_cbranch_vccnz .LBB280_286
; %bb.285:
	v_lshl_add_u64 v[26:27], v[44:45], 1, v[24:25]
	flat_load_ushort v26, v[26:27]
	s_waitcnt vmcnt(0) lgkmcnt(0)
	v_mul_f16_e32 v26, s33, v26
	s_branch .LBB280_287
.LBB280_286:
	v_mov_b32_e32 v26, 0
.LBB280_287:
	v_pk_add_f16 v27, v0, v22
	v_pk_max_f16 v28, v69, v69
	s_nop 0
	v_pk_min_f16 v27, v28, v27
	v_pk_add_f16 v28, v1, v23
	s_nop 0
	v_pk_min_f16 v27, v27, v28
	s_nop 0
	v_lshrrev_b32_e32 v28, 16, v27
	v_min3_f16 v28, v26, v27, v28
	v_lshl_add_u64 v[26:27], v[44:45], 1, v[20:21]
	global_store_short v[26:27], v28, off
	s_or_b64 exec, exec, s[26:27]
	s_and_b64 s[26:27], s[16:17], s[18:19]
	s_and_saveexec_b64 s[18:19], s[26:27]
	s_cbranch_execz .LBB280_292
.LBB280_288:
	s_and_b64 vcc, exec, s[0:1]
	s_cbranch_vccnz .LBB280_290
; %bb.289:
	v_lshl_add_u64 v[24:25], v[46:47], 1, v[24:25]
	flat_load_ushort v24, v[24:25]
	s_waitcnt vmcnt(0) lgkmcnt(0)
	v_mul_f16_e32 v24, s33, v24
	s_branch .LBB280_291
.LBB280_290:
	v_mov_b32_e32 v24, 0
.LBB280_291:
	v_pk_add_f16 v22, v2, v22
	v_pk_max_f16 v25, v68, v68
	v_pk_add_f16 v23, v3, v23
	v_pk_min_f16 v22, v25, v22
	v_lshl_add_u64 v[20:21], v[46:47], 1, v[20:21]
	v_pk_min_f16 v22, v22, v23
	s_nop 0
	v_lshrrev_b32_e32 v23, 16, v22
	v_min3_f16 v22, v24, v22, v23
	global_store_short v[20:21], v22, off
.LBB280_292:
	s_or_b64 exec, exec, s[18:19]
	v_add_u32_e32 v24, 0xc0, v98
	v_mad_i64_i32 v[20:21], s[26:27], v24, s29, 0
	v_cmp_gt_i32_e64 s[18:19], s21, v24
	v_lshl_add_u64 v[22:23], v[20:21], 1, s[24:25]
	v_mad_i64_i32 v[20:21], s[26:27], v24, s28, 0
	v_lshl_add_u64 v[20:21], v[20:21], 1, s[22:23]
	s_and_b64 s[30:31], s[2:3], s[18:19]
	s_and_saveexec_b64 s[26:27], s[30:31]
	s_cbranch_execnz .LBB280_300
; %bb.293:
	s_or_b64 exec, exec, s[26:27]
	s_and_b64 s[30:31], s[4:5], s[18:19]
	s_and_saveexec_b64 s[26:27], s[30:31]
	s_cbranch_execnz .LBB280_304
.LBB280_294:
	s_or_b64 exec, exec, s[26:27]
	s_and_b64 s[30:31], s[6:7], s[18:19]
	s_and_saveexec_b64 s[26:27], s[30:31]
	s_cbranch_execnz .LBB280_308
.LBB280_295:
	s_or_b64 exec, exec, s[26:27]
	s_and_b64 s[30:31], s[8:9], s[18:19]
	s_and_saveexec_b64 s[26:27], s[30:31]
	s_cbranch_execnz .LBB280_312
.LBB280_296:
	s_or_b64 exec, exec, s[26:27]
	s_and_b64 s[30:31], s[10:11], s[18:19]
	s_and_saveexec_b64 s[26:27], s[30:31]
	s_cbranch_execnz .LBB280_316
.LBB280_297:
	s_or_b64 exec, exec, s[26:27]
	s_and_b64 s[30:31], s[12:13], s[18:19]
	s_and_saveexec_b64 s[26:27], s[30:31]
	s_cbranch_execnz .LBB280_320
.LBB280_298:
	s_or_b64 exec, exec, s[26:27]
	s_and_b64 s[30:31], s[14:15], s[18:19]
	s_and_saveexec_b64 s[26:27], s[30:31]
	s_cbranch_execnz .LBB280_324
.LBB280_299:
	s_or_b64 exec, exec, s[26:27]
	s_and_b64 s[26:27], s[16:17], s[18:19]
	s_and_saveexec_b64 s[18:19], s[26:27]
	s_cbranch_execnz .LBB280_328
	s_branch .LBB280_332
.LBB280_300:
	s_and_b64 vcc, exec, s[0:1]
	s_cbranch_vccnz .LBB280_302
; %bb.301:
	v_lshl_add_u64 v[24:25], v[32:33], 1, v[22:23]
	flat_load_ushort v24, v[24:25]
	s_waitcnt vmcnt(0) lgkmcnt(0)
	v_mul_f16_e32 v24, s33, v24
	s_branch .LBB280_303
.LBB280_302:
	v_mov_b32_e32 v24, 0
.LBB280_303:
	s_waitcnt lgkmcnt(0)
	v_pk_add_f16 v25, v16, v4
	v_pk_max_f16 v26, v67, v67
	s_nop 0
	v_pk_min_f16 v25, v26, v25
	v_pk_add_f16 v26, v17, v5
	s_nop 0
	v_pk_min_f16 v25, v25, v26
	s_nop 0
	v_lshrrev_b32_e32 v26, 16, v25
	v_min3_f16 v26, v24, v25, v26
	v_lshl_add_u64 v[24:25], v[32:33], 1, v[20:21]
	global_store_short v[24:25], v26, off
	s_or_b64 exec, exec, s[26:27]
	s_and_b64 s[30:31], s[4:5], s[18:19]
	s_and_saveexec_b64 s[26:27], s[30:31]
	s_cbranch_execz .LBB280_294
.LBB280_304:
	s_and_b64 vcc, exec, s[0:1]
	s_cbranch_vccnz .LBB280_306
; %bb.305:
	v_lshl_add_u64 v[24:25], v[34:35], 1, v[22:23]
	flat_load_ushort v24, v[24:25]
	s_waitcnt vmcnt(0) lgkmcnt(0)
	v_mul_f16_e32 v24, s33, v24
	s_branch .LBB280_307
.LBB280_306:
	v_mov_b32_e32 v24, 0
.LBB280_307:
	s_waitcnt lgkmcnt(0)
	v_pk_add_f16 v25, v18, v4
	v_pk_max_f16 v26, v66, v66
	s_nop 0
	v_pk_min_f16 v25, v26, v25
	v_pk_add_f16 v26, v19, v5
	s_nop 0
	v_pk_min_f16 v25, v25, v26
	s_nop 0
	v_lshrrev_b32_e32 v26, 16, v25
	v_min3_f16 v26, v24, v25, v26
	v_lshl_add_u64 v[24:25], v[34:35], 1, v[20:21]
	global_store_short v[24:25], v26, off
	s_or_b64 exec, exec, s[26:27]
	s_and_b64 s[30:31], s[6:7], s[18:19]
	s_and_saveexec_b64 s[26:27], s[30:31]
	s_cbranch_execz .LBB280_295
.LBB280_308:
	s_and_b64 vcc, exec, s[0:1]
	s_cbranch_vccnz .LBB280_310
; %bb.309:
	v_lshl_add_u64 v[24:25], v[36:37], 1, v[22:23]
	flat_load_ushort v24, v[24:25]
	s_waitcnt vmcnt(0) lgkmcnt(0)
	v_mul_f16_e32 v24, s33, v24
	s_branch .LBB280_311
.LBB280_310:
	v_mov_b32_e32 v24, 0
.LBB280_311:
	s_waitcnt lgkmcnt(0)
	v_pk_add_f16 v25, v12, v4
	v_pk_max_f16 v26, v65, v65
	s_nop 0
	v_pk_min_f16 v25, v26, v25
	v_pk_add_f16 v26, v13, v5
	s_nop 0
	v_pk_min_f16 v25, v25, v26
	s_nop 0
	v_lshrrev_b32_e32 v26, 16, v25
	v_min3_f16 v26, v24, v25, v26
	v_lshl_add_u64 v[24:25], v[36:37], 1, v[20:21]
	global_store_short v[24:25], v26, off
	s_or_b64 exec, exec, s[26:27]
	s_and_b64 s[30:31], s[8:9], s[18:19]
	s_and_saveexec_b64 s[26:27], s[30:31]
	s_cbranch_execz .LBB280_296
.LBB280_312:
	s_and_b64 vcc, exec, s[0:1]
	s_cbranch_vccnz .LBB280_314
; %bb.313:
	v_lshl_add_u64 v[24:25], v[38:39], 1, v[22:23]
	flat_load_ushort v24, v[24:25]
	s_waitcnt vmcnt(0) lgkmcnt(0)
	v_mul_f16_e32 v24, s33, v24
	s_branch .LBB280_315
.LBB280_314:
	v_mov_b32_e32 v24, 0
.LBB280_315:
	s_waitcnt lgkmcnt(0)
	v_pk_add_f16 v25, v14, v4
	v_pk_max_f16 v26, v64, v64
	s_nop 0
	v_pk_min_f16 v25, v26, v25
	v_pk_add_f16 v26, v15, v5
	s_nop 0
	v_pk_min_f16 v25, v25, v26
	s_nop 0
	v_lshrrev_b32_e32 v26, 16, v25
	v_min3_f16 v26, v24, v25, v26
	v_lshl_add_u64 v[24:25], v[38:39], 1, v[20:21]
	global_store_short v[24:25], v26, off
	s_or_b64 exec, exec, s[26:27]
	s_and_b64 s[30:31], s[10:11], s[18:19]
	s_and_saveexec_b64 s[26:27], s[30:31]
	s_cbranch_execz .LBB280_297
.LBB280_316:
	s_and_b64 vcc, exec, s[0:1]
	s_cbranch_vccnz .LBB280_318
; %bb.317:
	v_lshl_add_u64 v[24:25], v[40:41], 1, v[22:23]
	flat_load_ushort v24, v[24:25]
	s_waitcnt vmcnt(0) lgkmcnt(0)
	v_mul_f16_e32 v24, s33, v24
	s_branch .LBB280_319
.LBB280_318:
	v_mov_b32_e32 v24, 0
.LBB280_319:
	s_waitcnt lgkmcnt(0)
	v_pk_add_f16 v25, v8, v4
	v_pk_max_f16 v26, v63, v63
	s_nop 0
	v_pk_min_f16 v25, v26, v25
	v_pk_add_f16 v26, v9, v5
	s_nop 0
	v_pk_min_f16 v25, v25, v26
	s_nop 0
	v_lshrrev_b32_e32 v26, 16, v25
	v_min3_f16 v26, v24, v25, v26
	v_lshl_add_u64 v[24:25], v[40:41], 1, v[20:21]
	global_store_short v[24:25], v26, off
	s_or_b64 exec, exec, s[26:27]
	s_and_b64 s[30:31], s[12:13], s[18:19]
	s_and_saveexec_b64 s[26:27], s[30:31]
	s_cbranch_execz .LBB280_298
.LBB280_320:
	s_and_b64 vcc, exec, s[0:1]
	s_cbranch_vccnz .LBB280_322
; %bb.321:
	v_lshl_add_u64 v[24:25], v[42:43], 1, v[22:23]
	flat_load_ushort v24, v[24:25]
	s_waitcnt vmcnt(0) lgkmcnt(0)
	v_mul_f16_e32 v24, s33, v24
	s_branch .LBB280_323
.LBB280_322:
	v_mov_b32_e32 v24, 0
.LBB280_323:
	s_waitcnt lgkmcnt(0)
	v_pk_add_f16 v25, v10, v4
	v_pk_max_f16 v26, v62, v62
	s_nop 0
	v_pk_min_f16 v25, v26, v25
	v_pk_add_f16 v26, v11, v5
	s_nop 0
	v_pk_min_f16 v25, v25, v26
	s_nop 0
	v_lshrrev_b32_e32 v26, 16, v25
	v_min3_f16 v26, v24, v25, v26
	v_lshl_add_u64 v[24:25], v[42:43], 1, v[20:21]
	global_store_short v[24:25], v26, off
	s_or_b64 exec, exec, s[26:27]
	s_and_b64 s[30:31], s[14:15], s[18:19]
	s_and_saveexec_b64 s[26:27], s[30:31]
	s_cbranch_execz .LBB280_299
.LBB280_324:
	s_and_b64 vcc, exec, s[0:1]
	s_cbranch_vccnz .LBB280_326
; %bb.325:
	v_lshl_add_u64 v[24:25], v[44:45], 1, v[22:23]
	flat_load_ushort v24, v[24:25]
	s_waitcnt vmcnt(0) lgkmcnt(0)
	v_mul_f16_e32 v24, s33, v24
	s_branch .LBB280_327
.LBB280_326:
	v_mov_b32_e32 v24, 0
.LBB280_327:
	s_waitcnt lgkmcnt(0)
	v_pk_add_f16 v25, v0, v4
	v_pk_max_f16 v26, v60, v60
	s_nop 0
	v_pk_min_f16 v25, v26, v25
	v_pk_add_f16 v26, v1, v5
	s_nop 0
	v_pk_min_f16 v25, v25, v26
	s_nop 0
	v_lshrrev_b32_e32 v26, 16, v25
	v_min3_f16 v26, v24, v25, v26
	v_lshl_add_u64 v[24:25], v[44:45], 1, v[20:21]
	global_store_short v[24:25], v26, off
	s_or_b64 exec, exec, s[26:27]
	s_and_b64 s[26:27], s[16:17], s[18:19]
	s_and_saveexec_b64 s[18:19], s[26:27]
	s_cbranch_execz .LBB280_332
.LBB280_328:
	s_and_b64 vcc, exec, s[0:1]
	s_cbranch_vccnz .LBB280_330
; %bb.329:
	v_lshl_add_u64 v[22:23], v[46:47], 1, v[22:23]
	flat_load_ushort v22, v[22:23]
	s_waitcnt vmcnt(0) lgkmcnt(0)
	v_mul_f16_e32 v22, s33, v22
	s_branch .LBB280_331
.LBB280_330:
	v_mov_b32_e32 v22, 0
.LBB280_331:
	s_waitcnt lgkmcnt(0)
	v_pk_add_f16 v4, v2, v4
	v_pk_max_f16 v23, v59, v59
	v_pk_add_f16 v5, v3, v5
	v_pk_min_f16 v4, v23, v4
	s_nop 0
	v_pk_min_f16 v4, v4, v5
	s_nop 0
	v_lshrrev_b32_e32 v5, 16, v4
	v_min3_f16 v22, v22, v4, v5
	v_lshl_add_u64 v[4:5], v[46:47], 1, v[20:21]
	global_store_short v[4:5], v22, off
.LBB280_332:
	s_or_b64 exec, exec, s[18:19]
	v_add_u32_e32 v22, 0xe0, v98
	v_cmp_gt_i32_e64 s[18:19], s21, v22
	s_waitcnt lgkmcnt(0)
	v_mad_i64_i32 v[4:5], s[20:21], v22, s29, 0
	v_lshl_add_u64 v[20:21], v[4:5], 1, s[24:25]
	v_mad_i64_i32 v[4:5], s[20:21], v22, s28, 0
	v_lshl_add_u64 v[4:5], v[4:5], 1, s[22:23]
	s_and_b64 s[20:21], s[2:3], s[18:19]
	s_and_saveexec_b64 s[2:3], s[20:21]
	s_cbranch_execnz .LBB280_341
; %bb.333:
	s_or_b64 exec, exec, s[2:3]
	s_and_b64 s[4:5], s[4:5], s[18:19]
	s_and_saveexec_b64 s[2:3], s[4:5]
	s_cbranch_execnz .LBB280_345
.LBB280_334:
	s_or_b64 exec, exec, s[2:3]
	s_and_b64 s[4:5], s[6:7], s[18:19]
	s_and_saveexec_b64 s[2:3], s[4:5]
	s_cbranch_execnz .LBB280_349
.LBB280_335:
	s_or_b64 exec, exec, s[2:3]
	s_and_b64 s[4:5], s[8:9], s[18:19]
	s_and_saveexec_b64 s[2:3], s[4:5]
	s_cbranch_execnz .LBB280_353
.LBB280_336:
	s_or_b64 exec, exec, s[2:3]
	s_and_b64 s[4:5], s[10:11], s[18:19]
	s_and_saveexec_b64 s[2:3], s[4:5]
	s_cbranch_execnz .LBB280_357
.LBB280_337:
	s_or_b64 exec, exec, s[2:3]
	s_and_b64 s[4:5], s[12:13], s[18:19]
	s_and_saveexec_b64 s[2:3], s[4:5]
	s_cbranch_execnz .LBB280_361
.LBB280_338:
	s_or_b64 exec, exec, s[2:3]
	s_and_b64 s[4:5], s[14:15], s[18:19]
	s_and_saveexec_b64 s[2:3], s[4:5]
	s_cbranch_execnz .LBB280_365
.LBB280_339:
	s_or_b64 exec, exec, s[2:3]
	s_and_b64 s[2:3], s[16:17], s[18:19]
	s_and_saveexec_b64 s[4:5], s[2:3]
	s_cbranch_execnz .LBB280_369
.LBB280_340:
	s_endpgm
.LBB280_341:
	s_and_b64 vcc, exec, s[0:1]
	s_cbranch_vccnz .LBB280_343
; %bb.342:
	v_lshl_add_u64 v[22:23], v[32:33], 1, v[20:21]
	flat_load_ushort v22, v[22:23]
	s_waitcnt vmcnt(0) lgkmcnt(0)
	v_mul_f16_e32 v22, s33, v22
	s_branch .LBB280_344
.LBB280_343:
	v_mov_b32_e32 v22, 0
.LBB280_344:
	v_pk_add_f16 v16, v16, v6
	v_pk_max_f16 v23, v58, v58
	v_pk_add_f16 v17, v17, v7
	v_pk_min_f16 v16, v23, v16
	s_nop 0
	v_pk_min_f16 v16, v16, v17
	s_nop 0
	v_lshrrev_b32_e32 v17, 16, v16
	v_min3_f16 v22, v22, v16, v17
	v_lshl_add_u64 v[16:17], v[32:33], 1, v[4:5]
	global_store_short v[16:17], v22, off
	s_or_b64 exec, exec, s[2:3]
	s_and_b64 s[4:5], s[4:5], s[18:19]
	s_and_saveexec_b64 s[2:3], s[4:5]
	s_cbranch_execz .LBB280_334
.LBB280_345:
	s_and_b64 vcc, exec, s[0:1]
	s_cbranch_vccnz .LBB280_347
; %bb.346:
	v_lshl_add_u64 v[16:17], v[34:35], 1, v[20:21]
	flat_load_ushort v16, v[16:17]
	s_waitcnt vmcnt(0) lgkmcnt(0)
	v_mul_f16_e32 v16, s33, v16
	s_branch .LBB280_348
.LBB280_347:
	v_mov_b32_e32 v16, 0
.LBB280_348:
	v_pk_add_f16 v17, v18, v6
	v_pk_max_f16 v18, v57, v57
	s_nop 0
	v_pk_min_f16 v17, v18, v17
	v_pk_add_f16 v18, v19, v7
	s_nop 0
	v_pk_min_f16 v17, v17, v18
	s_nop 0
	v_lshrrev_b32_e32 v18, 16, v17
	v_min3_f16 v18, v16, v17, v18
	v_lshl_add_u64 v[16:17], v[34:35], 1, v[4:5]
	global_store_short v[16:17], v18, off
	s_or_b64 exec, exec, s[2:3]
	s_and_b64 s[4:5], s[6:7], s[18:19]
	s_and_saveexec_b64 s[2:3], s[4:5]
	s_cbranch_execz .LBB280_335
.LBB280_349:
	s_and_b64 vcc, exec, s[0:1]
	s_cbranch_vccnz .LBB280_351
; %bb.350:
	v_lshl_add_u64 v[16:17], v[36:37], 1, v[20:21]
	flat_load_ushort v16, v[16:17]
	s_waitcnt vmcnt(0) lgkmcnt(0)
	v_mul_f16_e32 v16, s33, v16
	s_branch .LBB280_352
.LBB280_351:
	v_mov_b32_e32 v16, 0
.LBB280_352:
	v_pk_add_f16 v12, v12, v6
	v_pk_max_f16 v17, v56, v56
	v_pk_add_f16 v13, v13, v7
	v_pk_min_f16 v12, v17, v12
	s_nop 0
	v_pk_min_f16 v12, v12, v13
	s_nop 0
	v_lshrrev_b32_e32 v13, 16, v12
	v_min3_f16 v16, v16, v12, v13
	v_lshl_add_u64 v[12:13], v[36:37], 1, v[4:5]
	global_store_short v[12:13], v16, off
	s_or_b64 exec, exec, s[2:3]
	s_and_b64 s[4:5], s[8:9], s[18:19]
	s_and_saveexec_b64 s[2:3], s[4:5]
	s_cbranch_execz .LBB280_336
.LBB280_353:
	s_and_b64 vcc, exec, s[0:1]
	s_cbranch_vccnz .LBB280_355
; %bb.354:
	v_lshl_add_u64 v[12:13], v[38:39], 1, v[20:21]
	flat_load_ushort v12, v[12:13]
	s_waitcnt vmcnt(0) lgkmcnt(0)
	v_mul_f16_e32 v12, s33, v12
	s_branch .LBB280_356
.LBB280_355:
	v_mov_b32_e32 v12, 0
.LBB280_356:
	v_pk_add_f16 v13, v14, v6
	v_pk_max_f16 v14, v55, v55
	s_nop 0
	v_pk_min_f16 v13, v14, v13
	v_pk_add_f16 v14, v15, v7
	s_nop 0
	v_pk_min_f16 v13, v13, v14
	s_nop 0
	v_lshrrev_b32_e32 v14, 16, v13
	v_min3_f16 v14, v12, v13, v14
	v_lshl_add_u64 v[12:13], v[38:39], 1, v[4:5]
	global_store_short v[12:13], v14, off
	s_or_b64 exec, exec, s[2:3]
	s_and_b64 s[4:5], s[10:11], s[18:19]
	s_and_saveexec_b64 s[2:3], s[4:5]
	s_cbranch_execz .LBB280_337
.LBB280_357:
	s_and_b64 vcc, exec, s[0:1]
	s_cbranch_vccnz .LBB280_359
; %bb.358:
	v_lshl_add_u64 v[12:13], v[40:41], 1, v[20:21]
	flat_load_ushort v12, v[12:13]
	s_waitcnt vmcnt(0) lgkmcnt(0)
	v_mul_f16_e32 v12, s33, v12
	s_branch .LBB280_360
.LBB280_359:
	v_mov_b32_e32 v12, 0
.LBB280_360:
	v_pk_add_f16 v8, v8, v6
	v_pk_max_f16 v13, v54, v54
	v_pk_add_f16 v9, v9, v7
	v_pk_min_f16 v8, v13, v8
	s_nop 0
	v_pk_min_f16 v8, v8, v9
	s_nop 0
	v_lshrrev_b32_e32 v9, 16, v8
	v_min3_f16 v12, v12, v8, v9
	v_lshl_add_u64 v[8:9], v[40:41], 1, v[4:5]
	global_store_short v[8:9], v12, off
	s_or_b64 exec, exec, s[2:3]
	s_and_b64 s[4:5], s[12:13], s[18:19]
	s_and_saveexec_b64 s[2:3], s[4:5]
	s_cbranch_execz .LBB280_338
.LBB280_361:
	s_and_b64 vcc, exec, s[0:1]
	s_cbranch_vccnz .LBB280_363
; %bb.362:
	v_lshl_add_u64 v[8:9], v[42:43], 1, v[20:21]
	flat_load_ushort v8, v[8:9]
	s_waitcnt vmcnt(0) lgkmcnt(0)
	v_mul_f16_e32 v8, s33, v8
	s_branch .LBB280_364
.LBB280_363:
	v_mov_b32_e32 v8, 0
.LBB280_364:
	v_pk_add_f16 v9, v10, v6
	v_pk_max_f16 v10, v53, v53
	s_nop 0
	v_pk_min_f16 v9, v10, v9
	v_pk_add_f16 v10, v11, v7
	s_nop 0
	v_pk_min_f16 v9, v9, v10
	s_nop 0
	v_lshrrev_b32_e32 v10, 16, v9
	v_min3_f16 v10, v8, v9, v10
	v_lshl_add_u64 v[8:9], v[42:43], 1, v[4:5]
	global_store_short v[8:9], v10, off
	s_or_b64 exec, exec, s[2:3]
	s_and_b64 s[4:5], s[14:15], s[18:19]
	s_and_saveexec_b64 s[2:3], s[4:5]
	s_cbranch_execz .LBB280_339
.LBB280_365:
	s_and_b64 vcc, exec, s[0:1]
	s_cbranch_vccnz .LBB280_367
; %bb.366:
	v_lshl_add_u64 v[8:9], v[44:45], 1, v[20:21]
	flat_load_ushort v8, v[8:9]
	s_waitcnt vmcnt(0) lgkmcnt(0)
	v_mul_f16_e32 v8, s33, v8
	s_branch .LBB280_368
.LBB280_367:
	v_mov_b32_e32 v8, 0
.LBB280_368:
	v_pk_add_f16 v0, v0, v6
	v_pk_max_f16 v9, v52, v52
	v_pk_add_f16 v1, v1, v7
	v_pk_min_f16 v0, v9, v0
	s_nop 0
	v_pk_min_f16 v0, v0, v1
	s_nop 0
	v_lshrrev_b32_e32 v1, 16, v0
	v_min3_f16 v8, v8, v0, v1
	v_lshl_add_u64 v[0:1], v[44:45], 1, v[4:5]
	global_store_short v[0:1], v8, off
	s_or_b64 exec, exec, s[2:3]
	s_and_b64 s[2:3], s[16:17], s[18:19]
	s_and_saveexec_b64 s[4:5], s[2:3]
	s_cbranch_execz .LBB280_340
.LBB280_369:
	s_and_b64 vcc, exec, s[0:1]
	s_cbranch_vccnz .LBB280_371
; %bb.370:
	v_lshl_add_u64 v[0:1], v[46:47], 1, v[20:21]
	flat_load_ushort v0, v[0:1]
	s_waitcnt vmcnt(0) lgkmcnt(0)
	v_mul_f16_e32 v0, s33, v0
	s_branch .LBB280_372
.LBB280_371:
	v_mov_b32_e32 v0, 0
.LBB280_372:
	v_pk_add_f16 v1, v2, v6
	v_pk_max_f16 v2, v61, v61
	s_nop 0
	v_pk_min_f16 v1, v2, v1
	v_pk_add_f16 v2, v3, v7
	s_nop 0
	v_pk_min_f16 v1, v1, v2
	s_nop 0
	v_lshrrev_b32_e32 v2, 16, v1
	v_min3_f16 v2, v0, v1, v2
	v_lshl_add_u64 v[0:1], v[46:47], 1, v[4:5]
	global_store_short v[0:1], v2, off
	s_endpgm
	.section	.rodata,"a",@progbits
	.p2align	6, 0x0
	.amdhsa_kernel _ZN12_GLOBAL__N_120geam_min_plus_kernelIDF16_Dv2_DF16_S1_Li8ELi32ELi64ELi256ELi4ELi4ELi64ELi64ELi4ELc84ELc84ELb1ELb1ELb1EDF16_KDF16_DF16_EEviiiT16_PT17_ilS5_ilS3_S5_ilPT18_ili26rocblas_geam_ex_operation_
		.amdhsa_group_segment_fixed_size 5120
		.amdhsa_private_segment_fixed_size 0
		.amdhsa_kernarg_size 128
		.amdhsa_user_sgpr_count 2
		.amdhsa_user_sgpr_dispatch_ptr 0
		.amdhsa_user_sgpr_queue_ptr 0
		.amdhsa_user_sgpr_kernarg_segment_ptr 1
		.amdhsa_user_sgpr_dispatch_id 0
		.amdhsa_user_sgpr_kernarg_preload_length 0
		.amdhsa_user_sgpr_kernarg_preload_offset 0
		.amdhsa_user_sgpr_private_segment_size 0
		.amdhsa_uses_dynamic_stack 0
		.amdhsa_enable_private_segment 0
		.amdhsa_system_sgpr_workgroup_id_x 1
		.amdhsa_system_sgpr_workgroup_id_y 0
		.amdhsa_system_sgpr_workgroup_id_z 1
		.amdhsa_system_sgpr_workgroup_info 0
		.amdhsa_system_vgpr_workitem_id 1
		.amdhsa_next_free_vgpr 169
		.amdhsa_next_free_sgpr 40
		.amdhsa_accum_offset 172
		.amdhsa_reserve_vcc 1
		.amdhsa_float_round_mode_32 0
		.amdhsa_float_round_mode_16_64 0
		.amdhsa_float_denorm_mode_32 3
		.amdhsa_float_denorm_mode_16_64 3
		.amdhsa_dx10_clamp 1
		.amdhsa_ieee_mode 1
		.amdhsa_fp16_overflow 0
		.amdhsa_tg_split 0
		.amdhsa_exception_fp_ieee_invalid_op 0
		.amdhsa_exception_fp_denorm_src 0
		.amdhsa_exception_fp_ieee_div_zero 0
		.amdhsa_exception_fp_ieee_overflow 0
		.amdhsa_exception_fp_ieee_underflow 0
		.amdhsa_exception_fp_ieee_inexact 0
		.amdhsa_exception_int_div_zero 0
	.end_amdhsa_kernel
	.section	.text._ZN12_GLOBAL__N_120geam_min_plus_kernelIDF16_Dv2_DF16_S1_Li8ELi32ELi64ELi256ELi4ELi4ELi64ELi64ELi4ELc84ELc84ELb1ELb1ELb1EDF16_KDF16_DF16_EEviiiT16_PT17_ilS5_ilS3_S5_ilPT18_ili26rocblas_geam_ex_operation_,"axG",@progbits,_ZN12_GLOBAL__N_120geam_min_plus_kernelIDF16_Dv2_DF16_S1_Li8ELi32ELi64ELi256ELi4ELi4ELi64ELi64ELi4ELc84ELc84ELb1ELb1ELb1EDF16_KDF16_DF16_EEviiiT16_PT17_ilS5_ilS3_S5_ilPT18_ili26rocblas_geam_ex_operation_,comdat
.Lfunc_end280:
	.size	_ZN12_GLOBAL__N_120geam_min_plus_kernelIDF16_Dv2_DF16_S1_Li8ELi32ELi64ELi256ELi4ELi4ELi64ELi64ELi4ELc84ELc84ELb1ELb1ELb1EDF16_KDF16_DF16_EEviiiT16_PT17_ilS5_ilS3_S5_ilPT18_ili26rocblas_geam_ex_operation_, .Lfunc_end280-_ZN12_GLOBAL__N_120geam_min_plus_kernelIDF16_Dv2_DF16_S1_Li8ELi32ELi64ELi256ELi4ELi4ELi64ELi64ELi4ELc84ELc84ELb1ELb1ELb1EDF16_KDF16_DF16_EEviiiT16_PT17_ilS5_ilS3_S5_ilPT18_ili26rocblas_geam_ex_operation_
                                        ; -- End function
	.section	.AMDGPU.csdata,"",@progbits
; Kernel info:
; codeLenInByte = 19796
; NumSgprs: 46
; NumVgprs: 169
; NumAgprs: 0
; TotalNumVgprs: 169
; ScratchSize: 0
; MemoryBound: 0
; FloatMode: 240
; IeeeMode: 1
; LDSByteSize: 5120 bytes/workgroup (compile time only)
; SGPRBlocks: 5
; VGPRBlocks: 21
; NumSGPRsForWavesPerEU: 46
; NumVGPRsForWavesPerEU: 169
; AccumOffset: 172
; Occupancy: 2
; WaveLimiterHint : 0
; COMPUTE_PGM_RSRC2:SCRATCH_EN: 0
; COMPUTE_PGM_RSRC2:USER_SGPR: 2
; COMPUTE_PGM_RSRC2:TRAP_HANDLER: 0
; COMPUTE_PGM_RSRC2:TGID_X_EN: 1
; COMPUTE_PGM_RSRC2:TGID_Y_EN: 0
; COMPUTE_PGM_RSRC2:TGID_Z_EN: 1
; COMPUTE_PGM_RSRC2:TIDIG_COMP_CNT: 1
; COMPUTE_PGM_RSRC3_GFX90A:ACCUM_OFFSET: 42
; COMPUTE_PGM_RSRC3_GFX90A:TG_SPLIT: 0
	.section	.text._ZN12_GLOBAL__N_120geam_min_plus_kernelIDF16_Dv2_DF16_S1_Li8ELi32ELi64ELi256ELi4ELi4ELi64ELi64ELi4ELc84ELc84ELb0ELb1ELb1EDF16_KDF16_DF16_EEviiiT16_PT17_ilS5_ilS3_S5_ilPT18_ili26rocblas_geam_ex_operation_,"axG",@progbits,_ZN12_GLOBAL__N_120geam_min_plus_kernelIDF16_Dv2_DF16_S1_Li8ELi32ELi64ELi256ELi4ELi4ELi64ELi64ELi4ELc84ELc84ELb0ELb1ELb1EDF16_KDF16_DF16_EEviiiT16_PT17_ilS5_ilS3_S5_ilPT18_ili26rocblas_geam_ex_operation_,comdat
	.globl	_ZN12_GLOBAL__N_120geam_min_plus_kernelIDF16_Dv2_DF16_S1_Li8ELi32ELi64ELi256ELi4ELi4ELi64ELi64ELi4ELc84ELc84ELb0ELb1ELb1EDF16_KDF16_DF16_EEviiiT16_PT17_ilS5_ilS3_S5_ilPT18_ili26rocblas_geam_ex_operation_ ; -- Begin function _ZN12_GLOBAL__N_120geam_min_plus_kernelIDF16_Dv2_DF16_S1_Li8ELi32ELi64ELi256ELi4ELi4ELi64ELi64ELi4ELc84ELc84ELb0ELb1ELb1EDF16_KDF16_DF16_EEviiiT16_PT17_ilS5_ilS3_S5_ilPT18_ili26rocblas_geam_ex_operation_
	.p2align	8
	.type	_ZN12_GLOBAL__N_120geam_min_plus_kernelIDF16_Dv2_DF16_S1_Li8ELi32ELi64ELi256ELi4ELi4ELi64ELi64ELi4ELc84ELc84ELb0ELb1ELb1EDF16_KDF16_DF16_EEviiiT16_PT17_ilS5_ilS3_S5_ilPT18_ili26rocblas_geam_ex_operation_,@function
_ZN12_GLOBAL__N_120geam_min_plus_kernelIDF16_Dv2_DF16_S1_Li8ELi32ELi64ELi256ELi4ELi4ELi64ELi64ELi4ELc84ELc84ELb0ELb1ELb1EDF16_KDF16_DF16_EEviiiT16_PT17_ilS5_ilS3_S5_ilPT18_ili26rocblas_geam_ex_operation_: ; @_ZN12_GLOBAL__N_120geam_min_plus_kernelIDF16_Dv2_DF16_S1_Li8ELi32ELi64ELi256ELi4ELi4ELi64ELi64ELi4ELc84ELc84ELb0ELb1ELb1EDF16_KDF16_DF16_EEviiiT16_PT17_ilS5_ilS3_S5_ilPT18_ili26rocblas_geam_ex_operation_
; %bb.0:
	s_load_dwordx4 s[20:23], s[0:1], 0x0
	s_load_dwordx4 s[4:7], s[0:1], 0x20
	s_mov_b64 s[36:37], 0
	s_waitcnt lgkmcnt(0)
	v_cmp_eq_f16_e64 s[30:31], s23, 0
	v_cmp_neq_f16_e64 s[8:9], s23, 0
	s_and_b64 vcc, exec, s[30:31]
	s_cbranch_vccnz .LBB281_2
; %bb.1:
	s_load_dwordx2 s[10:11], s[0:1], 0x10
	s_mul_i32 s5, s3, s5
	s_mul_hi_u32 s12, s3, s4
	s_add_i32 s5, s12, s5
	s_mul_i32 s4, s3, s4
	s_lshl_b64 s[4:5], s[4:5], 1
	s_waitcnt lgkmcnt(0)
	s_add_u32 s36, s10, s4
	s_addc_u32 s37, s11, s5
.LBB281_2:
	s_and_b64 vcc, exec, s[8:9]
	s_cbranch_vccz .LBB281_4
; %bb.3:
	s_load_dwordx2 s[4:5], s[0:1], 0x38
	s_mov_b32 s29, 0
	s_waitcnt lgkmcnt(0)
	s_mul_i32 s5, s3, s5
	s_mul_hi_u32 s8, s3, s4
	s_mul_i32 s4, s3, s4
	s_add_i32 s5, s8, s5
	s_lshl_b64 s[4:5], s[4:5], 1
	s_add_u32 s34, s6, s4
	s_addc_u32 s35, s7, s5
	s_cbranch_execz .LBB281_5
	s_branch .LBB281_6
.LBB281_4:
                                        ; implicit-def: $sgpr34_sgpr35
                                        ; implicit-def: $sgpr28_sgpr29
.LBB281_5:
	s_mov_b32 s29, 0
	s_mov_b64 s[34:35], 0
.LBB281_6:
	s_load_dword s28, s[0:1], 0x40
	s_load_dwordx4 s[16:19], s[0:1], 0x58
	s_waitcnt lgkmcnt(0)
	v_cmp_eq_f16_e64 s[4:5], s28, 0
	v_cmp_neq_f16_e64 s[26:27], s28, 0
	s_and_b64 vcc, exec, s[4:5]
	s_cbranch_vccnz .LBB281_8
; %bb.7:
	s_load_dwordx2 s[4:5], s[0:1], 0x48
	s_mul_i32 s6, s3, s17
	s_mul_hi_u32 s7, s3, s16
	s_add_i32 s6, s7, s6
	s_mul_i32 s7, s29, s16
	s_add_i32 s7, s6, s7
	s_mul_i32 s6, s3, s16
	s_lshl_b64 s[6:7], s[6:7], 1
	s_waitcnt lgkmcnt(0)
	s_add_u32 s24, s4, s6
	s_addc_u32 s25, s5, s7
	s_branch .LBB281_9
.LBB281_8:
	s_mov_b64 s[24:25], 0
.LBB281_9:
	s_add_i32 s7, s20, -1
	s_ashr_i32 s4, s7, 31
	s_lshr_b32 s4, s4, 26
	s_add_i32 s4, s7, s4
	s_ashr_i32 s4, s4, 6
	s_add_i32 s5, s4, 1
	v_cvt_f32_u32_e32 v1, s5
	s_not_b32 s4, s4
	v_and_b32_e32 v44, 0x3ff, v0
	v_bfe_u32 v45, v0, 10, 10
	v_rcp_iflag_f32_e32 v1, v1
	v_lshl_add_u32 v0, v45, 3, v44
	v_lshrrev_b32_e32 v2, 2, v0
	s_load_dword s38, s[0:1], 0x18
	v_mul_f32_e32 v1, 0x4f7ffffe, v1
	v_cvt_u32_f32_e32 v1, v1
	v_and_b32_e32 v46, 3, v44
	v_mov_b32_e32 v5, 0x7c00
	v_lshlrev_b32_e32 v40, 1, v46
	v_readfirstlane_b32 s6, v1
	s_mul_i32 s4, s4, s6
	s_mul_hi_u32 s4, s6, s4
	s_add_i32 s6, s6, s4
	s_mul_hi_u32 s4, s2, s6
	s_mul_i32 s6, s4, s5
	s_sub_i32 s6, s2, s6
	s_add_i32 s8, s4, 1
	s_sub_i32 s9, s6, s5
	s_cmp_ge_u32 s6, s5
	s_cselect_b32 s4, s8, s4
	s_cselect_b32 s6, s9, s6
	s_add_i32 s8, s4, 1
	s_cmp_ge_u32 s6, s5
	s_cselect_b32 s6, s8, s4
	s_mul_i32 s4, s6, s5
	s_sub_i32 s2, s2, s4
	s_lshl_b32 s2, s2, 6
	v_add_u32_e32 v1, s2, v2
	v_cmp_le_i32_e64 s[4:5], s22, v46
	v_cmp_le_i32_e32 vcc, s20, v1
	s_or_b64 s[4:5], s[4:5], vcc
	v_cndmask_b32_e64 v3, 0, v5, s[4:5]
	s_or_b64 s[4:5], s[30:31], s[4:5]
	v_min_i32_e32 v42, s7, v1
	s_xor_b64 s[8:9], s[4:5], -1
	s_and_saveexec_b64 s[4:5], s[8:9]
	s_cbranch_execz .LBB281_11
; %bb.10:
	s_waitcnt lgkmcnt(0)
	v_mad_i64_i32 v[6:7], s[8:9], v42, s38, 0
	v_lshl_add_u64 v[6:7], v[6:7], 1, s[36:37]
	v_mov_b32_e32 v41, 0
	v_lshl_add_u64 v[6:7], v[6:7], 0, v[40:41]
	flat_load_ushort v1, v[6:7]
	s_waitcnt vmcnt(0) lgkmcnt(0)
	v_mul_f16_e32 v3, s23, v1
.LBB281_11:
	s_or_b64 exec, exec, s[4:5]
	s_load_dword s17, s[0:1], 0x30
	v_and_b32_e32 v4, 63, v0
	v_lshrrev_b32_e32 v47, 6, v0
	s_lshl_b32 s16, s6, 8
	s_add_i32 s33, s22, -1
	v_or_b32_e32 v32, s16, v4
	v_min_i32_e32 v0, s33, v47
	v_cmp_le_i32_e64 s[10:11], s22, v47
	s_waitcnt lgkmcnt(0)
	v_mad_i64_i32 v[0:1], s[4:5], s17, v0, 0
	v_cmp_le_i32_e64 s[12:13], s21, v32
	s_or_b64 s[4:5], s[12:13], s[10:11]
	v_cndmask_b32_e64 v5, 0, v5, s[4:5]
	s_or_b64 s[4:5], s[30:31], s[4:5]
	v_lshl_add_u64 v[0:1], v[0:1], 1, s[34:35]
	s_xor_b64 s[6:7], s[4:5], -1
	v_ashrrev_i32_e32 v33, 31, v32
	s_and_saveexec_b64 s[4:5], s[6:7]
	s_cbranch_execz .LBB281_13
; %bb.12:
	v_lshl_add_u64 v[6:7], v[32:33], 1, v[0:1]
	flat_load_ushort v5, v[6:7]
	s_waitcnt vmcnt(0) lgkmcnt(0)
	v_mul_f16_e32 v5, s23, v5
.LBB281_13:
	s_or_b64 exec, exec, s[4:5]
	v_or_b32_e32 v6, 64, v32
	v_cmp_le_i32_e64 s[4:5], s21, v6
	s_add_i32 s14, s21, -1
	v_mov_b32_e32 v7, 0x7c00
	s_or_b64 s[6:7], s[4:5], s[10:11]
	v_min_i32_e32 v34, s14, v6
	v_cndmask_b32_e64 v6, 0, v7, s[6:7]
	s_or_b64 s[6:7], s[30:31], s[6:7]
	s_xor_b64 s[8:9], s[6:7], -1
	v_ashrrev_i32_e32 v35, 31, v34
	s_and_saveexec_b64 s[6:7], s[8:9]
	s_cbranch_execz .LBB281_15
; %bb.14:
	v_lshl_add_u64 v[8:9], v[34:35], 1, v[0:1]
	flat_load_ushort v6, v[8:9]
	s_waitcnt vmcnt(0) lgkmcnt(0)
	v_mul_f16_e32 v6, s23, v6
.LBB281_15:
	s_or_b64 exec, exec, s[6:7]
	v_or_b32_e32 v8, 0x80, v32
	v_cmp_le_i32_e64 s[6:7], s21, v8
	s_or_b64 s[8:9], s[6:7], s[10:11]
	v_min_i32_e32 v36, s14, v8
	v_cndmask_b32_e64 v7, 0, v7, s[8:9]
	s_or_b64 s[8:9], s[30:31], s[8:9]
	s_xor_b64 s[40:41], s[8:9], -1
	v_ashrrev_i32_e32 v37, 31, v36
	s_and_saveexec_b64 s[8:9], s[40:41]
	s_cbranch_execz .LBB281_17
; %bb.16:
	v_lshl_add_u64 v[8:9], v[36:37], 1, v[0:1]
	flat_load_ushort v7, v[8:9]
	s_waitcnt vmcnt(0) lgkmcnt(0)
	v_mul_f16_e32 v7, s23, v7
.LBB281_17:
	s_or_b64 exec, exec, s[8:9]
	v_or_b32_e32 v8, 0xc0, v32
	v_cmp_le_i32_e64 s[8:9], s21, v8
	v_mov_b32_e32 v9, 0x7c00
	s_or_b64 s[10:11], s[8:9], s[10:11]
	v_min_i32_e32 v38, s14, v8
	v_cndmask_b32_e64 v8, 0, v9, s[10:11]
	s_or_b64 s[10:11], s[30:31], s[10:11]
	s_xor_b64 s[14:15], s[10:11], -1
	v_ashrrev_i32_e32 v39, 31, v38
	s_and_saveexec_b64 s[10:11], s[14:15]
	s_cbranch_execz .LBB281_19
; %bb.18:
	v_lshl_add_u64 v[0:1], v[38:39], 1, v[0:1]
	flat_load_ushort v0, v[0:1]
	s_waitcnt vmcnt(0) lgkmcnt(0)
	v_mul_f16_e32 v8, s23, v0
.LBB281_19:
	s_or_b64 exec, exec, s[10:11]
	v_or_b32_e32 v0, 4, v46
	v_cmp_le_i32_e64 s[10:11], s22, v0
	s_or_b64 s[10:11], s[10:11], vcc
	s_nop 0
	v_cndmask_b32_e64 v41, 0, v9, s[10:11]
	s_or_b64 s[10:11], s[30:31], s[10:11]
	s_xor_b64 s[14:15], s[10:11], -1
	s_and_saveexec_b64 s[10:11], s[14:15]
	s_cbranch_execz .LBB281_21
; %bb.20:
	v_mad_i64_i32 v[0:1], s[14:15], v42, s38, 0
	v_lshl_add_u64 v[0:1], v[0:1], 1, s[36:37]
	v_mov_b32_e32 v41, 0
	v_lshl_add_u64 v[0:1], v[0:1], 0, v[40:41]
	flat_load_ushort v0, v[0:1] offset:8
	s_waitcnt vmcnt(0) lgkmcnt(0)
	v_mul_f16_e32 v41, s23, v0
.LBB281_21:
	s_or_b64 exec, exec, s[10:11]
	v_add_u32_e32 v0, 4, v47
	v_cmp_le_i32_e64 s[10:11], s22, v0
	v_min_i32_e32 v0, s33, v0
	v_mad_i64_i32 v[0:1], s[14:15], s17, v0, 0
	v_mov_b32_e32 v9, 0x7c00
	s_or_b64 s[14:15], s[12:13], s[10:11]
	v_cndmask_b32_e64 v43, 0, v9, s[14:15]
	s_or_b64 s[14:15], s[30:31], s[14:15]
	v_lshl_add_u64 v[0:1], v[0:1], 1, s[34:35]
	s_xor_b64 s[40:41], s[14:15], -1
	s_and_saveexec_b64 s[14:15], s[40:41]
	s_cbranch_execz .LBB281_23
; %bb.22:
	v_lshl_add_u64 v[10:11], v[32:33], 1, v[0:1]
	flat_load_ushort v10, v[10:11]
	s_waitcnt vmcnt(0) lgkmcnt(0)
	v_mul_f16_e32 v43, s23, v10
.LBB281_23:
	s_or_b64 exec, exec, s[14:15]
	s_or_b64 s[14:15], s[4:5], s[10:11]
	v_cndmask_b32_e64 v100, 0, v9, s[14:15]
	s_or_b64 s[14:15], s[30:31], s[14:15]
	s_xor_b64 s[40:41], s[14:15], -1
	s_and_saveexec_b64 s[14:15], s[40:41]
	s_cbranch_execz .LBB281_25
; %bb.24:
	v_lshl_add_u64 v[10:11], v[34:35], 1, v[0:1]
	flat_load_ushort v9, v[10:11]
	s_waitcnt vmcnt(0) lgkmcnt(0)
	v_mul_f16_e32 v100, s23, v9
.LBB281_25:
	s_or_b64 exec, exec, s[14:15]
	v_mov_b32_e32 v9, 0x7c00
	s_or_b64 s[14:15], s[6:7], s[10:11]
	v_cndmask_b32_e64 v117, 0, v9, s[14:15]
	s_or_b64 s[14:15], s[30:31], s[14:15]
	s_xor_b64 s[40:41], s[14:15], -1
	s_and_saveexec_b64 s[14:15], s[40:41]
	s_cbranch_execz .LBB281_27
; %bb.26:
	v_lshl_add_u64 v[10:11], v[36:37], 1, v[0:1]
	flat_load_ushort v10, v[10:11]
	s_waitcnt vmcnt(0) lgkmcnt(0)
	v_mul_f16_e32 v117, s23, v10
.LBB281_27:
	s_or_b64 exec, exec, s[14:15]
	s_or_b64 s[10:11], s[8:9], s[10:11]
	v_cndmask_b32_e64 v118, 0, v9, s[10:11]
	s_or_b64 s[10:11], s[30:31], s[10:11]
	s_xor_b64 s[40:41], s[10:11], -1
	s_movk_i32 s14, 0x7c00
	s_and_saveexec_b64 s[10:11], s[40:41]
	s_cbranch_execz .LBB281_29
; %bb.28:
	v_lshl_add_u64 v[0:1], v[38:39], 1, v[0:1]
	flat_load_ushort v0, v[0:1]
	s_waitcnt vmcnt(0) lgkmcnt(0)
	v_mul_f16_e32 v118, s23, v0
.LBB281_29:
	s_or_b64 exec, exec, s[10:11]
	v_lshlrev_b32_e32 v0, 1, v47
	v_lshlrev_b32_e32 v48, 3, v44
	v_lshl_or_b32 v119, v2, 3, v40
	v_lshl_add_u32 v50, v4, 3, v0
	v_add_u32_e32 v51, 0x1000, v48
	v_lshlrev_b32_e32 v49, 3, v45
	ds_write_b16 v119, v3 offset:4096
	ds_write_b16 v50, v5
	ds_write_b16 v50, v6 offset:512
	ds_write_b16 v50, v7 offset:1024
	;; [unrolled: 1-line block ×3, first 2 shown]
	s_waitcnt lgkmcnt(0)
	s_barrier
	ds_read2_b64 v[16:19], v51 offset1:8
	ds_read2_b64 v[12:15], v51 offset0:16 offset1:24
	ds_read2_b64 v[4:7], v51 offset0:32 offset1:40
	ds_read2_b64 v[28:31], v49 offset1:32
	ds_read2_b64 v[0:3], v51 offset0:48 offset1:56
	ds_read2_b64 v[24:27], v49 offset0:64 offset1:96
	ds_read2_b64 v[20:23], v49 offset0:128 offset1:160
	ds_read2_b64 v[8:11], v49 offset0:192 offset1:224
	s_cmp_lt_i32 s22, 9
	s_waitcnt lgkmcnt(4)
	v_pk_add_f16 v52, v16, v28
	s_waitcnt lgkmcnt(3)
	v_pk_add_f16 v58, v0, v28
	s_waitcnt lgkmcnt(1)
	v_pk_add_f16 v82, v12, v20
	v_pk_add_f16 v56, v4, v28
	v_pk_min_f16 v120, v82, s14 op_sel_hi:[1,0]
	v_pk_add_f16 v82, v14, v20
	v_pk_add_f16 v63, v4, v30
	v_pk_min_f16 v121, v82, s14 op_sel_hi:[1,0]
	v_pk_add_f16 v82, v4, v20
	;; [unrolled: 3-line block ×7, first 2 shown]
	v_pk_min_f16 v52, v52, s14 op_sel_hi:[1,0]
	v_pk_min_f16 v127, v82, s14 op_sel_hi:[1,0]
	v_pk_add_f16 v82, v14, v22
	v_pk_add_f16 v53, v18, v28
	v_pk_min_f16 v128, v82, s14 op_sel_hi:[1,0]
	v_pk_add_f16 v82, v4, v22
	v_pk_add_f16 v54, v12, v28
	;; [unrolled: 3-line block ×4, first 2 shown]
	v_pk_min_f16 v131, v82, s14 op_sel_hi:[1,0]
	s_waitcnt lgkmcnt(0)
	v_pk_add_f16 v82, v16, v8
	v_pk_add_f16 v28, v2, v28
	v_pk_min_f16 v132, v82, s14 op_sel_hi:[1,0]
	v_pk_add_f16 v82, v18, v8
	v_pk_add_f16 v59, v16, v30
	v_pk_min_f16 v133, v82, s14 op_sel_hi:[1,0]
	;; [unrolled: 3-line block ×5, first 2 shown]
	v_pk_add_f16 v82, v6, v8
	v_pk_min_f16 v139, v4, s14 op_sel_hi:[1,0]
	v_pk_min_f16 v137, v82, s14 op_sel_hi:[1,0]
	v_pk_add_f16 v82, v0, v8
	v_pk_add_f16 v4, v6, v10
	;; [unrolled: 1-line block ×23, first 2 shown]
	v_pk_min_f16 v6, v4, s14 op_sel_hi:[1,0]
	v_pk_min_f16 v4, v0, s14 op_sel_hi:[1,0]
	v_pk_add_f16 v0, v2, v10
	v_pk_add_f16 v2, v17, v29
	v_pk_min_f16 v53, v53, s14 op_sel_hi:[1,0]
	v_pk_min_f16 v116, v52, v2
	v_pk_add_f16 v2, v19, v29
	v_pk_min_f16 v54, v54, s14 op_sel_hi:[1,0]
	v_pk_min_f16 v115, v53, v2
	;; [unrolled: 3-line block ×37, first 2 shown]
	v_pk_add_f16 v2, v7, v21
	v_pk_add_f16 v16, v16, v10
	v_pk_min_f16 v78, v123, v2
	v_pk_add_f16 v2, v1, v21
	v_pk_min_f16 v16, v16, s14 op_sel_hi:[1,0]
	v_pk_min_f16 v77, v124, v2
	v_pk_add_f16 v2, v3, v21
	v_pk_add_f16 v18, v18, v10
	v_pk_min_f16 v76, v20, v2
	v_pk_add_f16 v2, v17, v23
	v_pk_min_f16 v18, v18, s14 op_sel_hi:[1,0]
	v_pk_min_f16 v75, v125, v2
	;; [unrolled: 6-line block ×4, first 2 shown]
	v_pk_add_f16 v2, v7, v23
	v_pk_min_f16 v0, v0, s14 op_sel_hi:[1,0]
	v_pk_min_f16 v70, v130, v2
	v_pk_add_f16 v2, v1, v23
	ds_write_b16 v119, v41 offset:4608
	ds_write_b16 v50, v43 offset:2048
	;; [unrolled: 1-line block ×5, first 2 shown]
	v_pk_min_f16 v69, v131, v2
	v_pk_add_f16 v2, v3, v23
	s_waitcnt lgkmcnt(0)
	v_pk_min_f16 v68, v22, v2
	v_pk_add_f16 v2, v17, v9
	s_barrier
	v_pk_min_f16 v67, v132, v2
	v_pk_add_f16 v2, v19, v9
	s_nop 0
	v_pk_min_f16 v66, v133, v2
	v_pk_add_f16 v2, v13, v9
	s_nop 0
	;; [unrolled: 3-line block ×5, first 2 shown]
	v_pk_min_f16 v62, v137, v2
	v_pk_add_f16 v2, v1, v9
	v_pk_add_f16 v1, v1, v11
	v_pk_min_f16 v60, v138, v2
	v_pk_add_f16 v2, v3, v9
	v_pk_min_f16 v52, v4, v1
	v_pk_min_f16 v59, v8, v2
	v_pk_add_f16 v2, v17, v11
	v_pk_add_f16 v1, v3, v11
	v_pk_min_f16 v58, v16, v2
	v_pk_add_f16 v2, v19, v11
	v_pk_min_f16 v61, v0, v1
	v_pk_min_f16 v57, v18, v2
	v_pk_add_f16 v2, v13, v11
	s_nop 0
	v_pk_min_f16 v56, v12, v2
	v_pk_add_f16 v2, v15, v11
	s_nop 0
	;; [unrolled: 3-line block ×4, first 2 shown]
	v_pk_min_f16 v53, v6, v2
	s_cbranch_scc1 .LBB281_52
; %bb.30:
	v_mov_b32_e32 v0, 0x1200
	v_add_u32_e32 v100, 0x1000, v119
	v_add_u32_e32 v117, 0x1200, v119
	v_lshl_add_u32 v119, v44, 3, v0
	v_mov_b32_e32 v0, 0x800
	v_lshl_add_u32 v120, v45, 3, v0
	v_mad_i64_i32 v[0:1], s[10:11], v42, s38, 0
	v_mov_b32_e32 v41, 0
	v_lshl_add_u64 v[0:1], v[0:1], 1, v[40:41]
	v_lshl_add_u64 v[0:1], v[0:1], 0, s[36:37]
	v_or_b32_e32 v118, 0x800, v50
	s_add_i32 s39, s22, -8
	v_lshl_add_u64 v[40:41], v[0:1], 0, 24
	s_mov_b32 s36, 0
	v_mov_b32_e32 v121, 0x7c00
	s_branch .LBB281_32
.LBB281_31:                             ;   in Loop: Header=BB281_32 Depth=1
	s_or_b64 exec, exec, s[10:11]
	ds_read2_b64 v[8:11], v51 offset1:8
	ds_read2_b64 v[4:7], v51 offset0:16 offset1:24
	ds_read2_b64 v[0:3], v51 offset0:32 offset1:40
	ds_read2_b64 v[126:129], v49 offset1:32
	ds_read2_b64 v[12:15], v51 offset0:48 offset1:56
	ds_read2_b64 v[24:27], v49 offset0:64 offset1:96
	;; [unrolled: 1-line block ×4, first 2 shown]
	s_waitcnt lgkmcnt(4)
	v_pk_add_f16 v42, v8, v126
	v_pk_max_f16 v43, v113, v113
	v_pk_max_f16 v112, v112, v112
	v_pk_min_f16 v42, v43, v42
	v_pk_add_f16 v43, v10, v126
	v_pk_max_f16 v111, v111, v111
	v_pk_min_f16 v43, v112, v43
	v_pk_add_f16 v112, v4, v126
	;; [unrolled: 3-line block ×5, first 2 shown]
	v_pk_max_f16 v107, v107, v107
	v_pk_min_f16 v108, v108, v112
	s_waitcnt lgkmcnt(3)
	v_pk_add_f16 v112, v12, v126
	v_pk_max_f16 v106, v106, v106
	v_pk_min_f16 v107, v107, v112
	v_pk_add_f16 v112, v14, v126
	v_pk_max_f16 v105, v105, v105
	v_pk_min_f16 v106, v106, v112
	;; [unrolled: 3-line block ×10, first 2 shown]
	s_waitcnt lgkmcnt(2)
	v_pk_add_f16 v112, v8, v24
	v_pk_max_f16 v95, v95, v95
	v_pk_min_f16 v96, v96, v112
	v_pk_add_f16 v112, v10, v24
	v_pk_max_f16 v94, v94, v94
	v_pk_min_f16 v95, v95, v112
	;; [unrolled: 3-line block ×6, first 2 shown]
	v_pk_add_f16 v112, v12, v24
	v_pk_add_f16 v24, v14, v24
	v_pk_max_f16 v88, v88, v88
	v_pk_min_f16 v24, v89, v24
	v_pk_add_f16 v89, v8, v26
	v_pk_max_f16 v87, v87, v87
	v_pk_min_f16 v88, v88, v89
	;; [unrolled: 3-line block ×7, first 2 shown]
	v_pk_add_f16 v89, v12, v26
	v_pk_add_f16 v26, v14, v26
	v_pk_max_f16 v80, v80, v80
	v_pk_min_f16 v26, v81, v26
	s_waitcnt lgkmcnt(1)
	v_pk_add_f16 v81, v8, v20
	v_pk_max_f16 v79, v79, v79
	v_pk_min_f16 v80, v80, v81
	v_pk_add_f16 v81, v10, v20
	v_pk_max_f16 v78, v78, v78
	v_pk_min_f16 v79, v79, v81
	;; [unrolled: 3-line block ×6, first 2 shown]
	v_pk_add_f16 v81, v12, v20
	v_pk_add_f16 v20, v14, v20
	v_pk_max_f16 v72, v72, v72
	v_pk_min_f16 v20, v73, v20
	v_pk_add_f16 v73, v8, v22
	v_pk_max_f16 v71, v71, v71
	v_pk_min_f16 v72, v72, v73
	v_pk_add_f16 v73, v10, v22
	v_pk_max_f16 v70, v70, v70
	v_pk_min_f16 v71, v71, v73
	v_pk_add_f16 v73, v4, v22
	v_pk_max_f16 v69, v69, v69
	v_pk_min_f16 v70, v70, v73
	v_pk_add_f16 v73, v6, v22
	v_pk_max_f16 v68, v68, v68
	v_pk_min_f16 v69, v69, v73
	v_pk_add_f16 v73, v0, v22
	v_pk_max_f16 v67, v67, v67
	v_pk_min_f16 v68, v68, v73
	v_pk_add_f16 v73, v2, v22
	v_pk_max_f16 v65, v65, v65
	v_pk_min_f16 v67, v67, v73
	v_pk_add_f16 v73, v12, v22
	v_pk_add_f16 v22, v14, v22
	v_pk_max_f16 v64, v64, v64
	v_pk_min_f16 v22, v65, v22
	s_waitcnt lgkmcnt(0)
	v_pk_add_f16 v65, v8, v16
	v_pk_max_f16 v63, v63, v63
	v_pk_min_f16 v64, v64, v65
	v_pk_add_f16 v65, v10, v16
	v_pk_max_f16 v62, v62, v62
	v_pk_min_f16 v63, v63, v65
	;; [unrolled: 3-line block ×5, first 2 shown]
	v_pk_add_f16 v65, v2, v16
	v_pk_add_f16 v8, v8, v18
	v_pk_min_f16 v59, v59, v65
	v_pk_add_f16 v65, v12, v16
	v_pk_add_f16 v16, v14, v16
	;; [unrolled: 1-line block ×9, first 2 shown]
	v_pk_max_f16 v18, v29, v29
	v_pk_max_f16 v90, v90, v90
	v_pk_min_f16 v14, v18, v14
	v_pk_add_f16 v18, v9, v127
	v_pk_min_f16 v90, v90, v112
	v_pk_min_f16 v116, v42, v18
	v_pk_add_f16 v18, v11, v127
	v_pk_max_f16 v82, v82, v82
	v_pk_min_f16 v115, v43, v18
	v_pk_add_f16 v18, v5, v127
	v_pk_min_f16 v82, v82, v89
	v_pk_min_f16 v114, v111, v18
	v_pk_add_f16 v18, v7, v127
	;; [unrolled: 6-line block ×5, first 2 shown]
	v_pk_max_f16 v52, v52, v52
	v_pk_min_f16 v107, v104, v18
	v_pk_add_f16 v18, v5, v129
	v_pk_max_f16 v54, v54, v54
	v_pk_min_f16 v106, v103, v18
	v_pk_add_f16 v18, v7, v129
	v_pk_min_f16 v0, v52, v0
	v_pk_min_f16 v105, v102, v18
	v_pk_add_f16 v18, v1, v129
	v_pk_max_f16 v31, v31, v31
	v_pk_min_f16 v104, v101, v18
	v_pk_add_f16 v18, v3, v129
	v_pk_max_f16 v56, v56, v56
	v_pk_min_f16 v103, v99, v18
	v_pk_add_f16 v18, v13, v129
	v_pk_min_f16 v4, v54, v4
	v_pk_min_f16 v102, v98, v18
	v_pk_add_f16 v18, v15, v129
	v_pk_max_f16 v53, v53, v53
	v_pk_min_f16 v101, v97, v18
	v_pk_add_f16 v18, v9, v25
	v_pk_min_f16 v2, v31, v2
	v_pk_min_f16 v99, v96, v18
	v_pk_add_f16 v18, v11, v25
	v_pk_max_f16 v30, v30, v30
	v_pk_min_f16 v98, v95, v18
	v_pk_add_f16 v18, v5, v25
	v_pk_max_f16 v57, v57, v57
	v_pk_min_f16 v97, v94, v18
	v_pk_add_f16 v18, v7, v25
	v_pk_min_f16 v8, v56, v8
	v_pk_min_f16 v96, v93, v18
	v_pk_add_f16 v18, v1, v25
	v_pk_max_f16 v55, v55, v55
	v_pk_min_f16 v95, v92, v18
	v_pk_add_f16 v18, v3, v25
	v_pk_min_f16 v6, v53, v6
	v_pk_min_f16 v94, v91, v18
	v_pk_add_f16 v18, v13, v25
	v_pk_min_f16 v12, v30, v12
	;; [unrolled: 3-line block ×4, first 2 shown]
	v_pk_min_f16 v91, v88, v18
	v_pk_add_f16 v18, v11, v27
	s_add_i32 s36, s36, 8
	v_pk_min_f16 v90, v87, v18
	v_pk_add_f16 v18, v5, v27
	s_cmp_ge_i32 s36, s39
	v_pk_min_f16 v89, v86, v18
	v_pk_add_f16 v18, v7, v27
	v_lshl_add_u64 v[40:41], v[40:41], 0, 16
	v_pk_min_f16 v88, v85, v18
	v_pk_add_f16 v18, v1, v27
	ds_write_b16 v117, v122
	ds_write_b16 v118, v123
	ds_write_b16 v118, v124 offset:512
	ds_write_b16 v118, v125 offset:1024
	;; [unrolled: 1-line block ×3, first 2 shown]
	v_pk_min_f16 v87, v84, v18
	v_pk_add_f16 v18, v3, v27
	s_waitcnt lgkmcnt(0)
	v_pk_min_f16 v86, v83, v18
	v_pk_add_f16 v18, v13, v27
	s_barrier
	v_pk_min_f16 v85, v82, v18
	v_pk_add_f16 v18, v15, v27
	s_nop 0
	v_pk_min_f16 v84, v26, v18
	v_pk_add_f16 v18, v9, v21
	s_nop 0
	;; [unrolled: 3-line block ×17, first 2 shown]
	v_pk_min_f16 v68, v22, v18
	v_pk_add_f16 v18, v9, v17
	v_pk_add_f16 v9, v9, v19
	v_pk_min_f16 v67, v64, v18
	v_pk_add_f16 v18, v11, v17
	s_nop 0
	v_pk_min_f16 v66, v63, v18
	v_pk_add_f16 v18, v5, v17
	v_pk_add_f16 v5, v5, v19
	v_pk_min_f16 v65, v62, v18
	v_pk_add_f16 v18, v7, v17
	v_pk_min_f16 v56, v4, v5
	v_pk_min_f16 v64, v61, v18
	v_pk_add_f16 v18, v1, v17
	v_pk_add_f16 v1, v1, v19
	v_pk_min_f16 v63, v60, v18
	v_pk_add_f16 v18, v3, v17
	v_pk_min_f16 v54, v0, v1
	;; [unrolled: 2-line block ×6, first 2 shown]
	v_pk_add_f16 v8, v11, v19
	v_pk_add_f16 v4, v7, v19
	v_pk_min_f16 v52, v12, v0
	v_pk_add_f16 v0, v15, v19
	v_pk_min_f16 v59, v16, v17
	v_pk_min_f16 v57, v10, v8
	;; [unrolled: 1-line block ×4, first 2 shown]
	s_cbranch_scc1 .LBB281_52
.LBB281_32:                             ; =>This Inner Loop Header: Depth=1
	v_add_u32_e32 v42, s36, v46
	v_add_u32_e32 v0, 8, v42
	v_cmp_le_i32_e64 s[10:11], s22, v0
	s_or_b64 s[10:11], s[10:11], vcc
	s_nop 0
	v_cndmask_b32_e64 v122, 0, v121, s[10:11]
	s_or_b64 s[10:11], s[30:31], s[10:11]
	s_xor_b64 s[10:11], s[10:11], -1
	s_and_saveexec_b64 s[14:15], s[10:11]
	s_cbranch_execz .LBB281_34
; %bb.33:                               ;   in Loop: Header=BB281_32 Depth=1
	v_add_co_u32_e64 v0, s[10:11], -8, v40
	s_nop 1
	v_addc_co_u32_e64 v1, s[10:11], -1, v41, s[10:11]
	flat_load_ushort v0, v[0:1]
	s_waitcnt vmcnt(0) lgkmcnt(0)
	v_mul_f16_e32 v122, s23, v0
.LBB281_34:                             ;   in Loop: Header=BB281_32 Depth=1
	s_or_b64 exec, exec, s[14:15]
	v_add_u32_e32 v43, s36, v47
	v_add_u32_e32 v0, 8, v43
	v_cmp_le_i32_e64 s[10:11], s22, v0
	v_min_i32_e32 v0, s33, v0
	v_mad_i64_i32 v[0:1], s[14:15], v0, s17, 0
	s_or_b64 s[14:15], s[12:13], s[10:11]
	s_nop 0
	v_cndmask_b32_e64 v123, 0, v121, s[14:15]
	s_or_b64 s[14:15], s[30:31], s[14:15]
	v_lshl_add_u64 v[0:1], v[0:1], 1, s[34:35]
	s_xor_b64 s[40:41], s[14:15], -1
	s_and_saveexec_b64 s[14:15], s[40:41]
	s_cbranch_execz .LBB281_36
; %bb.35:                               ;   in Loop: Header=BB281_32 Depth=1
	v_lshl_add_u64 v[2:3], v[32:33], 1, v[0:1]
	flat_load_ushort v2, v[2:3]
	s_waitcnt vmcnt(0) lgkmcnt(0)
	v_mul_f16_e32 v123, s23, v2
.LBB281_36:                             ;   in Loop: Header=BB281_32 Depth=1
	s_or_b64 exec, exec, s[14:15]
	s_or_b64 s[14:15], s[4:5], s[10:11]
	v_cndmask_b32_e64 v124, 0, v121, s[14:15]
	s_or_b64 s[14:15], s[30:31], s[14:15]
	s_xor_b64 s[40:41], s[14:15], -1
	s_and_saveexec_b64 s[14:15], s[40:41]
	s_cbranch_execz .LBB281_38
; %bb.37:                               ;   in Loop: Header=BB281_32 Depth=1
	v_lshl_add_u64 v[2:3], v[34:35], 1, v[0:1]
	flat_load_ushort v2, v[2:3]
	s_waitcnt vmcnt(0) lgkmcnt(0)
	v_mul_f16_e32 v124, s23, v2
.LBB281_38:                             ;   in Loop: Header=BB281_32 Depth=1
	s_or_b64 exec, exec, s[14:15]
	s_or_b64 s[14:15], s[6:7], s[10:11]
	v_cndmask_b32_e64 v125, 0, v121, s[14:15]
	s_or_b64 s[14:15], s[30:31], s[14:15]
	;; [unrolled: 13-line block ×3, first 2 shown]
	s_xor_b64 s[14:15], s[10:11], -1
	s_and_saveexec_b64 s[10:11], s[14:15]
	s_cbranch_execz .LBB281_42
; %bb.41:                               ;   in Loop: Header=BB281_32 Depth=1
	v_lshl_add_u64 v[0:1], v[38:39], 1, v[0:1]
	flat_load_ushort v0, v[0:1]
	s_waitcnt vmcnt(0) lgkmcnt(0)
	v_mul_f16_e32 v126, s23, v0
.LBB281_42:                             ;   in Loop: Header=BB281_32 Depth=1
	s_or_b64 exec, exec, s[10:11]
	ds_read2_b64 v[12:15], v119 offset1:8
	ds_read2_b64 v[8:11], v119 offset0:16 offset1:24
	ds_read2_b64 v[4:7], v119 offset0:32 offset1:40
	;; [unrolled: 1-line block ×3, first 2 shown]
	ds_read2_b64 v[28:31], v120 offset1:32
	ds_read2_b64 v[24:27], v120 offset0:64 offset1:96
	ds_read2_b64 v[20:23], v120 offset0:128 offset1:160
	;; [unrolled: 1-line block ×3, first 2 shown]
	v_add_u32_e32 v42, 12, v42
	v_cmp_le_i32_e64 s[10:11], s22, v42
	s_or_b64 s[10:11], s[10:11], vcc
	ds_write_b16 v100, v122
	ds_write_b16 v50, v123
	ds_write_b16 v50, v124 offset:512
	ds_write_b16 v50, v125 offset:1024
	;; [unrolled: 1-line block ×3, first 2 shown]
	v_cndmask_b32_e64 v122, 0, v121, s[10:11]
	s_or_b64 s[10:11], s[30:31], s[10:11]
	s_xor_b64 s[10:11], s[10:11], -1
	s_waitcnt lgkmcnt(0)
	s_barrier
	s_and_saveexec_b64 s[14:15], s[10:11]
	s_xor_b64 s[10:11], exec, s[14:15]
	s_cbranch_execz .LBB281_44
; %bb.43:                               ;   in Loop: Header=BB281_32 Depth=1
	flat_load_ushort v42, v[40:41]
	s_waitcnt vmcnt(0) lgkmcnt(0)
	v_mul_f16_e32 v122, s23, v42
.LBB281_44:                             ;   in Loop: Header=BB281_32 Depth=1
	s_or_b64 exec, exec, s[10:11]
	v_add_u32_e32 v42, 12, v43
	v_cmp_le_i32_e64 s[10:11], s22, v42
	v_min_i32_e32 v42, s33, v42
	v_mad_i64_i32 v[42:43], s[14:15], v42, s17, 0
	s_or_b64 s[14:15], s[12:13], s[10:11]
	s_nop 0
	v_cndmask_b32_e64 v123, 0, v121, s[14:15]
	s_or_b64 s[14:15], s[30:31], s[14:15]
	v_lshl_add_u64 v[42:43], v[42:43], 1, s[34:35]
	s_xor_b64 s[40:41], s[14:15], -1
	s_and_saveexec_b64 s[14:15], s[40:41]
	s_cbranch_execz .LBB281_46
; %bb.45:                               ;   in Loop: Header=BB281_32 Depth=1
	v_lshl_add_u64 v[124:125], v[32:33], 1, v[42:43]
	flat_load_ushort v123, v[124:125]
	s_waitcnt vmcnt(0) lgkmcnt(0)
	v_mul_f16_e32 v123, s23, v123
.LBB281_46:                             ;   in Loop: Header=BB281_32 Depth=1
	s_or_b64 exec, exec, s[14:15]
	s_or_b64 s[14:15], s[4:5], s[10:11]
	v_cndmask_b32_e64 v124, 0, v121, s[14:15]
	s_or_b64 s[14:15], s[30:31], s[14:15]
	s_xor_b64 s[40:41], s[14:15], -1
	s_and_saveexec_b64 s[14:15], s[40:41]
	s_cbranch_execz .LBB281_48
; %bb.47:                               ;   in Loop: Header=BB281_32 Depth=1
	v_lshl_add_u64 v[124:125], v[34:35], 1, v[42:43]
	flat_load_ushort v124, v[124:125]
	s_waitcnt vmcnt(0) lgkmcnt(0)
	v_mul_f16_e32 v124, s23, v124
.LBB281_48:                             ;   in Loop: Header=BB281_32 Depth=1
	s_or_b64 exec, exec, s[14:15]
	s_or_b64 s[14:15], s[6:7], s[10:11]
	v_cndmask_b32_e64 v125, 0, v121, s[14:15]
	s_or_b64 s[14:15], s[30:31], s[14:15]
	s_xor_b64 s[40:41], s[14:15], -1
	s_and_saveexec_b64 s[14:15], s[40:41]
	s_cbranch_execz .LBB281_50
; %bb.49:                               ;   in Loop: Header=BB281_32 Depth=1
	v_lshl_add_u64 v[126:127], v[36:37], 1, v[42:43]
	flat_load_ushort v125, v[126:127]
	s_waitcnt vmcnt(0) lgkmcnt(0)
	v_mul_f16_e32 v125, s23, v125
.LBB281_50:                             ;   in Loop: Header=BB281_32 Depth=1
	s_or_b64 exec, exec, s[14:15]
	v_pk_add_f16 v126, v12, v28
	v_pk_max_f16 v116, v116, v116
	v_pk_max_f16 v115, v115, v115
	v_pk_min_f16 v116, v116, v126
	v_pk_add_f16 v126, v14, v28
	v_pk_max_f16 v114, v114, v114
	v_pk_min_f16 v115, v115, v126
	v_pk_add_f16 v126, v8, v28
	v_pk_max_f16 v113, v113, v113
	v_pk_min_f16 v114, v114, v126
	v_pk_add_f16 v126, v10, v28
	v_pk_max_f16 v112, v112, v112
	v_pk_min_f16 v126, v113, v126
	v_pk_add_f16 v113, v4, v28
	v_pk_max_f16 v111, v111, v111
	v_pk_min_f16 v127, v112, v113
	v_pk_add_f16 v112, v6, v28
	v_pk_max_f16 v109, v109, v109
	v_pk_min_f16 v128, v111, v112
	v_pk_add_f16 v111, v0, v28
	v_pk_add_f16 v28, v2, v28
	v_pk_max_f16 v108, v108, v108
	v_pk_min_f16 v28, v109, v28
	v_pk_add_f16 v109, v12, v30
	v_pk_max_f16 v107, v107, v107
	v_pk_min_f16 v130, v108, v109
	v_pk_add_f16 v108, v14, v30
	v_pk_max_f16 v106, v106, v106
	v_pk_min_f16 v131, v107, v108
	v_pk_add_f16 v107, v8, v30
	v_pk_max_f16 v105, v105, v105
	v_pk_min_f16 v132, v106, v107
	v_pk_add_f16 v106, v10, v30
	v_pk_max_f16 v104, v104, v104
	v_pk_min_f16 v133, v105, v106
	v_pk_add_f16 v105, v4, v30
	v_pk_max_f16 v103, v103, v103
	v_pk_min_f16 v134, v104, v105
	v_pk_add_f16 v104, v6, v30
	v_pk_max_f16 v101, v101, v101
	v_pk_min_f16 v135, v103, v104
	v_pk_add_f16 v103, v0, v30
	v_pk_add_f16 v30, v2, v30
	v_pk_max_f16 v99, v99, v99
	v_pk_min_f16 v30, v101, v30
	v_pk_add_f16 v101, v12, v24
	;; [unrolled: 22-line block ×6, first 2 shown]
	v_pk_max_f16 v66, v66, v66
	v_pk_min_f16 v165, v67, v68
	v_pk_add_f16 v67, v14, v16
	v_pk_max_f16 v65, v65, v65
	v_pk_min_f16 v166, v66, v67
	v_pk_add_f16 v66, v8, v16
	;; [unrolled: 3-line block ×5, first 2 shown]
	v_pk_add_f16 v12, v12, v18
	v_pk_min_f16 v170, v62, v63
	v_pk_add_f16 v62, v0, v16
	v_pk_add_f16 v16, v2, v16
	;; [unrolled: 1-line block ×9, first 2 shown]
	v_pk_max_f16 v18, v61, v61
	v_pk_max_f16 v110, v110, v110
	v_pk_min_f16 v2, v18, v2
	v_pk_add_f16 v18, v13, v29
	v_pk_min_f16 v129, v110, v111
	v_pk_min_f16 v113, v116, v18
	v_pk_add_f16 v18, v15, v29
	v_pk_max_f16 v102, v102, v102
	v_pk_min_f16 v112, v115, v18
	v_pk_add_f16 v18, v9, v29
	v_pk_min_f16 v136, v102, v103
	v_pk_min_f16 v111, v114, v18
	v_pk_add_f16 v18, v11, v29
	;; [unrolled: 6-line block ×7, first 2 shown]
	v_pk_max_f16 v59, v59, v59
	v_pk_min_f16 v99, v135, v18
	v_pk_add_f16 v18, v1, v31
	v_pk_max_f16 v58, v58, v58
	v_pk_min_f16 v98, v136, v18
	v_pk_add_f16 v18, v3, v31
	;; [unrolled: 3-line block ×5, first 2 shown]
	v_pk_min_f16 v16, v59, v16
	v_pk_min_f16 v94, v139, v18
	v_pk_add_f16 v18, v11, v25
	v_pk_min_f16 v12, v58, v12
	v_pk_min_f16 v93, v140, v18
	v_pk_add_f16 v18, v5, v25
	v_pk_max_f16 v57, v57, v57
	v_pk_min_f16 v92, v141, v18
	v_pk_add_f16 v18, v7, v25
	v_pk_min_f16 v8, v56, v8
	v_pk_min_f16 v91, v142, v18
	v_pk_add_f16 v18, v1, v25
	v_pk_max_f16 v55, v55, v55
	;; [unrolled: 6-line block ×3, first 2 shown]
	v_pk_min_f16 v88, v144, v18
	v_pk_add_f16 v18, v15, v27
	v_pk_min_f16 v0, v52, v0
	v_pk_min_f16 v87, v145, v18
	v_pk_add_f16 v18, v9, v27
	s_or_b64 s[10:11], s[8:9], s[10:11]
	v_pk_min_f16 v86, v146, v18
	v_pk_add_f16 v18, v11, v27
	v_pk_min_f16 v14, v57, v14
	v_pk_min_f16 v85, v147, v18
	v_pk_add_f16 v18, v5, v27
	v_pk_min_f16 v10, v55, v10
	;; [unrolled: 3-line block ×3, first 2 shown]
	v_pk_min_f16 v83, v149, v18
	v_pk_add_f16 v18, v1, v27
	v_cndmask_b32_e64 v28, 0, v121, s[10:11]
	v_pk_min_f16 v82, v150, v18
	v_pk_add_f16 v18, v3, v27
	s_or_b64 s[10:11], s[30:31], s[10:11]
	v_pk_min_f16 v81, v26, v18
	v_pk_add_f16 v18, v13, v21
	s_xor_b64 s[14:15], s[10:11], -1
	v_pk_min_f16 v80, v151, v18
	v_pk_add_f16 v18, v15, v21
	s_nop 0
	v_pk_min_f16 v79, v152, v18
	v_pk_add_f16 v18, v9, v21
	s_nop 0
	;; [unrolled: 3-line block ×15, first 2 shown]
	v_pk_min_f16 v65, v22, v18
	v_pk_add_f16 v18, v13, v17
	v_pk_add_f16 v13, v13, v19
	v_pk_min_f16 v64, v165, v18
	v_pk_add_f16 v18, v15, v17
	v_pk_min_f16 v56, v12, v13
	v_pk_min_f16 v63, v166, v18
	v_pk_add_f16 v18, v9, v17
	v_pk_add_f16 v9, v9, v19
	v_pk_min_f16 v62, v167, v18
	v_pk_add_f16 v18, v11, v17
	v_pk_add_f16 v12, v15, v19
	v_pk_min_f16 v61, v168, v18
	v_pk_add_f16 v18, v5, v17
	v_pk_add_f16 v5, v5, v19
	v_pk_min_f16 v60, v169, v18
	v_pk_add_f16 v18, v7, v17
	v_pk_min_f16 v54, v8, v9
	v_pk_min_f16 v59, v170, v18
	v_pk_add_f16 v18, v1, v17
	v_pk_add_f16 v1, v1, v19
	;; [unrolled: 1-line block ×4, first 2 shown]
	v_pk_min_f16 v52, v4, v5
	v_pk_add_f16 v4, v7, v19
	v_pk_min_f16 v30, v0, v1
	v_pk_add_f16 v0, v3, v19
	v_pk_min_f16 v58, v171, v18
	v_pk_min_f16 v57, v16, v17
	;; [unrolled: 1-line block ×6, first 2 shown]
	s_and_saveexec_b64 s[10:11], s[14:15]
	s_cbranch_execz .LBB281_31
; %bb.51:                               ;   in Loop: Header=BB281_32 Depth=1
	v_lshl_add_u64 v[0:1], v[38:39], 1, v[42:43]
	flat_load_ushort v0, v[0:1]
	s_waitcnt vmcnt(0) lgkmcnt(0)
	v_mul_f16_e32 v28, s23, v0
	s_branch .LBB281_31
.LBB281_52:
	s_load_dwordx2 s[4:5], s[0:1], 0x70
	s_load_dword s31, s[0:1], 0x50
	s_load_dword s30, s[0:1], 0x68
	v_add_u32_e32 v0, 0x1000, v48
	v_add_u32_e32 v4, 0x800, v49
	s_waitcnt lgkmcnt(0)
	s_mul_i32 s0, s3, s5
	s_mul_hi_u32 s1, s3, s4
	s_mul_i32 s5, s29, s4
	s_add_i32 s0, s1, s0
	s_add_i32 s1, s0, s5
	s_mul_i32 s0, s3, s4
	ds_read2_b64 v[16:19], v0 offset0:64 offset1:72
	ds_read2_b64 v[12:15], v0 offset0:80 offset1:88
	ds_read2_b64 v[8:11], v0 offset0:96 offset1:104
	ds_read2_b64 v[0:3], v0 offset0:112 offset1:120
	ds_read2_b64 v[28:31], v4 offset1:32
	ds_read2_b64 v[24:27], v4 offset0:64 offset1:96
	ds_read2_b64 v[20:23], v4 offset0:128 offset1:160
	;; [unrolled: 1-line block ×3, first 2 shown]
	s_lshl_b64 s[0:1], s[0:1], 1
	s_add_u32 s22, s18, s0
	v_add_u32_e32 v100, s16, v45
	s_addc_u32 s23, s19, s1
	v_mad_i64_i32 v[34:35], s[0:1], v100, s31, 0
	v_add_u32_e32 v32, s2, v44
	v_lshl_add_u64 v[50:51], v[34:35], 1, s[24:25]
	v_mad_i64_i32 v[34:35], s[0:1], v100, s30, 0
	v_cmp_gt_i32_e64 s[2:3], s20, v32
	v_cmp_gt_i32_e64 s[18:19], s21, v100
	v_lshl_add_u64 v[48:49], v[34:35], 1, s[22:23]
	v_cndmask_b32_e64 v34, 0, 1, s[26:27]
	v_ashrrev_i32_e32 v33, 31, v32
	s_and_b64 s[4:5], s[2:3], s[18:19]
	v_cmp_ne_u32_e64 s[0:1], 1, v34
	s_and_saveexec_b64 s[6:7], s[4:5]
	s_xor_b64 s[4:5], exec, s[6:7]
	s_cbranch_execz .LBB281_57
; %bb.53:
	s_and_b64 vcc, exec, s[0:1]
	s_cbranch_vccnz .LBB281_55
; %bb.54:
	v_lshl_add_u64 v[34:35], v[32:33], 1, v[50:51]
	flat_load_ushort v34, v[34:35]
	s_waitcnt vmcnt(0) lgkmcnt(0)
	v_mul_f16_e32 v34, s28, v34
	s_branch .LBB281_56
.LBB281_55:
	v_mov_b32_e32 v34, 0
.LBB281_56:
	s_waitcnt lgkmcnt(3)
	v_pk_add_f16 v35, v16, v28
	v_pk_max_f16 v36, v116, v116
	s_nop 0
	v_pk_min_f16 v35, v36, v35
	v_pk_add_f16 v36, v17, v29
	s_nop 0
	v_pk_min_f16 v35, v35, v36
	s_nop 0
	v_lshrrev_b32_e32 v36, 16, v35
	v_min3_f16 v36, v34, v35, v36
	v_lshl_add_u64 v[34:35], v[32:33], 1, v[48:49]
	global_store_short v[34:35], v36, off
.LBB281_57:
	s_or_b64 exec, exec, s[4:5]
	v_add_u32_e32 v34, 8, v32
	v_cmp_gt_i32_e64 s[4:5], s20, v34
	v_ashrrev_i32_e32 v35, 31, v34
	s_and_b64 s[8:9], s[4:5], s[18:19]
	s_and_saveexec_b64 s[6:7], s[8:9]
	s_cbranch_execz .LBB281_62
; %bb.58:
	s_and_b64 vcc, exec, s[0:1]
	s_cbranch_vccnz .LBB281_60
; %bb.59:
	v_lshl_add_u64 v[36:37], v[34:35], 1, v[50:51]
	flat_load_ushort v36, v[36:37]
	s_waitcnt vmcnt(0) lgkmcnt(0)
	v_mul_f16_e32 v36, s28, v36
	s_branch .LBB281_61
.LBB281_60:
	v_mov_b32_e32 v36, 0
.LBB281_61:
	s_waitcnt lgkmcnt(3)
	v_pk_add_f16 v37, v18, v28
	v_pk_max_f16 v38, v115, v115
	s_nop 0
	v_pk_min_f16 v37, v38, v37
	v_pk_add_f16 v38, v19, v29
	s_nop 0
	v_pk_min_f16 v37, v37, v38
	s_nop 0
	v_lshrrev_b32_e32 v38, 16, v37
	v_min3_f16 v38, v36, v37, v38
	v_lshl_add_u64 v[36:37], v[34:35], 1, v[48:49]
	global_store_short v[36:37], v38, off
.LBB281_62:
	s_or_b64 exec, exec, s[6:7]
	v_add_u32_e32 v36, 16, v32
	v_cmp_gt_i32_e64 s[6:7], s20, v36
	v_ashrrev_i32_e32 v37, 31, v36
	s_and_b64 s[10:11], s[6:7], s[18:19]
	s_and_saveexec_b64 s[8:9], s[10:11]
	;; [unrolled: 33-line block ×7, first 2 shown]
	s_cbranch_execz .LBB281_92
; %bb.88:
	s_and_b64 vcc, exec, s[0:1]
	s_cbranch_vccnz .LBB281_90
; %bb.89:
	v_lshl_add_u64 v[50:51], v[46:47], 1, v[50:51]
	flat_load_ushort v50, v[50:51]
	s_waitcnt vmcnt(0) lgkmcnt(0)
	v_mul_f16_e32 v50, s28, v50
	s_branch .LBB281_91
.LBB281_90:
	v_mov_b32_e32 v50, 0
.LBB281_91:
	s_waitcnt lgkmcnt(3)
	v_pk_add_f16 v28, v2, v28
	v_pk_max_f16 v51, v109, v109
	v_pk_add_f16 v29, v3, v29
	v_pk_min_f16 v28, v51, v28
	s_nop 0
	v_pk_min_f16 v28, v28, v29
	s_nop 0
	v_lshrrev_b32_e32 v29, 16, v28
	v_min3_f16 v50, v50, v28, v29
	v_lshl_add_u64 v[28:29], v[46:47], 1, v[48:49]
	global_store_short v[28:29], v50, off
.LBB281_92:
	s_or_b64 exec, exec, s[18:19]
	v_add_u32_e32 v50, 32, v100
	s_waitcnt lgkmcnt(3)
	v_mad_i64_i32 v[28:29], s[26:27], v50, s31, 0
	v_cmp_gt_i32_e64 s[18:19], s21, v50
	v_lshl_add_u64 v[48:49], v[28:29], 1, s[24:25]
	v_mad_i64_i32 v[28:29], s[26:27], v50, s30, 0
	v_lshl_add_u64 v[28:29], v[28:29], 1, s[22:23]
	s_and_b64 s[34:35], s[2:3], s[18:19]
	s_and_saveexec_b64 s[26:27], s[34:35]
	s_cbranch_execnz .LBB281_100
; %bb.93:
	s_or_b64 exec, exec, s[26:27]
	s_and_b64 s[34:35], s[4:5], s[18:19]
	s_and_saveexec_b64 s[26:27], s[34:35]
	s_cbranch_execnz .LBB281_104
.LBB281_94:
	s_or_b64 exec, exec, s[26:27]
	s_and_b64 s[34:35], s[6:7], s[18:19]
	s_and_saveexec_b64 s[26:27], s[34:35]
	s_cbranch_execnz .LBB281_108
.LBB281_95:
	s_or_b64 exec, exec, s[26:27]
	s_and_b64 s[34:35], s[8:9], s[18:19]
	s_and_saveexec_b64 s[26:27], s[34:35]
	s_cbranch_execnz .LBB281_112
.LBB281_96:
	s_or_b64 exec, exec, s[26:27]
	s_and_b64 s[34:35], s[10:11], s[18:19]
	s_and_saveexec_b64 s[26:27], s[34:35]
	s_cbranch_execnz .LBB281_116
.LBB281_97:
	s_or_b64 exec, exec, s[26:27]
	s_and_b64 s[34:35], s[12:13], s[18:19]
	s_and_saveexec_b64 s[26:27], s[34:35]
	s_cbranch_execnz .LBB281_120
.LBB281_98:
	s_or_b64 exec, exec, s[26:27]
	s_and_b64 s[34:35], s[14:15], s[18:19]
	s_and_saveexec_b64 s[26:27], s[34:35]
	s_cbranch_execnz .LBB281_124
.LBB281_99:
	s_or_b64 exec, exec, s[26:27]
	s_and_b64 s[26:27], s[16:17], s[18:19]
	s_and_saveexec_b64 s[18:19], s[26:27]
	s_cbranch_execnz .LBB281_128
	s_branch .LBB281_132
.LBB281_100:
	s_and_b64 vcc, exec, s[0:1]
	s_cbranch_vccnz .LBB281_102
; %bb.101:
	v_lshl_add_u64 v[50:51], v[32:33], 1, v[48:49]
	flat_load_ushort v50, v[50:51]
	s_waitcnt vmcnt(0) lgkmcnt(0)
	v_mul_f16_e32 v50, s28, v50
	s_branch .LBB281_103
.LBB281_102:
	v_mov_b32_e32 v50, 0
.LBB281_103:
	v_pk_add_f16 v51, v16, v30
	v_pk_max_f16 v108, v108, v108
	s_nop 0
	v_pk_min_f16 v51, v108, v51
	v_pk_add_f16 v108, v17, v31
	s_nop 0
	v_pk_min_f16 v51, v51, v108
	s_nop 0
	v_lshrrev_b32_e32 v108, 16, v51
	v_min3_f16 v108, v50, v51, v108
	v_lshl_add_u64 v[50:51], v[32:33], 1, v[28:29]
	global_store_short v[50:51], v108, off
	s_or_b64 exec, exec, s[26:27]
	s_and_b64 s[34:35], s[4:5], s[18:19]
	s_and_saveexec_b64 s[26:27], s[34:35]
	s_cbranch_execz .LBB281_94
.LBB281_104:
	s_and_b64 vcc, exec, s[0:1]
	s_cbranch_vccnz .LBB281_106
; %bb.105:
	v_lshl_add_u64 v[50:51], v[34:35], 1, v[48:49]
	flat_load_ushort v50, v[50:51]
	s_waitcnt vmcnt(0) lgkmcnt(0)
	v_mul_f16_e32 v50, s28, v50
	s_branch .LBB281_107
.LBB281_106:
	v_mov_b32_e32 v50, 0
.LBB281_107:
	v_pk_add_f16 v51, v18, v30
	v_pk_max_f16 v107, v107, v107
	s_nop 0
	v_pk_min_f16 v51, v107, v51
	v_pk_add_f16 v107, v19, v31
	s_nop 0
	v_pk_min_f16 v51, v51, v107
	s_nop 0
	v_lshrrev_b32_e32 v107, 16, v51
	v_min3_f16 v107, v50, v51, v107
	v_lshl_add_u64 v[50:51], v[34:35], 1, v[28:29]
	global_store_short v[50:51], v107, off
	s_or_b64 exec, exec, s[26:27]
	s_and_b64 s[34:35], s[6:7], s[18:19]
	s_and_saveexec_b64 s[26:27], s[34:35]
	s_cbranch_execz .LBB281_95
.LBB281_108:
	s_and_b64 vcc, exec, s[0:1]
	s_cbranch_vccnz .LBB281_110
; %bb.109:
	v_lshl_add_u64 v[50:51], v[36:37], 1, v[48:49]
	flat_load_ushort v50, v[50:51]
	s_waitcnt vmcnt(0) lgkmcnt(0)
	v_mul_f16_e32 v50, s28, v50
	s_branch .LBB281_111
.LBB281_110:
	v_mov_b32_e32 v50, 0
.LBB281_111:
	v_pk_add_f16 v51, v12, v30
	v_pk_max_f16 v106, v106, v106
	s_nop 0
	v_pk_min_f16 v51, v106, v51
	v_pk_add_f16 v106, v13, v31
	s_nop 0
	v_pk_min_f16 v51, v51, v106
	s_nop 0
	v_lshrrev_b32_e32 v106, 16, v51
	v_min3_f16 v106, v50, v51, v106
	v_lshl_add_u64 v[50:51], v[36:37], 1, v[28:29]
	global_store_short v[50:51], v106, off
	s_or_b64 exec, exec, s[26:27]
	s_and_b64 s[34:35], s[8:9], s[18:19]
	s_and_saveexec_b64 s[26:27], s[34:35]
	s_cbranch_execz .LBB281_96
.LBB281_112:
	s_and_b64 vcc, exec, s[0:1]
	s_cbranch_vccnz .LBB281_114
; %bb.113:
	v_lshl_add_u64 v[50:51], v[38:39], 1, v[48:49]
	flat_load_ushort v50, v[50:51]
	s_waitcnt vmcnt(0) lgkmcnt(0)
	v_mul_f16_e32 v50, s28, v50
	s_branch .LBB281_115
.LBB281_114:
	v_mov_b32_e32 v50, 0
.LBB281_115:
	v_pk_add_f16 v51, v14, v30
	v_pk_max_f16 v105, v105, v105
	s_nop 0
	v_pk_min_f16 v51, v105, v51
	v_pk_add_f16 v105, v15, v31
	s_nop 0
	v_pk_min_f16 v51, v51, v105
	s_nop 0
	v_lshrrev_b32_e32 v105, 16, v51
	v_min3_f16 v105, v50, v51, v105
	v_lshl_add_u64 v[50:51], v[38:39], 1, v[28:29]
	global_store_short v[50:51], v105, off
	s_or_b64 exec, exec, s[26:27]
	s_and_b64 s[34:35], s[10:11], s[18:19]
	s_and_saveexec_b64 s[26:27], s[34:35]
	s_cbranch_execz .LBB281_97
.LBB281_116:
	s_and_b64 vcc, exec, s[0:1]
	s_cbranch_vccnz .LBB281_118
; %bb.117:
	v_lshl_add_u64 v[50:51], v[40:41], 1, v[48:49]
	flat_load_ushort v50, v[50:51]
	s_waitcnt vmcnt(0) lgkmcnt(0)
	v_mul_f16_e32 v50, s28, v50
	s_branch .LBB281_119
.LBB281_118:
	v_mov_b32_e32 v50, 0
.LBB281_119:
	v_pk_add_f16 v51, v8, v30
	v_pk_max_f16 v104, v104, v104
	s_nop 0
	v_pk_min_f16 v51, v104, v51
	v_pk_add_f16 v104, v9, v31
	s_nop 0
	v_pk_min_f16 v51, v51, v104
	s_nop 0
	v_lshrrev_b32_e32 v104, 16, v51
	v_min3_f16 v104, v50, v51, v104
	v_lshl_add_u64 v[50:51], v[40:41], 1, v[28:29]
	global_store_short v[50:51], v104, off
	s_or_b64 exec, exec, s[26:27]
	s_and_b64 s[34:35], s[12:13], s[18:19]
	s_and_saveexec_b64 s[26:27], s[34:35]
	s_cbranch_execz .LBB281_98
.LBB281_120:
	s_and_b64 vcc, exec, s[0:1]
	s_cbranch_vccnz .LBB281_122
; %bb.121:
	v_lshl_add_u64 v[50:51], v[42:43], 1, v[48:49]
	flat_load_ushort v50, v[50:51]
	s_waitcnt vmcnt(0) lgkmcnt(0)
	v_mul_f16_e32 v50, s28, v50
	s_branch .LBB281_123
.LBB281_122:
	v_mov_b32_e32 v50, 0
.LBB281_123:
	v_pk_add_f16 v51, v10, v30
	v_pk_max_f16 v103, v103, v103
	s_nop 0
	v_pk_min_f16 v51, v103, v51
	v_pk_add_f16 v103, v11, v31
	s_nop 0
	v_pk_min_f16 v51, v51, v103
	s_nop 0
	v_lshrrev_b32_e32 v103, 16, v51
	v_min3_f16 v103, v50, v51, v103
	v_lshl_add_u64 v[50:51], v[42:43], 1, v[28:29]
	global_store_short v[50:51], v103, off
	s_or_b64 exec, exec, s[26:27]
	s_and_b64 s[34:35], s[14:15], s[18:19]
	s_and_saveexec_b64 s[26:27], s[34:35]
	s_cbranch_execz .LBB281_99
.LBB281_124:
	s_and_b64 vcc, exec, s[0:1]
	s_cbranch_vccnz .LBB281_126
; %bb.125:
	v_lshl_add_u64 v[50:51], v[44:45], 1, v[48:49]
	flat_load_ushort v50, v[50:51]
	s_waitcnt vmcnt(0) lgkmcnt(0)
	v_mul_f16_e32 v50, s28, v50
	s_branch .LBB281_127
.LBB281_126:
	v_mov_b32_e32 v50, 0
.LBB281_127:
	v_pk_add_f16 v51, v0, v30
	v_pk_max_f16 v102, v102, v102
	s_nop 0
	v_pk_min_f16 v51, v102, v51
	v_pk_add_f16 v102, v1, v31
	s_nop 0
	v_pk_min_f16 v51, v51, v102
	s_nop 0
	v_lshrrev_b32_e32 v102, 16, v51
	v_min3_f16 v102, v50, v51, v102
	v_lshl_add_u64 v[50:51], v[44:45], 1, v[28:29]
	global_store_short v[50:51], v102, off
	s_or_b64 exec, exec, s[26:27]
	s_and_b64 s[26:27], s[16:17], s[18:19]
	s_and_saveexec_b64 s[18:19], s[26:27]
	s_cbranch_execz .LBB281_132
.LBB281_128:
	s_and_b64 vcc, exec, s[0:1]
	s_cbranch_vccnz .LBB281_130
; %bb.129:
	v_lshl_add_u64 v[48:49], v[46:47], 1, v[48:49]
	flat_load_ushort v48, v[48:49]
	s_waitcnt vmcnt(0) lgkmcnt(0)
	v_mul_f16_e32 v48, s28, v48
	s_branch .LBB281_131
.LBB281_130:
	v_mov_b32_e32 v48, 0
.LBB281_131:
	v_pk_add_f16 v30, v2, v30
	v_pk_max_f16 v49, v101, v101
	v_pk_add_f16 v31, v3, v31
	v_pk_min_f16 v30, v49, v30
	v_lshl_add_u64 v[28:29], v[46:47], 1, v[28:29]
	v_pk_min_f16 v30, v30, v31
	s_nop 0
	v_lshrrev_b32_e32 v31, 16, v30
	v_min3_f16 v30, v48, v30, v31
	global_store_short v[28:29], v30, off
.LBB281_132:
	s_or_b64 exec, exec, s[18:19]
	v_add_u32_e32 v48, 64, v100
	v_mad_i64_i32 v[28:29], s[26:27], v48, s31, 0
	v_cmp_gt_i32_e64 s[18:19], s21, v48
	v_lshl_add_u64 v[30:31], v[28:29], 1, s[24:25]
	v_mad_i64_i32 v[28:29], s[26:27], v48, s30, 0
	v_lshl_add_u64 v[28:29], v[28:29], 1, s[22:23]
	s_and_b64 s[34:35], s[2:3], s[18:19]
	s_and_saveexec_b64 s[26:27], s[34:35]
	s_cbranch_execnz .LBB281_140
; %bb.133:
	s_or_b64 exec, exec, s[26:27]
	s_and_b64 s[34:35], s[4:5], s[18:19]
	s_and_saveexec_b64 s[26:27], s[34:35]
	s_cbranch_execnz .LBB281_144
.LBB281_134:
	s_or_b64 exec, exec, s[26:27]
	s_and_b64 s[34:35], s[6:7], s[18:19]
	s_and_saveexec_b64 s[26:27], s[34:35]
	s_cbranch_execnz .LBB281_148
.LBB281_135:
	s_or_b64 exec, exec, s[26:27]
	s_and_b64 s[34:35], s[8:9], s[18:19]
	s_and_saveexec_b64 s[26:27], s[34:35]
	s_cbranch_execnz .LBB281_152
.LBB281_136:
	s_or_b64 exec, exec, s[26:27]
	s_and_b64 s[34:35], s[10:11], s[18:19]
	s_and_saveexec_b64 s[26:27], s[34:35]
	s_cbranch_execnz .LBB281_156
.LBB281_137:
	s_or_b64 exec, exec, s[26:27]
	s_and_b64 s[34:35], s[12:13], s[18:19]
	s_and_saveexec_b64 s[26:27], s[34:35]
	s_cbranch_execnz .LBB281_160
.LBB281_138:
	s_or_b64 exec, exec, s[26:27]
	s_and_b64 s[34:35], s[14:15], s[18:19]
	s_and_saveexec_b64 s[26:27], s[34:35]
	s_cbranch_execnz .LBB281_164
.LBB281_139:
	s_or_b64 exec, exec, s[26:27]
	s_and_b64 s[26:27], s[16:17], s[18:19]
	s_and_saveexec_b64 s[18:19], s[26:27]
	s_cbranch_execnz .LBB281_168
	s_branch .LBB281_172
.LBB281_140:
	s_and_b64 vcc, exec, s[0:1]
	s_cbranch_vccnz .LBB281_142
; %bb.141:
	v_lshl_add_u64 v[48:49], v[32:33], 1, v[30:31]
	flat_load_ushort v48, v[48:49]
	s_waitcnt vmcnt(0) lgkmcnt(0)
	v_mul_f16_e32 v48, s28, v48
	s_branch .LBB281_143
.LBB281_142:
	v_mov_b32_e32 v48, 0
.LBB281_143:
	s_waitcnt lgkmcnt(2)
	v_pk_add_f16 v49, v16, v24
	v_pk_max_f16 v50, v99, v99
	s_nop 0
	v_pk_min_f16 v49, v50, v49
	v_pk_add_f16 v50, v17, v25
	s_nop 0
	v_pk_min_f16 v49, v49, v50
	s_nop 0
	v_lshrrev_b32_e32 v50, 16, v49
	v_min3_f16 v50, v48, v49, v50
	v_lshl_add_u64 v[48:49], v[32:33], 1, v[28:29]
	global_store_short v[48:49], v50, off
	s_or_b64 exec, exec, s[26:27]
	s_and_b64 s[34:35], s[4:5], s[18:19]
	s_and_saveexec_b64 s[26:27], s[34:35]
	s_cbranch_execz .LBB281_134
.LBB281_144:
	s_and_b64 vcc, exec, s[0:1]
	s_cbranch_vccnz .LBB281_146
; %bb.145:
	v_lshl_add_u64 v[48:49], v[34:35], 1, v[30:31]
	flat_load_ushort v48, v[48:49]
	s_waitcnt vmcnt(0) lgkmcnt(0)
	v_mul_f16_e32 v48, s28, v48
	s_branch .LBB281_147
.LBB281_146:
	v_mov_b32_e32 v48, 0
.LBB281_147:
	s_waitcnt lgkmcnt(2)
	v_pk_add_f16 v49, v18, v24
	v_pk_max_f16 v50, v98, v98
	s_nop 0
	v_pk_min_f16 v49, v50, v49
	v_pk_add_f16 v50, v19, v25
	s_nop 0
	v_pk_min_f16 v49, v49, v50
	s_nop 0
	v_lshrrev_b32_e32 v50, 16, v49
	v_min3_f16 v50, v48, v49, v50
	v_lshl_add_u64 v[48:49], v[34:35], 1, v[28:29]
	global_store_short v[48:49], v50, off
	s_or_b64 exec, exec, s[26:27]
	s_and_b64 s[34:35], s[6:7], s[18:19]
	s_and_saveexec_b64 s[26:27], s[34:35]
	s_cbranch_execz .LBB281_135
.LBB281_148:
	s_and_b64 vcc, exec, s[0:1]
	s_cbranch_vccnz .LBB281_150
; %bb.149:
	v_lshl_add_u64 v[48:49], v[36:37], 1, v[30:31]
	flat_load_ushort v48, v[48:49]
	s_waitcnt vmcnt(0) lgkmcnt(0)
	v_mul_f16_e32 v48, s28, v48
	s_branch .LBB281_151
.LBB281_150:
	v_mov_b32_e32 v48, 0
.LBB281_151:
	s_waitcnt lgkmcnt(2)
	v_pk_add_f16 v49, v12, v24
	v_pk_max_f16 v50, v97, v97
	s_nop 0
	v_pk_min_f16 v49, v50, v49
	v_pk_add_f16 v50, v13, v25
	s_nop 0
	v_pk_min_f16 v49, v49, v50
	s_nop 0
	v_lshrrev_b32_e32 v50, 16, v49
	v_min3_f16 v50, v48, v49, v50
	v_lshl_add_u64 v[48:49], v[36:37], 1, v[28:29]
	global_store_short v[48:49], v50, off
	s_or_b64 exec, exec, s[26:27]
	s_and_b64 s[34:35], s[8:9], s[18:19]
	s_and_saveexec_b64 s[26:27], s[34:35]
	s_cbranch_execz .LBB281_136
.LBB281_152:
	s_and_b64 vcc, exec, s[0:1]
	s_cbranch_vccnz .LBB281_154
; %bb.153:
	v_lshl_add_u64 v[48:49], v[38:39], 1, v[30:31]
	flat_load_ushort v48, v[48:49]
	s_waitcnt vmcnt(0) lgkmcnt(0)
	v_mul_f16_e32 v48, s28, v48
	s_branch .LBB281_155
.LBB281_154:
	v_mov_b32_e32 v48, 0
.LBB281_155:
	s_waitcnt lgkmcnt(2)
	v_pk_add_f16 v49, v14, v24
	v_pk_max_f16 v50, v96, v96
	s_nop 0
	v_pk_min_f16 v49, v50, v49
	v_pk_add_f16 v50, v15, v25
	s_nop 0
	v_pk_min_f16 v49, v49, v50
	s_nop 0
	v_lshrrev_b32_e32 v50, 16, v49
	v_min3_f16 v50, v48, v49, v50
	v_lshl_add_u64 v[48:49], v[38:39], 1, v[28:29]
	global_store_short v[48:49], v50, off
	s_or_b64 exec, exec, s[26:27]
	s_and_b64 s[34:35], s[10:11], s[18:19]
	s_and_saveexec_b64 s[26:27], s[34:35]
	s_cbranch_execz .LBB281_137
.LBB281_156:
	s_and_b64 vcc, exec, s[0:1]
	s_cbranch_vccnz .LBB281_158
; %bb.157:
	v_lshl_add_u64 v[48:49], v[40:41], 1, v[30:31]
	flat_load_ushort v48, v[48:49]
	s_waitcnt vmcnt(0) lgkmcnt(0)
	v_mul_f16_e32 v48, s28, v48
	s_branch .LBB281_159
.LBB281_158:
	v_mov_b32_e32 v48, 0
.LBB281_159:
	s_waitcnt lgkmcnt(2)
	v_pk_add_f16 v49, v8, v24
	v_pk_max_f16 v50, v95, v95
	s_nop 0
	v_pk_min_f16 v49, v50, v49
	v_pk_add_f16 v50, v9, v25
	s_nop 0
	v_pk_min_f16 v49, v49, v50
	s_nop 0
	v_lshrrev_b32_e32 v50, 16, v49
	v_min3_f16 v50, v48, v49, v50
	v_lshl_add_u64 v[48:49], v[40:41], 1, v[28:29]
	global_store_short v[48:49], v50, off
	s_or_b64 exec, exec, s[26:27]
	s_and_b64 s[34:35], s[12:13], s[18:19]
	s_and_saveexec_b64 s[26:27], s[34:35]
	s_cbranch_execz .LBB281_138
.LBB281_160:
	s_and_b64 vcc, exec, s[0:1]
	s_cbranch_vccnz .LBB281_162
; %bb.161:
	v_lshl_add_u64 v[48:49], v[42:43], 1, v[30:31]
	flat_load_ushort v48, v[48:49]
	s_waitcnt vmcnt(0) lgkmcnt(0)
	v_mul_f16_e32 v48, s28, v48
	s_branch .LBB281_163
.LBB281_162:
	v_mov_b32_e32 v48, 0
.LBB281_163:
	s_waitcnt lgkmcnt(2)
	v_pk_add_f16 v49, v10, v24
	v_pk_max_f16 v50, v94, v94
	s_nop 0
	v_pk_min_f16 v49, v50, v49
	v_pk_add_f16 v50, v11, v25
	s_nop 0
	v_pk_min_f16 v49, v49, v50
	s_nop 0
	v_lshrrev_b32_e32 v50, 16, v49
	v_min3_f16 v50, v48, v49, v50
	v_lshl_add_u64 v[48:49], v[42:43], 1, v[28:29]
	global_store_short v[48:49], v50, off
	s_or_b64 exec, exec, s[26:27]
	s_and_b64 s[34:35], s[14:15], s[18:19]
	s_and_saveexec_b64 s[26:27], s[34:35]
	s_cbranch_execz .LBB281_139
.LBB281_164:
	s_and_b64 vcc, exec, s[0:1]
	s_cbranch_vccnz .LBB281_166
; %bb.165:
	v_lshl_add_u64 v[48:49], v[44:45], 1, v[30:31]
	flat_load_ushort v48, v[48:49]
	s_waitcnt vmcnt(0) lgkmcnt(0)
	v_mul_f16_e32 v48, s28, v48
	s_branch .LBB281_167
.LBB281_166:
	v_mov_b32_e32 v48, 0
.LBB281_167:
	s_waitcnt lgkmcnt(2)
	v_pk_add_f16 v49, v0, v24
	v_pk_max_f16 v50, v93, v93
	s_nop 0
	v_pk_min_f16 v49, v50, v49
	v_pk_add_f16 v50, v1, v25
	s_nop 0
	v_pk_min_f16 v49, v49, v50
	s_nop 0
	v_lshrrev_b32_e32 v50, 16, v49
	v_min3_f16 v50, v48, v49, v50
	v_lshl_add_u64 v[48:49], v[44:45], 1, v[28:29]
	global_store_short v[48:49], v50, off
	s_or_b64 exec, exec, s[26:27]
	s_and_b64 s[26:27], s[16:17], s[18:19]
	s_and_saveexec_b64 s[18:19], s[26:27]
	s_cbranch_execz .LBB281_172
.LBB281_168:
	s_and_b64 vcc, exec, s[0:1]
	s_cbranch_vccnz .LBB281_170
; %bb.169:
	v_lshl_add_u64 v[30:31], v[46:47], 1, v[30:31]
	flat_load_ushort v30, v[30:31]
	s_waitcnt vmcnt(0) lgkmcnt(0)
	v_mul_f16_e32 v30, s28, v30
	s_branch .LBB281_171
.LBB281_170:
	v_mov_b32_e32 v30, 0
.LBB281_171:
	s_waitcnt lgkmcnt(2)
	v_pk_add_f16 v24, v2, v24
	v_pk_max_f16 v31, v92, v92
	v_pk_add_f16 v25, v3, v25
	v_pk_min_f16 v24, v31, v24
	s_nop 0
	v_pk_min_f16 v24, v24, v25
	s_nop 0
	v_lshrrev_b32_e32 v25, 16, v24
	v_min3_f16 v30, v30, v24, v25
	v_lshl_add_u64 v[24:25], v[46:47], 1, v[28:29]
	global_store_short v[24:25], v30, off
.LBB281_172:
	s_or_b64 exec, exec, s[18:19]
	v_add_u32_e32 v30, 0x60, v100
	s_waitcnt lgkmcnt(2)
	v_mad_i64_i32 v[24:25], s[26:27], v30, s31, 0
	v_cmp_gt_i32_e64 s[18:19], s21, v30
	v_lshl_add_u64 v[28:29], v[24:25], 1, s[24:25]
	v_mad_i64_i32 v[24:25], s[26:27], v30, s30, 0
	v_lshl_add_u64 v[24:25], v[24:25], 1, s[22:23]
	s_and_b64 s[34:35], s[2:3], s[18:19]
	s_and_saveexec_b64 s[26:27], s[34:35]
	s_cbranch_execnz .LBB281_180
; %bb.173:
	s_or_b64 exec, exec, s[26:27]
	s_and_b64 s[34:35], s[4:5], s[18:19]
	s_and_saveexec_b64 s[26:27], s[34:35]
	s_cbranch_execnz .LBB281_184
.LBB281_174:
	s_or_b64 exec, exec, s[26:27]
	s_and_b64 s[34:35], s[6:7], s[18:19]
	s_and_saveexec_b64 s[26:27], s[34:35]
	s_cbranch_execnz .LBB281_188
.LBB281_175:
	s_or_b64 exec, exec, s[26:27]
	s_and_b64 s[34:35], s[8:9], s[18:19]
	s_and_saveexec_b64 s[26:27], s[34:35]
	s_cbranch_execnz .LBB281_192
.LBB281_176:
	s_or_b64 exec, exec, s[26:27]
	s_and_b64 s[34:35], s[10:11], s[18:19]
	s_and_saveexec_b64 s[26:27], s[34:35]
	s_cbranch_execnz .LBB281_196
.LBB281_177:
	s_or_b64 exec, exec, s[26:27]
	s_and_b64 s[34:35], s[12:13], s[18:19]
	s_and_saveexec_b64 s[26:27], s[34:35]
	s_cbranch_execnz .LBB281_200
.LBB281_178:
	s_or_b64 exec, exec, s[26:27]
	s_and_b64 s[34:35], s[14:15], s[18:19]
	s_and_saveexec_b64 s[26:27], s[34:35]
	s_cbranch_execnz .LBB281_204
.LBB281_179:
	s_or_b64 exec, exec, s[26:27]
	s_and_b64 s[26:27], s[16:17], s[18:19]
	s_and_saveexec_b64 s[18:19], s[26:27]
	s_cbranch_execnz .LBB281_208
	s_branch .LBB281_212
.LBB281_180:
	s_and_b64 vcc, exec, s[0:1]
	s_cbranch_vccnz .LBB281_182
; %bb.181:
	v_lshl_add_u64 v[30:31], v[32:33], 1, v[28:29]
	flat_load_ushort v30, v[30:31]
	s_waitcnt vmcnt(0) lgkmcnt(0)
	v_mul_f16_e32 v30, s28, v30
	s_branch .LBB281_183
.LBB281_182:
	v_mov_b32_e32 v30, 0
.LBB281_183:
	v_pk_add_f16 v31, v16, v26
	v_pk_max_f16 v48, v91, v91
	s_nop 0
	v_pk_min_f16 v31, v48, v31
	v_pk_add_f16 v48, v17, v27
	s_nop 0
	v_pk_min_f16 v31, v31, v48
	s_nop 0
	v_lshrrev_b32_e32 v48, 16, v31
	v_min3_f16 v48, v30, v31, v48
	v_lshl_add_u64 v[30:31], v[32:33], 1, v[24:25]
	global_store_short v[30:31], v48, off
	s_or_b64 exec, exec, s[26:27]
	s_and_b64 s[34:35], s[4:5], s[18:19]
	s_and_saveexec_b64 s[26:27], s[34:35]
	s_cbranch_execz .LBB281_174
.LBB281_184:
	s_and_b64 vcc, exec, s[0:1]
	s_cbranch_vccnz .LBB281_186
; %bb.185:
	v_lshl_add_u64 v[30:31], v[34:35], 1, v[28:29]
	flat_load_ushort v30, v[30:31]
	s_waitcnt vmcnt(0) lgkmcnt(0)
	v_mul_f16_e32 v30, s28, v30
	s_branch .LBB281_187
.LBB281_186:
	v_mov_b32_e32 v30, 0
.LBB281_187:
	v_pk_add_f16 v31, v18, v26
	v_pk_max_f16 v48, v90, v90
	s_nop 0
	v_pk_min_f16 v31, v48, v31
	v_pk_add_f16 v48, v19, v27
	s_nop 0
	v_pk_min_f16 v31, v31, v48
	s_nop 0
	v_lshrrev_b32_e32 v48, 16, v31
	v_min3_f16 v48, v30, v31, v48
	v_lshl_add_u64 v[30:31], v[34:35], 1, v[24:25]
	global_store_short v[30:31], v48, off
	s_or_b64 exec, exec, s[26:27]
	s_and_b64 s[34:35], s[6:7], s[18:19]
	s_and_saveexec_b64 s[26:27], s[34:35]
	s_cbranch_execz .LBB281_175
.LBB281_188:
	s_and_b64 vcc, exec, s[0:1]
	s_cbranch_vccnz .LBB281_190
; %bb.189:
	v_lshl_add_u64 v[30:31], v[36:37], 1, v[28:29]
	flat_load_ushort v30, v[30:31]
	s_waitcnt vmcnt(0) lgkmcnt(0)
	v_mul_f16_e32 v30, s28, v30
	s_branch .LBB281_191
.LBB281_190:
	v_mov_b32_e32 v30, 0
.LBB281_191:
	v_pk_add_f16 v31, v12, v26
	v_pk_max_f16 v48, v89, v89
	s_nop 0
	v_pk_min_f16 v31, v48, v31
	v_pk_add_f16 v48, v13, v27
	s_nop 0
	v_pk_min_f16 v31, v31, v48
	s_nop 0
	v_lshrrev_b32_e32 v48, 16, v31
	v_min3_f16 v48, v30, v31, v48
	v_lshl_add_u64 v[30:31], v[36:37], 1, v[24:25]
	global_store_short v[30:31], v48, off
	s_or_b64 exec, exec, s[26:27]
	s_and_b64 s[34:35], s[8:9], s[18:19]
	s_and_saveexec_b64 s[26:27], s[34:35]
	s_cbranch_execz .LBB281_176
.LBB281_192:
	s_and_b64 vcc, exec, s[0:1]
	s_cbranch_vccnz .LBB281_194
; %bb.193:
	v_lshl_add_u64 v[30:31], v[38:39], 1, v[28:29]
	flat_load_ushort v30, v[30:31]
	s_waitcnt vmcnt(0) lgkmcnt(0)
	v_mul_f16_e32 v30, s28, v30
	s_branch .LBB281_195
.LBB281_194:
	v_mov_b32_e32 v30, 0
.LBB281_195:
	v_pk_add_f16 v31, v14, v26
	v_pk_max_f16 v48, v88, v88
	s_nop 0
	v_pk_min_f16 v31, v48, v31
	v_pk_add_f16 v48, v15, v27
	s_nop 0
	v_pk_min_f16 v31, v31, v48
	s_nop 0
	v_lshrrev_b32_e32 v48, 16, v31
	v_min3_f16 v48, v30, v31, v48
	v_lshl_add_u64 v[30:31], v[38:39], 1, v[24:25]
	global_store_short v[30:31], v48, off
	s_or_b64 exec, exec, s[26:27]
	s_and_b64 s[34:35], s[10:11], s[18:19]
	s_and_saveexec_b64 s[26:27], s[34:35]
	s_cbranch_execz .LBB281_177
.LBB281_196:
	s_and_b64 vcc, exec, s[0:1]
	s_cbranch_vccnz .LBB281_198
; %bb.197:
	v_lshl_add_u64 v[30:31], v[40:41], 1, v[28:29]
	flat_load_ushort v30, v[30:31]
	s_waitcnt vmcnt(0) lgkmcnt(0)
	v_mul_f16_e32 v30, s28, v30
	s_branch .LBB281_199
.LBB281_198:
	v_mov_b32_e32 v30, 0
.LBB281_199:
	v_pk_add_f16 v31, v8, v26
	v_pk_max_f16 v48, v87, v87
	s_nop 0
	v_pk_min_f16 v31, v48, v31
	v_pk_add_f16 v48, v9, v27
	s_nop 0
	v_pk_min_f16 v31, v31, v48
	s_nop 0
	v_lshrrev_b32_e32 v48, 16, v31
	v_min3_f16 v48, v30, v31, v48
	v_lshl_add_u64 v[30:31], v[40:41], 1, v[24:25]
	global_store_short v[30:31], v48, off
	s_or_b64 exec, exec, s[26:27]
	s_and_b64 s[34:35], s[12:13], s[18:19]
	s_and_saveexec_b64 s[26:27], s[34:35]
	s_cbranch_execz .LBB281_178
.LBB281_200:
	s_and_b64 vcc, exec, s[0:1]
	s_cbranch_vccnz .LBB281_202
; %bb.201:
	v_lshl_add_u64 v[30:31], v[42:43], 1, v[28:29]
	flat_load_ushort v30, v[30:31]
	s_waitcnt vmcnt(0) lgkmcnt(0)
	v_mul_f16_e32 v30, s28, v30
	s_branch .LBB281_203
.LBB281_202:
	v_mov_b32_e32 v30, 0
.LBB281_203:
	v_pk_add_f16 v31, v10, v26
	v_pk_max_f16 v48, v86, v86
	s_nop 0
	v_pk_min_f16 v31, v48, v31
	v_pk_add_f16 v48, v11, v27
	s_nop 0
	v_pk_min_f16 v31, v31, v48
	s_nop 0
	v_lshrrev_b32_e32 v48, 16, v31
	v_min3_f16 v48, v30, v31, v48
	v_lshl_add_u64 v[30:31], v[42:43], 1, v[24:25]
	global_store_short v[30:31], v48, off
	s_or_b64 exec, exec, s[26:27]
	s_and_b64 s[34:35], s[14:15], s[18:19]
	s_and_saveexec_b64 s[26:27], s[34:35]
	s_cbranch_execz .LBB281_179
.LBB281_204:
	s_and_b64 vcc, exec, s[0:1]
	s_cbranch_vccnz .LBB281_206
; %bb.205:
	v_lshl_add_u64 v[30:31], v[44:45], 1, v[28:29]
	flat_load_ushort v30, v[30:31]
	s_waitcnt vmcnt(0) lgkmcnt(0)
	v_mul_f16_e32 v30, s28, v30
	s_branch .LBB281_207
.LBB281_206:
	v_mov_b32_e32 v30, 0
.LBB281_207:
	v_pk_add_f16 v31, v0, v26
	v_pk_max_f16 v48, v85, v85
	s_nop 0
	v_pk_min_f16 v31, v48, v31
	v_pk_add_f16 v48, v1, v27
	s_nop 0
	v_pk_min_f16 v31, v31, v48
	s_nop 0
	v_lshrrev_b32_e32 v48, 16, v31
	v_min3_f16 v48, v30, v31, v48
	v_lshl_add_u64 v[30:31], v[44:45], 1, v[24:25]
	global_store_short v[30:31], v48, off
	s_or_b64 exec, exec, s[26:27]
	s_and_b64 s[26:27], s[16:17], s[18:19]
	s_and_saveexec_b64 s[18:19], s[26:27]
	s_cbranch_execz .LBB281_212
.LBB281_208:
	s_and_b64 vcc, exec, s[0:1]
	s_cbranch_vccnz .LBB281_210
; %bb.209:
	v_lshl_add_u64 v[28:29], v[46:47], 1, v[28:29]
	flat_load_ushort v28, v[28:29]
	s_waitcnt vmcnt(0) lgkmcnt(0)
	v_mul_f16_e32 v28, s28, v28
	s_branch .LBB281_211
.LBB281_210:
	v_mov_b32_e32 v28, 0
.LBB281_211:
	v_pk_add_f16 v26, v2, v26
	v_pk_max_f16 v29, v84, v84
	v_pk_add_f16 v27, v3, v27
	v_pk_min_f16 v26, v29, v26
	v_lshl_add_u64 v[24:25], v[46:47], 1, v[24:25]
	v_pk_min_f16 v26, v26, v27
	s_nop 0
	v_lshrrev_b32_e32 v27, 16, v26
	v_min3_f16 v26, v28, v26, v27
	global_store_short v[24:25], v26, off
.LBB281_212:
	s_or_b64 exec, exec, s[18:19]
	v_add_u32_e32 v28, 0x80, v100
	v_mad_i64_i32 v[24:25], s[26:27], v28, s31, 0
	v_cmp_gt_i32_e64 s[18:19], s21, v28
	v_lshl_add_u64 v[26:27], v[24:25], 1, s[24:25]
	v_mad_i64_i32 v[24:25], s[26:27], v28, s30, 0
	v_lshl_add_u64 v[24:25], v[24:25], 1, s[22:23]
	s_and_b64 s[34:35], s[2:3], s[18:19]
	s_and_saveexec_b64 s[26:27], s[34:35]
	s_cbranch_execnz .LBB281_220
; %bb.213:
	s_or_b64 exec, exec, s[26:27]
	s_and_b64 s[34:35], s[4:5], s[18:19]
	s_and_saveexec_b64 s[26:27], s[34:35]
	s_cbranch_execnz .LBB281_224
.LBB281_214:
	s_or_b64 exec, exec, s[26:27]
	s_and_b64 s[34:35], s[6:7], s[18:19]
	s_and_saveexec_b64 s[26:27], s[34:35]
	s_cbranch_execnz .LBB281_228
.LBB281_215:
	s_or_b64 exec, exec, s[26:27]
	s_and_b64 s[34:35], s[8:9], s[18:19]
	s_and_saveexec_b64 s[26:27], s[34:35]
	s_cbranch_execnz .LBB281_232
.LBB281_216:
	s_or_b64 exec, exec, s[26:27]
	s_and_b64 s[34:35], s[10:11], s[18:19]
	s_and_saveexec_b64 s[26:27], s[34:35]
	s_cbranch_execnz .LBB281_236
.LBB281_217:
	s_or_b64 exec, exec, s[26:27]
	s_and_b64 s[34:35], s[12:13], s[18:19]
	s_and_saveexec_b64 s[26:27], s[34:35]
	s_cbranch_execnz .LBB281_240
.LBB281_218:
	s_or_b64 exec, exec, s[26:27]
	s_and_b64 s[34:35], s[14:15], s[18:19]
	s_and_saveexec_b64 s[26:27], s[34:35]
	s_cbranch_execnz .LBB281_244
.LBB281_219:
	s_or_b64 exec, exec, s[26:27]
	s_and_b64 s[26:27], s[16:17], s[18:19]
	s_and_saveexec_b64 s[18:19], s[26:27]
	s_cbranch_execnz .LBB281_248
	s_branch .LBB281_252
.LBB281_220:
	s_and_b64 vcc, exec, s[0:1]
	s_cbranch_vccnz .LBB281_222
; %bb.221:
	v_lshl_add_u64 v[28:29], v[32:33], 1, v[26:27]
	flat_load_ushort v28, v[28:29]
	s_waitcnt vmcnt(0) lgkmcnt(0)
	v_mul_f16_e32 v28, s28, v28
	s_branch .LBB281_223
.LBB281_222:
	v_mov_b32_e32 v28, 0
.LBB281_223:
	s_waitcnt lgkmcnt(1)
	v_pk_add_f16 v29, v16, v20
	v_pk_max_f16 v30, v83, v83
	s_nop 0
	v_pk_min_f16 v29, v30, v29
	v_pk_add_f16 v30, v17, v21
	s_nop 0
	v_pk_min_f16 v29, v29, v30
	s_nop 0
	v_lshrrev_b32_e32 v30, 16, v29
	v_min3_f16 v30, v28, v29, v30
	v_lshl_add_u64 v[28:29], v[32:33], 1, v[24:25]
	global_store_short v[28:29], v30, off
	s_or_b64 exec, exec, s[26:27]
	s_and_b64 s[34:35], s[4:5], s[18:19]
	s_and_saveexec_b64 s[26:27], s[34:35]
	s_cbranch_execz .LBB281_214
.LBB281_224:
	s_and_b64 vcc, exec, s[0:1]
	s_cbranch_vccnz .LBB281_226
; %bb.225:
	v_lshl_add_u64 v[28:29], v[34:35], 1, v[26:27]
	flat_load_ushort v28, v[28:29]
	s_waitcnt vmcnt(0) lgkmcnt(0)
	v_mul_f16_e32 v28, s28, v28
	s_branch .LBB281_227
.LBB281_226:
	v_mov_b32_e32 v28, 0
.LBB281_227:
	s_waitcnt lgkmcnt(1)
	v_pk_add_f16 v29, v18, v20
	v_pk_max_f16 v30, v82, v82
	s_nop 0
	v_pk_min_f16 v29, v30, v29
	v_pk_add_f16 v30, v19, v21
	s_nop 0
	v_pk_min_f16 v29, v29, v30
	s_nop 0
	v_lshrrev_b32_e32 v30, 16, v29
	v_min3_f16 v30, v28, v29, v30
	v_lshl_add_u64 v[28:29], v[34:35], 1, v[24:25]
	global_store_short v[28:29], v30, off
	s_or_b64 exec, exec, s[26:27]
	s_and_b64 s[34:35], s[6:7], s[18:19]
	s_and_saveexec_b64 s[26:27], s[34:35]
	s_cbranch_execz .LBB281_215
.LBB281_228:
	s_and_b64 vcc, exec, s[0:1]
	s_cbranch_vccnz .LBB281_230
; %bb.229:
	v_lshl_add_u64 v[28:29], v[36:37], 1, v[26:27]
	flat_load_ushort v28, v[28:29]
	s_waitcnt vmcnt(0) lgkmcnt(0)
	v_mul_f16_e32 v28, s28, v28
	s_branch .LBB281_231
.LBB281_230:
	v_mov_b32_e32 v28, 0
.LBB281_231:
	s_waitcnt lgkmcnt(1)
	v_pk_add_f16 v29, v12, v20
	v_pk_max_f16 v30, v81, v81
	s_nop 0
	v_pk_min_f16 v29, v30, v29
	v_pk_add_f16 v30, v13, v21
	s_nop 0
	v_pk_min_f16 v29, v29, v30
	s_nop 0
	v_lshrrev_b32_e32 v30, 16, v29
	v_min3_f16 v30, v28, v29, v30
	v_lshl_add_u64 v[28:29], v[36:37], 1, v[24:25]
	global_store_short v[28:29], v30, off
	s_or_b64 exec, exec, s[26:27]
	s_and_b64 s[34:35], s[8:9], s[18:19]
	s_and_saveexec_b64 s[26:27], s[34:35]
	s_cbranch_execz .LBB281_216
.LBB281_232:
	s_and_b64 vcc, exec, s[0:1]
	s_cbranch_vccnz .LBB281_234
; %bb.233:
	v_lshl_add_u64 v[28:29], v[38:39], 1, v[26:27]
	flat_load_ushort v28, v[28:29]
	s_waitcnt vmcnt(0) lgkmcnt(0)
	v_mul_f16_e32 v28, s28, v28
	s_branch .LBB281_235
.LBB281_234:
	v_mov_b32_e32 v28, 0
.LBB281_235:
	s_waitcnt lgkmcnt(1)
	v_pk_add_f16 v29, v14, v20
	v_pk_max_f16 v30, v80, v80
	s_nop 0
	v_pk_min_f16 v29, v30, v29
	v_pk_add_f16 v30, v15, v21
	s_nop 0
	v_pk_min_f16 v29, v29, v30
	s_nop 0
	v_lshrrev_b32_e32 v30, 16, v29
	v_min3_f16 v30, v28, v29, v30
	v_lshl_add_u64 v[28:29], v[38:39], 1, v[24:25]
	global_store_short v[28:29], v30, off
	s_or_b64 exec, exec, s[26:27]
	s_and_b64 s[34:35], s[10:11], s[18:19]
	s_and_saveexec_b64 s[26:27], s[34:35]
	s_cbranch_execz .LBB281_217
.LBB281_236:
	s_and_b64 vcc, exec, s[0:1]
	s_cbranch_vccnz .LBB281_238
; %bb.237:
	v_lshl_add_u64 v[28:29], v[40:41], 1, v[26:27]
	flat_load_ushort v28, v[28:29]
	s_waitcnt vmcnt(0) lgkmcnt(0)
	v_mul_f16_e32 v28, s28, v28
	s_branch .LBB281_239
.LBB281_238:
	v_mov_b32_e32 v28, 0
.LBB281_239:
	s_waitcnt lgkmcnt(1)
	v_pk_add_f16 v29, v8, v20
	v_pk_max_f16 v30, v79, v79
	s_nop 0
	v_pk_min_f16 v29, v30, v29
	v_pk_add_f16 v30, v9, v21
	s_nop 0
	v_pk_min_f16 v29, v29, v30
	s_nop 0
	v_lshrrev_b32_e32 v30, 16, v29
	v_min3_f16 v30, v28, v29, v30
	v_lshl_add_u64 v[28:29], v[40:41], 1, v[24:25]
	global_store_short v[28:29], v30, off
	s_or_b64 exec, exec, s[26:27]
	s_and_b64 s[34:35], s[12:13], s[18:19]
	s_and_saveexec_b64 s[26:27], s[34:35]
	s_cbranch_execz .LBB281_218
.LBB281_240:
	s_and_b64 vcc, exec, s[0:1]
	s_cbranch_vccnz .LBB281_242
; %bb.241:
	v_lshl_add_u64 v[28:29], v[42:43], 1, v[26:27]
	flat_load_ushort v28, v[28:29]
	s_waitcnt vmcnt(0) lgkmcnt(0)
	v_mul_f16_e32 v28, s28, v28
	s_branch .LBB281_243
.LBB281_242:
	v_mov_b32_e32 v28, 0
.LBB281_243:
	s_waitcnt lgkmcnt(1)
	v_pk_add_f16 v29, v10, v20
	v_pk_max_f16 v30, v78, v78
	s_nop 0
	v_pk_min_f16 v29, v30, v29
	v_pk_add_f16 v30, v11, v21
	s_nop 0
	v_pk_min_f16 v29, v29, v30
	s_nop 0
	v_lshrrev_b32_e32 v30, 16, v29
	v_min3_f16 v30, v28, v29, v30
	v_lshl_add_u64 v[28:29], v[42:43], 1, v[24:25]
	global_store_short v[28:29], v30, off
	s_or_b64 exec, exec, s[26:27]
	s_and_b64 s[34:35], s[14:15], s[18:19]
	s_and_saveexec_b64 s[26:27], s[34:35]
	s_cbranch_execz .LBB281_219
.LBB281_244:
	s_and_b64 vcc, exec, s[0:1]
	s_cbranch_vccnz .LBB281_246
; %bb.245:
	v_lshl_add_u64 v[28:29], v[44:45], 1, v[26:27]
	flat_load_ushort v28, v[28:29]
	s_waitcnt vmcnt(0) lgkmcnt(0)
	v_mul_f16_e32 v28, s28, v28
	s_branch .LBB281_247
.LBB281_246:
	v_mov_b32_e32 v28, 0
.LBB281_247:
	s_waitcnt lgkmcnt(1)
	v_pk_add_f16 v29, v0, v20
	v_pk_max_f16 v30, v77, v77
	s_nop 0
	v_pk_min_f16 v29, v30, v29
	v_pk_add_f16 v30, v1, v21
	s_nop 0
	v_pk_min_f16 v29, v29, v30
	s_nop 0
	v_lshrrev_b32_e32 v30, 16, v29
	v_min3_f16 v30, v28, v29, v30
	v_lshl_add_u64 v[28:29], v[44:45], 1, v[24:25]
	global_store_short v[28:29], v30, off
	s_or_b64 exec, exec, s[26:27]
	s_and_b64 s[26:27], s[16:17], s[18:19]
	s_and_saveexec_b64 s[18:19], s[26:27]
	s_cbranch_execz .LBB281_252
.LBB281_248:
	s_and_b64 vcc, exec, s[0:1]
	s_cbranch_vccnz .LBB281_250
; %bb.249:
	v_lshl_add_u64 v[26:27], v[46:47], 1, v[26:27]
	flat_load_ushort v26, v[26:27]
	s_waitcnt vmcnt(0) lgkmcnt(0)
	v_mul_f16_e32 v26, s28, v26
	s_branch .LBB281_251
.LBB281_250:
	v_mov_b32_e32 v26, 0
.LBB281_251:
	s_waitcnt lgkmcnt(1)
	v_pk_add_f16 v20, v2, v20
	v_pk_max_f16 v27, v76, v76
	v_pk_add_f16 v21, v3, v21
	v_pk_min_f16 v20, v27, v20
	s_nop 0
	v_pk_min_f16 v20, v20, v21
	s_nop 0
	v_lshrrev_b32_e32 v21, 16, v20
	v_min3_f16 v26, v26, v20, v21
	v_lshl_add_u64 v[20:21], v[46:47], 1, v[24:25]
	global_store_short v[20:21], v26, off
.LBB281_252:
	s_or_b64 exec, exec, s[18:19]
	v_add_u32_e32 v26, 0xa0, v100
	s_waitcnt lgkmcnt(1)
	v_mad_i64_i32 v[20:21], s[26:27], v26, s31, 0
	v_cmp_gt_i32_e64 s[18:19], s21, v26
	v_lshl_add_u64 v[24:25], v[20:21], 1, s[24:25]
	v_mad_i64_i32 v[20:21], s[26:27], v26, s30, 0
	v_lshl_add_u64 v[20:21], v[20:21], 1, s[22:23]
	s_and_b64 s[34:35], s[2:3], s[18:19]
	s_and_saveexec_b64 s[26:27], s[34:35]
	s_cbranch_execnz .LBB281_260
; %bb.253:
	s_or_b64 exec, exec, s[26:27]
	s_and_b64 s[34:35], s[4:5], s[18:19]
	s_and_saveexec_b64 s[26:27], s[34:35]
	s_cbranch_execnz .LBB281_264
.LBB281_254:
	s_or_b64 exec, exec, s[26:27]
	s_and_b64 s[34:35], s[6:7], s[18:19]
	s_and_saveexec_b64 s[26:27], s[34:35]
	s_cbranch_execnz .LBB281_268
.LBB281_255:
	s_or_b64 exec, exec, s[26:27]
	s_and_b64 s[34:35], s[8:9], s[18:19]
	s_and_saveexec_b64 s[26:27], s[34:35]
	s_cbranch_execnz .LBB281_272
.LBB281_256:
	s_or_b64 exec, exec, s[26:27]
	s_and_b64 s[34:35], s[10:11], s[18:19]
	s_and_saveexec_b64 s[26:27], s[34:35]
	s_cbranch_execnz .LBB281_276
.LBB281_257:
	s_or_b64 exec, exec, s[26:27]
	s_and_b64 s[34:35], s[12:13], s[18:19]
	s_and_saveexec_b64 s[26:27], s[34:35]
	s_cbranch_execnz .LBB281_280
.LBB281_258:
	s_or_b64 exec, exec, s[26:27]
	s_and_b64 s[34:35], s[14:15], s[18:19]
	s_and_saveexec_b64 s[26:27], s[34:35]
	s_cbranch_execnz .LBB281_284
.LBB281_259:
	s_or_b64 exec, exec, s[26:27]
	s_and_b64 s[26:27], s[16:17], s[18:19]
	s_and_saveexec_b64 s[18:19], s[26:27]
	s_cbranch_execnz .LBB281_288
	s_branch .LBB281_292
.LBB281_260:
	s_and_b64 vcc, exec, s[0:1]
	s_cbranch_vccnz .LBB281_262
; %bb.261:
	v_lshl_add_u64 v[26:27], v[32:33], 1, v[24:25]
	flat_load_ushort v26, v[26:27]
	s_waitcnt vmcnt(0) lgkmcnt(0)
	v_mul_f16_e32 v26, s28, v26
	s_branch .LBB281_263
.LBB281_262:
	v_mov_b32_e32 v26, 0
.LBB281_263:
	v_pk_add_f16 v27, v16, v22
	v_pk_max_f16 v28, v75, v75
	s_nop 0
	v_pk_min_f16 v27, v28, v27
	v_pk_add_f16 v28, v17, v23
	s_nop 0
	v_pk_min_f16 v27, v27, v28
	s_nop 0
	v_lshrrev_b32_e32 v28, 16, v27
	v_min3_f16 v28, v26, v27, v28
	v_lshl_add_u64 v[26:27], v[32:33], 1, v[20:21]
	global_store_short v[26:27], v28, off
	s_or_b64 exec, exec, s[26:27]
	s_and_b64 s[34:35], s[4:5], s[18:19]
	s_and_saveexec_b64 s[26:27], s[34:35]
	s_cbranch_execz .LBB281_254
.LBB281_264:
	s_and_b64 vcc, exec, s[0:1]
	s_cbranch_vccnz .LBB281_266
; %bb.265:
	v_lshl_add_u64 v[26:27], v[34:35], 1, v[24:25]
	flat_load_ushort v26, v[26:27]
	s_waitcnt vmcnt(0) lgkmcnt(0)
	v_mul_f16_e32 v26, s28, v26
	s_branch .LBB281_267
.LBB281_266:
	v_mov_b32_e32 v26, 0
.LBB281_267:
	v_pk_add_f16 v27, v18, v22
	v_pk_max_f16 v28, v74, v74
	s_nop 0
	v_pk_min_f16 v27, v28, v27
	v_pk_add_f16 v28, v19, v23
	s_nop 0
	v_pk_min_f16 v27, v27, v28
	s_nop 0
	v_lshrrev_b32_e32 v28, 16, v27
	v_min3_f16 v28, v26, v27, v28
	v_lshl_add_u64 v[26:27], v[34:35], 1, v[20:21]
	global_store_short v[26:27], v28, off
	s_or_b64 exec, exec, s[26:27]
	s_and_b64 s[34:35], s[6:7], s[18:19]
	s_and_saveexec_b64 s[26:27], s[34:35]
	s_cbranch_execz .LBB281_255
.LBB281_268:
	s_and_b64 vcc, exec, s[0:1]
	s_cbranch_vccnz .LBB281_270
; %bb.269:
	v_lshl_add_u64 v[26:27], v[36:37], 1, v[24:25]
	flat_load_ushort v26, v[26:27]
	s_waitcnt vmcnt(0) lgkmcnt(0)
	v_mul_f16_e32 v26, s28, v26
	s_branch .LBB281_271
.LBB281_270:
	v_mov_b32_e32 v26, 0
.LBB281_271:
	v_pk_add_f16 v27, v12, v22
	v_pk_max_f16 v28, v73, v73
	s_nop 0
	v_pk_min_f16 v27, v28, v27
	v_pk_add_f16 v28, v13, v23
	s_nop 0
	v_pk_min_f16 v27, v27, v28
	s_nop 0
	v_lshrrev_b32_e32 v28, 16, v27
	v_min3_f16 v28, v26, v27, v28
	v_lshl_add_u64 v[26:27], v[36:37], 1, v[20:21]
	global_store_short v[26:27], v28, off
	s_or_b64 exec, exec, s[26:27]
	s_and_b64 s[34:35], s[8:9], s[18:19]
	s_and_saveexec_b64 s[26:27], s[34:35]
	s_cbranch_execz .LBB281_256
.LBB281_272:
	s_and_b64 vcc, exec, s[0:1]
	s_cbranch_vccnz .LBB281_274
; %bb.273:
	v_lshl_add_u64 v[26:27], v[38:39], 1, v[24:25]
	flat_load_ushort v26, v[26:27]
	s_waitcnt vmcnt(0) lgkmcnt(0)
	v_mul_f16_e32 v26, s28, v26
	s_branch .LBB281_275
.LBB281_274:
	v_mov_b32_e32 v26, 0
.LBB281_275:
	v_pk_add_f16 v27, v14, v22
	v_pk_max_f16 v28, v72, v72
	s_nop 0
	v_pk_min_f16 v27, v28, v27
	v_pk_add_f16 v28, v15, v23
	s_nop 0
	v_pk_min_f16 v27, v27, v28
	s_nop 0
	v_lshrrev_b32_e32 v28, 16, v27
	v_min3_f16 v28, v26, v27, v28
	v_lshl_add_u64 v[26:27], v[38:39], 1, v[20:21]
	global_store_short v[26:27], v28, off
	s_or_b64 exec, exec, s[26:27]
	s_and_b64 s[34:35], s[10:11], s[18:19]
	s_and_saveexec_b64 s[26:27], s[34:35]
	s_cbranch_execz .LBB281_257
.LBB281_276:
	s_and_b64 vcc, exec, s[0:1]
	s_cbranch_vccnz .LBB281_278
; %bb.277:
	v_lshl_add_u64 v[26:27], v[40:41], 1, v[24:25]
	flat_load_ushort v26, v[26:27]
	s_waitcnt vmcnt(0) lgkmcnt(0)
	v_mul_f16_e32 v26, s28, v26
	s_branch .LBB281_279
.LBB281_278:
	v_mov_b32_e32 v26, 0
.LBB281_279:
	v_pk_add_f16 v27, v8, v22
	v_pk_max_f16 v28, v71, v71
	s_nop 0
	v_pk_min_f16 v27, v28, v27
	v_pk_add_f16 v28, v9, v23
	s_nop 0
	v_pk_min_f16 v27, v27, v28
	s_nop 0
	v_lshrrev_b32_e32 v28, 16, v27
	v_min3_f16 v28, v26, v27, v28
	v_lshl_add_u64 v[26:27], v[40:41], 1, v[20:21]
	global_store_short v[26:27], v28, off
	s_or_b64 exec, exec, s[26:27]
	s_and_b64 s[34:35], s[12:13], s[18:19]
	s_and_saveexec_b64 s[26:27], s[34:35]
	s_cbranch_execz .LBB281_258
.LBB281_280:
	s_and_b64 vcc, exec, s[0:1]
	s_cbranch_vccnz .LBB281_282
; %bb.281:
	v_lshl_add_u64 v[26:27], v[42:43], 1, v[24:25]
	flat_load_ushort v26, v[26:27]
	s_waitcnt vmcnt(0) lgkmcnt(0)
	v_mul_f16_e32 v26, s28, v26
	s_branch .LBB281_283
.LBB281_282:
	v_mov_b32_e32 v26, 0
.LBB281_283:
	v_pk_add_f16 v27, v10, v22
	v_pk_max_f16 v28, v70, v70
	s_nop 0
	v_pk_min_f16 v27, v28, v27
	v_pk_add_f16 v28, v11, v23
	s_nop 0
	v_pk_min_f16 v27, v27, v28
	s_nop 0
	v_lshrrev_b32_e32 v28, 16, v27
	v_min3_f16 v28, v26, v27, v28
	v_lshl_add_u64 v[26:27], v[42:43], 1, v[20:21]
	global_store_short v[26:27], v28, off
	s_or_b64 exec, exec, s[26:27]
	s_and_b64 s[34:35], s[14:15], s[18:19]
	s_and_saveexec_b64 s[26:27], s[34:35]
	s_cbranch_execz .LBB281_259
.LBB281_284:
	s_and_b64 vcc, exec, s[0:1]
	s_cbranch_vccnz .LBB281_286
; %bb.285:
	v_lshl_add_u64 v[26:27], v[44:45], 1, v[24:25]
	flat_load_ushort v26, v[26:27]
	s_waitcnt vmcnt(0) lgkmcnt(0)
	v_mul_f16_e32 v26, s28, v26
	s_branch .LBB281_287
.LBB281_286:
	v_mov_b32_e32 v26, 0
.LBB281_287:
	v_pk_add_f16 v27, v0, v22
	v_pk_max_f16 v28, v69, v69
	s_nop 0
	v_pk_min_f16 v27, v28, v27
	v_pk_add_f16 v28, v1, v23
	s_nop 0
	v_pk_min_f16 v27, v27, v28
	s_nop 0
	v_lshrrev_b32_e32 v28, 16, v27
	v_min3_f16 v28, v26, v27, v28
	v_lshl_add_u64 v[26:27], v[44:45], 1, v[20:21]
	global_store_short v[26:27], v28, off
	s_or_b64 exec, exec, s[26:27]
	s_and_b64 s[26:27], s[16:17], s[18:19]
	s_and_saveexec_b64 s[18:19], s[26:27]
	s_cbranch_execz .LBB281_292
.LBB281_288:
	s_and_b64 vcc, exec, s[0:1]
	s_cbranch_vccnz .LBB281_290
; %bb.289:
	v_lshl_add_u64 v[24:25], v[46:47], 1, v[24:25]
	flat_load_ushort v24, v[24:25]
	s_waitcnt vmcnt(0) lgkmcnt(0)
	v_mul_f16_e32 v24, s28, v24
	s_branch .LBB281_291
.LBB281_290:
	v_mov_b32_e32 v24, 0
.LBB281_291:
	v_pk_add_f16 v22, v2, v22
	v_pk_max_f16 v25, v68, v68
	v_pk_add_f16 v23, v3, v23
	v_pk_min_f16 v22, v25, v22
	v_lshl_add_u64 v[20:21], v[46:47], 1, v[20:21]
	v_pk_min_f16 v22, v22, v23
	s_nop 0
	v_lshrrev_b32_e32 v23, 16, v22
	v_min3_f16 v22, v24, v22, v23
	global_store_short v[20:21], v22, off
.LBB281_292:
	s_or_b64 exec, exec, s[18:19]
	v_add_u32_e32 v24, 0xc0, v100
	v_mad_i64_i32 v[20:21], s[26:27], v24, s31, 0
	v_cmp_gt_i32_e64 s[18:19], s21, v24
	v_lshl_add_u64 v[22:23], v[20:21], 1, s[24:25]
	v_mad_i64_i32 v[20:21], s[26:27], v24, s30, 0
	v_lshl_add_u64 v[20:21], v[20:21], 1, s[22:23]
	s_and_b64 s[34:35], s[2:3], s[18:19]
	s_and_saveexec_b64 s[26:27], s[34:35]
	s_cbranch_execnz .LBB281_300
; %bb.293:
	s_or_b64 exec, exec, s[26:27]
	s_and_b64 s[34:35], s[4:5], s[18:19]
	s_and_saveexec_b64 s[26:27], s[34:35]
	s_cbranch_execnz .LBB281_304
.LBB281_294:
	s_or_b64 exec, exec, s[26:27]
	s_and_b64 s[34:35], s[6:7], s[18:19]
	s_and_saveexec_b64 s[26:27], s[34:35]
	s_cbranch_execnz .LBB281_308
.LBB281_295:
	s_or_b64 exec, exec, s[26:27]
	s_and_b64 s[34:35], s[8:9], s[18:19]
	s_and_saveexec_b64 s[26:27], s[34:35]
	s_cbranch_execnz .LBB281_312
.LBB281_296:
	s_or_b64 exec, exec, s[26:27]
	s_and_b64 s[34:35], s[10:11], s[18:19]
	s_and_saveexec_b64 s[26:27], s[34:35]
	s_cbranch_execnz .LBB281_316
.LBB281_297:
	s_or_b64 exec, exec, s[26:27]
	s_and_b64 s[34:35], s[12:13], s[18:19]
	s_and_saveexec_b64 s[26:27], s[34:35]
	s_cbranch_execnz .LBB281_320
.LBB281_298:
	s_or_b64 exec, exec, s[26:27]
	s_and_b64 s[34:35], s[14:15], s[18:19]
	s_and_saveexec_b64 s[26:27], s[34:35]
	s_cbranch_execnz .LBB281_324
.LBB281_299:
	s_or_b64 exec, exec, s[26:27]
	s_and_b64 s[26:27], s[16:17], s[18:19]
	s_and_saveexec_b64 s[18:19], s[26:27]
	s_cbranch_execnz .LBB281_328
	s_branch .LBB281_332
.LBB281_300:
	s_and_b64 vcc, exec, s[0:1]
	s_cbranch_vccnz .LBB281_302
; %bb.301:
	v_lshl_add_u64 v[24:25], v[32:33], 1, v[22:23]
	flat_load_ushort v24, v[24:25]
	s_waitcnt vmcnt(0) lgkmcnt(0)
	v_mul_f16_e32 v24, s28, v24
	s_branch .LBB281_303
.LBB281_302:
	v_mov_b32_e32 v24, 0
.LBB281_303:
	s_waitcnt lgkmcnt(0)
	v_pk_add_f16 v25, v16, v4
	v_pk_max_f16 v26, v67, v67
	s_nop 0
	v_pk_min_f16 v25, v26, v25
	v_pk_add_f16 v26, v17, v5
	s_nop 0
	v_pk_min_f16 v25, v25, v26
	s_nop 0
	v_lshrrev_b32_e32 v26, 16, v25
	v_min3_f16 v26, v24, v25, v26
	v_lshl_add_u64 v[24:25], v[32:33], 1, v[20:21]
	global_store_short v[24:25], v26, off
	s_or_b64 exec, exec, s[26:27]
	s_and_b64 s[34:35], s[4:5], s[18:19]
	s_and_saveexec_b64 s[26:27], s[34:35]
	s_cbranch_execz .LBB281_294
.LBB281_304:
	s_and_b64 vcc, exec, s[0:1]
	s_cbranch_vccnz .LBB281_306
; %bb.305:
	v_lshl_add_u64 v[24:25], v[34:35], 1, v[22:23]
	flat_load_ushort v24, v[24:25]
	s_waitcnt vmcnt(0) lgkmcnt(0)
	v_mul_f16_e32 v24, s28, v24
	s_branch .LBB281_307
.LBB281_306:
	v_mov_b32_e32 v24, 0
.LBB281_307:
	s_waitcnt lgkmcnt(0)
	v_pk_add_f16 v25, v18, v4
	v_pk_max_f16 v26, v66, v66
	s_nop 0
	v_pk_min_f16 v25, v26, v25
	v_pk_add_f16 v26, v19, v5
	s_nop 0
	v_pk_min_f16 v25, v25, v26
	s_nop 0
	v_lshrrev_b32_e32 v26, 16, v25
	v_min3_f16 v26, v24, v25, v26
	v_lshl_add_u64 v[24:25], v[34:35], 1, v[20:21]
	global_store_short v[24:25], v26, off
	s_or_b64 exec, exec, s[26:27]
	s_and_b64 s[34:35], s[6:7], s[18:19]
	s_and_saveexec_b64 s[26:27], s[34:35]
	s_cbranch_execz .LBB281_295
.LBB281_308:
	s_and_b64 vcc, exec, s[0:1]
	s_cbranch_vccnz .LBB281_310
; %bb.309:
	v_lshl_add_u64 v[24:25], v[36:37], 1, v[22:23]
	flat_load_ushort v24, v[24:25]
	s_waitcnt vmcnt(0) lgkmcnt(0)
	v_mul_f16_e32 v24, s28, v24
	s_branch .LBB281_311
.LBB281_310:
	v_mov_b32_e32 v24, 0
.LBB281_311:
	s_waitcnt lgkmcnt(0)
	v_pk_add_f16 v25, v12, v4
	v_pk_max_f16 v26, v65, v65
	s_nop 0
	v_pk_min_f16 v25, v26, v25
	v_pk_add_f16 v26, v13, v5
	s_nop 0
	v_pk_min_f16 v25, v25, v26
	s_nop 0
	v_lshrrev_b32_e32 v26, 16, v25
	v_min3_f16 v26, v24, v25, v26
	v_lshl_add_u64 v[24:25], v[36:37], 1, v[20:21]
	global_store_short v[24:25], v26, off
	s_or_b64 exec, exec, s[26:27]
	s_and_b64 s[34:35], s[8:9], s[18:19]
	s_and_saveexec_b64 s[26:27], s[34:35]
	s_cbranch_execz .LBB281_296
.LBB281_312:
	s_and_b64 vcc, exec, s[0:1]
	s_cbranch_vccnz .LBB281_314
; %bb.313:
	v_lshl_add_u64 v[24:25], v[38:39], 1, v[22:23]
	flat_load_ushort v24, v[24:25]
	s_waitcnt vmcnt(0) lgkmcnt(0)
	v_mul_f16_e32 v24, s28, v24
	s_branch .LBB281_315
.LBB281_314:
	v_mov_b32_e32 v24, 0
.LBB281_315:
	s_waitcnt lgkmcnt(0)
	v_pk_add_f16 v25, v14, v4
	v_pk_max_f16 v26, v64, v64
	s_nop 0
	v_pk_min_f16 v25, v26, v25
	v_pk_add_f16 v26, v15, v5
	s_nop 0
	v_pk_min_f16 v25, v25, v26
	s_nop 0
	v_lshrrev_b32_e32 v26, 16, v25
	v_min3_f16 v26, v24, v25, v26
	v_lshl_add_u64 v[24:25], v[38:39], 1, v[20:21]
	global_store_short v[24:25], v26, off
	s_or_b64 exec, exec, s[26:27]
	s_and_b64 s[34:35], s[10:11], s[18:19]
	s_and_saveexec_b64 s[26:27], s[34:35]
	s_cbranch_execz .LBB281_297
.LBB281_316:
	s_and_b64 vcc, exec, s[0:1]
	s_cbranch_vccnz .LBB281_318
; %bb.317:
	v_lshl_add_u64 v[24:25], v[40:41], 1, v[22:23]
	flat_load_ushort v24, v[24:25]
	s_waitcnt vmcnt(0) lgkmcnt(0)
	v_mul_f16_e32 v24, s28, v24
	s_branch .LBB281_319
.LBB281_318:
	v_mov_b32_e32 v24, 0
.LBB281_319:
	s_waitcnt lgkmcnt(0)
	v_pk_add_f16 v25, v8, v4
	v_pk_max_f16 v26, v63, v63
	s_nop 0
	v_pk_min_f16 v25, v26, v25
	v_pk_add_f16 v26, v9, v5
	s_nop 0
	v_pk_min_f16 v25, v25, v26
	s_nop 0
	v_lshrrev_b32_e32 v26, 16, v25
	v_min3_f16 v26, v24, v25, v26
	v_lshl_add_u64 v[24:25], v[40:41], 1, v[20:21]
	global_store_short v[24:25], v26, off
	s_or_b64 exec, exec, s[26:27]
	s_and_b64 s[34:35], s[12:13], s[18:19]
	s_and_saveexec_b64 s[26:27], s[34:35]
	s_cbranch_execz .LBB281_298
.LBB281_320:
	s_and_b64 vcc, exec, s[0:1]
	s_cbranch_vccnz .LBB281_322
; %bb.321:
	v_lshl_add_u64 v[24:25], v[42:43], 1, v[22:23]
	flat_load_ushort v24, v[24:25]
	s_waitcnt vmcnt(0) lgkmcnt(0)
	v_mul_f16_e32 v24, s28, v24
	s_branch .LBB281_323
.LBB281_322:
	v_mov_b32_e32 v24, 0
.LBB281_323:
	s_waitcnt lgkmcnt(0)
	v_pk_add_f16 v25, v10, v4
	v_pk_max_f16 v26, v62, v62
	s_nop 0
	v_pk_min_f16 v25, v26, v25
	v_pk_add_f16 v26, v11, v5
	s_nop 0
	v_pk_min_f16 v25, v25, v26
	s_nop 0
	v_lshrrev_b32_e32 v26, 16, v25
	v_min3_f16 v26, v24, v25, v26
	v_lshl_add_u64 v[24:25], v[42:43], 1, v[20:21]
	global_store_short v[24:25], v26, off
	s_or_b64 exec, exec, s[26:27]
	s_and_b64 s[34:35], s[14:15], s[18:19]
	s_and_saveexec_b64 s[26:27], s[34:35]
	s_cbranch_execz .LBB281_299
.LBB281_324:
	s_and_b64 vcc, exec, s[0:1]
	s_cbranch_vccnz .LBB281_326
; %bb.325:
	v_lshl_add_u64 v[24:25], v[44:45], 1, v[22:23]
	flat_load_ushort v24, v[24:25]
	s_waitcnt vmcnt(0) lgkmcnt(0)
	v_mul_f16_e32 v24, s28, v24
	s_branch .LBB281_327
.LBB281_326:
	v_mov_b32_e32 v24, 0
.LBB281_327:
	s_waitcnt lgkmcnt(0)
	v_pk_add_f16 v25, v0, v4
	v_pk_max_f16 v26, v60, v60
	s_nop 0
	v_pk_min_f16 v25, v26, v25
	v_pk_add_f16 v26, v1, v5
	s_nop 0
	v_pk_min_f16 v25, v25, v26
	s_nop 0
	v_lshrrev_b32_e32 v26, 16, v25
	v_min3_f16 v26, v24, v25, v26
	v_lshl_add_u64 v[24:25], v[44:45], 1, v[20:21]
	global_store_short v[24:25], v26, off
	s_or_b64 exec, exec, s[26:27]
	s_and_b64 s[26:27], s[16:17], s[18:19]
	s_and_saveexec_b64 s[18:19], s[26:27]
	s_cbranch_execz .LBB281_332
.LBB281_328:
	s_and_b64 vcc, exec, s[0:1]
	s_cbranch_vccnz .LBB281_330
; %bb.329:
	v_lshl_add_u64 v[22:23], v[46:47], 1, v[22:23]
	flat_load_ushort v22, v[22:23]
	s_waitcnt vmcnt(0) lgkmcnt(0)
	v_mul_f16_e32 v22, s28, v22
	s_branch .LBB281_331
.LBB281_330:
	v_mov_b32_e32 v22, 0
.LBB281_331:
	s_waitcnt lgkmcnt(0)
	v_pk_add_f16 v4, v2, v4
	v_pk_max_f16 v23, v59, v59
	v_pk_add_f16 v5, v3, v5
	v_pk_min_f16 v4, v23, v4
	s_nop 0
	v_pk_min_f16 v4, v4, v5
	s_nop 0
	v_lshrrev_b32_e32 v5, 16, v4
	v_min3_f16 v22, v22, v4, v5
	v_lshl_add_u64 v[4:5], v[46:47], 1, v[20:21]
	global_store_short v[4:5], v22, off
.LBB281_332:
	s_or_b64 exec, exec, s[18:19]
	v_add_u32_e32 v22, 0xe0, v100
	v_cmp_gt_i32_e64 s[18:19], s21, v22
	s_waitcnt lgkmcnt(0)
	v_mad_i64_i32 v[4:5], s[20:21], v22, s31, 0
	v_lshl_add_u64 v[20:21], v[4:5], 1, s[24:25]
	v_mad_i64_i32 v[4:5], s[20:21], v22, s30, 0
	v_lshl_add_u64 v[4:5], v[4:5], 1, s[22:23]
	s_and_b64 s[20:21], s[2:3], s[18:19]
	s_and_saveexec_b64 s[2:3], s[20:21]
	s_cbranch_execnz .LBB281_341
; %bb.333:
	s_or_b64 exec, exec, s[2:3]
	s_and_b64 s[4:5], s[4:5], s[18:19]
	s_and_saveexec_b64 s[2:3], s[4:5]
	s_cbranch_execnz .LBB281_345
.LBB281_334:
	s_or_b64 exec, exec, s[2:3]
	s_and_b64 s[4:5], s[6:7], s[18:19]
	s_and_saveexec_b64 s[2:3], s[4:5]
	s_cbranch_execnz .LBB281_349
.LBB281_335:
	s_or_b64 exec, exec, s[2:3]
	s_and_b64 s[4:5], s[8:9], s[18:19]
	s_and_saveexec_b64 s[2:3], s[4:5]
	s_cbranch_execnz .LBB281_353
.LBB281_336:
	s_or_b64 exec, exec, s[2:3]
	s_and_b64 s[4:5], s[10:11], s[18:19]
	s_and_saveexec_b64 s[2:3], s[4:5]
	s_cbranch_execnz .LBB281_357
.LBB281_337:
	s_or_b64 exec, exec, s[2:3]
	s_and_b64 s[4:5], s[12:13], s[18:19]
	s_and_saveexec_b64 s[2:3], s[4:5]
	s_cbranch_execnz .LBB281_361
.LBB281_338:
	s_or_b64 exec, exec, s[2:3]
	s_and_b64 s[4:5], s[14:15], s[18:19]
	s_and_saveexec_b64 s[2:3], s[4:5]
	s_cbranch_execnz .LBB281_365
.LBB281_339:
	s_or_b64 exec, exec, s[2:3]
	s_and_b64 s[2:3], s[16:17], s[18:19]
	s_and_saveexec_b64 s[4:5], s[2:3]
	s_cbranch_execnz .LBB281_369
.LBB281_340:
	s_endpgm
.LBB281_341:
	s_and_b64 vcc, exec, s[0:1]
	s_cbranch_vccnz .LBB281_343
; %bb.342:
	v_lshl_add_u64 v[22:23], v[32:33], 1, v[20:21]
	flat_load_ushort v22, v[22:23]
	s_waitcnt vmcnt(0) lgkmcnt(0)
	v_mul_f16_e32 v22, s28, v22
	s_branch .LBB281_344
.LBB281_343:
	v_mov_b32_e32 v22, 0
.LBB281_344:
	v_pk_add_f16 v16, v16, v6
	v_pk_max_f16 v23, v58, v58
	v_pk_add_f16 v17, v17, v7
	v_pk_min_f16 v16, v23, v16
	s_nop 0
	v_pk_min_f16 v16, v16, v17
	s_nop 0
	v_lshrrev_b32_e32 v17, 16, v16
	v_min3_f16 v22, v22, v16, v17
	v_lshl_add_u64 v[16:17], v[32:33], 1, v[4:5]
	global_store_short v[16:17], v22, off
	s_or_b64 exec, exec, s[2:3]
	s_and_b64 s[4:5], s[4:5], s[18:19]
	s_and_saveexec_b64 s[2:3], s[4:5]
	s_cbranch_execz .LBB281_334
.LBB281_345:
	s_and_b64 vcc, exec, s[0:1]
	s_cbranch_vccnz .LBB281_347
; %bb.346:
	v_lshl_add_u64 v[16:17], v[34:35], 1, v[20:21]
	flat_load_ushort v16, v[16:17]
	s_waitcnt vmcnt(0) lgkmcnt(0)
	v_mul_f16_e32 v16, s28, v16
	s_branch .LBB281_348
.LBB281_347:
	v_mov_b32_e32 v16, 0
.LBB281_348:
	v_pk_add_f16 v17, v18, v6
	v_pk_max_f16 v18, v57, v57
	s_nop 0
	v_pk_min_f16 v17, v18, v17
	v_pk_add_f16 v18, v19, v7
	s_nop 0
	v_pk_min_f16 v17, v17, v18
	s_nop 0
	v_lshrrev_b32_e32 v18, 16, v17
	v_min3_f16 v18, v16, v17, v18
	v_lshl_add_u64 v[16:17], v[34:35], 1, v[4:5]
	global_store_short v[16:17], v18, off
	s_or_b64 exec, exec, s[2:3]
	s_and_b64 s[4:5], s[6:7], s[18:19]
	s_and_saveexec_b64 s[2:3], s[4:5]
	s_cbranch_execz .LBB281_335
.LBB281_349:
	s_and_b64 vcc, exec, s[0:1]
	s_cbranch_vccnz .LBB281_351
; %bb.350:
	v_lshl_add_u64 v[16:17], v[36:37], 1, v[20:21]
	flat_load_ushort v16, v[16:17]
	s_waitcnt vmcnt(0) lgkmcnt(0)
	v_mul_f16_e32 v16, s28, v16
	s_branch .LBB281_352
.LBB281_351:
	v_mov_b32_e32 v16, 0
.LBB281_352:
	v_pk_add_f16 v12, v12, v6
	v_pk_max_f16 v17, v56, v56
	v_pk_add_f16 v13, v13, v7
	v_pk_min_f16 v12, v17, v12
	s_nop 0
	v_pk_min_f16 v12, v12, v13
	s_nop 0
	v_lshrrev_b32_e32 v13, 16, v12
	v_min3_f16 v16, v16, v12, v13
	v_lshl_add_u64 v[12:13], v[36:37], 1, v[4:5]
	global_store_short v[12:13], v16, off
	s_or_b64 exec, exec, s[2:3]
	s_and_b64 s[4:5], s[8:9], s[18:19]
	s_and_saveexec_b64 s[2:3], s[4:5]
	s_cbranch_execz .LBB281_336
.LBB281_353:
	s_and_b64 vcc, exec, s[0:1]
	s_cbranch_vccnz .LBB281_355
; %bb.354:
	v_lshl_add_u64 v[12:13], v[38:39], 1, v[20:21]
	flat_load_ushort v12, v[12:13]
	s_waitcnt vmcnt(0) lgkmcnt(0)
	v_mul_f16_e32 v12, s28, v12
	s_branch .LBB281_356
.LBB281_355:
	v_mov_b32_e32 v12, 0
.LBB281_356:
	v_pk_add_f16 v13, v14, v6
	v_pk_max_f16 v14, v55, v55
	s_nop 0
	v_pk_min_f16 v13, v14, v13
	v_pk_add_f16 v14, v15, v7
	s_nop 0
	v_pk_min_f16 v13, v13, v14
	s_nop 0
	v_lshrrev_b32_e32 v14, 16, v13
	v_min3_f16 v14, v12, v13, v14
	v_lshl_add_u64 v[12:13], v[38:39], 1, v[4:5]
	global_store_short v[12:13], v14, off
	s_or_b64 exec, exec, s[2:3]
	s_and_b64 s[4:5], s[10:11], s[18:19]
	s_and_saveexec_b64 s[2:3], s[4:5]
	s_cbranch_execz .LBB281_337
.LBB281_357:
	s_and_b64 vcc, exec, s[0:1]
	s_cbranch_vccnz .LBB281_359
; %bb.358:
	v_lshl_add_u64 v[12:13], v[40:41], 1, v[20:21]
	flat_load_ushort v12, v[12:13]
	s_waitcnt vmcnt(0) lgkmcnt(0)
	v_mul_f16_e32 v12, s28, v12
	s_branch .LBB281_360
.LBB281_359:
	v_mov_b32_e32 v12, 0
.LBB281_360:
	v_pk_add_f16 v8, v8, v6
	v_pk_max_f16 v13, v54, v54
	v_pk_add_f16 v9, v9, v7
	v_pk_min_f16 v8, v13, v8
	s_nop 0
	v_pk_min_f16 v8, v8, v9
	s_nop 0
	v_lshrrev_b32_e32 v9, 16, v8
	v_min3_f16 v12, v12, v8, v9
	v_lshl_add_u64 v[8:9], v[40:41], 1, v[4:5]
	global_store_short v[8:9], v12, off
	s_or_b64 exec, exec, s[2:3]
	s_and_b64 s[4:5], s[12:13], s[18:19]
	s_and_saveexec_b64 s[2:3], s[4:5]
	s_cbranch_execz .LBB281_338
.LBB281_361:
	s_and_b64 vcc, exec, s[0:1]
	s_cbranch_vccnz .LBB281_363
; %bb.362:
	v_lshl_add_u64 v[8:9], v[42:43], 1, v[20:21]
	flat_load_ushort v8, v[8:9]
	s_waitcnt vmcnt(0) lgkmcnt(0)
	v_mul_f16_e32 v8, s28, v8
	s_branch .LBB281_364
.LBB281_363:
	v_mov_b32_e32 v8, 0
.LBB281_364:
	v_pk_add_f16 v9, v10, v6
	v_pk_max_f16 v10, v53, v53
	s_nop 0
	v_pk_min_f16 v9, v10, v9
	v_pk_add_f16 v10, v11, v7
	s_nop 0
	v_pk_min_f16 v9, v9, v10
	s_nop 0
	v_lshrrev_b32_e32 v10, 16, v9
	v_min3_f16 v10, v8, v9, v10
	v_lshl_add_u64 v[8:9], v[42:43], 1, v[4:5]
	global_store_short v[8:9], v10, off
	s_or_b64 exec, exec, s[2:3]
	s_and_b64 s[4:5], s[14:15], s[18:19]
	s_and_saveexec_b64 s[2:3], s[4:5]
	s_cbranch_execz .LBB281_339
.LBB281_365:
	s_and_b64 vcc, exec, s[0:1]
	s_cbranch_vccnz .LBB281_367
; %bb.366:
	v_lshl_add_u64 v[8:9], v[44:45], 1, v[20:21]
	flat_load_ushort v8, v[8:9]
	s_waitcnt vmcnt(0) lgkmcnt(0)
	v_mul_f16_e32 v8, s28, v8
	s_branch .LBB281_368
.LBB281_367:
	v_mov_b32_e32 v8, 0
.LBB281_368:
	v_pk_add_f16 v0, v0, v6
	v_pk_max_f16 v9, v52, v52
	v_pk_add_f16 v1, v1, v7
	v_pk_min_f16 v0, v9, v0
	s_nop 0
	v_pk_min_f16 v0, v0, v1
	s_nop 0
	v_lshrrev_b32_e32 v1, 16, v0
	v_min3_f16 v8, v8, v0, v1
	v_lshl_add_u64 v[0:1], v[44:45], 1, v[4:5]
	global_store_short v[0:1], v8, off
	s_or_b64 exec, exec, s[2:3]
	s_and_b64 s[2:3], s[16:17], s[18:19]
	s_and_saveexec_b64 s[4:5], s[2:3]
	s_cbranch_execz .LBB281_340
.LBB281_369:
	s_and_b64 vcc, exec, s[0:1]
	s_cbranch_vccnz .LBB281_371
; %bb.370:
	v_lshl_add_u64 v[0:1], v[46:47], 1, v[20:21]
	flat_load_ushort v0, v[0:1]
	s_waitcnt vmcnt(0) lgkmcnt(0)
	v_mul_f16_e32 v0, s28, v0
	s_branch .LBB281_372
.LBB281_371:
	v_mov_b32_e32 v0, 0
.LBB281_372:
	v_pk_add_f16 v1, v2, v6
	v_pk_max_f16 v2, v61, v61
	s_nop 0
	v_pk_min_f16 v1, v2, v1
	v_pk_add_f16 v2, v3, v7
	s_nop 0
	v_pk_min_f16 v1, v1, v2
	s_nop 0
	v_lshrrev_b32_e32 v2, 16, v1
	v_min3_f16 v2, v0, v1, v2
	v_lshl_add_u64 v[0:1], v[46:47], 1, v[4:5]
	global_store_short v[0:1], v2, off
	s_endpgm
	.section	.rodata,"a",@progbits
	.p2align	6, 0x0
	.amdhsa_kernel _ZN12_GLOBAL__N_120geam_min_plus_kernelIDF16_Dv2_DF16_S1_Li8ELi32ELi64ELi256ELi4ELi4ELi64ELi64ELi4ELc84ELc84ELb0ELb1ELb1EDF16_KDF16_DF16_EEviiiT16_PT17_ilS5_ilS3_S5_ilPT18_ili26rocblas_geam_ex_operation_
		.amdhsa_group_segment_fixed_size 5120
		.amdhsa_private_segment_fixed_size 0
		.amdhsa_kernarg_size 128
		.amdhsa_user_sgpr_count 2
		.amdhsa_user_sgpr_dispatch_ptr 0
		.amdhsa_user_sgpr_queue_ptr 0
		.amdhsa_user_sgpr_kernarg_segment_ptr 1
		.amdhsa_user_sgpr_dispatch_id 0
		.amdhsa_user_sgpr_kernarg_preload_length 0
		.amdhsa_user_sgpr_kernarg_preload_offset 0
		.amdhsa_user_sgpr_private_segment_size 0
		.amdhsa_uses_dynamic_stack 0
		.amdhsa_enable_private_segment 0
		.amdhsa_system_sgpr_workgroup_id_x 1
		.amdhsa_system_sgpr_workgroup_id_y 0
		.amdhsa_system_sgpr_workgroup_id_z 1
		.amdhsa_system_sgpr_workgroup_info 0
		.amdhsa_system_vgpr_workitem_id 1
		.amdhsa_next_free_vgpr 172
		.amdhsa_next_free_sgpr 42
		.amdhsa_accum_offset 172
		.amdhsa_reserve_vcc 1
		.amdhsa_float_round_mode_32 0
		.amdhsa_float_round_mode_16_64 0
		.amdhsa_float_denorm_mode_32 3
		.amdhsa_float_denorm_mode_16_64 3
		.amdhsa_dx10_clamp 1
		.amdhsa_ieee_mode 1
		.amdhsa_fp16_overflow 0
		.amdhsa_tg_split 0
		.amdhsa_exception_fp_ieee_invalid_op 0
		.amdhsa_exception_fp_denorm_src 0
		.amdhsa_exception_fp_ieee_div_zero 0
		.amdhsa_exception_fp_ieee_overflow 0
		.amdhsa_exception_fp_ieee_underflow 0
		.amdhsa_exception_fp_ieee_inexact 0
		.amdhsa_exception_int_div_zero 0
	.end_amdhsa_kernel
	.section	.text._ZN12_GLOBAL__N_120geam_min_plus_kernelIDF16_Dv2_DF16_S1_Li8ELi32ELi64ELi256ELi4ELi4ELi64ELi64ELi4ELc84ELc84ELb0ELb1ELb1EDF16_KDF16_DF16_EEviiiT16_PT17_ilS5_ilS3_S5_ilPT18_ili26rocblas_geam_ex_operation_,"axG",@progbits,_ZN12_GLOBAL__N_120geam_min_plus_kernelIDF16_Dv2_DF16_S1_Li8ELi32ELi64ELi256ELi4ELi4ELi64ELi64ELi4ELc84ELc84ELb0ELb1ELb1EDF16_KDF16_DF16_EEviiiT16_PT17_ilS5_ilS3_S5_ilPT18_ili26rocblas_geam_ex_operation_,comdat
.Lfunc_end281:
	.size	_ZN12_GLOBAL__N_120geam_min_plus_kernelIDF16_Dv2_DF16_S1_Li8ELi32ELi64ELi256ELi4ELi4ELi64ELi64ELi4ELc84ELc84ELb0ELb1ELb1EDF16_KDF16_DF16_EEviiiT16_PT17_ilS5_ilS3_S5_ilPT18_ili26rocblas_geam_ex_operation_, .Lfunc_end281-_ZN12_GLOBAL__N_120geam_min_plus_kernelIDF16_Dv2_DF16_S1_Li8ELi32ELi64ELi256ELi4ELi4ELi64ELi64ELi4ELc84ELc84ELb0ELb1ELb1EDF16_KDF16_DF16_EEviiiT16_PT17_ilS5_ilS3_S5_ilPT18_ili26rocblas_geam_ex_operation_
                                        ; -- End function
	.section	.AMDGPU.csdata,"",@progbits
; Kernel info:
; codeLenInByte = 20160
; NumSgprs: 48
; NumVgprs: 172
; NumAgprs: 0
; TotalNumVgprs: 172
; ScratchSize: 0
; MemoryBound: 0
; FloatMode: 240
; IeeeMode: 1
; LDSByteSize: 5120 bytes/workgroup (compile time only)
; SGPRBlocks: 5
; VGPRBlocks: 21
; NumSGPRsForWavesPerEU: 48
; NumVGPRsForWavesPerEU: 172
; AccumOffset: 172
; Occupancy: 2
; WaveLimiterHint : 0
; COMPUTE_PGM_RSRC2:SCRATCH_EN: 0
; COMPUTE_PGM_RSRC2:USER_SGPR: 2
; COMPUTE_PGM_RSRC2:TRAP_HANDLER: 0
; COMPUTE_PGM_RSRC2:TGID_X_EN: 1
; COMPUTE_PGM_RSRC2:TGID_Y_EN: 0
; COMPUTE_PGM_RSRC2:TGID_Z_EN: 1
; COMPUTE_PGM_RSRC2:TIDIG_COMP_CNT: 1
; COMPUTE_PGM_RSRC3_GFX90A:ACCUM_OFFSET: 42
; COMPUTE_PGM_RSRC3_GFX90A:TG_SPLIT: 0
	.section	.text._ZN12_GLOBAL__N_120geam_min_plus_kernelIDF16_Dv2_DF16_S1_Li8ELi32ELi64ELi128ELi4ELi64ELi4ELi4ELi64ELc78ELc78ELb0ELb0ELb0EPKDF16_S2_DF16_EEviiiT16_PT17_ilS6_ilS4_S6_ilPT18_ili26rocblas_geam_ex_operation_,"axG",@progbits,_ZN12_GLOBAL__N_120geam_min_plus_kernelIDF16_Dv2_DF16_S1_Li8ELi32ELi64ELi128ELi4ELi64ELi4ELi4ELi64ELc78ELc78ELb0ELb0ELb0EPKDF16_S2_DF16_EEviiiT16_PT17_ilS6_ilS4_S6_ilPT18_ili26rocblas_geam_ex_operation_,comdat
	.globl	_ZN12_GLOBAL__N_120geam_min_plus_kernelIDF16_Dv2_DF16_S1_Li8ELi32ELi64ELi128ELi4ELi64ELi4ELi4ELi64ELc78ELc78ELb0ELb0ELb0EPKDF16_S2_DF16_EEviiiT16_PT17_ilS6_ilS4_S6_ilPT18_ili26rocblas_geam_ex_operation_ ; -- Begin function _ZN12_GLOBAL__N_120geam_min_plus_kernelIDF16_Dv2_DF16_S1_Li8ELi32ELi64ELi128ELi4ELi64ELi4ELi4ELi64ELc78ELc78ELb0ELb0ELb0EPKDF16_S2_DF16_EEviiiT16_PT17_ilS6_ilS4_S6_ilPT18_ili26rocblas_geam_ex_operation_
	.p2align	8
	.type	_ZN12_GLOBAL__N_120geam_min_plus_kernelIDF16_Dv2_DF16_S1_Li8ELi32ELi64ELi128ELi4ELi64ELi4ELi4ELi64ELc78ELc78ELb0ELb0ELb0EPKDF16_S2_DF16_EEviiiT16_PT17_ilS6_ilS4_S6_ilPT18_ili26rocblas_geam_ex_operation_,@function
_ZN12_GLOBAL__N_120geam_min_plus_kernelIDF16_Dv2_DF16_S1_Li8ELi32ELi64ELi128ELi4ELi64ELi4ELi4ELi64ELc78ELc78ELb0ELb0ELb0EPKDF16_S2_DF16_EEviiiT16_PT17_ilS6_ilS4_S6_ilPT18_ili26rocblas_geam_ex_operation_: ; @_ZN12_GLOBAL__N_120geam_min_plus_kernelIDF16_Dv2_DF16_S1_Li8ELi32ELi64ELi128ELi4ELi64ELi4ELi4ELi64ELc78ELc78ELb0ELb0ELb0EPKDF16_S2_DF16_EEviiiT16_PT17_ilS6_ilS4_S6_ilPT18_ili26rocblas_geam_ex_operation_
; %bb.0:
	s_load_dwordx4 s[16:19], s[0:1], 0x10
	s_load_dwordx4 s[8:11], s[0:1], 0x28
	s_mov_b32 s20, s3
	s_mov_b32 s21, 0
	s_lshl_b64 s[4:5], s[20:21], 1
	s_waitcnt lgkmcnt(0)
	s_add_u32 s6, s16, s4
	s_addc_u32 s7, s17, s5
	v_mov_b32_e32 v1, 0
	global_load_ushort v50, v1, s[6:7]
	s_load_dwordx4 s[12:15], s[0:1], 0x40
	s_load_dwordx2 s[22:23], s[0:1], 0x50
	s_mov_b64 s[16:17], 0
	s_waitcnt lgkmcnt(0)
	s_add_u32 s4, s14, s4
	s_addc_u32 s5, s15, s5
	s_mov_b64 s[14:15], 0
	s_waitcnt vmcnt(0)
	v_cmp_eq_f16_e32 vcc, 0, v50
	v_cmp_neq_f16_e64 s[6:7], 0, v50
	s_cbranch_vccnz .LBB282_2
; %bb.1:
	s_mul_i32 s3, s20, s9
	s_mul_hi_u32 s9, s20, s8
	s_add_i32 s9, s9, s3
	s_mul_i32 s8, s20, s8
	s_lshl_b64 s[8:9], s[8:9], 1
	s_add_u32 s14, s18, s8
	s_addc_u32 s15, s19, s9
.LBB282_2:
	global_load_ushort v40, v1, s[4:5]
	v_cndmask_b32_e64 v1, 0, 1, s[6:7]
	v_cmp_ne_u32_e64 s[4:5], 1, v1
	s_andn2_b64 vcc, exec, s[6:7]
	s_cbranch_vccnz .LBB282_4
; %bb.3:
	s_mul_i32 s3, s20, s13
	s_mul_hi_u32 s6, s20, s12
	s_add_i32 s7, s6, s3
	s_mul_i32 s6, s20, s12
	s_lshl_b64 s[6:7], s[6:7], 1
	s_add_u32 s16, s10, s6
	s_addc_u32 s17, s11, s7
.LBB282_4:
	s_load_dwordx4 s[8:11], s[0:1], 0x60
	s_waitcnt vmcnt(0)
	v_cmp_eq_f16_e32 vcc, 0, v40
	s_and_b64 s[6:7], exec, vcc
	s_mov_b64 vcc, s[6:7]
	s_cbranch_vccnz .LBB282_6
; %bb.5:
	s_waitcnt lgkmcnt(0)
	s_mul_i32 s3, s20, s9
	s_mul_hi_u32 s9, s20, s8
	s_add_i32 s9, s9, s3
	s_mul_i32 s8, s20, s8
	s_lshl_b64 s[8:9], s[8:9], 1
	s_add_u32 s8, s22, s8
	s_addc_u32 s9, s23, s9
	s_branch .LBB282_7
.LBB282_6:
	s_waitcnt lgkmcnt(0)
	s_mov_b64 s[8:9], 0
.LBB282_7:
	s_load_dword s3, s[0:1], 0x0
	s_load_dword s12, s[0:1], 0x20
	v_and_b32_e32 v51, 0x3ff, v0
	v_bfe_u32 v52, v0, 10, 10
	v_lshl_add_u32 v4, v52, 3, v51
	s_waitcnt lgkmcnt(0)
	s_add_i32 s3, s3, -1
	s_ashr_i32 s13, s3, 31
	s_lshr_b32 s13, s13, 26
	s_add_i32 s3, s3, s13
	s_ashr_i32 s3, s3, 6
	s_add_i32 s18, s3, 1
	v_cvt_f32_u32_e32 v1, s18
	s_not_b32 s3, s3
	s_ashr_i32 s13, s12, 31
	v_and_b32_e32 v3, 63, v4
	v_rcp_iflag_f32_e32 v1, v1
	v_lshrrev_b32_e32 v2, 6, v4
	v_mul_f32_e32 v0, 0x4f7ffffe, v1
	v_cvt_u32_f32_e32 v0, v0
	s_nop 0
	v_readfirstlane_b32 s19, v0
	s_mul_i32 s3, s3, s19
	s_mul_hi_u32 s3, s19, s3
	s_add_i32 s19, s19, s3
	s_mul_hi_u32 s3, s2, s19
	s_mul_i32 s19, s3, s18
	s_sub_i32 s19, s2, s19
	s_add_i32 s21, s3, 1
	s_sub_i32 s22, s19, s18
	s_cmp_ge_u32 s19, s18
	s_cselect_b32 s3, s21, s3
	s_cselect_b32 s19, s22, s19
	s_add_i32 s21, s3, 1
	s_cmp_ge_u32 s19, s18
	s_cselect_b32 s19, s21, s3
	s_mul_i32 s3, s19, s18
	s_sub_i32 s18, s2, s3
	s_lshl_b32 s18, s18, 6
	v_or_b32_e32 v0, s18, v3
	s_and_b64 vcc, exec, s[4:5]
	v_ashrrev_i32_e32 v1, 31, v0
	s_cbranch_vccnz .LBB282_9
; %bb.8:
	v_mad_i64_i32 v[6:7], s[22:23], s12, v2, 0
	v_lshl_add_u64 v[6:7], v[6:7], 1, s[14:15]
	v_lshl_add_u64 v[6:7], v[0:1], 1, v[6:7]
	flat_load_ushort v5, v[6:7]
	s_waitcnt vmcnt(0) lgkmcnt(0)
	v_mul_f16_e32 v8, v50, v5
	s_branch .LBB282_10
.LBB282_9:
	v_mov_b32_e32 v8, 0
.LBB282_10:
	s_load_dword s22, s[0:1], 0x38
	v_lshrrev_b32_e32 v9, 2, v4
	s_lshl_b32 s19, s19, 7
	v_and_b32_e32 v5, 3, v51
	v_add_u32_e32 v4, s19, v9
	s_and_b64 vcc, exec, s[4:5]
	v_lshlrev_b32_e32 v24, 1, v5
	v_add_u32_e32 v5, 64, v4
	s_cbranch_vccnz .LBB282_14
; %bb.11:
	v_mov_b32_e32 v25, 0
	v_lshl_add_u64 v[6:7], s[16:17], 0, v[24:25]
	s_waitcnt lgkmcnt(0)
	v_mad_i64_i32 v[10:11], s[24:25], v4, s22, 0
	v_lshl_add_u64 v[10:11], v[10:11], 1, v[6:7]
	v_mad_i64_i32 v[12:13], s[24:25], v5, s22, 0
	v_lshl_add_u64 v[6:7], v[12:13], 1, v[6:7]
	flat_load_ushort v12, v[10:11]
	flat_load_ushort v13, v[6:7]
	s_waitcnt vmcnt(0) lgkmcnt(0)
	v_mul_f16_e32 v10, v50, v12
	v_mul_f16_e32 v11, v50, v13
	s_and_b64 vcc, exec, s[4:5]
	s_cbranch_vccnz .LBB282_15
.LBB282_12:
	v_add_u32_e32 v6, 4, v2
	v_mad_i64_i32 v[6:7], s[24:25], s12, v6, 0
	v_lshl_add_u64 v[6:7], v[6:7], 1, s[14:15]
	v_lshl_add_u64 v[0:1], v[0:1], 1, v[6:7]
	flat_load_ushort v0, v[0:1]
	s_waitcnt vmcnt(0) lgkmcnt(0)
	v_mul_f16_e32 v0, v50, v0
	s_and_b64 vcc, exec, s[4:5]
	s_cbranch_vccnz .LBB282_16
.LBB282_13:
	v_mov_b32_e32 v25, 0
	v_lshl_add_u64 v[6:7], s[16:17], 0, v[24:25]
	s_waitcnt lgkmcnt(0)
	v_mad_i64_i32 v[12:13], s[24:25], v4, s22, 0
	v_lshl_add_u64 v[12:13], v[12:13], 1, v[6:7]
	v_mad_i64_i32 v[14:15], s[24:25], v5, s22, 0
	v_lshl_add_u64 v[6:7], v[14:15], 1, v[6:7]
	flat_load_ushort v1, v[12:13] offset:8
	flat_load_ushort v14, v[6:7] offset:8
	s_waitcnt vmcnt(0) lgkmcnt(0)
	v_mul_f16_e32 v1, v50, v1
	v_mul_f16_e32 v7, v50, v14
	s_branch .LBB282_17
.LBB282_14:
	v_mov_b32_e32 v10, 0
	v_mov_b32_e32 v11, 0
	s_and_b64 vcc, exec, s[4:5]
	s_cbranch_vccz .LBB282_12
.LBB282_15:
	v_mov_b32_e32 v0, 0
	s_and_b64 vcc, exec, s[4:5]
	s_cbranch_vccz .LBB282_13
.LBB282_16:
	v_mov_b32_e32 v1, 0
	v_mov_b32_e32 v7, 0
.LBB282_17:
	v_lshlrev_b32_e32 v6, 3, v3
	v_lshl_add_u32 v6, v2, 1, v6
	v_lshl_or_b32 v71, v9, 3, v24
	v_lshlrev_b32_e32 v61, 3, v51
	v_lshlrev_b32_e32 v62, 3, v52
	ds_write_b16 v6, v8 offset:2048
	ds_write_b16 v71, v10
	ds_write_b16 v71, v11 offset:512
	s_waitcnt lgkmcnt(0)
	s_barrier
	ds_read2_b64 v[8:11], v62 offset1:32
	v_add_u32_e32 v72, 0x800, v61
	ds_read2_b64 v[12:15], v72 offset0:48 offset1:56
	ds_read2_b64 v[16:19], v62 offset0:64 offset1:96
	ds_read2_b64 v[20:23], v72 offset1:8
	ds_read2_b64 v[26:29], v72 offset0:16 offset1:24
	ds_read2_b64 v[30:33], v72 offset0:32 offset1:40
	s_waitcnt lgkmcnt(5)
	v_pk_max_f16 v8, v8, v8
	s_waitcnt lgkmcnt(4)
	v_pk_max_f16 v14, v14, v14
	v_pk_max_f16 v10, v10, v10
	v_pk_min_f16 v25, v14, v8
	s_waitcnt lgkmcnt(3)
	v_pk_max_f16 v16, v16, v16
	s_waitcnt lgkmcnt(2)
	v_pk_max_f16 v20, v20, v20
	v_pk_max_f16 v18, v18, v18
	v_pk_max_f16 v22, v22, v22
	s_waitcnt lgkmcnt(1)
	v_pk_max_f16 v26, v26, v26
	v_pk_max_f16 v28, v28, v28
	;; [unrolled: 4-line block ×3, first 2 shown]
	v_pk_max_f16 v12, v12, v12
	v_pk_max_f16 v15, v15, v15
	v_pk_min_f16 v34, v20, v8
	v_pk_min_f16 v35, v20, v10
	;; [unrolled: 1-line block ×14, first 2 shown]
	v_pk_max_f16 v11, v11, v11
	v_pk_min_f16 v53, v28, v16
	v_pk_min_f16 v28, v28, v18
	;; [unrolled: 1-line block ×17, first 2 shown]
	v_pk_add_f16 v18, v25, 0
	v_pk_min_f16 v25, v15, v9
	v_pk_max_f16 v17, v17, v17
	v_pk_add_f16 v70, v25, v18
	v_pk_add_f16 v18, v44, 0
	v_pk_min_f16 v25, v15, v11
	v_pk_max_f16 v21, v21, v21
	v_pk_add_f16 v60, v25, v18
	;; [unrolled: 4-line block ×6, first 2 shown]
	v_pk_add_f16 v18, v20, 0
	v_pk_min_f16 v20, v21, v19
	v_pk_min_f16 v21, v29, v19
	v_pk_add_f16 v48, v20, v18
	v_pk_add_f16 v18, v37, 0
	v_pk_min_f16 v20, v23, v9
	v_pk_max_f16 v13, v13, v13
	v_pk_add_f16 v78, v20, v18
	v_pk_add_f16 v18, v38, 0
	v_pk_min_f16 v20, v23, v11
	s_load_dword s21, s[0:1], 0x8
	v_pk_add_f16 v68, v20, v18
	v_pk_add_f16 v18, v39, 0
	v_pk_min_f16 v20, v23, v17
	v_pk_add_f16 v8, v8, 0
	v_pk_add_f16 v58, v20, v18
	v_pk_add_f16 v18, v22, 0
	v_pk_min_f16 v20, v23, v19
	v_pk_add_f16 v22, v73, 0
	;; [unrolled: 4-line block ×8, first 2 shown]
	v_pk_add_f16 v65, v20, v18
	v_pk_add_f16 v18, v53, 0
	v_pk_min_f16 v20, v29, v17
	s_waitcnt lgkmcnt(0)
	s_cmp_lt_i32 s21, 9
	v_pk_add_f16 v55, v20, v18
	v_pk_add_f16 v18, v28, 0
	;; [unrolled: 1-line block ×4, first 2 shown]
	v_pk_max_f16 v18, v31, v31
	ds_write_b16 v6, v0 offset:2560
	ds_write_b16 v71, v1 offset:1024
	;; [unrolled: 1-line block ×3, first 2 shown]
	v_pk_min_f16 v21, v18, v9
	s_waitcnt lgkmcnt(0)
	v_pk_add_f16 v75, v21, v20
	v_pk_add_f16 v20, v56, 0
	v_pk_min_f16 v21, v18, v11
	s_barrier
	v_pk_add_f16 v64, v21, v20
	v_pk_add_f16 v20, v63, 0
	v_pk_min_f16 v21, v18, v17
	v_pk_min_f16 v18, v18, v19
	v_pk_add_f16 v54, v21, v20
	v_pk_add_f16 v20, v30, 0
	;; [unrolled: 1-line block ×4, first 2 shown]
	v_pk_max_f16 v18, v33, v33
	s_nop 0
	v_pk_min_f16 v20, v18, v9
	v_pk_min_f16 v9, v13, v9
	v_pk_add_f16 v74, v20, v21
	v_pk_add_f16 v73, v9, v8
	v_pk_min_f16 v8, v13, v11
	v_pk_min_f16 v20, v18, v11
	v_pk_add_f16 v63, v8, v10
	v_pk_min_f16 v8, v13, v17
	v_pk_add_f16 v67, v20, v22
	v_pk_add_f16 v53, v8, v16
	v_pk_min_f16 v8, v13, v19
	v_pk_min_f16 v20, v18, v17
	;; [unrolled: 1-line block ×3, first 2 shown]
	v_pk_add_f16 v47, v8, v12
	v_pk_min_f16 v8, v15, v19
	v_pk_add_f16 v56, v20, v23
	v_pk_add_f16 v43, v18, v25
	;; [unrolled: 1-line block ×3, first 2 shown]
	s_cbranch_scc1 .LBB282_31
; %bb.18:
	v_mov_b32_e32 v0, 0xa00
	v_lshl_add_u32 v83, v51, 3, v0
	v_mov_b32_e32 v0, 0x400
	v_lshl_add_u32 v84, v52, 3, v0
	v_mad_i64_i32 v[0:1], s[24:25], s22, v5, 0
	v_lshl_add_u64 v[26:27], v[0:1], 1, s[16:17]
	v_mad_i64_i32 v[0:1], s[22:23], s22, v4, 0
	v_lshl_add_u64 v[28:29], v[0:1], 1, s[16:17]
	v_add_u32_e32 v0, 8, v2
	v_mad_i64_i32 v[0:1], s[16:17], v0, s12, 0
	v_lshlrev_b64 v[30:31], 1, v[0:1]
	v_lshl_or_b32 v0, s2, 6, v3
	s_lshl_b32 s2, s3, 6
	v_subrev_u32_e32 v0, s2, v0
	v_ashrrev_i32_e32 v1, 31, v0
	v_lshl_add_u64 v[32:33], v[0:1], 1, s[14:15]
	v_add_u32_e32 v0, 12, v2
	s_lshl_b64 s[2:3], s[12:13], 4
	v_mad_i64_i32 v[0:1], s[12:13], v0, s12, 0
	v_or_b32_e32 v80, 0x800, v6
	v_add_u32_e32 v81, 0xa00, v6
	v_add_u32_e32 v82, 0x400, v71
	s_add_i32 s21, s21, -8
	v_mov_b32_e32 v25, 0
	v_lshlrev_b64 v[34:35], 1, v[0:1]
	s_mov_b32 s12, 0
	s_branch .LBB282_21
.LBB282_19:                             ;   in Loop: Header=BB282_21 Depth=1
	flat_load_ushort v0, v[36:37] offset:24
	flat_load_ushort v1, v[38:39] offset:24
	s_waitcnt vmcnt(0) lgkmcnt(0)
	v_mul_f16_e32 v0, v50, v0
	v_mul_f16_e32 v1, v50, v1
.LBB282_20:                             ;   in Loop: Header=BB282_21 Depth=1
	v_pk_add_f16 v20, v20, v60
	v_pk_add_f16 v12, v12, v49
	;; [unrolled: 1-line block ×18, first 2 shown]
	ds_read2_b64 v[8:11], v72 offset0:48 offset1:56
	ds_read2_b64 v[12:15], v62 offset1:32
	v_pk_add_f16 v2, v2, v70
	v_pk_add_f16 v16, v16, v79
	;; [unrolled: 1-line block ×4, first 2 shown]
	s_waitcnt lgkmcnt(1)
	v_pk_max_f16 v10, v10, v10
	s_waitcnt lgkmcnt(0)
	v_pk_max_f16 v12, v12, v12
	v_pk_add_f16 v18, v18, v78
	v_pk_add_f16 v37, v87, v68
	;; [unrolled: 1-line block ×10, first 2 shown]
	ds_read2_b64 v[2:5], v62 offset0:64 offset1:96
	v_pk_min_f16 v16, v10, v12
	v_pk_add_f16 v49, v93, v65
	v_pk_add_f16 v65, v19, v18
	;; [unrolled: 1-line block ×4, first 2 shown]
	ds_read2_b64 v[16:19], v72 offset1:8
	v_pk_max_f16 v14, v14, v14
	s_waitcnt lgkmcnt(1)
	v_pk_max_f16 v2, v2, v2
	v_pk_min_f16 v63, v10, v14
	v_pk_add_f16 v59, v102, v73
	v_pk_add_f16 v63, v63, v20
	v_pk_min_f16 v20, v10, v2
	s_waitcnt lgkmcnt(0)
	v_pk_max_f16 v16, v16, v16
	v_pk_add_f16 v69, v20, v21
	v_pk_min_f16 v20, v16, v12
	v_pk_max_f16 v18, v18, v18
	v_pk_add_f16 v64, v20, v64
	v_pk_min_f16 v20, v16, v14
	v_pk_add_f16 v6, v6, v74
	v_pk_add_f16 v73, v20, v22
	v_pk_min_f16 v20, v16, v2
	v_pk_add_f16 v37, v108, v37
	v_pk_add_f16 v74, v20, v23
	v_pk_min_f16 v20, v18, v12
	v_pk_max_f16 v4, v4, v4
	v_pk_add_f16 v65, v20, v65
	v_pk_min_f16 v20, v18, v14
	v_pk_min_f16 v16, v16, v4
	v_pk_add_f16 v75, v20, v37
	ds_read2_b64 v[20:23], v72 offset0:16 offset1:24
	v_pk_add_f16 v38, v109, v38
	v_pk_add_f16 v16, v16, v36
	v_pk_min_f16 v36, v18, v2
	v_pk_add_f16 v45, v111, v45
	s_waitcnt lgkmcnt(0)
	v_pk_max_f16 v20, v20, v20
	v_pk_add_f16 v76, v36, v38
	v_pk_min_f16 v36, v20, v12
	v_pk_add_f16 v48, v112, v48
	v_pk_add_f16 v66, v36, v66
	v_pk_min_f16 v36, v20, v14
	v_pk_max_f16 v22, v22, v22
	v_pk_add_f16 v86, v36, v45
	v_pk_min_f16 v36, v20, v2
	v_pk_add_f16 v39, v110, v39
	v_pk_add_f16 v87, v36, v48
	v_pk_min_f16 v36, v22, v12
	v_pk_add_f16 v49, v114, v49
	v_pk_min_f16 v18, v18, v4
	v_pk_add_f16 v67, v36, v67
	v_pk_min_f16 v36, v22, v14
	v_pk_add_f16 v18, v18, v39
	v_pk_add_f16 v88, v36, v49
	ds_read2_b64 v[36:39], v72 offset0:32 offset1:40
	v_pk_add_f16 v44, v92, v44
	v_pk_add_f16 v42, v95, v42
	;; [unrolled: 1-line block ×3, first 2 shown]
	v_pk_min_f16 v20, v20, v4
	v_pk_add_f16 v42, v116, v42
	v_pk_add_f16 v20, v20, v44
	v_pk_min_f16 v44, v22, v2
	v_pk_min_f16 v22, v22, v4
	s_waitcnt lgkmcnt(0)
	v_pk_max_f16 v36, v36, v36
	v_pk_add_f16 v22, v22, v42
	v_pk_min_f16 v42, v36, v12
	v_pk_add_f16 v54, v97, v54
	v_pk_add_f16 v57, v118, v57
	;; [unrolled: 1-line block ×3, first 2 shown]
	v_pk_min_f16 v42, v36, v14
	v_pk_add_f16 v54, v119, v54
	v_pk_add_f16 v90, v42, v57
	v_pk_min_f16 v42, v36, v2
	v_pk_max_f16 v38, v38, v38
	v_pk_add_f16 v6, v121, v6
	v_pk_add_f16 v54, v42, v54
	v_pk_min_f16 v42, v38, v12
	v_pk_add_f16 v58, v122, v58
	v_pk_add_f16 v6, v42, v6
	v_pk_min_f16 v42, v38, v14
	v_pk_max_f16 v8, v8, v8
	v_pk_min_f16 v36, v36, v4
	v_pk_add_f16 v91, v42, v58
	v_pk_min_f16 v42, v38, v2
	v_pk_min_f16 v38, v38, v4
	;; [unrolled: 1-line block ×7, first 2 shown]
	v_pk_max_f16 v10, v13, v13
	v_pk_add_f16 v4, v4, v7
	v_pk_max_f16 v7, v11, v11
	v_pk_add_f16 v60, v126, v60
	v_pk_min_f16 v11, v7, v10
	v_pk_max_f16 v3, v3, v3
	v_pk_add_f16 v70, v11, v41
	v_pk_max_f16 v11, v15, v15
	v_pk_add_f16 v14, v14, v60
	v_pk_min_f16 v13, v7, v11
	v_pk_max_f16 v5, v5, v5
	v_pk_add_f16 v60, v13, v63
	v_pk_min_f16 v13, v7, v3
	v_pk_add_f16 v59, v125, v59
	v_pk_add_f16 v49, v13, v69
	v_pk_max_f16 v13, v17, v17
	v_pk_add_f16 v12, v12, v59
	v_pk_min_f16 v15, v13, v10
	v_pk_add_f16 v55, v94, v55
	v_pk_add_f16 v79, v15, v64
	v_pk_min_f16 v15, v13, v11
	v_pk_add_f16 v55, v115, v55
	v_pk_add_f16 v69, v15, v73
	v_pk_min_f16 v15, v13, v3
	v_pk_min_f16 v13, v13, v5
	v_pk_add_f16 v59, v15, v74
	v_pk_add_f16 v48, v13, v16
	v_pk_max_f16 v13, v19, v19
	v_pk_add_f16 v55, v44, v55
	v_pk_min_f16 v15, v13, v10
	v_pk_add_f16 v56, v100, v56
	v_pk_add_f16 v78, v15, v65
	v_pk_min_f16 v15, v13, v11
	v_pk_add_f16 v56, v123, v56
	v_pk_add_f16 v68, v15, v75
	v_pk_min_f16 v15, v13, v3
	;; [unrolled: 12-line block ×5, first 2 shown]
	v_pk_min_f16 v13, v13, v5
	v_pk_add_f16 v54, v15, v54
	v_pk_add_f16 v46, v13, v36
	v_pk_max_f16 v13, v39, v39
	v_pk_add_f16 v2, v2, v53
	v_pk_min_f16 v15, v13, v10
	v_pk_add_f16 v8, v8, v47
	v_pk_add_f16 v74, v15, v6
	v_pk_min_f16 v6, v13, v11
	s_add_i32 s12, s12, 8
	v_pk_add_f16 v67, v6, v91
	v_pk_min_f16 v6, v13, v3
	v_lshl_add_u64 v[26:27], v[26:27], 0, 16
	v_pk_add_f16 v56, v6, v56
	v_pk_min_f16 v6, v13, v5
	v_lshl_add_u64 v[28:29], v[28:29], 0, 16
	v_pk_add_f16 v43, v6, v38
	v_pk_max_f16 v6, v9, v9
	s_cmp_ge_i32 s12, s21
	v_pk_min_f16 v3, v6, v3
	v_pk_min_f16 v9, v6, v10
	v_pk_add_f16 v53, v3, v2
	v_pk_min_f16 v2, v6, v5
	v_pk_add_f16 v73, v9, v12
	;; [unrolled: 2-line block ×4, first 2 shown]
	v_pk_add_f16 v41, v2, v4
	v_lshl_add_u64 v[32:33], v[32:33], 0, s[2:3]
	ds_write_b16 v81, v85
	ds_write_b16 v82, v0
	ds_write_b16 v82, v1 offset:512
	s_waitcnt lgkmcnt(0)
	s_barrier
	s_cbranch_scc1 .LBB282_31
.LBB282_21:                             ; =>This Inner Loop Header: Depth=1
	s_and_b64 vcc, exec, s[4:5]
	v_mov_b32_e32 v85, 0
	s_cbranch_vccnz .LBB282_23
; %bb.22:                               ;   in Loop: Header=BB282_21 Depth=1
	v_lshl_add_u64 v[0:1], v[32:33], 0, v[30:31]
	flat_load_ushort v0, v[0:1]
	s_waitcnt vmcnt(0) lgkmcnt(0)
	v_mul_f16_e32 v85, v50, v0
.LBB282_23:                             ;   in Loop: Header=BB282_21 Depth=1
	s_and_b64 vcc, exec, s[4:5]
	v_lshl_add_u64 v[36:37], v[28:29], 0, v[24:25]
	v_lshl_add_u64 v[38:39], v[26:27], 0, v[24:25]
	s_cbranch_vccnz .LBB282_25
; %bb.24:                               ;   in Loop: Header=BB282_21 Depth=1
	flat_load_ushort v0, v[36:37] offset:16
	flat_load_ushort v1, v[38:39] offset:16
	s_waitcnt vmcnt(0) lgkmcnt(0)
	v_mul_f16_e32 v86, v50, v0
	v_mul_f16_e32 v87, v50, v1
	s_branch .LBB282_26
.LBB282_25:                             ;   in Loop: Header=BB282_21 Depth=1
	v_mov_b32_e32 v86, 0
	v_mov_b32_e32 v87, 0
.LBB282_26:                             ;   in Loop: Header=BB282_21 Depth=1
	ds_read2_b64 v[0:3], v83 offset0:48 offset1:56
	ds_read2_b64 v[12:15], v84 offset0:64 offset1:96
	ds_read2_b64 v[20:23], v84 offset1:32
	ds_read2_b64 v[16:19], v83 offset1:8
	ds_read2_b64 v[8:11], v83 offset0:16 offset1:24
	ds_read2_b64 v[4:7], v83 offset0:32 offset1:40
	s_and_b64 vcc, exec, s[4:5]
	ds_write_b16 v80, v85
	ds_write_b16 v71, v86
	ds_write_b16 v71, v87 offset:512
	s_waitcnt lgkmcnt(0)
	s_barrier
	s_cbranch_vccnz .LBB282_28
; %bb.27:                               ;   in Loop: Header=BB282_21 Depth=1
	v_lshl_add_u64 v[86:87], v[32:33], 0, v[34:35]
	flat_load_ushort v85, v[86:87]
	s_waitcnt vmcnt(0) lgkmcnt(0)
	v_mul_f16_e32 v85, v50, v85
	s_branch .LBB282_29
.LBB282_28:                             ;   in Loop: Header=BB282_21 Depth=1
	v_mov_b32_e32 v85, 0
.LBB282_29:                             ;   in Loop: Header=BB282_21 Depth=1
	v_pk_max_f16 v106, v2, v2
	v_pk_max_f16 v102, v20, v20
	;; [unrolled: 1-line block ×17, first 2 shown]
	v_pk_min_f16 v2, v106, v102
	v_pk_min_f16 v20, v106, v103
	;; [unrolled: 1-line block ×26, first 2 shown]
	v_pk_max_f16 v0, v3, v3
	v_pk_max_f16 v108, v17, v17
	;; [unrolled: 1-line block ×5, first 2 shown]
	v_pk_min_f16 v117, v5, v125
	v_pk_min_f16 v118, v5, v126
	;; [unrolled: 1-line block ×4, first 2 shown]
	v_pk_max_f16 v5, v7, v7
	v_pk_max_f16 v1, v1, v1
	v_pk_min_f16 v89, v89, v107
	v_pk_min_f16 v92, v92, v107
	;; [unrolled: 1-line block ×33, first 2 shown]
	s_and_b64 vcc, exec, s[4:5]
	v_pk_min_f16 v7, v0, v128
	s_cbranch_vccz .LBB282_19
; %bb.30:                               ;   in Loop: Header=BB282_21 Depth=1
	v_mov_b32_e32 v0, 0
	v_mov_b32_e32 v1, 0
	s_branch .LBB282_20
.LBB282_31:
	s_load_dword s12, s[0:1], 0x58
	ds_read_b64 v[20:21], v62 offset:1024
	ds_read_b64 v[26:27], v61 offset:2560
	v_add_u32_e32 v28, s19, v52
	v_cmp_neq_f16_e64 s[4:5], 0, v40
	v_add_u32_e32 v16, s18, v51
	s_waitcnt lgkmcnt(0)
	v_mad_i64_i32 v[0:1], s[2:3], v28, s12, 0
	v_ashrrev_i32_e32 v17, 31, v16
	v_lshl_add_u64 v[22:23], v[0:1], 1, s[8:9]
	s_and_b64 vcc, exec, s[4:5]
	v_mov_b32_e32 v33, 0
	v_mov_b32_e32 v31, 0
	s_cbranch_vccz .LBB282_33
; %bb.32:
	v_lshl_add_u64 v[0:1], v[16:17], 1, v[22:23]
	flat_load_ushort v0, v[0:1]
	s_waitcnt vmcnt(0) lgkmcnt(0)
	v_mul_f16_e32 v31, v40, v0
.LBB282_33:
	ds_read_b64 v[24:25], v61 offset:3008
	ds_read_b64 v[18:19], v62 offset:1792
	ds_read2_b64 v[0:3], v62 offset0:160 offset1:192
	s_load_dword s13, s[0:1], 0x70
	s_load_dwordx2 s[2:3], s[0:1], 0x78
	v_add_u32_e32 v4, 0x800, v61
	v_pk_max_f16 v61, v20, v20
	v_pk_max_f16 v29, v26, v26
	ds_read2_b64 v[12:15], v4 offset0:72 offset1:80
	ds_read2_b64 v[8:11], v4 offset0:88 offset1:96
	;; [unrolled: 1-line block ×3, first 2 shown]
	s_waitcnt lgkmcnt(0)
	s_mul_i32 s0, s20, s3
	s_mul_hi_u32 s1, s20, s2
	s_add_i32 s1, s1, s0
	s_mul_i32 s0, s20, s2
	v_pk_min_f16 v20, v29, v61
	v_pk_max_f16 v62, v21, v21
	v_pk_max_f16 v30, v27, v27
	s_lshl_b64 s[0:1], s[0:1], 1
	v_pk_add_f16 v20, v20, v79
	v_pk_min_f16 v21, v30, v62
	s_add_u32 s2, s10, s0
	v_pk_add_f16 v32, v21, v20
	s_addc_u32 s3, s11, s1
	v_mad_i64_i32 v[26:27], s[0:1], v28, s13, 0
	v_add_f16_sdwa v32, v32, v32 dst_sel:DWORD dst_unused:UNUSED_PAD src0_sel:DWORD src1_sel:WORD_1
	v_add_u32_e32 v20, 8, v16
	v_lshl_add_u64 v[26:27], v[26:27], 1, s[2:3]
	v_add_f16_e32 v31, v32, v31
	v_cndmask_b32_e64 v32, 0, 1, s[4:5]
	v_ashrrev_i32_e32 v21, 31, v20
	v_lshl_add_u64 v[34:35], v[16:17], 1, v[26:27]
	v_cmp_ne_u32_e64 s[0:1], 1, v32
	s_andn2_b64 vcc, exec, s[4:5]
	global_store_short v[34:35], v31, off
	s_cbranch_vccnz .LBB282_35
; %bb.34:
	v_lshl_add_u64 v[32:33], v[20:21], 1, v[22:23]
	flat_load_ushort v31, v[32:33]
	s_waitcnt vmcnt(0) lgkmcnt(0)
	v_mul_f16_e32 v33, v40, v31
.LBB282_35:
	v_pk_max_f16 v31, v12, v12
	v_pk_max_f16 v32, v13, v13
	v_pk_min_f16 v12, v31, v61
	v_pk_min_f16 v13, v32, v62
	v_pk_add_f16 v12, v12, v78
	s_and_b64 vcc, exec, s[0:1]
	v_pk_add_f16 v12, v13, v12
	v_mov_b32_e32 v37, 0
	v_add_f16_sdwa v34, v12, v12 dst_sel:DWORD dst_unused:UNUSED_PAD src0_sel:DWORD src1_sel:WORD_1
	v_add_u32_e32 v12, 16, v16
	v_add_f16_e32 v33, v34, v33
	v_lshl_add_u64 v[34:35], v[20:21], 1, v[26:27]
	v_ashrrev_i32_e32 v13, 31, v12
	global_store_short v[34:35], v33, off
	v_mov_b32_e32 v35, 0
	s_cbranch_vccnz .LBB282_37
; %bb.36:
	v_lshl_add_u64 v[34:35], v[12:13], 1, v[22:23]
	flat_load_ushort v33, v[34:35]
	s_waitcnt vmcnt(0) lgkmcnt(0)
	v_mul_f16_e32 v35, v40, v33
.LBB282_37:
	v_pk_max_f16 v33, v14, v14
	v_pk_max_f16 v34, v15, v15
	v_pk_min_f16 v14, v33, v61
	v_pk_min_f16 v15, v34, v62
	v_pk_add_f16 v14, v14, v77
	v_lshl_add_u64 v[38:39], v[12:13], 1, v[26:27]
	v_pk_add_f16 v14, v15, v14
	s_and_b64 vcc, exec, s[0:1]
	v_add_f16_sdwa v36, v14, v14 dst_sel:DWORD dst_unused:UNUSED_PAD src0_sel:DWORD src1_sel:WORD_1
	v_add_u32_e32 v14, 24, v16
	v_ashrrev_i32_e32 v15, 31, v14
	v_add_f16_e32 v35, v36, v35
	global_store_short v[38:39], v35, off
	s_cbranch_vccnz .LBB282_39
; %bb.38:
	v_lshl_add_u64 v[36:37], v[14:15], 1, v[22:23]
	flat_load_ushort v35, v[36:37]
	s_waitcnt vmcnt(0) lgkmcnt(0)
	v_mul_f16_e32 v37, v40, v35
.LBB282_39:
	v_pk_max_f16 v35, v8, v8
	v_pk_max_f16 v36, v9, v9
	v_pk_min_f16 v8, v35, v61
	v_pk_min_f16 v9, v36, v62
	v_pk_add_f16 v8, v8, v76
	s_and_b64 vcc, exec, s[0:1]
	v_pk_add_f16 v8, v9, v8
	v_mov_b32_e32 v51, 0
	v_add_f16_sdwa v38, v8, v8 dst_sel:DWORD dst_unused:UNUSED_PAD src0_sel:DWORD src1_sel:WORD_1
	v_add_u32_e32 v8, 32, v16
	v_add_f16_e32 v37, v38, v37
	v_lshl_add_u64 v[38:39], v[14:15], 1, v[26:27]
	v_ashrrev_i32_e32 v9, 31, v8
	global_store_short v[38:39], v37, off
	v_mov_b32_e32 v39, 0
	s_cbranch_vccnz .LBB282_41
; %bb.40:
	v_lshl_add_u64 v[38:39], v[8:9], 1, v[22:23]
	flat_load_ushort v37, v[38:39]
	s_waitcnt vmcnt(0) lgkmcnt(0)
	v_mul_f16_e32 v39, v40, v37
.LBB282_41:
	v_pk_max_f16 v37, v10, v10
	v_pk_max_f16 v38, v11, v11
	v_pk_min_f16 v10, v37, v61
	v_pk_min_f16 v11, v38, v62
	v_pk_add_f16 v10, v10, v75
	v_lshl_add_u64 v[76:77], v[8:9], 1, v[26:27]
	v_pk_add_f16 v10, v11, v10
	s_and_b64 vcc, exec, s[0:1]
	v_add_f16_sdwa v50, v10, v10 dst_sel:DWORD dst_unused:UNUSED_PAD src0_sel:DWORD src1_sel:WORD_1
	v_add_u32_e32 v10, 40, v16
	v_ashrrev_i32_e32 v11, 31, v10
	v_add_f16_e32 v39, v50, v39
	global_store_short v[76:77], v39, off
	s_cbranch_vccnz .LBB282_43
; %bb.42:
	v_lshl_add_u64 v[50:51], v[10:11], 1, v[22:23]
	flat_load_ushort v39, v[50:51]
	s_waitcnt vmcnt(0) lgkmcnt(0)
	v_mul_f16_e32 v51, v40, v39
.LBB282_43:
	v_pk_max_f16 v39, v4, v4
	v_pk_max_f16 v50, v5, v5
	v_pk_min_f16 v4, v39, v61
	v_pk_min_f16 v5, v50, v62
	v_pk_add_f16 v4, v4, v74
	v_lshl_add_u64 v[74:75], v[10:11], 1, v[26:27]
	v_pk_add_f16 v4, v5, v4
	s_and_b64 vcc, exec, s[0:1]
	v_add_f16_sdwa v52, v4, v4 dst_sel:DWORD dst_unused:UNUSED_PAD src0_sel:DWORD src1_sel:WORD_1
	v_add_u32_e32 v4, 48, v16
	v_ashrrev_i32_e32 v5, 31, v4
	v_add_f16_e32 v51, v52, v51
	v_mov_b32_e32 v71, 0
	v_mov_b32_e32 v72, 0
	global_store_short v[74:75], v51, off
	s_cbranch_vccnz .LBB282_45
; %bb.44:
	v_lshl_add_u64 v[74:75], v[4:5], 1, v[22:23]
	flat_load_ushort v51, v[74:75]
	s_waitcnt vmcnt(0) lgkmcnt(0)
	v_mul_f16_e32 v72, v40, v51
.LBB282_45:
	v_pk_max_f16 v51, v6, v6
	v_pk_max_f16 v52, v7, v7
	v_pk_min_f16 v6, v51, v61
	v_pk_min_f16 v7, v52, v62
	v_pk_add_f16 v6, v6, v73
	s_and_b64 vcc, exec, s[0:1]
	v_pk_add_f16 v6, v7, v6
	s_nop 0
	v_add_f16_sdwa v73, v6, v6 dst_sel:DWORD dst_unused:UNUSED_PAD src0_sel:DWORD src1_sel:WORD_1
	v_add_u32_e32 v6, 56, v16
	v_ashrrev_i32_e32 v7, 31, v6
	v_add_f16_e32 v74, v73, v72
	v_lshl_add_u64 v[72:73], v[4:5], 1, v[26:27]
	global_store_short v[72:73], v74, off
	s_cbranch_vccnz .LBB282_47
; %bb.46:
	v_lshl_add_u64 v[22:23], v[6:7], 1, v[22:23]
	flat_load_ushort v22, v[22:23]
	s_waitcnt vmcnt(0) lgkmcnt(0)
	v_mul_f16_e32 v71, v40, v22
.LBB282_47:
	v_pk_max_f16 v24, v24, v24
	v_pk_max_f16 v25, v25, v25
	v_pk_min_f16 v22, v24, v61
	v_pk_min_f16 v23, v25, v62
	v_pk_add_f16 v22, v22, v70
	v_add_u32_e32 v62, 32, v28
	v_pk_add_f16 v22, v23, v22
	s_and_b64 vcc, exec, s[0:1]
	v_add_f16_sdwa v22, v22, v22 dst_sel:DWORD dst_unused:UNUSED_PAD src0_sel:DWORD src1_sel:WORD_1
	v_add_f16_e32 v61, v22, v71
	v_lshl_add_u64 v[22:23], v[6:7], 1, v[26:27]
	global_store_short v[22:23], v61, off
	v_mad_i64_i32 v[22:23], s[4:5], v62, s12, 0
	v_lshl_add_u64 v[22:23], v[22:23], 1, s[8:9]
	v_mov_b32_e32 v61, 0
	v_mov_b32_e32 v70, 0
	s_cbranch_vccnz .LBB282_49
; %bb.48:
	v_lshl_add_u64 v[26:27], v[16:17], 1, v[22:23]
	flat_load_ushort v26, v[26:27]
	s_waitcnt vmcnt(0) lgkmcnt(0)
	v_mul_f16_e32 v70, v40, v26
.LBB282_49:
	v_pk_max_f16 v26, v0, v0
	v_pk_max_f16 v27, v1, v1
	v_pk_min_f16 v0, v29, v26
	v_pk_min_f16 v1, v30, v27
	v_pk_add_f16 v0, v0, v69
	s_and_b64 vcc, exec, s[0:1]
	v_pk_add_f16 v69, v1, v0
	v_mad_i64_i32 v[0:1], s[4:5], v62, s13, 0
	v_lshl_add_u64 v[0:1], v[0:1], 1, s[2:3]
	v_add_f16_sdwa v62, v69, v69 dst_sel:DWORD dst_unused:UNUSED_PAD src0_sel:DWORD src1_sel:WORD_1
	v_add_f16_e32 v62, v62, v70
	v_lshl_add_u64 v[70:71], v[16:17], 1, v[0:1]
	global_store_short v[70:71], v62, off
	s_cbranch_vccnz .LBB282_51
; %bb.50:
	v_lshl_add_u64 v[70:71], v[20:21], 1, v[22:23]
	flat_load_ushort v61, v[70:71]
	s_waitcnt vmcnt(0) lgkmcnt(0)
	v_mul_f16_e32 v61, v40, v61
.LBB282_51:
	v_pk_min_f16 v62, v31, v26
	s_and_b64 vcc, exec, s[0:1]
	v_pk_add_f16 v62, v62, v68
	v_pk_min_f16 v68, v32, v27
	s_nop 0
	v_pk_add_f16 v62, v68, v62
	v_lshl_add_u64 v[68:69], v[20:21], 1, v[0:1]
	v_add_f16_sdwa v62, v62, v62 dst_sel:DWORD dst_unused:UNUSED_PAD src0_sel:DWORD src1_sel:WORD_1
	v_add_f16_e32 v61, v62, v61
	global_store_short v[68:69], v61, off
	v_mov_b32_e32 v61, 0
	v_mov_b32_e32 v62, 0
	s_cbranch_vccnz .LBB282_53
; %bb.52:
	v_lshl_add_u64 v[68:69], v[12:13], 1, v[22:23]
	flat_load_ushort v62, v[68:69]
	s_waitcnt vmcnt(0) lgkmcnt(0)
	v_mul_f16_e32 v62, v40, v62
.LBB282_53:
	v_pk_min_f16 v68, v33, v26
	s_and_b64 vcc, exec, s[0:1]
	v_pk_add_f16 v66, v68, v66
	v_pk_min_f16 v68, v34, v27
	s_nop 0
	v_pk_add_f16 v66, v68, v66
	v_lshl_add_u64 v[68:69], v[12:13], 1, v[0:1]
	v_add_f16_sdwa v66, v66, v66 dst_sel:DWORD dst_unused:UNUSED_PAD src0_sel:DWORD src1_sel:WORD_1
	v_add_f16_e32 v62, v66, v62
	global_store_short v[68:69], v62, off
	s_cbranch_vccnz .LBB282_55
; %bb.54:
	v_lshl_add_u64 v[68:69], v[14:15], 1, v[22:23]
	flat_load_ushort v61, v[68:69]
	s_waitcnt vmcnt(0) lgkmcnt(0)
	v_mul_f16_e32 v61, v40, v61
.LBB282_55:
	v_pk_min_f16 v62, v35, v26
	v_lshl_add_u64 v[68:69], v[14:15], 1, v[0:1]
	v_pk_add_f16 v62, v62, v65
	v_pk_min_f16 v65, v36, v27
	s_and_b64 vcc, exec, s[0:1]
	v_pk_add_f16 v62, v65, v62
	s_nop 0
	v_add_f16_sdwa v62, v62, v62 dst_sel:DWORD dst_unused:UNUSED_PAD src0_sel:DWORD src1_sel:WORD_1
	v_add_f16_e32 v61, v62, v61
	global_store_short v[68:69], v61, off
	v_mov_b32_e32 v61, 0
	v_mov_b32_e32 v62, 0
	s_cbranch_vccnz .LBB282_57
; %bb.56:
	v_lshl_add_u64 v[68:69], v[8:9], 1, v[22:23]
	flat_load_ushort v62, v[68:69]
	s_waitcnt vmcnt(0) lgkmcnt(0)
	v_mul_f16_e32 v62, v40, v62
.LBB282_57:
	v_pk_min_f16 v65, v37, v26
	s_and_b64 vcc, exec, s[0:1]
	v_pk_add_f16 v64, v65, v64
	v_pk_min_f16 v65, v38, v27
	s_nop 0
	v_pk_add_f16 v64, v65, v64
	s_nop 0
	v_add_f16_sdwa v64, v64, v64 dst_sel:DWORD dst_unused:UNUSED_PAD src0_sel:DWORD src1_sel:WORD_1
	v_add_f16_e32 v62, v64, v62
	v_lshl_add_u64 v[64:65], v[8:9], 1, v[0:1]
	global_store_short v[64:65], v62, off
	s_cbranch_vccnz .LBB282_59
; %bb.58:
	v_lshl_add_u64 v[64:65], v[10:11], 1, v[22:23]
	flat_load_ushort v61, v[64:65]
	s_waitcnt vmcnt(0) lgkmcnt(0)
	v_mul_f16_e32 v61, v40, v61
.LBB282_59:
	v_pk_min_f16 v62, v39, v26
	v_pk_min_f16 v64, v50, v27
	v_pk_add_f16 v62, v62, v67
	s_and_b64 vcc, exec, s[0:1]
	v_pk_add_f16 v62, v64, v62
	v_lshl_add_u64 v[64:65], v[10:11], 1, v[0:1]
	v_add_f16_sdwa v62, v62, v62 dst_sel:DWORD dst_unused:UNUSED_PAD src0_sel:DWORD src1_sel:WORD_1
	v_add_f16_e32 v61, v62, v61
	global_store_short v[64:65], v61, off
	v_mov_b32_e32 v61, 0
	v_mov_b32_e32 v62, 0
	s_cbranch_vccnz .LBB282_61
; %bb.60:
	v_lshl_add_u64 v[64:65], v[4:5], 1, v[22:23]
	flat_load_ushort v62, v[64:65]
	s_waitcnt vmcnt(0) lgkmcnt(0)
	v_mul_f16_e32 v62, v40, v62
.LBB282_61:
	v_pk_min_f16 v64, v51, v26
	s_and_b64 vcc, exec, s[0:1]
	v_pk_add_f16 v63, v64, v63
	v_pk_min_f16 v64, v52, v27
	s_nop 0
	v_pk_add_f16 v63, v64, v63
	s_nop 0
	v_add_f16_sdwa v63, v63, v63 dst_sel:DWORD dst_unused:UNUSED_PAD src0_sel:DWORD src1_sel:WORD_1
	v_add_f16_e32 v64, v63, v62
	v_lshl_add_u64 v[62:63], v[4:5], 1, v[0:1]
	global_store_short v[62:63], v64, off
	s_cbranch_vccnz .LBB282_63
; %bb.62:
	v_lshl_add_u64 v[22:23], v[6:7], 1, v[22:23]
	flat_load_ushort v22, v[22:23]
	s_waitcnt vmcnt(0) lgkmcnt(0)
	v_mul_f16_e32 v61, v40, v22
.LBB282_63:
	v_pk_min_f16 v22, v24, v26
	v_pk_min_f16 v23, v25, v27
	v_pk_add_f16 v22, v22, v60
	v_lshl_add_u64 v[0:1], v[6:7], 1, v[0:1]
	v_pk_add_f16 v22, v23, v22
	v_add_u32_e32 v27, 64, v28
	v_add_f16_sdwa v22, v22, v22 dst_sel:DWORD dst_unused:UNUSED_PAD src0_sel:DWORD src1_sel:WORD_1
	v_add_f16_e32 v22, v22, v61
	global_store_short v[0:1], v22, off
	v_mad_i64_i32 v[0:1], s[4:5], v27, s12, 0
	v_lshl_add_u64 v[0:1], v[0:1], 1, s[8:9]
	s_and_b64 vcc, exec, s[0:1]
	v_mov_b32_e32 v26, 0
	v_mov_b32_e32 v60, 0
	s_cbranch_vccnz .LBB282_65
; %bb.64:
	v_lshl_add_u64 v[22:23], v[16:17], 1, v[0:1]
	flat_load_ushort v22, v[22:23]
	s_waitcnt vmcnt(0) lgkmcnt(0)
	v_mul_f16_e32 v60, v40, v22
.LBB282_65:
	v_pk_max_f16 v22, v2, v2
	v_pk_max_f16 v23, v3, v3
	v_pk_min_f16 v2, v29, v22
	v_pk_min_f16 v3, v30, v23
	v_pk_add_f16 v2, v2, v59
	s_and_b64 vcc, exec, s[0:1]
	v_pk_add_f16 v59, v3, v2
	v_mad_i64_i32 v[2:3], s[4:5], v27, s13, 0
	v_lshl_add_u64 v[2:3], v[2:3], 1, s[2:3]
	v_add_f16_sdwa v27, v59, v59 dst_sel:DWORD dst_unused:UNUSED_PAD src0_sel:DWORD src1_sel:WORD_1
	v_add_f16_e32 v27, v27, v60
	v_lshl_add_u64 v[60:61], v[16:17], 1, v[2:3]
	global_store_short v[60:61], v27, off
	s_cbranch_vccnz .LBB282_67
; %bb.66:
	v_lshl_add_u64 v[26:27], v[20:21], 1, v[0:1]
	flat_load_ushort v26, v[26:27]
	s_waitcnt vmcnt(0) lgkmcnt(0)
	v_mul_f16_e32 v26, v40, v26
.LBB282_67:
	v_pk_min_f16 v27, v31, v22
	s_and_b64 vcc, exec, s[0:1]
	v_pk_add_f16 v27, v27, v58
	v_pk_min_f16 v58, v32, v23
	s_nop 0
	v_pk_add_f16 v27, v58, v27
	s_nop 0
	v_add_f16_sdwa v27, v27, v27 dst_sel:DWORD dst_unused:UNUSED_PAD src0_sel:DWORD src1_sel:WORD_1
	v_add_f16_e32 v58, v27, v26
	v_lshl_add_u64 v[26:27], v[20:21], 1, v[2:3]
	global_store_short v[26:27], v58, off
	v_mov_b32_e32 v26, 0
	v_mov_b32_e32 v27, 0
	s_cbranch_vccnz .LBB282_69
; %bb.68:
	v_lshl_add_u64 v[58:59], v[12:13], 1, v[0:1]
	flat_load_ushort v27, v[58:59]
	s_waitcnt vmcnt(0) lgkmcnt(0)
	v_mul_f16_e32 v27, v40, v27
.LBB282_69:
	v_pk_min_f16 v58, v33, v22
	s_and_b64 vcc, exec, s[0:1]
	v_pk_add_f16 v57, v58, v57
	v_pk_min_f16 v58, v34, v23
	s_nop 0
	v_pk_add_f16 v57, v58, v57
	v_lshl_add_u64 v[58:59], v[12:13], 1, v[2:3]
	v_add_f16_sdwa v57, v57, v57 dst_sel:DWORD dst_unused:UNUSED_PAD src0_sel:DWORD src1_sel:WORD_1
	v_add_f16_e32 v27, v57, v27
	global_store_short v[58:59], v27, off
	s_cbranch_vccnz .LBB282_71
; %bb.70:
	v_lshl_add_u64 v[26:27], v[14:15], 1, v[0:1]
	flat_load_ushort v26, v[26:27]
	s_waitcnt vmcnt(0) lgkmcnt(0)
	v_mul_f16_e32 v26, v40, v26
.LBB282_71:
	v_pk_min_f16 v27, v35, v22
	s_and_b64 vcc, exec, s[0:1]
	v_pk_add_f16 v27, v27, v55
	v_pk_min_f16 v55, v36, v23
	s_nop 0
	v_pk_add_f16 v27, v55, v27
	s_nop 0
	v_add_f16_sdwa v27, v27, v27 dst_sel:DWORD dst_unused:UNUSED_PAD src0_sel:DWORD src1_sel:WORD_1
	v_add_f16_e32 v55, v27, v26
	v_lshl_add_u64 v[26:27], v[14:15], 1, v[2:3]
	global_store_short v[26:27], v55, off
	v_mov_b32_e32 v26, 0
	v_mov_b32_e32 v27, 0
	s_cbranch_vccnz .LBB282_73
; %bb.72:
	v_lshl_add_u64 v[58:59], v[8:9], 1, v[0:1]
	flat_load_ushort v27, v[58:59]
	s_waitcnt vmcnt(0) lgkmcnt(0)
	v_mul_f16_e32 v27, v40, v27
.LBB282_73:
	v_pk_min_f16 v55, v37, v22
	s_and_b64 vcc, exec, s[0:1]
	v_pk_add_f16 v54, v55, v54
	v_pk_min_f16 v55, v38, v23
	s_nop 0
	v_pk_add_f16 v54, v55, v54
	s_nop 0
	v_add_f16_sdwa v54, v54, v54 dst_sel:DWORD dst_unused:UNUSED_PAD src0_sel:DWORD src1_sel:WORD_1
	v_add_f16_e32 v27, v54, v27
	v_lshl_add_u64 v[54:55], v[8:9], 1, v[2:3]
	global_store_short v[54:55], v27, off
	s_cbranch_vccnz .LBB282_75
; %bb.74:
	v_lshl_add_u64 v[26:27], v[10:11], 1, v[0:1]
	flat_load_ushort v26, v[26:27]
	s_waitcnt vmcnt(0) lgkmcnt(0)
	v_mul_f16_e32 v26, v40, v26
.LBB282_75:
	v_pk_min_f16 v27, v39, v22
	v_pk_min_f16 v54, v50, v23
	v_pk_add_f16 v27, v27, v56
	s_and_b64 vcc, exec, s[0:1]
	v_pk_add_f16 v27, v54, v27
	s_nop 0
	v_add_f16_sdwa v27, v27, v27 dst_sel:DWORD dst_unused:UNUSED_PAD src0_sel:DWORD src1_sel:WORD_1
	v_add_f16_e32 v54, v27, v26
	v_lshl_add_u64 v[26:27], v[10:11], 1, v[2:3]
	global_store_short v[26:27], v54, off
	v_mov_b32_e32 v26, 0
	v_mov_b32_e32 v27, 0
	s_cbranch_vccnz .LBB282_77
; %bb.76:
	v_lshl_add_u64 v[54:55], v[4:5], 1, v[0:1]
	flat_load_ushort v27, v[54:55]
	s_waitcnt vmcnt(0) lgkmcnt(0)
	v_mul_f16_e32 v27, v40, v27
.LBB282_77:
	v_pk_min_f16 v54, v51, v22
	s_and_b64 vcc, exec, s[0:1]
	v_pk_add_f16 v53, v54, v53
	v_pk_min_f16 v54, v52, v23
	s_nop 0
	v_pk_add_f16 v53, v54, v53
	v_lshl_add_u64 v[54:55], v[4:5], 1, v[2:3]
	v_add_f16_sdwa v53, v53, v53 dst_sel:DWORD dst_unused:UNUSED_PAD src0_sel:DWORD src1_sel:WORD_1
	v_add_f16_e32 v27, v53, v27
	global_store_short v[54:55], v27, off
	s_cbranch_vccnz .LBB282_79
; %bb.78:
	v_lshl_add_u64 v[0:1], v[6:7], 1, v[0:1]
	flat_load_ushort v0, v[0:1]
	s_waitcnt vmcnt(0) lgkmcnt(0)
	v_mul_f16_e32 v26, v40, v0
.LBB282_79:
	v_pk_min_f16 v0, v24, v22
	v_pk_min_f16 v1, v25, v23
	v_pk_add_f16 v0, v0, v49
	s_and_b64 vcc, exec, s[0:1]
	v_pk_add_f16 v0, v1, v0
	v_mov_b32_e32 v23, 0
	v_add_f16_sdwa v0, v0, v0 dst_sel:DWORD dst_unused:UNUSED_PAD src0_sel:DWORD src1_sel:WORD_1
	v_add_f16_e32 v22, v0, v26
	v_lshl_add_u64 v[0:1], v[6:7], 1, v[2:3]
	v_add_u32_e32 v2, 0x60, v28
	global_store_short v[0:1], v22, off
	v_mad_i64_i32 v[0:1], s[4:5], v2, s12, 0
	v_lshl_add_u64 v[0:1], v[0:1], 1, s[8:9]
	v_mov_b32_e32 v22, 0
	s_cbranch_vccnz .LBB282_81
; %bb.80:
	v_lshl_add_u64 v[26:27], v[16:17], 1, v[0:1]
	flat_load_ushort v3, v[26:27]
	s_waitcnt vmcnt(0) lgkmcnt(0)
	v_mul_f16_e32 v23, v40, v3
.LBB282_81:
	v_pk_max_f16 v18, v18, v18
	v_pk_max_f16 v19, v19, v19
	v_pk_min_f16 v3, v29, v18
	v_pk_min_f16 v26, v30, v19
	v_pk_add_f16 v3, v3, v48
	s_and_b64 vcc, exec, s[0:1]
	v_pk_add_f16 v26, v26, v3
	v_mad_i64_i32 v[2:3], s[4:5], v2, s13, 0
	v_lshl_add_u64 v[2:3], v[2:3], 1, s[2:3]
	v_add_f16_sdwa v26, v26, v26 dst_sel:DWORD dst_unused:UNUSED_PAD src0_sel:DWORD src1_sel:WORD_1
	v_add_f16_e32 v23, v26, v23
	v_lshl_add_u64 v[16:17], v[16:17], 1, v[2:3]
	global_store_short v[16:17], v23, off
	s_cbranch_vccnz .LBB282_83
; %bb.82:
	v_lshl_add_u64 v[16:17], v[20:21], 1, v[0:1]
	flat_load_ushort v16, v[16:17]
	s_waitcnt vmcnt(0) lgkmcnt(0)
	v_mul_f16_e32 v22, v40, v16
.LBB282_83:
	v_pk_min_f16 v16, v31, v18
	v_pk_min_f16 v17, v32, v19
	v_pk_add_f16 v16, v16, v45
	s_and_b64 vcc, exec, s[0:1]
	v_pk_add_f16 v16, v17, v16
	s_nop 0
	v_add_f16_sdwa v16, v16, v16 dst_sel:DWORD dst_unused:UNUSED_PAD src0_sel:DWORD src1_sel:WORD_1
	v_add_f16_e32 v22, v16, v22
	v_lshl_add_u64 v[16:17], v[20:21], 1, v[2:3]
	global_store_short v[16:17], v22, off
	v_mov_b32_e32 v16, 0
	v_mov_b32_e32 v17, 0
	s_cbranch_vccnz .LBB282_85
; %bb.84:
	v_lshl_add_u64 v[20:21], v[12:13], 1, v[0:1]
	flat_load_ushort v17, v[20:21]
	s_waitcnt vmcnt(0) lgkmcnt(0)
	v_mul_f16_e32 v17, v40, v17
.LBB282_85:
	v_pk_min_f16 v20, v33, v18
	v_pk_min_f16 v21, v34, v19
	v_pk_add_f16 v20, v20, v44
	v_lshl_add_u64 v[12:13], v[12:13], 1, v[2:3]
	v_pk_add_f16 v20, v21, v20
	s_and_b64 vcc, exec, s[0:1]
	v_add_f16_sdwa v20, v20, v20 dst_sel:DWORD dst_unused:UNUSED_PAD src0_sel:DWORD src1_sel:WORD_1
	v_add_f16_e32 v17, v20, v17
	global_store_short v[12:13], v17, off
	s_cbranch_vccnz .LBB282_87
; %bb.86:
	v_lshl_add_u64 v[12:13], v[14:15], 1, v[0:1]
	flat_load_ushort v12, v[12:13]
	s_waitcnt vmcnt(0) lgkmcnt(0)
	v_mul_f16_e32 v16, v40, v12
.LBB282_87:
	v_pk_min_f16 v12, v35, v18
	v_pk_min_f16 v13, v36, v19
	v_pk_add_f16 v12, v12, v42
	s_and_b64 vcc, exec, s[0:1]
	v_pk_add_f16 v12, v13, v12
	s_nop 0
	v_add_f16_sdwa v12, v12, v12 dst_sel:DWORD dst_unused:UNUSED_PAD src0_sel:DWORD src1_sel:WORD_1
	v_add_f16_e32 v16, v12, v16
	v_lshl_add_u64 v[12:13], v[14:15], 1, v[2:3]
	global_store_short v[12:13], v16, off
	v_mov_b32_e32 v12, 0
	v_mov_b32_e32 v13, 0
	s_cbranch_vccnz .LBB282_89
; %bb.88:
	v_lshl_add_u64 v[14:15], v[8:9], 1, v[0:1]
	flat_load_ushort v13, v[14:15]
	s_waitcnt vmcnt(0) lgkmcnt(0)
	v_mul_f16_e32 v13, v40, v13
.LBB282_89:
	v_pk_min_f16 v14, v37, v18
	v_pk_min_f16 v15, v38, v19
	v_pk_add_f16 v14, v14, v46
	v_lshl_add_u64 v[8:9], v[8:9], 1, v[2:3]
	v_pk_add_f16 v14, v15, v14
	s_and_b64 vcc, exec, s[0:1]
	v_add_f16_sdwa v14, v14, v14 dst_sel:DWORD dst_unused:UNUSED_PAD src0_sel:DWORD src1_sel:WORD_1
	v_add_f16_e32 v13, v14, v13
	global_store_short v[8:9], v13, off
	s_cbranch_vccnz .LBB282_91
; %bb.90:
	v_lshl_add_u64 v[8:9], v[10:11], 1, v[0:1]
	flat_load_ushort v8, v[8:9]
	s_waitcnt vmcnt(0) lgkmcnt(0)
	v_mul_f16_e32 v12, v40, v8
.LBB282_91:
	v_pk_min_f16 v8, v39, v18
	v_pk_min_f16 v9, v50, v19
	v_pk_add_f16 v8, v8, v43
	v_pk_min_f16 v13, v52, v19
	v_pk_add_f16 v8, v9, v8
	v_pk_min_f16 v9, v51, v18
	v_add_f16_sdwa v8, v8, v8 dst_sel:DWORD dst_unused:UNUSED_PAD src0_sel:DWORD src1_sel:WORD_1
	v_pk_add_f16 v9, v9, v47
	v_add_f16_e32 v12, v8, v12
	v_pk_add_f16 v13, v13, v9
	v_lshl_add_u64 v[8:9], v[10:11], 1, v[2:3]
	global_store_short v[8:9], v12, off
	v_add_f16_sdwa v8, v13, v13 dst_sel:DWORD dst_unused:UNUSED_PAD src0_sel:DWORD src1_sel:WORD_1
	s_mov_b64 vcc, s[6:7]
	s_cbranch_vccz .LBB282_94
; %bb.92:
	v_add_f16_e32 v9, 0, v8
	v_lshl_add_u64 v[10:11], v[4:5], 1, v[2:3]
	s_mov_b32 s2, 0
	global_store_short v[10:11], v9, off
	s_cbranch_execz .LBB282_95
; %bb.93:
	v_mov_b32_e32 v0, s2
	s_branch .LBB282_96
.LBB282_94:
                                        ; implicit-def: $sgpr2
.LBB282_95:
	v_lshlrev_b64 v[4:5], 1, v[4:5]
	v_lshl_add_u64 v[10:11], v[0:1], 0, v[4:5]
	flat_load_ushort v9, v[10:11]
	v_lshl_add_u64 v[4:5], v[2:3], 0, v[4:5]
	v_lshl_add_u64 v[0:1], v[6:7], 1, v[0:1]
	s_waitcnt vmcnt(0) lgkmcnt(0)
	v_fma_f16 v8, v40, v9, v8
	global_store_short v[4:5], v8, off
	flat_load_ushort v0, v[0:1]
	s_waitcnt vmcnt(0) lgkmcnt(0)
	v_mul_f16_e32 v0, v40, v0
.LBB282_96:
	v_pk_min_f16 v4, v24, v18
	v_pk_min_f16 v1, v25, v19
	v_pk_add_f16 v4, v4, v41
	s_nop 0
	v_pk_add_f16 v1, v1, v4
	s_nop 0
	v_add_f16_sdwa v1, v1, v1 dst_sel:DWORD dst_unused:UNUSED_PAD src0_sel:DWORD src1_sel:WORD_1
	v_add_f16_e32 v4, v1, v0
	v_lshl_add_u64 v[0:1], v[6:7], 1, v[2:3]
	global_store_short v[0:1], v4, off
	s_endpgm
	.section	.rodata,"a",@progbits
	.p2align	6, 0x0
	.amdhsa_kernel _ZN12_GLOBAL__N_120geam_min_plus_kernelIDF16_Dv2_DF16_S1_Li8ELi32ELi64ELi128ELi4ELi64ELi4ELi4ELi64ELc78ELc78ELb0ELb0ELb0EPKDF16_S2_DF16_EEviiiT16_PT17_ilS6_ilS4_S6_ilPT18_ili26rocblas_geam_ex_operation_
		.amdhsa_group_segment_fixed_size 3072
		.amdhsa_private_segment_fixed_size 0
		.amdhsa_kernarg_size 136
		.amdhsa_user_sgpr_count 2
		.amdhsa_user_sgpr_dispatch_ptr 0
		.amdhsa_user_sgpr_queue_ptr 0
		.amdhsa_user_sgpr_kernarg_segment_ptr 1
		.amdhsa_user_sgpr_dispatch_id 0
		.amdhsa_user_sgpr_kernarg_preload_length 0
		.amdhsa_user_sgpr_kernarg_preload_offset 0
		.amdhsa_user_sgpr_private_segment_size 0
		.amdhsa_uses_dynamic_stack 0
		.amdhsa_enable_private_segment 0
		.amdhsa_system_sgpr_workgroup_id_x 1
		.amdhsa_system_sgpr_workgroup_id_y 0
		.amdhsa_system_sgpr_workgroup_id_z 1
		.amdhsa_system_sgpr_workgroup_info 0
		.amdhsa_system_vgpr_workitem_id 1
		.amdhsa_next_free_vgpr 129
		.amdhsa_next_free_sgpr 26
		.amdhsa_accum_offset 132
		.amdhsa_reserve_vcc 1
		.amdhsa_float_round_mode_32 0
		.amdhsa_float_round_mode_16_64 0
		.amdhsa_float_denorm_mode_32 3
		.amdhsa_float_denorm_mode_16_64 3
		.amdhsa_dx10_clamp 1
		.amdhsa_ieee_mode 1
		.amdhsa_fp16_overflow 0
		.amdhsa_tg_split 0
		.amdhsa_exception_fp_ieee_invalid_op 0
		.amdhsa_exception_fp_denorm_src 0
		.amdhsa_exception_fp_ieee_div_zero 0
		.amdhsa_exception_fp_ieee_overflow 0
		.amdhsa_exception_fp_ieee_underflow 0
		.amdhsa_exception_fp_ieee_inexact 0
		.amdhsa_exception_int_div_zero 0
	.end_amdhsa_kernel
	.section	.text._ZN12_GLOBAL__N_120geam_min_plus_kernelIDF16_Dv2_DF16_S1_Li8ELi32ELi64ELi128ELi4ELi64ELi4ELi4ELi64ELc78ELc78ELb0ELb0ELb0EPKDF16_S2_DF16_EEviiiT16_PT17_ilS6_ilS4_S6_ilPT18_ili26rocblas_geam_ex_operation_,"axG",@progbits,_ZN12_GLOBAL__N_120geam_min_plus_kernelIDF16_Dv2_DF16_S1_Li8ELi32ELi64ELi128ELi4ELi64ELi4ELi4ELi64ELc78ELc78ELb0ELb0ELb0EPKDF16_S2_DF16_EEviiiT16_PT17_ilS6_ilS4_S6_ilPT18_ili26rocblas_geam_ex_operation_,comdat
.Lfunc_end282:
	.size	_ZN12_GLOBAL__N_120geam_min_plus_kernelIDF16_Dv2_DF16_S1_Li8ELi32ELi64ELi128ELi4ELi64ELi4ELi4ELi64ELc78ELc78ELb0ELb0ELb0EPKDF16_S2_DF16_EEviiiT16_PT17_ilS6_ilS4_S6_ilPT18_ili26rocblas_geam_ex_operation_, .Lfunc_end282-_ZN12_GLOBAL__N_120geam_min_plus_kernelIDF16_Dv2_DF16_S1_Li8ELi32ELi64ELi128ELi4ELi64ELi4ELi4ELi64ELc78ELc78ELb0ELb0ELb0EPKDF16_S2_DF16_EEviiiT16_PT17_ilS6_ilS4_S6_ilPT18_ili26rocblas_geam_ex_operation_
                                        ; -- End function
	.section	.AMDGPU.csdata,"",@progbits
; Kernel info:
; codeLenInByte = 8980
; NumSgprs: 32
; NumVgprs: 129
; NumAgprs: 0
; TotalNumVgprs: 129
; ScratchSize: 0
; MemoryBound: 0
; FloatMode: 240
; IeeeMode: 1
; LDSByteSize: 3072 bytes/workgroup (compile time only)
; SGPRBlocks: 3
; VGPRBlocks: 16
; NumSGPRsForWavesPerEU: 32
; NumVGPRsForWavesPerEU: 129
; AccumOffset: 132
; Occupancy: 3
; WaveLimiterHint : 0
; COMPUTE_PGM_RSRC2:SCRATCH_EN: 0
; COMPUTE_PGM_RSRC2:USER_SGPR: 2
; COMPUTE_PGM_RSRC2:TRAP_HANDLER: 0
; COMPUTE_PGM_RSRC2:TGID_X_EN: 1
; COMPUTE_PGM_RSRC2:TGID_Y_EN: 0
; COMPUTE_PGM_RSRC2:TGID_Z_EN: 1
; COMPUTE_PGM_RSRC2:TIDIG_COMP_CNT: 1
; COMPUTE_PGM_RSRC3_GFX90A:ACCUM_OFFSET: 32
; COMPUTE_PGM_RSRC3_GFX90A:TG_SPLIT: 0
	.section	.text._ZN12_GLOBAL__N_120geam_min_plus_kernelIDF16_Dv2_DF16_S1_Li8ELi32ELi64ELi128ELi4ELi64ELi4ELi4ELi64ELc78ELc78ELb1ELb0ELb0EDF16_KDF16_DF16_EEviiiT16_PT17_ilS5_ilS3_S5_ilPT18_ili26rocblas_geam_ex_operation_,"axG",@progbits,_ZN12_GLOBAL__N_120geam_min_plus_kernelIDF16_Dv2_DF16_S1_Li8ELi32ELi64ELi128ELi4ELi64ELi4ELi4ELi64ELc78ELc78ELb1ELb0ELb0EDF16_KDF16_DF16_EEviiiT16_PT17_ilS5_ilS3_S5_ilPT18_ili26rocblas_geam_ex_operation_,comdat
	.globl	_ZN12_GLOBAL__N_120geam_min_plus_kernelIDF16_Dv2_DF16_S1_Li8ELi32ELi64ELi128ELi4ELi64ELi4ELi4ELi64ELc78ELc78ELb1ELb0ELb0EDF16_KDF16_DF16_EEviiiT16_PT17_ilS5_ilS3_S5_ilPT18_ili26rocblas_geam_ex_operation_ ; -- Begin function _ZN12_GLOBAL__N_120geam_min_plus_kernelIDF16_Dv2_DF16_S1_Li8ELi32ELi64ELi128ELi4ELi64ELi4ELi4ELi64ELc78ELc78ELb1ELb0ELb0EDF16_KDF16_DF16_EEviiiT16_PT17_ilS5_ilS3_S5_ilPT18_ili26rocblas_geam_ex_operation_
	.p2align	8
	.type	_ZN12_GLOBAL__N_120geam_min_plus_kernelIDF16_Dv2_DF16_S1_Li8ELi32ELi64ELi128ELi4ELi64ELi4ELi4ELi64ELc78ELc78ELb1ELb0ELb0EDF16_KDF16_DF16_EEviiiT16_PT17_ilS5_ilS3_S5_ilPT18_ili26rocblas_geam_ex_operation_,@function
_ZN12_GLOBAL__N_120geam_min_plus_kernelIDF16_Dv2_DF16_S1_Li8ELi32ELi64ELi128ELi4ELi64ELi4ELi4ELi64ELc78ELc78ELb1ELb0ELb0EDF16_KDF16_DF16_EEviiiT16_PT17_ilS5_ilS3_S5_ilPT18_ili26rocblas_geam_ex_operation_: ; @_ZN12_GLOBAL__N_120geam_min_plus_kernelIDF16_Dv2_DF16_S1_Li8ELi32ELi64ELi128ELi4ELi64ELi4ELi4ELi64ELc78ELc78ELb1ELb0ELb0EDF16_KDF16_DF16_EEviiiT16_PT17_ilS5_ilS3_S5_ilPT18_ili26rocblas_geam_ex_operation_
; %bb.0:
	s_load_dwordx2 s[14:15], s[0:1], 0x8
	s_load_dwordx4 s[4:7], s[0:1], 0x20
	s_waitcnt lgkmcnt(0)
	v_cmp_eq_f16_e64 s[8:9], s15, 0
	s_and_b64 vcc, exec, s[8:9]
	s_cbranch_vccnz .LBB283_3
; %bb.1:
	s_load_dwordx2 s[10:11], s[0:1], 0x10
	s_mul_i32 s5, s3, s5
	s_mul_hi_u32 s12, s3, s4
	s_add_i32 s5, s12, s5
	s_mul_i32 s4, s3, s4
	s_lshl_b64 s[4:5], s[4:5], 1
	s_waitcnt lgkmcnt(0)
	s_add_u32 s16, s10, s4
	s_addc_u32 s17, s11, s5
	s_andn2_b64 vcc, exec, s[8:9]
	s_cbranch_vccnz .LBB283_4
.LBB283_2:
	s_mov_b32 s13, 0
	s_mov_b64 s[18:19], 0
	s_cbranch_execz .LBB283_5
	s_branch .LBB283_6
.LBB283_3:
	s_mov_b64 s[16:17], 0
	s_andn2_b64 vcc, exec, s[8:9]
	s_cbranch_vccz .LBB283_2
.LBB283_4:
                                        ; implicit-def: $sgpr18_sgpr19
                                        ; implicit-def: $sgpr12_sgpr13
.LBB283_5:
	s_load_dwordx2 s[4:5], s[0:1], 0x38
	s_mov_b32 s13, 0
	s_waitcnt lgkmcnt(0)
	s_mul_i32 s5, s3, s5
	s_mul_hi_u32 s8, s3, s4
	s_add_i32 s5, s8, s5
	s_mul_i32 s4, s3, s4
	s_lshl_b64 s[4:5], s[4:5], 1
	s_add_u32 s18, s6, s4
	s_addc_u32 s19, s7, s5
.LBB283_6:
	s_load_dword s12, s[0:1], 0x40
	s_load_dwordx4 s[8:11], s[0:1], 0x58
	s_waitcnt lgkmcnt(0)
	v_cmp_eq_f16_e64 s[4:5], s12, 0
	s_and_b64 s[4:5], exec, s[4:5]
	s_mov_b64 vcc, s[4:5]
	s_cbranch_vccnz .LBB283_8
; %bb.7:
	s_load_dwordx2 s[6:7], s[0:1], 0x48
	s_mul_i32 s9, s3, s9
	s_mul_hi_u32 s15, s3, s8
	s_add_i32 s9, s15, s9
	s_mul_i32 s15, s13, s8
	s_add_i32 s9, s9, s15
	s_mul_i32 s8, s3, s8
	s_lshl_b64 s[8:9], s[8:9], 1
	s_waitcnt lgkmcnt(0)
	s_add_u32 s6, s6, s8
	s_addc_u32 s7, s7, s9
	s_branch .LBB283_9
.LBB283_8:
	s_mov_b64 s[6:7], 0
.LBB283_9:
	s_load_dword s8, s[0:1], 0x0
	s_load_dword s20, s[0:1], 0x18
	;; [unrolled: 1-line block ×3, first 2 shown]
	v_and_b32_e32 v41, 0x3ff, v0
	v_bfe_u32 v42, v0, 10, 10
	s_waitcnt lgkmcnt(0)
	s_add_i32 s8, s8, -1
	s_ashr_i32 s9, s8, 31
	s_lshr_b32 s9, s9, 26
	s_add_i32 s8, s8, s9
	s_ashr_i32 s8, s8, 6
	s_add_i32 s9, s8, 1
	v_cvt_f32_u32_e32 v1, s9
	s_not_b32 s8, s8
	v_lshlrev_b32_e32 v40, 3, v42
	v_and_b32_e32 v4, 3, v41
	v_rcp_iflag_f32_e32 v0, v1
	v_add_u32_e32 v1, v40, v41
	v_and_b32_e32 v7, 63, v1
	v_lshrrev_b32_e32 v6, 6, v1
	v_mul_f32_e32 v0, 0x4f7ffffe, v0
	v_cvt_u32_f32_e32 v0, v0
	v_lshrrev_b32_e32 v16, 2, v1
	v_lshlrev_b32_e32 v24, 1, v4
	v_mov_b32_e32 v25, 0
	v_readfirstlane_b32 s15, v0
	s_mul_i32 s8, s8, s15
	s_mul_hi_u32 s8, s15, s8
	s_add_i32 s15, s15, s8
	s_mul_hi_u32 s8, s2, s15
	s_mul_i32 s15, s8, s9
	s_sub_i32 s15, s2, s15
	s_add_i32 s22, s8, 1
	s_sub_i32 s23, s15, s9
	s_cmp_ge_u32 s15, s9
	s_cselect_b32 s8, s22, s8
	s_cselect_b32 s15, s23, s15
	s_add_i32 s22, s8, 1
	s_cmp_ge_u32 s15, s9
	s_cselect_b32 s8, s22, s8
	s_mul_i32 s9, s8, s9
	s_sub_i32 s2, s2, s9
	s_lshl_b32 s2, s2, 6
	s_lshl_b32 s15, s8, 7
	v_or_b32_e32 v0, s2, v7
	v_mad_i64_i32 v[2:3], s[8:9], s20, v6, 0
	v_ashrrev_i32_e32 v1, 31, v0
	v_add_u32_e32 v5, s15, v16
	v_lshl_add_u64 v[2:3], v[2:3], 1, s[16:17]
	v_lshlrev_b64 v[8:9], 1, v[0:1]
	v_add_u32_e32 v4, 64, v5
	v_lshl_add_u64 v[10:11], v[2:3], 0, v[8:9]
	v_lshl_add_u64 v[12:13], s[18:19], 0, v[24:25]
	v_mad_i64_i32 v[2:3], s[8:9], v5, s21, 0
	v_mad_i64_i32 v[4:5], s[8:9], v4, s21, 0
	v_lshl_add_u64 v[14:15], v[2:3], 1, v[12:13]
	v_lshl_add_u64 v[12:13], v[4:5], 1, v[12:13]
	flat_load_ushort v17, v[14:15]
	flat_load_ushort v18, v[12:13]
	flat_load_ushort v19, v[10:11]
	v_add_u32_e32 v10, 4, v6
	v_mad_i64_i32 v[10:11], s[8:9], s20, v10, 0
	v_lshl_add_u64 v[10:11], v[10:11], 1, s[16:17]
	v_lshl_add_u64 v[8:9], v[10:11], 0, v[8:9]
	flat_load_ushort v34, v[12:13] offset:8
	flat_load_ushort v35, v[14:15] offset:8
	flat_load_ushort v36, v[8:9]
	v_lshlrev_b32_e32 v43, 3, v41
	v_lshlrev_b32_e32 v7, 3, v7
	v_lshl_or_b32 v45, v16, 3, v24
	v_add_u32_e32 v44, 0x800, v43
	v_lshl_add_u32 v7, v6, 1, v7
	s_cmp_lt_i32 s14, 9
	s_waitcnt vmcnt(0) lgkmcnt(0)
	ds_write_b16 v45, v17
	ds_write_b16 v45, v18 offset:512
	ds_write_b16 v7, v19 offset:2048
	s_waitcnt lgkmcnt(0)
	s_barrier
	ds_read2_b64 v[8:11], v40 offset1:32
	ds_read2_b64 v[12:15], v40 offset0:64 offset1:96
	ds_read2_b64 v[16:19], v44 offset1:8
	ds_read2_b64 v[20:23], v44 offset0:16 offset1:24
	ds_read2_b64 v[26:29], v44 offset0:32 offset1:40
	;; [unrolled: 1-line block ×3, first 2 shown]
	s_waitcnt lgkmcnt(5)
	v_pk_max_f16 v8, v8, v8
	v_pk_max_f16 v10, v10, v10
	s_waitcnt lgkmcnt(4)
	v_pk_max_f16 v12, v12, v12
	s_waitcnt lgkmcnt(3)
	;; [unrolled: 2-line block ×3, first 2 shown]
	v_pk_max_f16 v32, v32, v32
	v_pk_max_f16 v14, v14, v14
	;; [unrolled: 1-line block ×8, first 2 shown]
	v_pk_min_f16 v52, v32, v8
	v_pk_max_f16 v30, v30, v30
	v_pk_max_f16 v33, v33, v33
	;; [unrolled: 1-line block ×3, first 2 shown]
	v_pk_min_f16 v37, v16, v8
	v_pk_min_f16 v38, v16, v10
	;; [unrolled: 1-line block ×31, first 2 shown]
	v_pk_add_f16 v32, v52, 0
	v_pk_min_f16 v52, v33, v9
	v_pk_max_f16 v13, v13, v13
	v_pk_add_f16 v68, v52, v32
	v_pk_add_f16 v32, v53, 0
	v_pk_min_f16 v52, v33, v11
	v_pk_max_f16 v17, v17, v17
	v_pk_add_f16 v62, v52, v32
	;; [unrolled: 4-line block ×4, first 2 shown]
	v_pk_add_f16 v32, v38, 0
	v_pk_min_f16 v37, v17, v11
	v_pk_add_f16 v16, v16, 0
	v_pk_add_f16 v65, v37, v32
	v_pk_min_f16 v37, v17, v13
	v_pk_min_f16 v17, v17, v15
	v_pk_max_f16 v21, v21, v21
	v_pk_add_f16 v52, v17, v16
	v_pk_add_f16 v16, v46, 0
	v_pk_min_f16 v17, v19, v9
	v_pk_max_f16 v23, v23, v23
	v_pk_add_f16 v78, v17, v16
	v_pk_add_f16 v16, v47, 0
	;; [unrolled: 4-line block ×4, first 2 shown]
	v_pk_min_f16 v17, v19, v15
	v_pk_add_f16 v8, v8, 0
	v_pk_add_f16 v53, v17, v16
	v_pk_add_f16 v16, v49, 0
	v_pk_min_f16 v17, v21, v9
	v_pk_add_f16 v10, v10, 0
	v_pk_add_f16 v77, v17, v16
	v_pk_add_f16 v16, v50, 0
	;; [unrolled: 4-line block ×6, first 2 shown]
	v_pk_min_f16 v17, v23, v11
	ds_write_b16 v7, v36 offset:2560
	ds_write_b16 v45, v35 offset:1024
	;; [unrolled: 1-line block ×3, first 2 shown]
	v_pk_add_f16 v70, v17, v16
	v_pk_add_f16 v16, v56, 0
	v_pk_min_f16 v17, v23, v13
	s_waitcnt lgkmcnt(0)
	v_pk_add_f16 v63, v17, v16
	v_pk_add_f16 v16, v22, 0
	v_pk_min_f16 v17, v23, v15
	s_barrier
	v_pk_add_f16 v55, v17, v16
	v_pk_add_f16 v16, v61, 0
	v_pk_min_f16 v17, v27, v9
	s_nop 0
	v_pk_add_f16 v75, v17, v16
	v_pk_add_f16 v16, v64, 0
	v_pk_min_f16 v17, v27, v11
	s_nop 0
	;; [unrolled: 4-line block ×8, first 2 shown]
	v_pk_add_f16 v56, v17, v16
	v_pk_max_f16 v17, v31, v31
	v_pk_add_f16 v16, v30, 0
	v_pk_min_f16 v9, v17, v9
	s_nop 0
	v_pk_add_f16 v85, v9, v8
	v_pk_min_f16 v8, v17, v11
	s_nop 0
	;; [unrolled: 3-line block ×5, first 2 shown]
	v_pk_add_f16 v72, v8, v14
	s_cbranch_scc1 .LBB283_12
; %bb.10:
	v_lshl_add_u64 v[26:27], v[0:1], 1, s[16:17]
	v_mov_b32_e32 v0, 0xa00
	v_lshl_add_u32 v49, v41, 3, v0
	v_add_u32_e32 v0, 8, v6
	v_mad_i64_i32 v[0:1], s[8:9], v0, s20, 0
	v_lshlrev_b64 v[32:33], 1, v[0:1]
	v_add_u32_e32 v0, 12, v6
	s_ashr_i32 s21, s20, 31
	v_mad_i64_i32 v[0:1], s[16:17], v0, s20, 0
	v_or_b32_e32 v46, 0x800, v7
	v_add_u32_e32 v47, 0xa00, v7
	v_add_u32_e32 v48, 0x400, v45
	s_add_i32 s14, s14, -8
	v_add_u32_e32 v50, 0x400, v40
	v_lshl_add_u64 v[28:29], v[4:5], 1, s[18:19]
	v_lshl_add_u64 v[30:31], v[2:3], 1, s[18:19]
	s_lshl_b64 s[8:9], s[20:21], 4
	v_lshlrev_b64 v[34:35], 1, v[0:1]
	s_mov_b32 s16, 0
.LBB283_11:                             ; =>This Inner Loop Header: Depth=1
	v_lshl_add_u64 v[0:1], v[26:27], 0, v[32:33]
	flat_load_ushort v82, v[0:1]
	v_lshl_add_u64 v[36:37], v[30:31], 0, v[24:25]
	flat_load_ushort v83, v[36:37] offset:16
	v_lshl_add_u64 v[38:39], v[28:29], 0, v[24:25]
	flat_load_ushort v84, v[38:39] offset:16
	ds_read2_b64 v[0:3], v49 offset0:48 offset1:56
	ds_read2_b64 v[4:7], v50 offset0:64 offset1:96
	ds_read2_b64 v[20:23], v50 offset1:32
	ds_read2_b64 v[16:19], v49 offset1:8
	ds_read2_b64 v[12:15], v49 offset0:16 offset1:24
	s_waitcnt lgkmcnt(0)
	v_pk_max_f16 v2, v2, v2
	v_pk_max_f16 v4, v4, v4
	;; [unrolled: 1-line block ×4, first 2 shown]
	v_pk_min_f16 v8, v2, v20
	v_pk_max_f16 v6, v6, v6
	v_pk_add_f16 v68, v8, v68
	v_pk_min_f16 v8, v2, v22
	v_pk_max_f16 v0, v0, v0
	v_pk_add_f16 v62, v8, v62
	v_pk_min_f16 v8, v2, v4
	v_pk_min_f16 v2, v2, v6
	v_pk_add_f16 v57, v8, v57
	v_pk_max_f16 v8, v16, v16
	v_pk_max_f16 v3, v3, v3
	v_pk_min_f16 v9, v8, v20
	v_pk_max_f16 v5, v5, v5
	v_pk_add_f16 v16, v9, v74
	v_pk_min_f16 v9, v8, v22
	v_pk_max_f16 v17, v17, v17
	v_pk_add_f16 v65, v9, v65
	v_pk_min_f16 v9, v8, v4
	v_pk_min_f16 v8, v8, v6
	v_pk_add_f16 v58, v9, v58
	v_pk_add_f16 v52, v8, v52
	v_pk_max_f16 v8, v18, v18
	v_pk_max_f16 v7, v7, v7
	v_pk_min_f16 v9, v8, v20
	v_pk_add_f16 v2, v2, v72
	v_pk_add_f16 v18, v9, v78
	v_pk_min_f16 v9, v8, v22
	v_pk_max_f16 v13, v13, v13
	v_pk_add_f16 v67, v9, v67
	v_pk_min_f16 v9, v8, v4
	v_pk_min_f16 v8, v8, v6
	v_pk_add_f16 v60, v9, v60
	v_pk_add_f16 v53, v8, v53
	v_pk_max_f16 v8, v12, v12
	v_pk_max_f16 v1, v1, v1
	v_pk_min_f16 v9, v8, v20
	s_add_i32 s16, s16, 8
	v_pk_add_f16 v12, v9, v77
	v_pk_min_f16 v9, v8, v22
	v_lshl_add_u64 v[28:29], v[28:29], 0, 16
	v_pk_add_f16 v66, v9, v66
	v_pk_min_f16 v9, v8, v4
	v_pk_min_f16 v8, v8, v6
	v_pk_add_f16 v59, v9, v59
	v_pk_add_f16 v51, v8, v51
	v_pk_max_f16 v8, v14, v14
	v_lshl_add_u64 v[30:31], v[30:31], 0, 16
	v_pk_min_f16 v9, v8, v20
	s_cmp_ge_i32 s16, s14
	v_pk_add_f16 v14, v9, v79
	v_pk_min_f16 v9, v8, v22
	s_nop 0
	v_pk_add_f16 v70, v9, v70
	v_pk_min_f16 v9, v8, v4
	v_pk_min_f16 v8, v8, v6
	v_pk_add_f16 v63, v9, v63
	v_pk_add_f16 v55, v8, v55
	ds_read2_b64 v[8:11], v49 offset0:32 offset1:40
	s_waitcnt vmcnt(0)
	ds_write_b16 v46, v82
	ds_write_b16 v45, v83
	ds_write_b16 v45, v84 offset:512
	s_waitcnt lgkmcnt(3)
	v_pk_max_f16 v8, v8, v8
	v_pk_max_f16 v10, v10, v10
	v_pk_min_f16 v74, v8, v20
	v_pk_max_f16 v9, v9, v9
	v_pk_add_f16 v74, v74, v75
	v_pk_min_f16 v75, v8, v22
	s_waitcnt lgkmcnt(0)
	v_pk_add_f16 v69, v75, v69
	v_pk_min_f16 v75, v8, v4
	v_pk_min_f16 v8, v8, v6
	v_pk_add_f16 v61, v75, v61
	v_pk_min_f16 v75, v10, v22
	v_pk_add_f16 v8, v8, v54
	;; [unrolled: 2-line block ×3, first 2 shown]
	v_pk_min_f16 v75, v10, v4
	v_pk_min_f16 v10, v10, v6
	;; [unrolled: 1-line block ×6, first 2 shown]
	v_pk_max_f16 v6, v21, v21
	v_pk_add_f16 v10, v10, v56
	v_pk_min_f16 v21, v3, v6
	v_pk_add_f16 v0, v0, v73
	v_pk_add_f16 v56, v21, v68
	v_pk_max_f16 v21, v23, v23
	v_pk_add_f16 v64, v75, v64
	v_pk_min_f16 v23, v3, v21
	v_pk_add_f16 v54, v54, v76
	v_pk_add_f16 v62, v23, v62
	v_pk_min_f16 v23, v3, v5
	v_pk_add_f16 v20, v20, v85
	;; [unrolled: 3-line block ×3, first 2 shown]
	v_pk_add_f16 v68, v23, v16
	v_pk_min_f16 v16, v17, v21
	s_barrier
	v_pk_add_f16 v65, v16, v65
	v_pk_min_f16 v16, v17, v5
	s_nop 0
	v_pk_add_f16 v58, v16, v58
	v_pk_min_f16 v16, v17, v7
	v_pk_add_f16 v4, v4, v80
	v_pk_add_f16 v52, v16, v52
	v_pk_max_f16 v16, v19, v19
	s_nop 0
	v_pk_min_f16 v17, v16, v6
	s_nop 0
	v_pk_add_f16 v72, v17, v18
	v_pk_min_f16 v17, v16, v21
	s_nop 0
	v_pk_add_f16 v67, v17, v67
	v_pk_min_f16 v17, v16, v5
	v_pk_min_f16 v16, v16, v7
	v_pk_add_f16 v60, v17, v60
	v_pk_add_f16 v53, v16, v53
	v_pk_min_f16 v16, v13, v6
	s_nop 0
	v_pk_add_f16 v73, v16, v12
	v_pk_min_f16 v12, v13, v21
	s_nop 0
	;; [unrolled: 3-line block ×4, first 2 shown]
	v_pk_add_f16 v51, v12, v51
	v_pk_max_f16 v12, v15, v15
	s_nop 0
	v_pk_min_f16 v13, v12, v6
	s_nop 0
	v_pk_add_f16 v75, v13, v14
	v_pk_min_f16 v13, v12, v21
	s_nop 0
	v_pk_add_f16 v70, v13, v70
	v_pk_min_f16 v13, v12, v5
	v_pk_min_f16 v12, v12, v7
	v_pk_add_f16 v63, v13, v63
	v_pk_add_f16 v55, v12, v55
	v_pk_min_f16 v12, v9, v6
	s_nop 0
	v_pk_add_f16 v74, v12, v74
	v_pk_min_f16 v12, v9, v21
	s_nop 0
	v_pk_add_f16 v69, v12, v69
	v_pk_min_f16 v12, v9, v5
	v_pk_min_f16 v9, v9, v7
	v_pk_add_f16 v61, v12, v61
	v_pk_add_f16 v76, v9, v8
	v_pk_max_f16 v8, v11, v11
	s_nop 0
	v_pk_min_f16 v9, v8, v6
	v_pk_min_f16 v6, v1, v6
	v_pk_add_f16 v54, v9, v54
	v_pk_min_f16 v9, v8, v21
	v_pk_add_f16 v78, v6, v20
	v_pk_add_f16 v71, v9, v71
	v_pk_min_f16 v9, v8, v5
	v_pk_min_f16 v6, v1, v21
	;; [unrolled: 1-line block ×4, first 2 shown]
	v_pk_add_f16 v79, v6, v22
	v_pk_add_f16 v81, v1, v0
	v_pk_min_f16 v0, v3, v7
	v_pk_add_f16 v80, v5, v4
	v_pk_add_f16 v85, v0, v2
	v_lshl_add_u64 v[0:1], v[26:27], 0, v[34:35]
	flat_load_ushort v82, v[0:1]
	flat_load_ushort v83, v[36:37] offset:24
	flat_load_ushort v84, v[38:39] offset:24
	ds_read2_b64 v[0:3], v44 offset0:48 offset1:56
	ds_read2_b64 v[12:15], v40 offset0:64 offset1:96
	ds_read2_b64 v[20:23], v40 offset1:32
	ds_read2_b64 v[16:19], v44 offset1:8
	v_pk_min_f16 v8, v8, v7
	s_waitcnt lgkmcnt(0)
	v_pk_max_f16 v36, v2, v2
	v_pk_max_f16 v12, v12, v12
	;; [unrolled: 1-line block ×4, first 2 shown]
	v_pk_min_f16 v2, v36, v20
	v_pk_add_f16 v64, v9, v64
	v_pk_add_f16 v37, v2, v56
	v_pk_max_f16 v2, v22, v22
	v_pk_add_f16 v77, v8, v10
	v_pk_min_f16 v4, v36, v2
	ds_read2_b64 v[8:11], v44 offset0:16 offset1:24
	v_pk_add_f16 v22, v4, v62
	v_pk_min_f16 v4, v36, v12
	v_pk_max_f16 v0, v0, v0
	v_pk_add_f16 v38, v4, v57
	v_pk_max_f16 v4, v16, v16
	v_pk_max_f16 v3, v3, v3
	v_pk_min_f16 v5, v4, v20
	v_pk_max_f16 v13, v13, v13
	v_pk_add_f16 v16, v5, v68
	v_pk_min_f16 v5, v4, v2
	v_pk_max_f16 v17, v17, v17
	v_pk_add_f16 v39, v5, v65
	v_pk_min_f16 v5, v4, v12
	v_pk_min_f16 v4, v4, v14
	v_pk_add_f16 v56, v5, v58
	v_pk_add_f16 v52, v4, v52
	v_pk_max_f16 v4, v18, v18
	s_waitcnt lgkmcnt(0)
	v_pk_max_f16 v9, v9, v9
	v_pk_min_f16 v5, v4, v20
	v_pk_max_f16 v1, v1, v1
	v_pk_add_f16 v18, v5, v72
	v_pk_min_f16 v5, v4, v2
	v_lshl_add_u64 v[26:27], v[26:27], 0, s[8:9]
	v_pk_add_f16 v67, v5, v67
	v_pk_min_f16 v5, v4, v12
	v_pk_min_f16 v4, v4, v14
	v_pk_add_f16 v60, v5, v60
	v_pk_add_f16 v53, v4, v53
	v_pk_max_f16 v4, v8, v8
	s_nop 0
	v_pk_min_f16 v5, v4, v20
	s_nop 0
	v_pk_add_f16 v72, v5, v73
	v_pk_min_f16 v5, v4, v2
	s_nop 0
	v_pk_add_f16 v66, v5, v66
	v_pk_min_f16 v5, v4, v12
	v_pk_min_f16 v4, v4, v14
	v_pk_add_f16 v59, v5, v59
	v_pk_add_f16 v51, v4, v51
	v_pk_max_f16 v4, v10, v10
	v_pk_max_f16 v10, v21, v21
	v_pk_min_f16 v5, v4, v20
	s_nop 0
	v_pk_add_f16 v73, v5, v75
	v_pk_min_f16 v5, v4, v2
	s_nop 0
	v_pk_add_f16 v70, v5, v70
	v_pk_min_f16 v5, v4, v12
	v_pk_min_f16 v4, v4, v14
	v_pk_add_f16 v63, v5, v63
	v_pk_add_f16 v55, v4, v55
	ds_read2_b64 v[4:7], v44 offset0:32 offset1:40
	s_waitcnt vmcnt(0)
	ds_write_b16 v47, v82
	ds_write_b16 v48, v83
	ds_write_b16 v48, v84 offset:512
	s_waitcnt lgkmcnt(3)
	v_pk_max_f16 v4, v4, v4
	v_pk_max_f16 v5, v5, v5
	v_pk_min_f16 v8, v4, v20
	s_waitcnt lgkmcnt(0)
	v_pk_add_f16 v75, v8, v74
	v_pk_min_f16 v8, v4, v2
	s_barrier
	v_pk_add_f16 v69, v8, v69
	v_pk_min_f16 v8, v4, v12
	v_pk_min_f16 v4, v4, v14
	v_pk_add_f16 v61, v8, v61
	v_pk_add_f16 v76, v4, v76
	v_pk_max_f16 v4, v6, v6
	s_nop 0
	v_pk_min_f16 v6, v4, v20
	s_nop 0
	v_pk_add_f16 v86, v6, v54
	v_pk_min_f16 v6, v4, v2
	v_pk_min_f16 v2, v0, v2
	v_pk_add_f16 v71, v6, v71
	v_pk_min_f16 v6, v4, v12
	v_pk_min_f16 v4, v4, v14
	v_pk_add_f16 v64, v6, v64
	v_pk_add_f16 v6, v2, v79
	v_pk_min_f16 v2, v0, v12
	v_pk_min_f16 v12, v3, v10
	v_pk_add_f16 v87, v4, v77
	v_pk_min_f16 v4, v0, v20
	v_pk_min_f16 v0, v0, v14
	v_pk_add_f16 v68, v12, v37
	v_pk_max_f16 v12, v23, v23
	v_pk_add_f16 v8, v4, v78
	v_pk_add_f16 v4, v2, v80
	;; [unrolled: 1-line block ×3, first 2 shown]
	v_pk_min_f16 v0, v36, v14
	v_pk_min_f16 v14, v3, v12
	v_pk_add_f16 v0, v0, v85
	v_pk_add_f16 v62, v14, v22
	v_pk_min_f16 v14, v3, v13
	s_nop 0
	v_pk_add_f16 v57, v14, v38
	v_pk_min_f16 v14, v17, v10
	s_nop 0
	;; [unrolled: 3-line block ×4, first 2 shown]
	v_pk_add_f16 v58, v14, v56
	v_pk_max_f16 v14, v15, v15
	s_nop 0
	v_pk_min_f16 v15, v17, v14
	s_nop 0
	v_pk_add_f16 v52, v15, v52
	v_pk_max_f16 v15, v19, v19
	s_nop 0
	v_pk_min_f16 v16, v15, v10
	s_nop 0
	v_pk_add_f16 v78, v16, v18
	v_pk_min_f16 v16, v15, v12
	s_nop 0
	v_pk_add_f16 v67, v16, v67
	v_pk_min_f16 v16, v15, v13
	v_pk_min_f16 v15, v15, v14
	v_pk_add_f16 v60, v16, v60
	v_pk_add_f16 v53, v15, v53
	v_pk_min_f16 v15, v9, v10
	s_nop 0
	v_pk_add_f16 v77, v15, v72
	v_pk_min_f16 v15, v9, v12
	s_nop 0
	v_pk_add_f16 v66, v15, v66
	v_pk_min_f16 v15, v9, v13
	v_pk_min_f16 v9, v9, v14
	v_pk_add_f16 v59, v15, v59
	v_pk_add_f16 v51, v9, v51
	v_pk_max_f16 v9, v11, v11
	s_nop 0
	v_pk_min_f16 v11, v9, v10
	s_nop 0
	v_pk_add_f16 v79, v11, v73
	v_pk_min_f16 v11, v9, v12
	s_nop 0
	v_pk_add_f16 v70, v11, v70
	v_pk_min_f16 v11, v9, v13
	v_pk_min_f16 v9, v9, v14
	v_pk_add_f16 v63, v11, v63
	v_pk_add_f16 v55, v9, v55
	v_pk_min_f16 v9, v5, v10
	s_nop 0
	v_pk_add_f16 v75, v9, v75
	v_pk_min_f16 v9, v5, v12
	s_nop 0
	v_pk_add_f16 v69, v9, v69
	v_pk_min_f16 v9, v5, v13
	v_pk_min_f16 v5, v5, v14
	v_pk_add_f16 v61, v9, v61
	;; [unrolled: 22-line block ×3, first 2 shown]
	v_pk_add_f16 v73, v1, v2
	v_pk_min_f16 v1, v3, v14
	s_nop 0
	v_pk_add_f16 v72, v1, v0
	s_cbranch_scc0 .LBB283_11
.LBB283_12:
	s_load_dword s14, s[0:1], 0x50
	ds_read_b64 v[20:21], v40 offset:1024
	ds_read_b64 v[26:27], v43 offset:2560
	v_add_u32_e32 v28, s15, v42
	v_cmp_neq_f16_e64 s[8:9], s12, 0
	v_add_u32_e32 v16, s2, v41
	s_waitcnt lgkmcnt(0)
	v_mad_i64_i32 v[0:1], s[16:17], v28, s14, 0
	v_ashrrev_i32_e32 v17, 31, v16
	v_lshl_add_u64 v[22:23], v[0:1], 1, s[6:7]
	s_and_b64 vcc, exec, s[8:9]
	v_mov_b32_e32 v33, 0
	v_mov_b32_e32 v31, 0
	s_cbranch_vccz .LBB283_14
; %bb.13:
	v_lshl_add_u64 v[0:1], v[16:17], 1, v[22:23]
	flat_load_ushort v0, v[0:1]
	s_waitcnt vmcnt(0) lgkmcnt(0)
	v_mul_f16_e32 v31, s12, v0
.LBB283_14:
	ds_read_b64 v[24:25], v43 offset:3008
	ds_read_b64 v[18:19], v40 offset:1792
	ds_read2_b64 v[0:3], v40 offset0:160 offset1:192
	s_load_dword s15, s[0:1], 0x68
	s_load_dwordx2 s[16:17], s[0:1], 0x70
	v_add_u32_e32 v4, 0x800, v43
	v_pk_max_f16 v43, v20, v20
	v_pk_max_f16 v29, v26, v26
	ds_read2_b64 v[12:15], v4 offset0:72 offset1:80
	ds_read2_b64 v[8:11], v4 offset0:88 offset1:96
	;; [unrolled: 1-line block ×3, first 2 shown]
	s_waitcnt lgkmcnt(0)
	s_mul_i32 s0, s3, s17
	s_mul_hi_u32 s1, s3, s16
	s_add_i32 s0, s1, s0
	s_mul_i32 s1, s13, s16
	s_add_i32 s1, s0, s1
	s_mul_i32 s0, s3, s16
	v_pk_min_f16 v20, v29, v43
	v_pk_max_f16 v44, v21, v21
	v_pk_max_f16 v30, v27, v27
	s_lshl_b64 s[0:1], s[0:1], 1
	v_pk_add_f16 v20, v20, v74
	v_pk_min_f16 v21, v30, v44
	s_add_u32 s2, s10, s0
	v_pk_add_f16 v32, v21, v20
	s_addc_u32 s3, s11, s1
	v_mad_i64_i32 v[26:27], s[0:1], v28, s15, 0
	v_add_f16_sdwa v32, v32, v32 dst_sel:DWORD dst_unused:UNUSED_PAD src0_sel:DWORD src1_sel:WORD_1
	v_add_u32_e32 v20, 8, v16
	v_lshl_add_u64 v[26:27], v[26:27], 1, s[2:3]
	v_add_f16_e32 v31, v32, v31
	v_cndmask_b32_e64 v32, 0, 1, s[8:9]
	v_ashrrev_i32_e32 v21, 31, v20
	v_lshl_add_u64 v[34:35], v[16:17], 1, v[26:27]
	v_cmp_ne_u32_e64 s[0:1], 1, v32
	s_andn2_b64 vcc, exec, s[8:9]
	global_store_short v[34:35], v31, off
	s_cbranch_vccnz .LBB283_16
; %bb.15:
	v_lshl_add_u64 v[32:33], v[20:21], 1, v[22:23]
	flat_load_ushort v31, v[32:33]
	s_waitcnt vmcnt(0) lgkmcnt(0)
	v_mul_f16_e32 v33, s12, v31
.LBB283_16:
	v_pk_max_f16 v31, v12, v12
	v_pk_max_f16 v32, v13, v13
	v_pk_min_f16 v12, v31, v43
	v_pk_min_f16 v13, v32, v44
	v_pk_add_f16 v12, v12, v78
	s_and_b64 vcc, exec, s[0:1]
	v_pk_add_f16 v12, v13, v12
	v_mov_b32_e32 v37, 0
	v_add_f16_sdwa v34, v12, v12 dst_sel:DWORD dst_unused:UNUSED_PAD src0_sel:DWORD src1_sel:WORD_1
	v_add_u32_e32 v12, 16, v16
	v_add_f16_e32 v33, v34, v33
	v_lshl_add_u64 v[34:35], v[20:21], 1, v[26:27]
	v_ashrrev_i32_e32 v13, 31, v12
	global_store_short v[34:35], v33, off
	v_mov_b32_e32 v35, 0
	s_cbranch_vccnz .LBB283_18
; %bb.17:
	v_lshl_add_u64 v[34:35], v[12:13], 1, v[22:23]
	flat_load_ushort v33, v[34:35]
	s_waitcnt vmcnt(0) lgkmcnt(0)
	v_mul_f16_e32 v35, s12, v33
.LBB283_18:
	v_pk_max_f16 v33, v14, v14
	v_pk_max_f16 v34, v15, v15
	v_pk_min_f16 v14, v33, v43
	v_pk_min_f16 v15, v34, v44
	v_pk_add_f16 v14, v14, v77
	v_lshl_add_u64 v[38:39], v[12:13], 1, v[26:27]
	v_pk_add_f16 v14, v15, v14
	s_and_b64 vcc, exec, s[0:1]
	v_add_f16_sdwa v36, v14, v14 dst_sel:DWORD dst_unused:UNUSED_PAD src0_sel:DWORD src1_sel:WORD_1
	v_add_u32_e32 v14, 24, v16
	v_ashrrev_i32_e32 v15, 31, v14
	v_add_f16_e32 v35, v36, v35
	global_store_short v[38:39], v35, off
	s_cbranch_vccnz .LBB283_20
; %bb.19:
	v_lshl_add_u64 v[36:37], v[14:15], 1, v[22:23]
	flat_load_ushort v35, v[36:37]
	s_waitcnt vmcnt(0) lgkmcnt(0)
	v_mul_f16_e32 v37, s12, v35
.LBB283_20:
	v_pk_max_f16 v35, v8, v8
	v_pk_max_f16 v36, v9, v9
	v_pk_min_f16 v8, v35, v43
	v_pk_min_f16 v9, v36, v44
	v_pk_add_f16 v8, v8, v79
	s_and_b64 vcc, exec, s[0:1]
	v_pk_add_f16 v8, v9, v8
	v_mov_b32_e32 v41, 0
	v_add_f16_sdwa v38, v8, v8 dst_sel:DWORD dst_unused:UNUSED_PAD src0_sel:DWORD src1_sel:WORD_1
	v_add_u32_e32 v8, 32, v16
	v_add_f16_e32 v37, v38, v37
	v_lshl_add_u64 v[38:39], v[14:15], 1, v[26:27]
	v_ashrrev_i32_e32 v9, 31, v8
	global_store_short v[38:39], v37, off
	v_mov_b32_e32 v39, 0
	s_cbranch_vccnz .LBB283_22
; %bb.21:
	v_lshl_add_u64 v[38:39], v[8:9], 1, v[22:23]
	flat_load_ushort v37, v[38:39]
	s_waitcnt vmcnt(0) lgkmcnt(0)
	v_mul_f16_e32 v39, s12, v37
.LBB283_22:
	v_pk_max_f16 v37, v10, v10
	v_pk_max_f16 v38, v11, v11
	v_pk_min_f16 v10, v37, v43
	v_pk_min_f16 v11, v38, v44
	v_pk_add_f16 v10, v10, v75
	v_lshl_add_u64 v[46:47], v[8:9], 1, v[26:27]
	v_pk_add_f16 v10, v11, v10
	s_and_b64 vcc, exec, s[0:1]
	v_add_f16_sdwa v40, v10, v10 dst_sel:DWORD dst_unused:UNUSED_PAD src0_sel:DWORD src1_sel:WORD_1
	v_add_u32_e32 v10, 40, v16
	v_ashrrev_i32_e32 v11, 31, v10
	v_add_f16_e32 v39, v40, v39
	global_store_short v[46:47], v39, off
	s_cbranch_vccnz .LBB283_24
; %bb.23:
	v_lshl_add_u64 v[40:41], v[10:11], 1, v[22:23]
	flat_load_ushort v39, v[40:41]
	s_waitcnt vmcnt(0) lgkmcnt(0)
	v_mul_f16_e32 v41, s12, v39
.LBB283_24:
	v_pk_max_f16 v39, v4, v4
	v_pk_max_f16 v40, v5, v5
	v_pk_min_f16 v4, v39, v43
	v_pk_min_f16 v5, v40, v44
	v_pk_add_f16 v4, v4, v76
	v_lshl_add_u64 v[46:47], v[10:11], 1, v[26:27]
	v_pk_add_f16 v4, v5, v4
	s_and_b64 vcc, exec, s[0:1]
	v_add_f16_sdwa v42, v4, v4 dst_sel:DWORD dst_unused:UNUSED_PAD src0_sel:DWORD src1_sel:WORD_1
	v_add_u32_e32 v4, 48, v16
	v_add_f16_e32 v41, v42, v41
	v_ashrrev_i32_e32 v5, 31, v4
	global_store_short v[46:47], v41, off
	v_mov_b32_e32 v45, 0
	v_mov_b32_e32 v46, 0
	s_cbranch_vccnz .LBB283_26
; %bb.25:
	v_lshl_add_u64 v[46:47], v[4:5], 1, v[22:23]
	flat_load_ushort v41, v[46:47]
	s_waitcnt vmcnt(0) lgkmcnt(0)
	v_mul_f16_e32 v46, s12, v41
.LBB283_26:
	v_pk_max_f16 v41, v6, v6
	v_pk_max_f16 v42, v7, v7
	v_pk_min_f16 v6, v41, v43
	v_pk_min_f16 v7, v42, v44
	v_pk_add_f16 v6, v6, v85
	s_and_b64 vcc, exec, s[0:1]
	v_pk_add_f16 v6, v7, v6
	s_nop 0
	v_add_f16_sdwa v47, v6, v6 dst_sel:DWORD dst_unused:UNUSED_PAD src0_sel:DWORD src1_sel:WORD_1
	v_add_u32_e32 v6, 56, v16
	v_ashrrev_i32_e32 v7, 31, v6
	v_add_f16_e32 v48, v47, v46
	v_lshl_add_u64 v[46:47], v[4:5], 1, v[26:27]
	global_store_short v[46:47], v48, off
	s_cbranch_vccnz .LBB283_28
; %bb.27:
	v_lshl_add_u64 v[22:23], v[6:7], 1, v[22:23]
	flat_load_ushort v22, v[22:23]
	s_waitcnt vmcnt(0) lgkmcnt(0)
	v_mul_f16_e32 v45, s12, v22
.LBB283_28:
	v_pk_max_f16 v24, v24, v24
	v_pk_max_f16 v25, v25, v25
	v_pk_min_f16 v22, v24, v43
	v_pk_min_f16 v23, v25, v44
	v_pk_add_f16 v22, v22, v68
	v_add_u32_e32 v44, 32, v28
	v_pk_add_f16 v22, v23, v22
	s_and_b64 vcc, exec, s[0:1]
	v_add_f16_sdwa v22, v22, v22 dst_sel:DWORD dst_unused:UNUSED_PAD src0_sel:DWORD src1_sel:WORD_1
	v_add_f16_e32 v43, v22, v45
	v_lshl_add_u64 v[22:23], v[6:7], 1, v[26:27]
	global_store_short v[22:23], v43, off
	v_mad_i64_i32 v[22:23], s[8:9], v44, s14, 0
	v_lshl_add_u64 v[22:23], v[22:23], 1, s[6:7]
	v_mov_b32_e32 v43, 0
	v_mov_b32_e32 v45, 0
	s_cbranch_vccnz .LBB283_30
; %bb.29:
	v_lshl_add_u64 v[26:27], v[16:17], 1, v[22:23]
	flat_load_ushort v26, v[26:27]
	s_waitcnt vmcnt(0) lgkmcnt(0)
	v_mul_f16_e32 v45, s12, v26
.LBB283_30:
	v_pk_max_f16 v26, v0, v0
	v_pk_max_f16 v27, v1, v1
	v_pk_min_f16 v0, v29, v26
	v_pk_min_f16 v1, v30, v27
	v_pk_add_f16 v0, v0, v65
	s_and_b64 vcc, exec, s[0:1]
	v_pk_add_f16 v46, v1, v0
	v_mad_i64_i32 v[0:1], s[8:9], v44, s15, 0
	v_lshl_add_u64 v[0:1], v[0:1], 1, s[2:3]
	v_add_f16_sdwa v44, v46, v46 dst_sel:DWORD dst_unused:UNUSED_PAD src0_sel:DWORD src1_sel:WORD_1
	v_add_f16_e32 v46, v44, v45
	v_lshl_add_u64 v[44:45], v[16:17], 1, v[0:1]
	global_store_short v[44:45], v46, off
	s_cbranch_vccnz .LBB283_32
; %bb.31:
	v_lshl_add_u64 v[44:45], v[20:21], 1, v[22:23]
	flat_load_ushort v43, v[44:45]
	s_waitcnt vmcnt(0) lgkmcnt(0)
	v_mul_f16_e32 v43, s12, v43
.LBB283_32:
	v_pk_min_f16 v44, v31, v26
	v_pk_min_f16 v45, v32, v27
	v_pk_add_f16 v44, v44, v67
	s_and_b64 vcc, exec, s[0:1]
	v_pk_add_f16 v44, v45, v44
	s_nop 0
	v_add_f16_sdwa v44, v44, v44 dst_sel:DWORD dst_unused:UNUSED_PAD src0_sel:DWORD src1_sel:WORD_1
	v_add_f16_e32 v43, v44, v43
	v_lshl_add_u64 v[44:45], v[20:21], 1, v[0:1]
	global_store_short v[44:45], v43, off
	v_mov_b32_e32 v43, 0
	v_mov_b32_e32 v44, 0
	s_cbranch_vccnz .LBB283_34
; %bb.33:
	v_lshl_add_u64 v[44:45], v[12:13], 1, v[22:23]
	flat_load_ushort v44, v[44:45]
	s_waitcnt vmcnt(0) lgkmcnt(0)
	v_mul_f16_e32 v44, s12, v44
.LBB283_34:
	v_pk_min_f16 v45, v33, v26
	v_pk_min_f16 v46, v34, v27
	v_pk_add_f16 v45, v45, v66
	s_and_b64 vcc, exec, s[0:1]
	v_pk_add_f16 v45, v46, v45
	s_nop 0
	v_add_f16_sdwa v45, v45, v45 dst_sel:DWORD dst_unused:UNUSED_PAD src0_sel:DWORD src1_sel:WORD_1
	v_add_f16_e32 v46, v45, v44
	v_lshl_add_u64 v[44:45], v[12:13], 1, v[0:1]
	global_store_short v[44:45], v46, off
	s_cbranch_vccnz .LBB283_36
; %bb.35:
	v_lshl_add_u64 v[44:45], v[14:15], 1, v[22:23]
	flat_load_ushort v43, v[44:45]
	s_waitcnt vmcnt(0) lgkmcnt(0)
	v_mul_f16_e32 v43, s12, v43
.LBB283_36:
	v_pk_min_f16 v44, v35, v26
	v_pk_min_f16 v45, v36, v27
	v_pk_add_f16 v44, v44, v70
	s_and_b64 vcc, exec, s[0:1]
	v_pk_add_f16 v44, v45, v44
	s_nop 0
	v_add_f16_sdwa v44, v44, v44 dst_sel:DWORD dst_unused:UNUSED_PAD src0_sel:DWORD src1_sel:WORD_1
	v_add_f16_e32 v43, v44, v43
	v_lshl_add_u64 v[44:45], v[14:15], 1, v[0:1]
	global_store_short v[44:45], v43, off
	v_mov_b32_e32 v43, 0
	v_mov_b32_e32 v44, 0
	s_cbranch_vccnz .LBB283_38
; %bb.37:
	v_lshl_add_u64 v[44:45], v[8:9], 1, v[22:23]
	flat_load_ushort v44, v[44:45]
	s_waitcnt vmcnt(0) lgkmcnt(0)
	v_mul_f16_e32 v44, s12, v44
.LBB283_38:
	v_pk_min_f16 v45, v37, v26
	v_pk_min_f16 v46, v38, v27
	v_pk_add_f16 v45, v45, v69
	s_and_b64 vcc, exec, s[0:1]
	v_pk_add_f16 v45, v46, v45
	s_nop 0
	;; [unrolled: 36-line block ×3, first 2 shown]
	v_add_f16_sdwa v45, v45, v45 dst_sel:DWORD dst_unused:UNUSED_PAD src0_sel:DWORD src1_sel:WORD_1
	v_add_f16_e32 v46, v45, v44
	v_lshl_add_u64 v[44:45], v[4:5], 1, v[0:1]
	global_store_short v[44:45], v46, off
	s_cbranch_vccnz .LBB283_44
; %bb.43:
	v_lshl_add_u64 v[22:23], v[6:7], 1, v[22:23]
	flat_load_ushort v22, v[22:23]
	s_waitcnt vmcnt(0) lgkmcnt(0)
	v_mul_f16_e32 v43, s12, v22
.LBB283_44:
	v_pk_min_f16 v22, v24, v26
	v_pk_min_f16 v23, v25, v27
	v_pk_add_f16 v22, v22, v62
	v_lshl_add_u64 v[0:1], v[6:7], 1, v[0:1]
	v_pk_add_f16 v22, v23, v22
	v_add_u32_e32 v27, 64, v28
	v_add_f16_sdwa v22, v22, v22 dst_sel:DWORD dst_unused:UNUSED_PAD src0_sel:DWORD src1_sel:WORD_1
	v_add_f16_e32 v22, v22, v43
	global_store_short v[0:1], v22, off
	v_mad_i64_i32 v[0:1], s[8:9], v27, s14, 0
	v_lshl_add_u64 v[0:1], v[0:1], 1, s[6:7]
	s_and_b64 vcc, exec, s[0:1]
	v_mov_b32_e32 v26, 0
	v_mov_b32_e32 v43, 0
	s_cbranch_vccnz .LBB283_46
; %bb.45:
	v_lshl_add_u64 v[22:23], v[16:17], 1, v[0:1]
	flat_load_ushort v22, v[22:23]
	s_waitcnt vmcnt(0) lgkmcnt(0)
	v_mul_f16_e32 v43, s12, v22
.LBB283_46:
	v_pk_max_f16 v22, v2, v2
	v_pk_max_f16 v23, v3, v3
	v_pk_min_f16 v2, v29, v22
	v_pk_min_f16 v3, v30, v23
	v_pk_add_f16 v2, v2, v58
	s_and_b64 vcc, exec, s[0:1]
	v_pk_add_f16 v44, v3, v2
	v_mad_i64_i32 v[2:3], s[8:9], v27, s15, 0
	v_lshl_add_u64 v[2:3], v[2:3], 1, s[2:3]
	v_add_f16_sdwa v27, v44, v44 dst_sel:DWORD dst_unused:UNUSED_PAD src0_sel:DWORD src1_sel:WORD_1
	v_add_f16_e32 v27, v27, v43
	v_lshl_add_u64 v[44:45], v[16:17], 1, v[2:3]
	global_store_short v[44:45], v27, off
	s_cbranch_vccnz .LBB283_48
; %bb.47:
	v_lshl_add_u64 v[26:27], v[20:21], 1, v[0:1]
	flat_load_ushort v26, v[26:27]
	s_waitcnt vmcnt(0) lgkmcnt(0)
	v_mul_f16_e32 v26, s12, v26
.LBB283_48:
	v_pk_min_f16 v27, v31, v22
	v_pk_min_f16 v43, v32, v23
	v_pk_add_f16 v27, v27, v60
	s_and_b64 vcc, exec, s[0:1]
	v_pk_add_f16 v27, v43, v27
	s_nop 0
	v_add_f16_sdwa v27, v27, v27 dst_sel:DWORD dst_unused:UNUSED_PAD src0_sel:DWORD src1_sel:WORD_1
	v_add_f16_e32 v43, v27, v26
	v_lshl_add_u64 v[26:27], v[20:21], 1, v[2:3]
	global_store_short v[26:27], v43, off
	v_mov_b32_e32 v26, 0
	v_mov_b32_e32 v27, 0
	s_cbranch_vccnz .LBB283_50
; %bb.49:
	v_lshl_add_u64 v[44:45], v[12:13], 1, v[0:1]
	flat_load_ushort v27, v[44:45]
	s_waitcnt vmcnt(0) lgkmcnt(0)
	v_mul_f16_e32 v27, s12, v27
.LBB283_50:
	v_pk_min_f16 v43, v33, v22
	v_pk_min_f16 v44, v34, v23
	v_pk_add_f16 v43, v43, v59
	s_and_b64 vcc, exec, s[0:1]
	v_pk_add_f16 v43, v44, v43
	v_lshl_add_u64 v[44:45], v[12:13], 1, v[2:3]
	v_add_f16_sdwa v43, v43, v43 dst_sel:DWORD dst_unused:UNUSED_PAD src0_sel:DWORD src1_sel:WORD_1
	v_add_f16_e32 v27, v43, v27
	global_store_short v[44:45], v27, off
	s_cbranch_vccnz .LBB283_52
; %bb.51:
	v_lshl_add_u64 v[26:27], v[14:15], 1, v[0:1]
	flat_load_ushort v26, v[26:27]
	s_waitcnt vmcnt(0) lgkmcnt(0)
	v_mul_f16_e32 v26, s12, v26
.LBB283_52:
	v_pk_min_f16 v27, v35, v22
	v_pk_min_f16 v43, v36, v23
	v_pk_add_f16 v27, v27, v63
	s_and_b64 vcc, exec, s[0:1]
	v_pk_add_f16 v27, v43, v27
	s_nop 0
	v_add_f16_sdwa v27, v27, v27 dst_sel:DWORD dst_unused:UNUSED_PAD src0_sel:DWORD src1_sel:WORD_1
	v_add_f16_e32 v43, v27, v26
	v_lshl_add_u64 v[26:27], v[14:15], 1, v[2:3]
	global_store_short v[26:27], v43, off
	v_mov_b32_e32 v26, 0
	v_mov_b32_e32 v27, 0
	s_cbranch_vccnz .LBB283_54
; %bb.53:
	v_lshl_add_u64 v[44:45], v[8:9], 1, v[0:1]
	flat_load_ushort v27, v[44:45]
	s_waitcnt vmcnt(0) lgkmcnt(0)
	v_mul_f16_e32 v27, s12, v27
.LBB283_54:
	v_pk_min_f16 v43, v37, v22
	v_pk_min_f16 v44, v38, v23
	v_pk_add_f16 v43, v43, v61
	s_and_b64 vcc, exec, s[0:1]
	v_pk_add_f16 v43, v44, v43
	v_lshl_add_u64 v[44:45], v[8:9], 1, v[2:3]
	v_add_f16_sdwa v43, v43, v43 dst_sel:DWORD dst_unused:UNUSED_PAD src0_sel:DWORD src1_sel:WORD_1
	v_add_f16_e32 v27, v43, v27
	;; [unrolled: 35-line block ×3, first 2 shown]
	global_store_short v[44:45], v27, off
	s_cbranch_vccnz .LBB283_60
; %bb.59:
	v_lshl_add_u64 v[0:1], v[6:7], 1, v[0:1]
	flat_load_ushort v0, v[0:1]
	s_waitcnt vmcnt(0) lgkmcnt(0)
	v_mul_f16_e32 v26, s12, v0
.LBB283_60:
	v_pk_min_f16 v0, v24, v22
	v_pk_min_f16 v1, v25, v23
	v_pk_add_f16 v0, v0, v57
	s_and_b64 vcc, exec, s[0:1]
	v_pk_add_f16 v0, v1, v0
	v_mov_b32_e32 v23, 0
	v_add_f16_sdwa v0, v0, v0 dst_sel:DWORD dst_unused:UNUSED_PAD src0_sel:DWORD src1_sel:WORD_1
	v_add_f16_e32 v22, v0, v26
	v_lshl_add_u64 v[0:1], v[6:7], 1, v[2:3]
	v_add_u32_e32 v2, 0x60, v28
	global_store_short v[0:1], v22, off
	v_mad_i64_i32 v[0:1], s[8:9], v2, s14, 0
	v_lshl_add_u64 v[0:1], v[0:1], 1, s[6:7]
	v_mov_b32_e32 v22, 0
	s_cbranch_vccnz .LBB283_62
; %bb.61:
	v_lshl_add_u64 v[26:27], v[16:17], 1, v[0:1]
	flat_load_ushort v3, v[26:27]
	s_waitcnt vmcnt(0) lgkmcnt(0)
	v_mul_f16_e32 v23, s12, v3
.LBB283_62:
	v_pk_max_f16 v18, v18, v18
	v_pk_max_f16 v19, v19, v19
	v_pk_min_f16 v3, v29, v18
	v_pk_min_f16 v26, v30, v19
	v_pk_add_f16 v3, v3, v52
	s_and_b64 vcc, exec, s[0:1]
	v_pk_add_f16 v26, v26, v3
	v_mad_i64_i32 v[2:3], s[6:7], v2, s15, 0
	v_lshl_add_u64 v[2:3], v[2:3], 1, s[2:3]
	v_add_f16_sdwa v26, v26, v26 dst_sel:DWORD dst_unused:UNUSED_PAD src0_sel:DWORD src1_sel:WORD_1
	v_add_f16_e32 v23, v26, v23
	v_lshl_add_u64 v[16:17], v[16:17], 1, v[2:3]
	global_store_short v[16:17], v23, off
	s_cbranch_vccnz .LBB283_64
; %bb.63:
	v_lshl_add_u64 v[16:17], v[20:21], 1, v[0:1]
	flat_load_ushort v16, v[16:17]
	s_waitcnt vmcnt(0) lgkmcnt(0)
	v_mul_f16_e32 v22, s12, v16
.LBB283_64:
	v_pk_min_f16 v16, v31, v18
	v_pk_min_f16 v17, v32, v19
	v_pk_add_f16 v16, v16, v53
	s_and_b64 vcc, exec, s[0:1]
	v_pk_add_f16 v16, v17, v16
	s_nop 0
	v_add_f16_sdwa v16, v16, v16 dst_sel:DWORD dst_unused:UNUSED_PAD src0_sel:DWORD src1_sel:WORD_1
	v_add_f16_e32 v22, v16, v22
	v_lshl_add_u64 v[16:17], v[20:21], 1, v[2:3]
	global_store_short v[16:17], v22, off
	v_mov_b32_e32 v16, 0
	v_mov_b32_e32 v17, 0
	s_cbranch_vccnz .LBB283_66
; %bb.65:
	v_lshl_add_u64 v[20:21], v[12:13], 1, v[0:1]
	flat_load_ushort v17, v[20:21]
	s_waitcnt vmcnt(0) lgkmcnt(0)
	v_mul_f16_e32 v17, s12, v17
.LBB283_66:
	v_pk_min_f16 v20, v33, v18
	v_pk_min_f16 v21, v34, v19
	v_pk_add_f16 v20, v20, v51
	v_lshl_add_u64 v[12:13], v[12:13], 1, v[2:3]
	v_pk_add_f16 v20, v21, v20
	s_and_b64 vcc, exec, s[0:1]
	v_add_f16_sdwa v20, v20, v20 dst_sel:DWORD dst_unused:UNUSED_PAD src0_sel:DWORD src1_sel:WORD_1
	v_add_f16_e32 v17, v20, v17
	global_store_short v[12:13], v17, off
	s_cbranch_vccnz .LBB283_68
; %bb.67:
	v_lshl_add_u64 v[12:13], v[14:15], 1, v[0:1]
	flat_load_ushort v12, v[12:13]
	s_waitcnt vmcnt(0) lgkmcnt(0)
	v_mul_f16_e32 v16, s12, v12
.LBB283_68:
	v_pk_min_f16 v12, v35, v18
	v_pk_min_f16 v13, v36, v19
	v_pk_add_f16 v12, v12, v55
	s_and_b64 vcc, exec, s[0:1]
	v_pk_add_f16 v12, v13, v12
	s_nop 0
	v_add_f16_sdwa v12, v12, v12 dst_sel:DWORD dst_unused:UNUSED_PAD src0_sel:DWORD src1_sel:WORD_1
	v_add_f16_e32 v16, v12, v16
	v_lshl_add_u64 v[12:13], v[14:15], 1, v[2:3]
	global_store_short v[12:13], v16, off
	v_mov_b32_e32 v12, 0
	v_mov_b32_e32 v13, 0
	s_cbranch_vccnz .LBB283_70
; %bb.69:
	v_lshl_add_u64 v[14:15], v[8:9], 1, v[0:1]
	flat_load_ushort v13, v[14:15]
	s_waitcnt vmcnt(0) lgkmcnt(0)
	v_mul_f16_e32 v13, s12, v13
.LBB283_70:
	v_pk_min_f16 v14, v37, v18
	v_pk_min_f16 v15, v38, v19
	v_pk_add_f16 v14, v14, v54
	v_lshl_add_u64 v[8:9], v[8:9], 1, v[2:3]
	v_pk_add_f16 v14, v15, v14
	s_and_b64 vcc, exec, s[0:1]
	v_add_f16_sdwa v14, v14, v14 dst_sel:DWORD dst_unused:UNUSED_PAD src0_sel:DWORD src1_sel:WORD_1
	v_add_f16_e32 v13, v14, v13
	global_store_short v[8:9], v13, off
	s_cbranch_vccnz .LBB283_72
; %bb.71:
	v_lshl_add_u64 v[8:9], v[10:11], 1, v[0:1]
	flat_load_ushort v8, v[8:9]
	s_waitcnt vmcnt(0) lgkmcnt(0)
	v_mul_f16_e32 v12, s12, v8
.LBB283_72:
	v_pk_min_f16 v8, v39, v18
	v_pk_min_f16 v9, v40, v19
	v_pk_add_f16 v8, v8, v56
	v_pk_min_f16 v13, v42, v19
	v_pk_add_f16 v8, v9, v8
	v_pk_min_f16 v9, v41, v18
	v_add_f16_sdwa v8, v8, v8 dst_sel:DWORD dst_unused:UNUSED_PAD src0_sel:DWORD src1_sel:WORD_1
	v_pk_add_f16 v9, v9, v73
	v_add_f16_e32 v12, v8, v12
	v_pk_add_f16 v13, v13, v9
	v_lshl_add_u64 v[8:9], v[10:11], 1, v[2:3]
	global_store_short v[8:9], v12, off
	v_add_f16_sdwa v8, v13, v13 dst_sel:DWORD dst_unused:UNUSED_PAD src0_sel:DWORD src1_sel:WORD_1
	s_mov_b64 vcc, s[4:5]
	s_cbranch_vccz .LBB283_75
; %bb.73:
	v_add_f16_e32 v9, 0, v8
	v_lshl_add_u64 v[10:11], v[4:5], 1, v[2:3]
	s_mov_b32 s2, 0
	global_store_short v[10:11], v9, off
	s_cbranch_execz .LBB283_76
; %bb.74:
	v_mov_b32_e32 v0, s2
	s_branch .LBB283_77
.LBB283_75:
                                        ; implicit-def: $sgpr2
.LBB283_76:
	v_lshlrev_b64 v[4:5], 1, v[4:5]
	v_lshl_add_u64 v[10:11], v[0:1], 0, v[4:5]
	flat_load_ushort v9, v[10:11]
	v_lshl_add_u64 v[4:5], v[2:3], 0, v[4:5]
	v_lshl_add_u64 v[0:1], v[6:7], 1, v[0:1]
	s_waitcnt vmcnt(0) lgkmcnt(0)
	v_fma_f16 v8, v9, s12, v8
	global_store_short v[4:5], v8, off
	flat_load_ushort v0, v[0:1]
	s_waitcnt vmcnt(0) lgkmcnt(0)
	v_mul_f16_e32 v0, s12, v0
.LBB283_77:
	v_pk_min_f16 v4, v24, v18
	v_pk_min_f16 v1, v25, v19
	v_pk_add_f16 v4, v4, v72
	s_nop 0
	v_pk_add_f16 v1, v1, v4
	s_nop 0
	v_add_f16_sdwa v1, v1, v1 dst_sel:DWORD dst_unused:UNUSED_PAD src0_sel:DWORD src1_sel:WORD_1
	v_add_f16_e32 v4, v1, v0
	v_lshl_add_u64 v[0:1], v[6:7], 1, v[2:3]
	global_store_short v[0:1], v4, off
	s_endpgm
	.section	.rodata,"a",@progbits
	.p2align	6, 0x0
	.amdhsa_kernel _ZN12_GLOBAL__N_120geam_min_plus_kernelIDF16_Dv2_DF16_S1_Li8ELi32ELi64ELi128ELi4ELi64ELi4ELi4ELi64ELc78ELc78ELb1ELb0ELb0EDF16_KDF16_DF16_EEviiiT16_PT17_ilS5_ilS3_S5_ilPT18_ili26rocblas_geam_ex_operation_
		.amdhsa_group_segment_fixed_size 3072
		.amdhsa_private_segment_fixed_size 0
		.amdhsa_kernarg_size 128
		.amdhsa_user_sgpr_count 2
		.amdhsa_user_sgpr_dispatch_ptr 0
		.amdhsa_user_sgpr_queue_ptr 0
		.amdhsa_user_sgpr_kernarg_segment_ptr 1
		.amdhsa_user_sgpr_dispatch_id 0
		.amdhsa_user_sgpr_kernarg_preload_length 0
		.amdhsa_user_sgpr_kernarg_preload_offset 0
		.amdhsa_user_sgpr_private_segment_size 0
		.amdhsa_uses_dynamic_stack 0
		.amdhsa_enable_private_segment 0
		.amdhsa_system_sgpr_workgroup_id_x 1
		.amdhsa_system_sgpr_workgroup_id_y 0
		.amdhsa_system_sgpr_workgroup_id_z 1
		.amdhsa_system_sgpr_workgroup_info 0
		.amdhsa_system_vgpr_workitem_id 1
		.amdhsa_next_free_vgpr 88
		.amdhsa_next_free_sgpr 24
		.amdhsa_accum_offset 88
		.amdhsa_reserve_vcc 1
		.amdhsa_float_round_mode_32 0
		.amdhsa_float_round_mode_16_64 0
		.amdhsa_float_denorm_mode_32 3
		.amdhsa_float_denorm_mode_16_64 3
		.amdhsa_dx10_clamp 1
		.amdhsa_ieee_mode 1
		.amdhsa_fp16_overflow 0
		.amdhsa_tg_split 0
		.amdhsa_exception_fp_ieee_invalid_op 0
		.amdhsa_exception_fp_denorm_src 0
		.amdhsa_exception_fp_ieee_div_zero 0
		.amdhsa_exception_fp_ieee_overflow 0
		.amdhsa_exception_fp_ieee_underflow 0
		.amdhsa_exception_fp_ieee_inexact 0
		.amdhsa_exception_int_div_zero 0
	.end_amdhsa_kernel
	.section	.text._ZN12_GLOBAL__N_120geam_min_plus_kernelIDF16_Dv2_DF16_S1_Li8ELi32ELi64ELi128ELi4ELi64ELi4ELi4ELi64ELc78ELc78ELb1ELb0ELb0EDF16_KDF16_DF16_EEviiiT16_PT17_ilS5_ilS3_S5_ilPT18_ili26rocblas_geam_ex_operation_,"axG",@progbits,_ZN12_GLOBAL__N_120geam_min_plus_kernelIDF16_Dv2_DF16_S1_Li8ELi32ELi64ELi128ELi4ELi64ELi4ELi4ELi64ELc78ELc78ELb1ELb0ELb0EDF16_KDF16_DF16_EEviiiT16_PT17_ilS5_ilS3_S5_ilPT18_ili26rocblas_geam_ex_operation_,comdat
.Lfunc_end283:
	.size	_ZN12_GLOBAL__N_120geam_min_plus_kernelIDF16_Dv2_DF16_S1_Li8ELi32ELi64ELi128ELi4ELi64ELi4ELi4ELi64ELc78ELc78ELb1ELb0ELb0EDF16_KDF16_DF16_EEviiiT16_PT17_ilS5_ilS3_S5_ilPT18_ili26rocblas_geam_ex_operation_, .Lfunc_end283-_ZN12_GLOBAL__N_120geam_min_plus_kernelIDF16_Dv2_DF16_S1_Li8ELi32ELi64ELi128ELi4ELi64ELi4ELi4ELi64ELc78ELc78ELb1ELb0ELb0EDF16_KDF16_DF16_EEviiiT16_PT17_ilS5_ilS3_S5_ilPT18_ili26rocblas_geam_ex_operation_
                                        ; -- End function
	.section	.AMDGPU.csdata,"",@progbits
; Kernel info:
; codeLenInByte = 8824
; NumSgprs: 30
; NumVgprs: 88
; NumAgprs: 0
; TotalNumVgprs: 88
; ScratchSize: 0
; MemoryBound: 0
; FloatMode: 240
; IeeeMode: 1
; LDSByteSize: 3072 bytes/workgroup (compile time only)
; SGPRBlocks: 3
; VGPRBlocks: 10
; NumSGPRsForWavesPerEU: 30
; NumVGPRsForWavesPerEU: 88
; AccumOffset: 88
; Occupancy: 5
; WaveLimiterHint : 0
; COMPUTE_PGM_RSRC2:SCRATCH_EN: 0
; COMPUTE_PGM_RSRC2:USER_SGPR: 2
; COMPUTE_PGM_RSRC2:TRAP_HANDLER: 0
; COMPUTE_PGM_RSRC2:TGID_X_EN: 1
; COMPUTE_PGM_RSRC2:TGID_Y_EN: 0
; COMPUTE_PGM_RSRC2:TGID_Z_EN: 1
; COMPUTE_PGM_RSRC2:TIDIG_COMP_CNT: 1
; COMPUTE_PGM_RSRC3_GFX90A:ACCUM_OFFSET: 21
; COMPUTE_PGM_RSRC3_GFX90A:TG_SPLIT: 0
	.section	.text._ZN12_GLOBAL__N_120geam_min_plus_kernelIDF16_Dv2_DF16_S1_Li8ELi32ELi64ELi128ELi4ELi64ELi4ELi4ELi64ELc78ELc78ELb0ELb0ELb0EDF16_KDF16_DF16_EEviiiT16_PT17_ilS5_ilS3_S5_ilPT18_ili26rocblas_geam_ex_operation_,"axG",@progbits,_ZN12_GLOBAL__N_120geam_min_plus_kernelIDF16_Dv2_DF16_S1_Li8ELi32ELi64ELi128ELi4ELi64ELi4ELi4ELi64ELc78ELc78ELb0ELb0ELb0EDF16_KDF16_DF16_EEviiiT16_PT17_ilS5_ilS3_S5_ilPT18_ili26rocblas_geam_ex_operation_,comdat
	.globl	_ZN12_GLOBAL__N_120geam_min_plus_kernelIDF16_Dv2_DF16_S1_Li8ELi32ELi64ELi128ELi4ELi64ELi4ELi4ELi64ELc78ELc78ELb0ELb0ELb0EDF16_KDF16_DF16_EEviiiT16_PT17_ilS5_ilS3_S5_ilPT18_ili26rocblas_geam_ex_operation_ ; -- Begin function _ZN12_GLOBAL__N_120geam_min_plus_kernelIDF16_Dv2_DF16_S1_Li8ELi32ELi64ELi128ELi4ELi64ELi4ELi4ELi64ELc78ELc78ELb0ELb0ELb0EDF16_KDF16_DF16_EEviiiT16_PT17_ilS5_ilS3_S5_ilPT18_ili26rocblas_geam_ex_operation_
	.p2align	8
	.type	_ZN12_GLOBAL__N_120geam_min_plus_kernelIDF16_Dv2_DF16_S1_Li8ELi32ELi64ELi128ELi4ELi64ELi4ELi4ELi64ELc78ELc78ELb0ELb0ELb0EDF16_KDF16_DF16_EEviiiT16_PT17_ilS5_ilS3_S5_ilPT18_ili26rocblas_geam_ex_operation_,@function
_ZN12_GLOBAL__N_120geam_min_plus_kernelIDF16_Dv2_DF16_S1_Li8ELi32ELi64ELi128ELi4ELi64ELi4ELi4ELi64ELc78ELc78ELb0ELb0ELb0EDF16_KDF16_DF16_EEviiiT16_PT17_ilS5_ilS3_S5_ilPT18_ili26rocblas_geam_ex_operation_: ; @_ZN12_GLOBAL__N_120geam_min_plus_kernelIDF16_Dv2_DF16_S1_Li8ELi32ELi64ELi128ELi4ELi64ELi4ELi4ELi64ELc78ELc78ELb0ELb0ELb0EDF16_KDF16_DF16_EEviiiT16_PT17_ilS5_ilS3_S5_ilPT18_ili26rocblas_geam_ex_operation_
; %bb.0:
	s_load_dwordx2 s[14:15], s[0:1], 0x8
	s_load_dwordx4 s[4:7], s[0:1], 0x20
	s_waitcnt lgkmcnt(0)
	v_cmp_eq_f16_e64 s[8:9], s15, 0
	s_and_b64 vcc, exec, s[8:9]
	s_cbranch_vccnz .LBB284_3
; %bb.1:
	s_load_dwordx2 s[10:11], s[0:1], 0x10
	s_mul_i32 s5, s3, s5
	s_mul_hi_u32 s12, s3, s4
	s_add_i32 s5, s12, s5
	s_mul_i32 s4, s3, s4
	s_lshl_b64 s[4:5], s[4:5], 1
	s_waitcnt lgkmcnt(0)
	s_add_u32 s16, s10, s4
	s_addc_u32 s17, s11, s5
	s_andn2_b64 vcc, exec, s[8:9]
	s_cbranch_vccnz .LBB284_4
.LBB284_2:
	s_mov_b32 s13, 0
	s_mov_b64 s[18:19], 0
	s_cbranch_execz .LBB284_5
	s_branch .LBB284_6
.LBB284_3:
	s_mov_b64 s[16:17], 0
	s_andn2_b64 vcc, exec, s[8:9]
	s_cbranch_vccz .LBB284_2
.LBB284_4:
                                        ; implicit-def: $sgpr18_sgpr19
                                        ; implicit-def: $sgpr12_sgpr13
.LBB284_5:
	s_load_dwordx2 s[4:5], s[0:1], 0x38
	s_mov_b32 s13, 0
	s_waitcnt lgkmcnt(0)
	s_mul_i32 s5, s3, s5
	s_mul_hi_u32 s8, s3, s4
	s_add_i32 s5, s8, s5
	s_mul_i32 s4, s3, s4
	s_lshl_b64 s[4:5], s[4:5], 1
	s_add_u32 s18, s6, s4
	s_addc_u32 s19, s7, s5
.LBB284_6:
	s_load_dword s12, s[0:1], 0x40
	s_load_dwordx4 s[8:11], s[0:1], 0x58
	v_cmp_neq_f16_e64 s[22:23], s15, 0
	s_waitcnt lgkmcnt(0)
	v_cmp_eq_f16_e64 s[4:5], s12, 0
	s_and_b64 s[6:7], exec, s[4:5]
	s_mov_b64 vcc, s[6:7]
	s_cbranch_vccnz .LBB284_8
; %bb.7:
	s_load_dwordx2 s[4:5], s[0:1], 0x48
	s_mul_i32 s9, s3, s9
	s_mul_hi_u32 s20, s3, s8
	s_add_i32 s9, s20, s9
	s_mul_i32 s20, s13, s8
	s_add_i32 s9, s9, s20
	s_mul_i32 s8, s3, s8
	s_lshl_b64 s[8:9], s[8:9], 1
	s_waitcnt lgkmcnt(0)
	s_add_u32 s8, s4, s8
	s_addc_u32 s9, s5, s9
	s_branch .LBB284_9
.LBB284_8:
	s_mov_b64 s[8:9], 0
.LBB284_9:
	s_load_dword s4, s[0:1], 0x0
	s_load_dword s20, s[0:1], 0x18
	v_and_b32_e32 v49, 0x3ff, v0
	v_bfe_u32 v50, v0, 10, 10
	v_cndmask_b32_e64 v0, 0, 1, s[22:23]
	s_waitcnt lgkmcnt(0)
	s_add_i32 s4, s4, -1
	s_ashr_i32 s5, s4, 31
	s_lshr_b32 s5, s5, 26
	s_add_i32 s4, s4, s5
	s_ashr_i32 s24, s4, 6
	s_add_i32 s25, s24, 1
	v_cvt_f32_u32_e32 v1, s25
	v_cmp_ne_u32_e64 s[4:5], 1, v0
	s_not_b32 s24, s24
	s_ashr_i32 s21, s20, 31
	v_rcp_iflag_f32_e32 v1, v1
	v_lshl_add_u32 v4, v50, 3, v49
	v_and_b32_e32 v3, 63, v4
	v_lshrrev_b32_e32 v2, 6, v4
	v_mul_f32_e32 v0, 0x4f7ffffe, v1
	v_cvt_u32_f32_e32 v0, v0
	s_nop 0
	v_readfirstlane_b32 s26, v0
	s_mul_i32 s24, s24, s26
	s_mul_hi_u32 s24, s26, s24
	s_add_i32 s26, s26, s24
	s_mul_hi_u32 s24, s2, s26
	s_mul_i32 s26, s24, s25
	s_sub_i32 s26, s2, s26
	s_add_i32 s27, s24, 1
	s_sub_i32 s28, s26, s25
	s_cmp_ge_u32 s26, s25
	s_cselect_b32 s24, s27, s24
	s_cselect_b32 s26, s28, s26
	s_add_i32 s27, s24, 1
	s_cmp_ge_u32 s26, s25
	s_cselect_b32 s26, s27, s24
	s_mul_i32 s25, s26, s25
	s_sub_i32 s24, s2, s25
	s_lshl_b32 s24, s24, 6
	v_or_b32_e32 v0, s24, v3
	s_andn2_b64 vcc, exec, s[22:23]
	v_ashrrev_i32_e32 v1, 31, v0
	s_cbranch_vccnz .LBB284_11
; %bb.10:
	v_mad_i64_i32 v[6:7], s[22:23], s20, v2, 0
	v_lshl_add_u64 v[6:7], v[6:7], 1, s[16:17]
	v_lshl_add_u64 v[6:7], v[0:1], 1, v[6:7]
	flat_load_ushort v5, v[6:7]
	s_waitcnt vmcnt(0) lgkmcnt(0)
	v_mul_f16_e32 v8, s15, v5
	s_branch .LBB284_12
.LBB284_11:
	v_mov_b32_e32 v8, 0
.LBB284_12:
	s_load_dword s23, s[0:1], 0x30
	v_lshrrev_b32_e32 v9, 2, v4
	s_lshl_b32 s22, s26, 7
	v_and_b32_e32 v5, 3, v49
	v_add_u32_e32 v4, s22, v9
	s_and_b64 vcc, exec, s[4:5]
	v_lshlrev_b32_e32 v24, 1, v5
	v_add_u32_e32 v5, 64, v4
	s_cbranch_vccnz .LBB284_16
; %bb.13:
	v_mov_b32_e32 v25, 0
	v_lshl_add_u64 v[6:7], s[18:19], 0, v[24:25]
	s_waitcnt lgkmcnt(0)
	v_mad_i64_i32 v[10:11], s[26:27], v4, s23, 0
	v_lshl_add_u64 v[10:11], v[10:11], 1, v[6:7]
	v_mad_i64_i32 v[12:13], s[26:27], v5, s23, 0
	v_lshl_add_u64 v[6:7], v[12:13], 1, v[6:7]
	flat_load_ushort v12, v[10:11]
	flat_load_ushort v13, v[6:7]
	s_waitcnt vmcnt(0) lgkmcnt(0)
	v_mul_f16_e32 v10, s15, v12
	v_mul_f16_e32 v11, s15, v13
	s_and_b64 vcc, exec, s[4:5]
	s_cbranch_vccnz .LBB284_17
.LBB284_14:
	v_add_u32_e32 v6, 4, v2
	v_mad_i64_i32 v[6:7], s[26:27], s20, v6, 0
	v_lshl_add_u64 v[6:7], v[6:7], 1, s[16:17]
	v_lshl_add_u64 v[0:1], v[0:1], 1, v[6:7]
	flat_load_ushort v0, v[0:1]
	s_waitcnt vmcnt(0) lgkmcnt(0)
	v_mul_f16_e32 v0, s15, v0
	s_and_b64 vcc, exec, s[4:5]
	s_cbranch_vccnz .LBB284_18
.LBB284_15:
	v_mov_b32_e32 v25, 0
	v_lshl_add_u64 v[6:7], s[18:19], 0, v[24:25]
	s_waitcnt lgkmcnt(0)
	v_mad_i64_i32 v[12:13], s[26:27], v4, s23, 0
	v_lshl_add_u64 v[12:13], v[12:13], 1, v[6:7]
	v_mad_i64_i32 v[14:15], s[26:27], v5, s23, 0
	v_lshl_add_u64 v[6:7], v[14:15], 1, v[6:7]
	flat_load_ushort v1, v[12:13] offset:8
	flat_load_ushort v14, v[6:7] offset:8
	s_waitcnt vmcnt(0) lgkmcnt(0)
	v_mul_f16_e32 v6, s15, v1
	v_mul_f16_e32 v7, s15, v14
	s_branch .LBB284_19
.LBB284_16:
	v_mov_b32_e32 v10, 0
	v_mov_b32_e32 v11, 0
	s_and_b64 vcc, exec, s[4:5]
	s_cbranch_vccz .LBB284_14
.LBB284_17:
	v_mov_b32_e32 v0, 0
	s_and_b64 vcc, exec, s[4:5]
	s_cbranch_vccz .LBB284_15
.LBB284_18:
	v_mov_b32_e32 v6, 0
	v_mov_b32_e32 v7, 0
.LBB284_19:
	v_lshlrev_b32_e32 v1, 3, v3
	v_lshl_add_u32 v1, v2, 1, v1
	v_lshl_or_b32 v69, v9, 3, v24
	v_lshlrev_b32_e32 v59, 3, v49
	v_lshlrev_b32_e32 v60, 3, v50
	ds_write_b16 v1, v8 offset:2048
	ds_write_b16 v69, v10
	ds_write_b16 v69, v11 offset:512
	s_waitcnt lgkmcnt(0)
	s_barrier
	ds_read2_b64 v[8:11], v60 offset1:32
	v_add_u32_e32 v70, 0x800, v59
	ds_read2_b64 v[12:15], v70 offset0:48 offset1:56
	ds_read2_b64 v[16:19], v60 offset0:64 offset1:96
	ds_read2_b64 v[20:23], v70 offset1:8
	ds_read2_b64 v[26:29], v70 offset0:16 offset1:24
	ds_read2_b64 v[30:33], v70 offset0:32 offset1:40
	s_waitcnt lgkmcnt(5)
	v_pk_max_f16 v8, v8, v8
	s_waitcnt lgkmcnt(4)
	v_pk_max_f16 v14, v14, v14
	v_pk_max_f16 v10, v10, v10
	v_pk_min_f16 v25, v14, v8
	s_waitcnt lgkmcnt(3)
	v_pk_max_f16 v16, v16, v16
	s_waitcnt lgkmcnt(2)
	v_pk_max_f16 v20, v20, v20
	v_pk_max_f16 v18, v18, v18
	v_pk_max_f16 v22, v22, v22
	s_waitcnt lgkmcnt(1)
	v_pk_max_f16 v26, v26, v26
	v_pk_max_f16 v28, v28, v28
	;; [unrolled: 4-line block ×3, first 2 shown]
	v_pk_max_f16 v12, v12, v12
	v_pk_max_f16 v15, v15, v15
	v_pk_min_f16 v34, v20, v8
	v_pk_min_f16 v35, v20, v10
	;; [unrolled: 1-line block ×14, first 2 shown]
	v_pk_max_f16 v11, v11, v11
	v_pk_min_f16 v51, v28, v16
	v_pk_min_f16 v28, v28, v18
	;; [unrolled: 1-line block ×17, first 2 shown]
	v_pk_add_f16 v18, v25, 0
	v_pk_min_f16 v25, v15, v9
	v_pk_max_f16 v17, v17, v17
	v_pk_add_f16 v68, v25, v18
	v_pk_add_f16 v18, v43, 0
	v_pk_min_f16 v25, v15, v11
	v_pk_max_f16 v21, v21, v21
	v_pk_add_f16 v58, v25, v18
	;; [unrolled: 4-line block ×6, first 2 shown]
	v_pk_add_f16 v18, v20, 0
	v_pk_min_f16 v20, v21, v19
	v_pk_min_f16 v21, v29, v19
	v_pk_add_f16 v47, v20, v18
	v_pk_add_f16 v18, v37, 0
	v_pk_min_f16 v20, v23, v9
	v_pk_max_f16 v13, v13, v13
	v_pk_add_f16 v76, v20, v18
	v_pk_add_f16 v18, v38, 0
	v_pk_min_f16 v20, v23, v11
	v_pk_add_f16 v8, v8, 0
	v_pk_add_f16 v66, v20, v18
	v_pk_add_f16 v18, v39, 0
	v_pk_min_f16 v20, v23, v17
	v_pk_add_f16 v10, v10, 0
	;; [unrolled: 4-line block ×8, first 2 shown]
	v_pk_add_f16 v74, v20, v18
	v_pk_add_f16 v18, v46, 0
	v_pk_min_f16 v20, v29, v11
	s_cmp_lt_i32 s14, 9
	v_pk_add_f16 v63, v20, v18
	v_pk_add_f16 v18, v51, 0
	v_pk_min_f16 v20, v29, v17
	ds_write_b16 v1, v0 offset:2560
	ds_write_b16 v69, v6 offset:1024
	;; [unrolled: 1-line block ×3, first 2 shown]
	v_pk_add_f16 v53, v20, v18
	v_pk_add_f16 v18, v28, 0
	;; [unrolled: 1-line block ×4, first 2 shown]
	v_pk_max_f16 v18, v31, v31
	s_waitcnt lgkmcnt(0)
	v_pk_min_f16 v21, v18, v9
	s_barrier
	v_pk_add_f16 v73, v21, v20
	v_pk_add_f16 v20, v54, 0
	v_pk_min_f16 v21, v18, v11
	s_nop 0
	v_pk_add_f16 v62, v21, v20
	v_pk_add_f16 v20, v61, 0
	v_pk_min_f16 v21, v18, v17
	v_pk_min_f16 v18, v18, v19
	v_pk_add_f16 v52, v21, v20
	v_pk_add_f16 v20, v30, 0
	;; [unrolled: 1-line block ×4, first 2 shown]
	v_pk_max_f16 v18, v33, v33
	s_nop 0
	v_pk_min_f16 v20, v18, v9
	v_pk_min_f16 v9, v13, v9
	v_pk_add_f16 v72, v20, v21
	v_pk_add_f16 v71, v9, v8
	v_pk_min_f16 v8, v13, v11
	v_pk_min_f16 v20, v18, v11
	v_pk_add_f16 v61, v8, v10
	v_pk_min_f16 v8, v13, v17
	v_pk_add_f16 v64, v20, v22
	v_pk_add_f16 v51, v8, v16
	v_pk_min_f16 v8, v13, v19
	v_pk_min_f16 v20, v18, v17
	;; [unrolled: 1-line block ×3, first 2 shown]
	v_pk_add_f16 v46, v8, v12
	v_pk_min_f16 v8, v15, v19
	v_pk_add_f16 v54, v20, v23
	v_pk_add_f16 v41, v18, v25
	;; [unrolled: 1-line block ×3, first 2 shown]
	s_cbranch_scc1 .LBB284_33
; %bb.20:
	v_mov_b32_e32 v0, 0xa00
	v_lshl_add_u32 v81, v49, 3, v0
	v_mov_b32_e32 v0, 0x400
	v_or_b32_e32 v78, 0x800, v1
	v_add_u32_e32 v79, 0xa00, v1
	v_lshl_add_u32 v82, v50, 3, v0
	v_mad_i64_i32 v[0:1], s[26:27], s23, v5, 0
	v_lshl_add_u64 v[26:27], v[0:1], 1, s[18:19]
	v_mad_i64_i32 v[0:1], s[26:27], s23, v4, 0
	v_lshl_add_u64 v[28:29], v[0:1], 1, s[18:19]
	v_add_u32_e32 v0, 8, v2
	v_mad_i64_i32 v[0:1], s[18:19], v0, s20, 0
	v_lshlrev_b64 v[30:31], 1, v[0:1]
	v_lshl_or_b32 v0, s2, 6, v3
	s_lshl_b32 s2, s25, 6
	v_subrev_u32_e32 v0, s2, v0
	v_ashrrev_i32_e32 v1, 31, v0
	v_lshl_add_u64 v[32:33], v[0:1], 1, s[16:17]
	v_add_u32_e32 v0, 12, v2
	v_mad_i64_i32 v[0:1], s[18:19], v0, s20, 0
	v_add_u32_e32 v80, 0x400, v69
	s_add_i32 s14, s14, -8
	v_mov_b32_e32 v25, 0
	s_lshl_b64 s[16:17], s[20:21], 4
	v_lshlrev_b64 v[34:35], 1, v[0:1]
	s_mov_b32 s2, 0
	s_branch .LBB284_23
.LBB284_21:                             ;   in Loop: Header=BB284_23 Depth=1
	flat_load_ushort v0, v[36:37] offset:24
	flat_load_ushort v1, v[38:39] offset:24
	s_waitcnt vmcnt(0) lgkmcnt(0)
	v_mul_f16_e32 v0, s15, v0
	v_mul_f16_e32 v1, s15, v1
.LBB284_22:                             ;   in Loop: Header=BB284_23 Depth=1
	v_pk_add_f16 v20, v20, v58
	v_pk_add_f16 v12, v12, v48
	;; [unrolled: 1-line block ×18, first 2 shown]
	ds_read2_b64 v[8:11], v70 offset0:48 offset1:56
	ds_read2_b64 v[12:15], v60 offset1:32
	v_pk_add_f16 v2, v2, v68
	v_pk_add_f16 v16, v16, v77
	v_pk_add_f16 v4, v4, v73
	v_pk_add_f16 v46, v103, v46
	s_waitcnt lgkmcnt(1)
	v_pk_max_f16 v10, v10, v10
	s_waitcnt lgkmcnt(0)
	v_pk_max_f16 v12, v12, v12
	v_pk_add_f16 v18, v18, v76
	v_pk_add_f16 v37, v85, v66
	;; [unrolled: 1-line block ×10, first 2 shown]
	ds_read2_b64 v[2:5], v60 offset0:64 offset1:96
	v_pk_min_f16 v16, v10, v12
	v_pk_add_f16 v48, v91, v63
	v_pk_add_f16 v63, v19, v18
	;; [unrolled: 1-line block ×4, first 2 shown]
	ds_read2_b64 v[16:19], v70 offset1:8
	v_pk_max_f16 v14, v14, v14
	s_waitcnt lgkmcnt(1)
	v_pk_max_f16 v2, v2, v2
	v_pk_min_f16 v61, v10, v14
	v_pk_add_f16 v57, v100, v71
	v_pk_add_f16 v61, v61, v20
	v_pk_min_f16 v20, v10, v2
	s_waitcnt lgkmcnt(0)
	v_pk_max_f16 v16, v16, v16
	v_pk_add_f16 v67, v20, v21
	v_pk_min_f16 v20, v16, v12
	v_pk_max_f16 v18, v18, v18
	v_pk_add_f16 v62, v20, v62
	v_pk_min_f16 v20, v16, v14
	v_pk_add_f16 v6, v6, v72
	v_pk_add_f16 v71, v20, v22
	v_pk_min_f16 v20, v16, v2
	v_pk_add_f16 v37, v106, v37
	v_pk_add_f16 v72, v20, v23
	v_pk_min_f16 v20, v18, v12
	v_pk_max_f16 v4, v4, v4
	v_pk_add_f16 v63, v20, v63
	v_pk_min_f16 v20, v18, v14
	v_pk_min_f16 v16, v16, v4
	v_pk_add_f16 v73, v20, v37
	ds_read2_b64 v[20:23], v70 offset0:16 offset1:24
	v_pk_add_f16 v38, v107, v38
	v_pk_add_f16 v16, v16, v36
	v_pk_min_f16 v36, v18, v2
	v_pk_add_f16 v44, v109, v44
	s_waitcnt lgkmcnt(0)
	v_pk_max_f16 v20, v20, v20
	v_pk_add_f16 v74, v36, v38
	v_pk_min_f16 v36, v20, v12
	v_pk_add_f16 v47, v110, v47
	v_pk_add_f16 v64, v36, v64
	v_pk_min_f16 v36, v20, v14
	v_pk_max_f16 v22, v22, v22
	v_pk_add_f16 v84, v36, v44
	v_pk_min_f16 v36, v20, v2
	v_pk_add_f16 v39, v108, v39
	v_pk_add_f16 v85, v36, v47
	v_pk_min_f16 v36, v22, v12
	v_pk_add_f16 v48, v112, v48
	v_pk_min_f16 v18, v18, v4
	;; [unrolled: 2-line block ×3, first 2 shown]
	v_pk_add_f16 v18, v18, v39
	v_pk_add_f16 v87, v36, v48
	ds_read2_b64 v[36:39], v70 offset0:32 offset1:40
	v_pk_add_f16 v43, v90, v43
	v_pk_add_f16 v42, v93, v42
	v_pk_add_f16 v43, v111, v43
	v_pk_min_f16 v20, v20, v4
	v_pk_add_f16 v42, v114, v42
	v_pk_add_f16 v20, v20, v43
	v_pk_min_f16 v43, v22, v2
	v_pk_min_f16 v22, v22, v4
	s_waitcnt lgkmcnt(0)
	v_pk_max_f16 v36, v36, v36
	v_pk_add_f16 v22, v22, v42
	v_pk_min_f16 v42, v36, v12
	v_pk_add_f16 v52, v95, v52
	v_pk_add_f16 v55, v116, v55
	;; [unrolled: 1-line block ×3, first 2 shown]
	v_pk_min_f16 v42, v36, v14
	v_pk_add_f16 v52, v117, v52
	v_pk_add_f16 v89, v42, v55
	v_pk_min_f16 v42, v36, v2
	v_pk_max_f16 v38, v38, v38
	v_pk_add_f16 v6, v119, v6
	v_pk_add_f16 v52, v42, v52
	v_pk_min_f16 v42, v38, v12
	v_pk_add_f16 v56, v120, v56
	v_pk_add_f16 v6, v42, v6
	v_pk_min_f16 v42, v38, v14
	v_pk_max_f16 v8, v8, v8
	v_pk_min_f16 v36, v36, v4
	v_pk_add_f16 v90, v42, v56
	v_pk_min_f16 v42, v38, v2
	v_pk_min_f16 v38, v38, v4
	;; [unrolled: 1-line block ×7, first 2 shown]
	v_pk_max_f16 v10, v13, v13
	v_pk_add_f16 v4, v4, v7
	v_pk_max_f16 v7, v11, v11
	v_pk_add_f16 v58, v124, v58
	v_pk_min_f16 v11, v7, v10
	v_pk_max_f16 v3, v3, v3
	v_pk_add_f16 v68, v11, v40
	v_pk_max_f16 v11, v15, v15
	v_pk_add_f16 v14, v14, v58
	v_pk_min_f16 v13, v7, v11
	v_pk_max_f16 v5, v5, v5
	v_pk_add_f16 v58, v13, v61
	v_pk_min_f16 v13, v7, v3
	v_pk_add_f16 v57, v123, v57
	v_pk_add_f16 v48, v13, v67
	v_pk_max_f16 v13, v17, v17
	v_pk_add_f16 v12, v12, v57
	v_pk_min_f16 v15, v13, v10
	v_pk_add_f16 v53, v92, v53
	v_pk_add_f16 v77, v15, v62
	v_pk_min_f16 v15, v13, v11
	v_pk_add_f16 v53, v113, v53
	v_pk_add_f16 v67, v15, v71
	v_pk_min_f16 v15, v13, v3
	v_pk_min_f16 v13, v13, v5
	v_pk_add_f16 v57, v15, v72
	v_pk_add_f16 v47, v13, v16
	v_pk_max_f16 v13, v19, v19
	v_pk_add_f16 v53, v43, v53
	v_pk_min_f16 v15, v13, v10
	v_pk_add_f16 v54, v98, v54
	v_pk_add_f16 v76, v15, v63
	v_pk_min_f16 v15, v13, v11
	v_pk_add_f16 v54, v121, v54
	v_pk_add_f16 v66, v15, v73
	v_pk_min_f16 v15, v13, v3
	;; [unrolled: 12-line block ×5, first 2 shown]
	v_pk_min_f16 v13, v13, v5
	v_pk_add_f16 v52, v15, v52
	v_pk_add_f16 v45, v13, v36
	v_pk_max_f16 v13, v39, v39
	v_pk_add_f16 v2, v2, v51
	v_pk_min_f16 v15, v13, v10
	v_pk_add_f16 v8, v8, v46
	v_pk_add_f16 v72, v15, v6
	v_pk_min_f16 v6, v13, v11
	s_add_i32 s2, s2, 8
	v_pk_add_f16 v64, v6, v90
	v_pk_min_f16 v6, v13, v3
	v_lshl_add_u64 v[26:27], v[26:27], 0, 16
	v_pk_add_f16 v54, v6, v54
	v_pk_min_f16 v6, v13, v5
	v_lshl_add_u64 v[28:29], v[28:29], 0, 16
	v_pk_add_f16 v41, v6, v38
	v_pk_max_f16 v6, v9, v9
	s_cmp_ge_i32 s2, s14
	v_pk_min_f16 v3, v6, v3
	v_pk_min_f16 v9, v6, v10
	v_pk_add_f16 v51, v3, v2
	v_pk_min_f16 v2, v6, v5
	v_pk_add_f16 v71, v9, v12
	;; [unrolled: 2-line block ×4, first 2 shown]
	v_pk_add_f16 v40, v2, v4
	v_lshl_add_u64 v[32:33], v[32:33], 0, s[16:17]
	ds_write_b16 v79, v83
	ds_write_b16 v80, v0
	ds_write_b16 v80, v1 offset:512
	s_waitcnt lgkmcnt(0)
	s_barrier
	s_cbranch_scc1 .LBB284_33
.LBB284_23:                             ; =>This Inner Loop Header: Depth=1
	s_and_b64 vcc, exec, s[4:5]
	v_mov_b32_e32 v83, 0
	s_cbranch_vccnz .LBB284_25
; %bb.24:                               ;   in Loop: Header=BB284_23 Depth=1
	v_lshl_add_u64 v[0:1], v[32:33], 0, v[30:31]
	flat_load_ushort v0, v[0:1]
	s_waitcnt vmcnt(0) lgkmcnt(0)
	v_mul_f16_e32 v83, s15, v0
.LBB284_25:                             ;   in Loop: Header=BB284_23 Depth=1
	s_and_b64 vcc, exec, s[4:5]
	v_lshl_add_u64 v[36:37], v[28:29], 0, v[24:25]
	v_lshl_add_u64 v[38:39], v[26:27], 0, v[24:25]
	s_cbranch_vccnz .LBB284_27
; %bb.26:                               ;   in Loop: Header=BB284_23 Depth=1
	flat_load_ushort v0, v[36:37] offset:16
	flat_load_ushort v1, v[38:39] offset:16
	s_waitcnt vmcnt(0) lgkmcnt(0)
	v_mul_f16_e32 v84, s15, v0
	v_mul_f16_e32 v85, s15, v1
	s_branch .LBB284_28
.LBB284_27:                             ;   in Loop: Header=BB284_23 Depth=1
	v_mov_b32_e32 v84, 0
	v_mov_b32_e32 v85, 0
.LBB284_28:                             ;   in Loop: Header=BB284_23 Depth=1
	ds_read2_b64 v[0:3], v81 offset0:48 offset1:56
	ds_read2_b64 v[12:15], v82 offset0:64 offset1:96
	ds_read2_b64 v[20:23], v82 offset1:32
	ds_read2_b64 v[16:19], v81 offset1:8
	ds_read2_b64 v[8:11], v81 offset0:16 offset1:24
	ds_read2_b64 v[4:7], v81 offset0:32 offset1:40
	s_and_b64 vcc, exec, s[4:5]
	ds_write_b16 v78, v83
	ds_write_b16 v69, v84
	ds_write_b16 v69, v85 offset:512
	s_waitcnt lgkmcnt(0)
	s_barrier
	s_cbranch_vccnz .LBB284_30
; %bb.29:                               ;   in Loop: Header=BB284_23 Depth=1
	v_lshl_add_u64 v[84:85], v[32:33], 0, v[34:35]
	flat_load_ushort v83, v[84:85]
	s_waitcnt vmcnt(0) lgkmcnt(0)
	v_mul_f16_e32 v83, s15, v83
	s_branch .LBB284_31
.LBB284_30:                             ;   in Loop: Header=BB284_23 Depth=1
	v_mov_b32_e32 v83, 0
.LBB284_31:                             ;   in Loop: Header=BB284_23 Depth=1
	v_pk_max_f16 v104, v2, v2
	v_pk_max_f16 v100, v20, v20
	;; [unrolled: 1-line block ×17, first 2 shown]
	v_pk_min_f16 v2, v104, v100
	v_pk_min_f16 v20, v104, v101
	;; [unrolled: 1-line block ×26, first 2 shown]
	v_pk_max_f16 v0, v3, v3
	v_pk_max_f16 v106, v17, v17
	;; [unrolled: 1-line block ×5, first 2 shown]
	v_pk_min_f16 v115, v5, v123
	v_pk_min_f16 v116, v5, v124
	;; [unrolled: 1-line block ×4, first 2 shown]
	v_pk_max_f16 v5, v7, v7
	v_pk_max_f16 v1, v1, v1
	v_pk_min_f16 v87, v87, v105
	v_pk_min_f16 v90, v90, v105
	;; [unrolled: 1-line block ×33, first 2 shown]
	s_and_b64 vcc, exec, s[4:5]
	v_pk_min_f16 v7, v0, v126
	s_cbranch_vccz .LBB284_21
; %bb.32:                               ;   in Loop: Header=BB284_23 Depth=1
	v_mov_b32_e32 v0, 0
	v_mov_b32_e32 v1, 0
	s_branch .LBB284_22
.LBB284_33:
	s_load_dword s14, s[0:1], 0x50
	ds_read_b64 v[20:21], v60 offset:1024
	ds_read_b64 v[26:27], v59 offset:2560
	v_add_u32_e32 v28, s22, v50
	v_cmp_neq_f16_e64 s[4:5], s12, 0
	v_add_u32_e32 v16, s24, v49
	s_waitcnt lgkmcnt(0)
	v_mad_i64_i32 v[0:1], s[16:17], v28, s14, 0
	v_ashrrev_i32_e32 v17, 31, v16
	v_lshl_add_u64 v[22:23], v[0:1], 1, s[8:9]
	s_and_b64 vcc, exec, s[4:5]
	v_mov_b32_e32 v33, 0
	v_mov_b32_e32 v31, 0
	s_cbranch_vccz .LBB284_35
; %bb.34:
	v_lshl_add_u64 v[0:1], v[16:17], 1, v[22:23]
	flat_load_ushort v0, v[0:1]
	s_waitcnt vmcnt(0) lgkmcnt(0)
	v_mul_f16_e32 v31, s12, v0
.LBB284_35:
	ds_read_b64 v[24:25], v59 offset:3008
	ds_read_b64 v[18:19], v60 offset:1792
	ds_read2_b64 v[0:3], v60 offset0:160 offset1:192
	s_load_dword s15, s[0:1], 0x68
	s_load_dwordx2 s[16:17], s[0:1], 0x70
	v_add_u32_e32 v4, 0x800, v59
	v_pk_max_f16 v60, v20, v20
	v_pk_max_f16 v29, v26, v26
	ds_read2_b64 v[12:15], v4 offset0:72 offset1:80
	ds_read2_b64 v[8:11], v4 offset0:88 offset1:96
	;; [unrolled: 1-line block ×3, first 2 shown]
	s_waitcnt lgkmcnt(0)
	s_mul_i32 s0, s3, s17
	s_mul_hi_u32 s1, s3, s16
	s_add_i32 s0, s1, s0
	s_mul_i32 s1, s13, s16
	s_add_i32 s1, s0, s1
	s_mul_i32 s0, s3, s16
	v_pk_min_f16 v20, v29, v60
	v_pk_max_f16 v69, v21, v21
	v_pk_max_f16 v30, v27, v27
	s_lshl_b64 s[0:1], s[0:1], 1
	v_pk_add_f16 v20, v20, v77
	v_pk_min_f16 v21, v30, v69
	s_add_u32 s2, s10, s0
	v_pk_add_f16 v32, v21, v20
	s_addc_u32 s3, s11, s1
	v_mad_i64_i32 v[26:27], s[0:1], v28, s15, 0
	v_add_f16_sdwa v32, v32, v32 dst_sel:DWORD dst_unused:UNUSED_PAD src0_sel:DWORD src1_sel:WORD_1
	v_add_u32_e32 v20, 8, v16
	v_lshl_add_u64 v[26:27], v[26:27], 1, s[2:3]
	v_add_f16_e32 v31, v32, v31
	v_cndmask_b32_e64 v32, 0, 1, s[4:5]
	v_ashrrev_i32_e32 v21, 31, v20
	v_lshl_add_u64 v[34:35], v[16:17], 1, v[26:27]
	v_cmp_ne_u32_e64 s[0:1], 1, v32
	s_andn2_b64 vcc, exec, s[4:5]
	global_store_short v[34:35], v31, off
	s_cbranch_vccnz .LBB284_37
; %bb.36:
	v_lshl_add_u64 v[32:33], v[20:21], 1, v[22:23]
	flat_load_ushort v31, v[32:33]
	s_waitcnt vmcnt(0) lgkmcnt(0)
	v_mul_f16_e32 v33, s12, v31
.LBB284_37:
	v_pk_max_f16 v31, v12, v12
	v_pk_max_f16 v32, v13, v13
	v_pk_min_f16 v12, v31, v60
	v_pk_min_f16 v13, v32, v69
	v_pk_add_f16 v12, v12, v76
	s_and_b64 vcc, exec, s[0:1]
	v_pk_add_f16 v12, v13, v12
	v_mov_b32_e32 v37, 0
	v_add_f16_sdwa v34, v12, v12 dst_sel:DWORD dst_unused:UNUSED_PAD src0_sel:DWORD src1_sel:WORD_1
	v_add_u32_e32 v12, 16, v16
	v_add_f16_e32 v33, v34, v33
	v_lshl_add_u64 v[34:35], v[20:21], 1, v[26:27]
	v_ashrrev_i32_e32 v13, 31, v12
	global_store_short v[34:35], v33, off
	v_mov_b32_e32 v35, 0
	s_cbranch_vccnz .LBB284_39
; %bb.38:
	v_lshl_add_u64 v[34:35], v[12:13], 1, v[22:23]
	flat_load_ushort v33, v[34:35]
	s_waitcnt vmcnt(0) lgkmcnt(0)
	v_mul_f16_e32 v35, s12, v33
.LBB284_39:
	v_pk_max_f16 v33, v14, v14
	v_pk_max_f16 v34, v15, v15
	v_pk_min_f16 v14, v33, v60
	v_pk_min_f16 v15, v34, v69
	v_pk_add_f16 v14, v14, v75
	v_lshl_add_u64 v[38:39], v[12:13], 1, v[26:27]
	v_pk_add_f16 v14, v15, v14
	s_and_b64 vcc, exec, s[0:1]
	v_add_f16_sdwa v36, v14, v14 dst_sel:DWORD dst_unused:UNUSED_PAD src0_sel:DWORD src1_sel:WORD_1
	v_add_u32_e32 v14, 24, v16
	v_ashrrev_i32_e32 v15, 31, v14
	v_add_f16_e32 v35, v36, v35
	global_store_short v[38:39], v35, off
	s_cbranch_vccnz .LBB284_41
; %bb.40:
	v_lshl_add_u64 v[36:37], v[14:15], 1, v[22:23]
	flat_load_ushort v35, v[36:37]
	s_waitcnt vmcnt(0) lgkmcnt(0)
	v_mul_f16_e32 v37, s12, v35
.LBB284_41:
	v_pk_max_f16 v35, v8, v8
	v_pk_max_f16 v36, v9, v9
	v_pk_min_f16 v8, v35, v60
	v_pk_min_f16 v9, v36, v69
	v_pk_add_f16 v8, v8, v74
	s_and_b64 vcc, exec, s[0:1]
	v_pk_add_f16 v8, v9, v8
	v_mov_b32_e32 v50, 0
	v_add_f16_sdwa v38, v8, v8 dst_sel:DWORD dst_unused:UNUSED_PAD src0_sel:DWORD src1_sel:WORD_1
	v_add_u32_e32 v8, 32, v16
	v_add_f16_e32 v37, v38, v37
	v_lshl_add_u64 v[38:39], v[14:15], 1, v[26:27]
	v_ashrrev_i32_e32 v9, 31, v8
	global_store_short v[38:39], v37, off
	v_mov_b32_e32 v39, 0
	s_cbranch_vccnz .LBB284_43
; %bb.42:
	v_lshl_add_u64 v[38:39], v[8:9], 1, v[22:23]
	flat_load_ushort v37, v[38:39]
	s_waitcnt vmcnt(0) lgkmcnt(0)
	v_mul_f16_e32 v39, s12, v37
.LBB284_43:
	v_pk_max_f16 v37, v10, v10
	v_pk_max_f16 v38, v11, v11
	v_pk_min_f16 v10, v37, v60
	v_pk_min_f16 v11, v38, v69
	v_pk_add_f16 v10, v10, v73
	v_lshl_add_u64 v[74:75], v[8:9], 1, v[26:27]
	v_pk_add_f16 v10, v11, v10
	s_and_b64 vcc, exec, s[0:1]
	v_add_f16_sdwa v49, v10, v10 dst_sel:DWORD dst_unused:UNUSED_PAD src0_sel:DWORD src1_sel:WORD_1
	v_add_u32_e32 v10, 40, v16
	v_ashrrev_i32_e32 v11, 31, v10
	v_add_f16_e32 v39, v49, v39
	global_store_short v[74:75], v39, off
	s_cbranch_vccnz .LBB284_45
; %bb.44:
	v_lshl_add_u64 v[74:75], v[10:11], 1, v[22:23]
	flat_load_ushort v39, v[74:75]
	s_waitcnt vmcnt(0) lgkmcnt(0)
	v_mul_f16_e32 v50, s12, v39
.LBB284_45:
	v_pk_max_f16 v39, v4, v4
	v_pk_max_f16 v49, v5, v5
	v_pk_min_f16 v4, v39, v60
	v_pk_min_f16 v5, v49, v69
	v_pk_add_f16 v4, v4, v72
	v_lshl_add_u64 v[72:73], v[10:11], 1, v[26:27]
	v_pk_add_f16 v4, v5, v4
	s_and_b64 vcc, exec, s[0:1]
	v_add_f16_sdwa v59, v4, v4 dst_sel:DWORD dst_unused:UNUSED_PAD src0_sel:DWORD src1_sel:WORD_1
	v_add_u32_e32 v4, 48, v16
	v_add_f16_e32 v50, v59, v50
	v_ashrrev_i32_e32 v5, 31, v4
	global_store_short v[72:73], v50, off
	v_mov_b32_e32 v70, 0
	v_mov_b32_e32 v72, 0
	s_cbranch_vccnz .LBB284_47
; %bb.46:
	v_lshl_add_u64 v[72:73], v[4:5], 1, v[22:23]
	flat_load_ushort v50, v[72:73]
	s_waitcnt vmcnt(0) lgkmcnt(0)
	v_mul_f16_e32 v72, s12, v50
.LBB284_47:
	v_pk_max_f16 v50, v6, v6
	v_pk_max_f16 v59, v7, v7
	v_pk_min_f16 v6, v50, v60
	v_pk_min_f16 v7, v59, v69
	v_pk_add_f16 v6, v6, v71
	s_and_b64 vcc, exec, s[0:1]
	v_pk_add_f16 v6, v7, v6
	s_nop 0
	v_add_f16_sdwa v71, v6, v6 dst_sel:DWORD dst_unused:UNUSED_PAD src0_sel:DWORD src1_sel:WORD_1
	v_add_u32_e32 v6, 56, v16
	v_ashrrev_i32_e32 v7, 31, v6
	v_add_f16_e32 v71, v71, v72
	v_lshl_add_u64 v[72:73], v[4:5], 1, v[26:27]
	global_store_short v[72:73], v71, off
	s_cbranch_vccnz .LBB284_49
; %bb.48:
	v_lshl_add_u64 v[22:23], v[6:7], 1, v[22:23]
	flat_load_ushort v22, v[22:23]
	s_waitcnt vmcnt(0) lgkmcnt(0)
	v_mul_f16_e32 v70, s12, v22
.LBB284_49:
	v_pk_max_f16 v24, v24, v24
	v_pk_max_f16 v25, v25, v25
	v_pk_min_f16 v22, v24, v60
	v_pk_min_f16 v23, v25, v69
	v_pk_add_f16 v22, v22, v68
	v_add_u32_e32 v68, 32, v28
	v_pk_add_f16 v22, v23, v22
	s_and_b64 vcc, exec, s[0:1]
	v_add_f16_sdwa v22, v22, v22 dst_sel:DWORD dst_unused:UNUSED_PAD src0_sel:DWORD src1_sel:WORD_1
	v_add_f16_e32 v60, v22, v70
	v_lshl_add_u64 v[22:23], v[6:7], 1, v[26:27]
	global_store_short v[22:23], v60, off
	v_mad_i64_i32 v[22:23], s[4:5], v68, s14, 0
	v_lshl_add_u64 v[22:23], v[22:23], 1, s[8:9]
	v_mov_b32_e32 v60, 0
	v_mov_b32_e32 v69, 0
	s_cbranch_vccnz .LBB284_51
; %bb.50:
	v_lshl_add_u64 v[26:27], v[16:17], 1, v[22:23]
	flat_load_ushort v26, v[26:27]
	s_waitcnt vmcnt(0) lgkmcnt(0)
	v_mul_f16_e32 v69, s12, v26
.LBB284_51:
	v_pk_max_f16 v26, v0, v0
	v_pk_max_f16 v27, v1, v1
	v_pk_min_f16 v0, v29, v26
	v_pk_min_f16 v1, v30, v27
	v_pk_add_f16 v0, v0, v67
	s_and_b64 vcc, exec, s[0:1]
	v_pk_add_f16 v67, v1, v0
	v_mad_i64_i32 v[0:1], s[4:5], v68, s15, 0
	v_lshl_add_u64 v[0:1], v[0:1], 1, s[2:3]
	v_add_f16_sdwa v67, v67, v67 dst_sel:DWORD dst_unused:UNUSED_PAD src0_sel:DWORD src1_sel:WORD_1
	v_add_f16_e32 v67, v67, v69
	v_lshl_add_u64 v[68:69], v[16:17], 1, v[0:1]
	global_store_short v[68:69], v67, off
	s_cbranch_vccnz .LBB284_53
; %bb.52:
	v_lshl_add_u64 v[68:69], v[20:21], 1, v[22:23]
	flat_load_ushort v60, v[68:69]
	s_waitcnt vmcnt(0) lgkmcnt(0)
	v_mul_f16_e32 v60, s12, v60
.LBB284_53:
	v_pk_min_f16 v67, v31, v26
	s_and_b64 vcc, exec, s[0:1]
	v_pk_add_f16 v66, v67, v66
	v_pk_min_f16 v67, v32, v27
	s_nop 0
	v_pk_add_f16 v66, v67, v66
	s_nop 0
	v_add_f16_sdwa v66, v66, v66 dst_sel:DWORD dst_unused:UNUSED_PAD src0_sel:DWORD src1_sel:WORD_1
	v_add_f16_e32 v60, v66, v60
	v_lshl_add_u64 v[66:67], v[20:21], 1, v[0:1]
	global_store_short v[66:67], v60, off
	v_mov_b32_e32 v60, 0
	v_mov_b32_e32 v66, 0
	s_cbranch_vccnz .LBB284_55
; %bb.54:
	v_lshl_add_u64 v[66:67], v[12:13], 1, v[22:23]
	flat_load_ushort v66, v[66:67]
	s_waitcnt vmcnt(0) lgkmcnt(0)
	v_mul_f16_e32 v66, s12, v66
.LBB284_55:
	v_pk_min_f16 v67, v33, v26
	s_and_b64 vcc, exec, s[0:1]
	v_pk_add_f16 v65, v67, v65
	v_pk_min_f16 v67, v34, v27
	s_nop 0
	v_pk_add_f16 v65, v67, v65
	s_nop 0
	v_add_f16_sdwa v65, v65, v65 dst_sel:DWORD dst_unused:UNUSED_PAD src0_sel:DWORD src1_sel:WORD_1
	v_add_f16_e32 v65, v65, v66
	v_lshl_add_u64 v[66:67], v[12:13], 1, v[0:1]
	global_store_short v[66:67], v65, off
	s_cbranch_vccnz .LBB284_57
; %bb.56:
	v_lshl_add_u64 v[66:67], v[14:15], 1, v[22:23]
	flat_load_ushort v60, v[66:67]
	s_waitcnt vmcnt(0) lgkmcnt(0)
	v_mul_f16_e32 v60, s12, v60
.LBB284_57:
	v_pk_min_f16 v65, v35, v26
	v_lshl_add_u64 v[66:67], v[14:15], 1, v[0:1]
	v_pk_add_f16 v63, v65, v63
	v_pk_min_f16 v65, v36, v27
	s_and_b64 vcc, exec, s[0:1]
	v_pk_add_f16 v63, v65, v63
	s_nop 0
	v_add_f16_sdwa v63, v63, v63 dst_sel:DWORD dst_unused:UNUSED_PAD src0_sel:DWORD src1_sel:WORD_1
	v_add_f16_e32 v60, v63, v60
	global_store_short v[66:67], v60, off
	v_mov_b32_e32 v60, 0
	v_mov_b32_e32 v63, 0
	s_cbranch_vccnz .LBB284_59
; %bb.58:
	v_lshl_add_u64 v[66:67], v[8:9], 1, v[22:23]
	flat_load_ushort v63, v[66:67]
	s_waitcnt vmcnt(0) lgkmcnt(0)
	v_mul_f16_e32 v63, s12, v63
.LBB284_59:
	v_pk_min_f16 v65, v37, v26
	s_and_b64 vcc, exec, s[0:1]
	v_pk_add_f16 v62, v65, v62
	v_pk_min_f16 v65, v38, v27
	s_nop 0
	v_pk_add_f16 v62, v65, v62
	s_nop 0
	v_add_f16_sdwa v62, v62, v62 dst_sel:DWORD dst_unused:UNUSED_PAD src0_sel:DWORD src1_sel:WORD_1
	v_add_f16_e32 v65, v62, v63
	v_lshl_add_u64 v[62:63], v[8:9], 1, v[0:1]
	global_store_short v[62:63], v65, off
	s_cbranch_vccnz .LBB284_61
; %bb.60:
	v_lshl_add_u64 v[62:63], v[10:11], 1, v[22:23]
	flat_load_ushort v60, v[62:63]
	s_waitcnt vmcnt(0) lgkmcnt(0)
	v_mul_f16_e32 v60, s12, v60
.LBB284_61:
	v_pk_min_f16 v62, v39, v26
	v_pk_min_f16 v63, v49, v27
	v_pk_add_f16 v62, v62, v64
	s_and_b64 vcc, exec, s[0:1]
	v_pk_add_f16 v62, v63, v62
	s_nop 0
	v_add_f16_sdwa v62, v62, v62 dst_sel:DWORD dst_unused:UNUSED_PAD src0_sel:DWORD src1_sel:WORD_1
	v_add_f16_e32 v60, v62, v60
	v_lshl_add_u64 v[62:63], v[10:11], 1, v[0:1]
	global_store_short v[62:63], v60, off
	v_mov_b32_e32 v60, 0
	v_mov_b32_e32 v62, 0
	s_cbranch_vccnz .LBB284_63
; %bb.62:
	v_lshl_add_u64 v[62:63], v[4:5], 1, v[22:23]
	flat_load_ushort v62, v[62:63]
	s_waitcnt vmcnt(0) lgkmcnt(0)
	v_mul_f16_e32 v62, s12, v62
.LBB284_63:
	v_pk_min_f16 v63, v50, v26
	s_and_b64 vcc, exec, s[0:1]
	v_pk_add_f16 v61, v63, v61
	v_pk_min_f16 v63, v59, v27
	s_nop 0
	v_pk_add_f16 v61, v63, v61
	s_nop 0
	v_add_f16_sdwa v61, v61, v61 dst_sel:DWORD dst_unused:UNUSED_PAD src0_sel:DWORD src1_sel:WORD_1
	v_add_f16_e32 v61, v61, v62
	v_lshl_add_u64 v[62:63], v[4:5], 1, v[0:1]
	global_store_short v[62:63], v61, off
	s_cbranch_vccnz .LBB284_65
; %bb.64:
	v_lshl_add_u64 v[22:23], v[6:7], 1, v[22:23]
	flat_load_ushort v22, v[22:23]
	s_waitcnt vmcnt(0) lgkmcnt(0)
	v_mul_f16_e32 v60, s12, v22
.LBB284_65:
	v_pk_min_f16 v22, v24, v26
	v_pk_min_f16 v23, v25, v27
	v_pk_add_f16 v22, v22, v58
	v_lshl_add_u64 v[0:1], v[6:7], 1, v[0:1]
	v_pk_add_f16 v22, v23, v22
	v_add_u32_e32 v27, 64, v28
	v_add_f16_sdwa v22, v22, v22 dst_sel:DWORD dst_unused:UNUSED_PAD src0_sel:DWORD src1_sel:WORD_1
	v_add_f16_e32 v22, v22, v60
	global_store_short v[0:1], v22, off
	v_mad_i64_i32 v[0:1], s[4:5], v27, s14, 0
	v_lshl_add_u64 v[0:1], v[0:1], 1, s[8:9]
	s_and_b64 vcc, exec, s[0:1]
	v_mov_b32_e32 v26, 0
	v_mov_b32_e32 v58, 0
	s_cbranch_vccnz .LBB284_67
; %bb.66:
	v_lshl_add_u64 v[22:23], v[16:17], 1, v[0:1]
	flat_load_ushort v22, v[22:23]
	s_waitcnt vmcnt(0) lgkmcnt(0)
	v_mul_f16_e32 v58, s12, v22
.LBB284_67:
	v_pk_max_f16 v22, v2, v2
	v_pk_max_f16 v23, v3, v3
	v_pk_min_f16 v2, v29, v22
	v_pk_min_f16 v3, v30, v23
	v_pk_add_f16 v2, v2, v57
	s_and_b64 vcc, exec, s[0:1]
	v_pk_add_f16 v57, v3, v2
	v_mad_i64_i32 v[2:3], s[4:5], v27, s15, 0
	v_lshl_add_u64 v[2:3], v[2:3], 1, s[2:3]
	v_add_f16_sdwa v27, v57, v57 dst_sel:DWORD dst_unused:UNUSED_PAD src0_sel:DWORD src1_sel:WORD_1
	v_add_f16_e32 v27, v27, v58
	v_lshl_add_u64 v[60:61], v[16:17], 1, v[2:3]
	global_store_short v[60:61], v27, off
	s_cbranch_vccnz .LBB284_69
; %bb.68:
	v_lshl_add_u64 v[26:27], v[20:21], 1, v[0:1]
	flat_load_ushort v26, v[26:27]
	s_waitcnt vmcnt(0) lgkmcnt(0)
	v_mul_f16_e32 v26, s12, v26
.LBB284_69:
	v_pk_min_f16 v27, v31, v22
	s_and_b64 vcc, exec, s[0:1]
	v_pk_add_f16 v27, v27, v56
	v_pk_min_f16 v56, v32, v23
	s_nop 0
	v_pk_add_f16 v27, v56, v27
	s_nop 0
	v_add_f16_sdwa v27, v27, v27 dst_sel:DWORD dst_unused:UNUSED_PAD src0_sel:DWORD src1_sel:WORD_1
	v_add_f16_e32 v56, v27, v26
	v_lshl_add_u64 v[26:27], v[20:21], 1, v[2:3]
	global_store_short v[26:27], v56, off
	v_mov_b32_e32 v26, 0
	v_mov_b32_e32 v27, 0
	s_cbranch_vccnz .LBB284_71
; %bb.70:
	v_lshl_add_u64 v[56:57], v[12:13], 1, v[0:1]
	flat_load_ushort v27, v[56:57]
	s_waitcnt vmcnt(0) lgkmcnt(0)
	v_mul_f16_e32 v27, s12, v27
.LBB284_71:
	v_pk_min_f16 v56, v33, v22
	s_and_b64 vcc, exec, s[0:1]
	v_pk_add_f16 v55, v56, v55
	v_pk_min_f16 v56, v34, v23
	s_nop 0
	v_pk_add_f16 v55, v56, v55
	v_lshl_add_u64 v[56:57], v[12:13], 1, v[2:3]
	v_add_f16_sdwa v55, v55, v55 dst_sel:DWORD dst_unused:UNUSED_PAD src0_sel:DWORD src1_sel:WORD_1
	v_add_f16_e32 v27, v55, v27
	global_store_short v[56:57], v27, off
	s_cbranch_vccnz .LBB284_73
; %bb.72:
	v_lshl_add_u64 v[26:27], v[14:15], 1, v[0:1]
	flat_load_ushort v26, v[26:27]
	s_waitcnt vmcnt(0) lgkmcnt(0)
	v_mul_f16_e32 v26, s12, v26
.LBB284_73:
	v_pk_min_f16 v27, v35, v22
	s_and_b64 vcc, exec, s[0:1]
	v_pk_add_f16 v27, v27, v53
	v_pk_min_f16 v53, v36, v23
	s_nop 0
	v_pk_add_f16 v27, v53, v27
	s_nop 0
	v_add_f16_sdwa v27, v27, v27 dst_sel:DWORD dst_unused:UNUSED_PAD src0_sel:DWORD src1_sel:WORD_1
	v_add_f16_e32 v53, v27, v26
	v_lshl_add_u64 v[26:27], v[14:15], 1, v[2:3]
	global_store_short v[26:27], v53, off
	v_mov_b32_e32 v26, 0
	v_mov_b32_e32 v27, 0
	s_cbranch_vccnz .LBB284_75
; %bb.74:
	v_lshl_add_u64 v[56:57], v[8:9], 1, v[0:1]
	flat_load_ushort v27, v[56:57]
	s_waitcnt vmcnt(0) lgkmcnt(0)
	v_mul_f16_e32 v27, s12, v27
.LBB284_75:
	v_pk_min_f16 v53, v37, v22
	s_and_b64 vcc, exec, s[0:1]
	v_pk_add_f16 v52, v53, v52
	v_pk_min_f16 v53, v38, v23
	s_nop 0
	v_pk_add_f16 v52, v53, v52
	s_nop 0
	v_add_f16_sdwa v52, v52, v52 dst_sel:DWORD dst_unused:UNUSED_PAD src0_sel:DWORD src1_sel:WORD_1
	v_add_f16_e32 v27, v52, v27
	v_lshl_add_u64 v[52:53], v[8:9], 1, v[2:3]
	global_store_short v[52:53], v27, off
	s_cbranch_vccnz .LBB284_77
; %bb.76:
	v_lshl_add_u64 v[26:27], v[10:11], 1, v[0:1]
	flat_load_ushort v26, v[26:27]
	s_waitcnt vmcnt(0) lgkmcnt(0)
	v_mul_f16_e32 v26, s12, v26
.LBB284_77:
	v_pk_min_f16 v27, v39, v22
	v_pk_min_f16 v52, v49, v23
	v_pk_add_f16 v27, v27, v54
	s_and_b64 vcc, exec, s[0:1]
	v_pk_add_f16 v27, v52, v27
	s_nop 0
	v_add_f16_sdwa v27, v27, v27 dst_sel:DWORD dst_unused:UNUSED_PAD src0_sel:DWORD src1_sel:WORD_1
	v_add_f16_e32 v52, v27, v26
	v_lshl_add_u64 v[26:27], v[10:11], 1, v[2:3]
	global_store_short v[26:27], v52, off
	v_mov_b32_e32 v26, 0
	v_mov_b32_e32 v27, 0
	s_cbranch_vccnz .LBB284_79
; %bb.78:
	v_lshl_add_u64 v[52:53], v[4:5], 1, v[0:1]
	flat_load_ushort v27, v[52:53]
	s_waitcnt vmcnt(0) lgkmcnt(0)
	v_mul_f16_e32 v27, s12, v27
.LBB284_79:
	v_pk_min_f16 v52, v50, v22
	s_and_b64 vcc, exec, s[0:1]
	v_pk_add_f16 v51, v52, v51
	v_pk_min_f16 v52, v59, v23
	s_nop 0
	v_pk_add_f16 v51, v52, v51
	v_lshl_add_u64 v[52:53], v[4:5], 1, v[2:3]
	v_add_f16_sdwa v51, v51, v51 dst_sel:DWORD dst_unused:UNUSED_PAD src0_sel:DWORD src1_sel:WORD_1
	v_add_f16_e32 v27, v51, v27
	global_store_short v[52:53], v27, off
	s_cbranch_vccnz .LBB284_81
; %bb.80:
	v_lshl_add_u64 v[0:1], v[6:7], 1, v[0:1]
	flat_load_ushort v0, v[0:1]
	s_waitcnt vmcnt(0) lgkmcnt(0)
	v_mul_f16_e32 v26, s12, v0
.LBB284_81:
	v_pk_min_f16 v0, v24, v22
	v_pk_min_f16 v1, v25, v23
	v_pk_add_f16 v0, v0, v48
	s_and_b64 vcc, exec, s[0:1]
	v_pk_add_f16 v0, v1, v0
	v_mov_b32_e32 v23, 0
	v_add_f16_sdwa v0, v0, v0 dst_sel:DWORD dst_unused:UNUSED_PAD src0_sel:DWORD src1_sel:WORD_1
	v_add_f16_e32 v22, v0, v26
	v_lshl_add_u64 v[0:1], v[6:7], 1, v[2:3]
	v_add_u32_e32 v2, 0x60, v28
	global_store_short v[0:1], v22, off
	v_mad_i64_i32 v[0:1], s[4:5], v2, s14, 0
	v_lshl_add_u64 v[0:1], v[0:1], 1, s[8:9]
	v_mov_b32_e32 v22, 0
	s_cbranch_vccnz .LBB284_83
; %bb.82:
	v_lshl_add_u64 v[26:27], v[16:17], 1, v[0:1]
	flat_load_ushort v3, v[26:27]
	s_waitcnt vmcnt(0) lgkmcnt(0)
	v_mul_f16_e32 v23, s12, v3
.LBB284_83:
	v_pk_max_f16 v18, v18, v18
	v_pk_max_f16 v19, v19, v19
	v_pk_min_f16 v3, v29, v18
	v_pk_min_f16 v26, v30, v19
	v_pk_add_f16 v3, v3, v47
	s_and_b64 vcc, exec, s[0:1]
	v_pk_add_f16 v26, v26, v3
	v_mad_i64_i32 v[2:3], s[4:5], v2, s15, 0
	v_lshl_add_u64 v[2:3], v[2:3], 1, s[2:3]
	v_add_f16_sdwa v26, v26, v26 dst_sel:DWORD dst_unused:UNUSED_PAD src0_sel:DWORD src1_sel:WORD_1
	v_add_f16_e32 v23, v26, v23
	v_lshl_add_u64 v[16:17], v[16:17], 1, v[2:3]
	global_store_short v[16:17], v23, off
	s_cbranch_vccnz .LBB284_85
; %bb.84:
	v_lshl_add_u64 v[16:17], v[20:21], 1, v[0:1]
	flat_load_ushort v16, v[16:17]
	s_waitcnt vmcnt(0) lgkmcnt(0)
	v_mul_f16_e32 v22, s12, v16
.LBB284_85:
	v_pk_min_f16 v16, v31, v18
	v_pk_min_f16 v17, v32, v19
	v_pk_add_f16 v16, v16, v44
	s_and_b64 vcc, exec, s[0:1]
	v_pk_add_f16 v16, v17, v16
	s_nop 0
	v_add_f16_sdwa v16, v16, v16 dst_sel:DWORD dst_unused:UNUSED_PAD src0_sel:DWORD src1_sel:WORD_1
	v_add_f16_e32 v22, v16, v22
	v_lshl_add_u64 v[16:17], v[20:21], 1, v[2:3]
	global_store_short v[16:17], v22, off
	v_mov_b32_e32 v16, 0
	v_mov_b32_e32 v17, 0
	s_cbranch_vccnz .LBB284_87
; %bb.86:
	v_lshl_add_u64 v[20:21], v[12:13], 1, v[0:1]
	flat_load_ushort v17, v[20:21]
	s_waitcnt vmcnt(0) lgkmcnt(0)
	v_mul_f16_e32 v17, s12, v17
.LBB284_87:
	v_pk_min_f16 v20, v33, v18
	v_pk_min_f16 v21, v34, v19
	v_pk_add_f16 v20, v20, v43
	v_lshl_add_u64 v[12:13], v[12:13], 1, v[2:3]
	v_pk_add_f16 v20, v21, v20
	s_and_b64 vcc, exec, s[0:1]
	v_add_f16_sdwa v20, v20, v20 dst_sel:DWORD dst_unused:UNUSED_PAD src0_sel:DWORD src1_sel:WORD_1
	v_add_f16_e32 v17, v20, v17
	global_store_short v[12:13], v17, off
	s_cbranch_vccnz .LBB284_89
; %bb.88:
	v_lshl_add_u64 v[12:13], v[14:15], 1, v[0:1]
	flat_load_ushort v12, v[12:13]
	s_waitcnt vmcnt(0) lgkmcnt(0)
	v_mul_f16_e32 v16, s12, v12
.LBB284_89:
	v_pk_min_f16 v12, v35, v18
	v_pk_min_f16 v13, v36, v19
	v_pk_add_f16 v12, v12, v42
	s_and_b64 vcc, exec, s[0:1]
	v_pk_add_f16 v12, v13, v12
	s_nop 0
	v_add_f16_sdwa v12, v12, v12 dst_sel:DWORD dst_unused:UNUSED_PAD src0_sel:DWORD src1_sel:WORD_1
	v_add_f16_e32 v16, v12, v16
	v_lshl_add_u64 v[12:13], v[14:15], 1, v[2:3]
	global_store_short v[12:13], v16, off
	v_mov_b32_e32 v12, 0
	v_mov_b32_e32 v13, 0
	s_cbranch_vccnz .LBB284_91
; %bb.90:
	v_lshl_add_u64 v[14:15], v[8:9], 1, v[0:1]
	flat_load_ushort v13, v[14:15]
	s_waitcnt vmcnt(0) lgkmcnt(0)
	v_mul_f16_e32 v13, s12, v13
.LBB284_91:
	v_pk_min_f16 v14, v37, v18
	v_pk_min_f16 v15, v38, v19
	v_pk_add_f16 v14, v14, v45
	v_lshl_add_u64 v[8:9], v[8:9], 1, v[2:3]
	v_pk_add_f16 v14, v15, v14
	s_and_b64 vcc, exec, s[0:1]
	v_add_f16_sdwa v14, v14, v14 dst_sel:DWORD dst_unused:UNUSED_PAD src0_sel:DWORD src1_sel:WORD_1
	v_add_f16_e32 v13, v14, v13
	global_store_short v[8:9], v13, off
	s_cbranch_vccnz .LBB284_93
; %bb.92:
	v_lshl_add_u64 v[8:9], v[10:11], 1, v[0:1]
	flat_load_ushort v8, v[8:9]
	s_waitcnt vmcnt(0) lgkmcnt(0)
	v_mul_f16_e32 v12, s12, v8
.LBB284_93:
	v_pk_min_f16 v8, v39, v18
	v_pk_min_f16 v9, v49, v19
	v_pk_add_f16 v8, v8, v41
	v_pk_min_f16 v13, v59, v19
	v_pk_add_f16 v8, v9, v8
	v_pk_min_f16 v9, v50, v18
	v_add_f16_sdwa v8, v8, v8 dst_sel:DWORD dst_unused:UNUSED_PAD src0_sel:DWORD src1_sel:WORD_1
	v_pk_add_f16 v9, v9, v46
	v_add_f16_e32 v12, v8, v12
	v_pk_add_f16 v13, v13, v9
	v_lshl_add_u64 v[8:9], v[10:11], 1, v[2:3]
	global_store_short v[8:9], v12, off
	v_add_f16_sdwa v8, v13, v13 dst_sel:DWORD dst_unused:UNUSED_PAD src0_sel:DWORD src1_sel:WORD_1
	s_mov_b64 vcc, s[6:7]
	s_cbranch_vccz .LBB284_96
; %bb.94:
	v_add_f16_e32 v9, 0, v8
	v_lshl_add_u64 v[10:11], v[4:5], 1, v[2:3]
	s_mov_b32 s2, 0
	global_store_short v[10:11], v9, off
	s_cbranch_execz .LBB284_97
; %bb.95:
	v_mov_b32_e32 v0, s2
	s_branch .LBB284_98
.LBB284_96:
                                        ; implicit-def: $sgpr2
.LBB284_97:
	v_lshlrev_b64 v[4:5], 1, v[4:5]
	v_lshl_add_u64 v[10:11], v[0:1], 0, v[4:5]
	flat_load_ushort v9, v[10:11]
	v_lshl_add_u64 v[4:5], v[2:3], 0, v[4:5]
	v_lshl_add_u64 v[0:1], v[6:7], 1, v[0:1]
	s_waitcnt vmcnt(0) lgkmcnt(0)
	v_fma_f16 v8, v9, s12, v8
	global_store_short v[4:5], v8, off
	flat_load_ushort v0, v[0:1]
	s_waitcnt vmcnt(0) lgkmcnt(0)
	v_mul_f16_e32 v0, s12, v0
.LBB284_98:
	v_pk_min_f16 v4, v24, v18
	v_pk_min_f16 v1, v25, v19
	v_pk_add_f16 v4, v4, v40
	s_nop 0
	v_pk_add_f16 v1, v1, v4
	s_nop 0
	v_add_f16_sdwa v1, v1, v1 dst_sel:DWORD dst_unused:UNUSED_PAD src0_sel:DWORD src1_sel:WORD_1
	v_add_f16_e32 v4, v1, v0
	v_lshl_add_u64 v[0:1], v[6:7], 1, v[2:3]
	global_store_short v[0:1], v4, off
	s_endpgm
	.section	.rodata,"a",@progbits
	.p2align	6, 0x0
	.amdhsa_kernel _ZN12_GLOBAL__N_120geam_min_plus_kernelIDF16_Dv2_DF16_S1_Li8ELi32ELi64ELi128ELi4ELi64ELi4ELi4ELi64ELc78ELc78ELb0ELb0ELb0EDF16_KDF16_DF16_EEviiiT16_PT17_ilS5_ilS3_S5_ilPT18_ili26rocblas_geam_ex_operation_
		.amdhsa_group_segment_fixed_size 3072
		.amdhsa_private_segment_fixed_size 0
		.amdhsa_kernarg_size 128
		.amdhsa_user_sgpr_count 2
		.amdhsa_user_sgpr_dispatch_ptr 0
		.amdhsa_user_sgpr_queue_ptr 0
		.amdhsa_user_sgpr_kernarg_segment_ptr 1
		.amdhsa_user_sgpr_dispatch_id 0
		.amdhsa_user_sgpr_kernarg_preload_length 0
		.amdhsa_user_sgpr_kernarg_preload_offset 0
		.amdhsa_user_sgpr_private_segment_size 0
		.amdhsa_uses_dynamic_stack 0
		.amdhsa_enable_private_segment 0
		.amdhsa_system_sgpr_workgroup_id_x 1
		.amdhsa_system_sgpr_workgroup_id_y 0
		.amdhsa_system_sgpr_workgroup_id_z 1
		.amdhsa_system_sgpr_workgroup_info 0
		.amdhsa_system_vgpr_workitem_id 1
		.amdhsa_next_free_vgpr 127
		.amdhsa_next_free_sgpr 29
		.amdhsa_accum_offset 128
		.amdhsa_reserve_vcc 1
		.amdhsa_float_round_mode_32 0
		.amdhsa_float_round_mode_16_64 0
		.amdhsa_float_denorm_mode_32 3
		.amdhsa_float_denorm_mode_16_64 3
		.amdhsa_dx10_clamp 1
		.amdhsa_ieee_mode 1
		.amdhsa_fp16_overflow 0
		.amdhsa_tg_split 0
		.amdhsa_exception_fp_ieee_invalid_op 0
		.amdhsa_exception_fp_denorm_src 0
		.amdhsa_exception_fp_ieee_div_zero 0
		.amdhsa_exception_fp_ieee_overflow 0
		.amdhsa_exception_fp_ieee_underflow 0
		.amdhsa_exception_fp_ieee_inexact 0
		.amdhsa_exception_int_div_zero 0
	.end_amdhsa_kernel
	.section	.text._ZN12_GLOBAL__N_120geam_min_plus_kernelIDF16_Dv2_DF16_S1_Li8ELi32ELi64ELi128ELi4ELi64ELi4ELi4ELi64ELc78ELc78ELb0ELb0ELb0EDF16_KDF16_DF16_EEviiiT16_PT17_ilS5_ilS3_S5_ilPT18_ili26rocblas_geam_ex_operation_,"axG",@progbits,_ZN12_GLOBAL__N_120geam_min_plus_kernelIDF16_Dv2_DF16_S1_Li8ELi32ELi64ELi128ELi4ELi64ELi4ELi4ELi64ELc78ELc78ELb0ELb0ELb0EDF16_KDF16_DF16_EEviiiT16_PT17_ilS5_ilS3_S5_ilPT18_ili26rocblas_geam_ex_operation_,comdat
.Lfunc_end284:
	.size	_ZN12_GLOBAL__N_120geam_min_plus_kernelIDF16_Dv2_DF16_S1_Li8ELi32ELi64ELi128ELi4ELi64ELi4ELi4ELi64ELc78ELc78ELb0ELb0ELb0EDF16_KDF16_DF16_EEviiiT16_PT17_ilS5_ilS3_S5_ilPT18_ili26rocblas_geam_ex_operation_, .Lfunc_end284-_ZN12_GLOBAL__N_120geam_min_plus_kernelIDF16_Dv2_DF16_S1_Li8ELi32ELi64ELi128ELi4ELi64ELi4ELi4ELi64ELc78ELc78ELb0ELb0ELb0EDF16_KDF16_DF16_EEviiiT16_PT17_ilS5_ilS3_S5_ilPT18_ili26rocblas_geam_ex_operation_
                                        ; -- End function
	.section	.AMDGPU.csdata,"",@progbits
; Kernel info:
; codeLenInByte = 9000
; NumSgprs: 35
; NumVgprs: 127
; NumAgprs: 0
; TotalNumVgprs: 127
; ScratchSize: 0
; MemoryBound: 0
; FloatMode: 240
; IeeeMode: 1
; LDSByteSize: 3072 bytes/workgroup (compile time only)
; SGPRBlocks: 4
; VGPRBlocks: 15
; NumSGPRsForWavesPerEU: 35
; NumVGPRsForWavesPerEU: 127
; AccumOffset: 128
; Occupancy: 4
; WaveLimiterHint : 0
; COMPUTE_PGM_RSRC2:SCRATCH_EN: 0
; COMPUTE_PGM_RSRC2:USER_SGPR: 2
; COMPUTE_PGM_RSRC2:TRAP_HANDLER: 0
; COMPUTE_PGM_RSRC2:TGID_X_EN: 1
; COMPUTE_PGM_RSRC2:TGID_Y_EN: 0
; COMPUTE_PGM_RSRC2:TGID_Z_EN: 1
; COMPUTE_PGM_RSRC2:TIDIG_COMP_CNT: 1
; COMPUTE_PGM_RSRC3_GFX90A:ACCUM_OFFSET: 31
; COMPUTE_PGM_RSRC3_GFX90A:TG_SPLIT: 0
	.section	.text._ZN12_GLOBAL__N_120geam_min_plus_kernelIDF16_Dv2_DF16_S1_Li8ELi32ELi64ELi128ELi4ELi64ELi4ELi4ELi64ELc78ELc78ELb0ELb1ELb0EPKDF16_S2_DF16_EEviiiT16_PT17_ilS6_ilS4_S6_ilPT18_ili26rocblas_geam_ex_operation_,"axG",@progbits,_ZN12_GLOBAL__N_120geam_min_plus_kernelIDF16_Dv2_DF16_S1_Li8ELi32ELi64ELi128ELi4ELi64ELi4ELi4ELi64ELc78ELc78ELb0ELb1ELb0EPKDF16_S2_DF16_EEviiiT16_PT17_ilS6_ilS4_S6_ilPT18_ili26rocblas_geam_ex_operation_,comdat
	.globl	_ZN12_GLOBAL__N_120geam_min_plus_kernelIDF16_Dv2_DF16_S1_Li8ELi32ELi64ELi128ELi4ELi64ELi4ELi4ELi64ELc78ELc78ELb0ELb1ELb0EPKDF16_S2_DF16_EEviiiT16_PT17_ilS6_ilS4_S6_ilPT18_ili26rocblas_geam_ex_operation_ ; -- Begin function _ZN12_GLOBAL__N_120geam_min_plus_kernelIDF16_Dv2_DF16_S1_Li8ELi32ELi64ELi128ELi4ELi64ELi4ELi4ELi64ELc78ELc78ELb0ELb1ELb0EPKDF16_S2_DF16_EEviiiT16_PT17_ilS6_ilS4_S6_ilPT18_ili26rocblas_geam_ex_operation_
	.p2align	8
	.type	_ZN12_GLOBAL__N_120geam_min_plus_kernelIDF16_Dv2_DF16_S1_Li8ELi32ELi64ELi128ELi4ELi64ELi4ELi4ELi64ELc78ELc78ELb0ELb1ELb0EPKDF16_S2_DF16_EEviiiT16_PT17_ilS6_ilS4_S6_ilPT18_ili26rocblas_geam_ex_operation_,@function
_ZN12_GLOBAL__N_120geam_min_plus_kernelIDF16_Dv2_DF16_S1_Li8ELi32ELi64ELi128ELi4ELi64ELi4ELi4ELi64ELc78ELc78ELb0ELb1ELb0EPKDF16_S2_DF16_EEviiiT16_PT17_ilS6_ilS4_S6_ilPT18_ili26rocblas_geam_ex_operation_: ; @_ZN12_GLOBAL__N_120geam_min_plus_kernelIDF16_Dv2_DF16_S1_Li8ELi32ELi64ELi128ELi4ELi64ELi4ELi4ELi64ELc78ELc78ELb0ELb1ELb0EPKDF16_S2_DF16_EEviiiT16_PT17_ilS6_ilS4_S6_ilPT18_ili26rocblas_geam_ex_operation_
; %bb.0:
	s_load_dwordx4 s[4:7], s[0:1], 0x10
	s_load_dwordx4 s[8:11], s[0:1], 0x28
	;; [unrolled: 1-line block ×3, first 2 shown]
	s_load_dwordx2 s[20:21], s[0:1], 0x50
	s_mov_b32 s16, s3
	s_mov_b32 s17, 0
	s_lshl_b64 s[18:19], s[16:17], 1
	s_waitcnt lgkmcnt(0)
	s_add_u32 s4, s4, s18
	s_addc_u32 s5, s5, s19
	v_mov_b32_e32 v1, 0
	global_load_ushort v38, v1, s[4:5]
	s_add_u32 s4, s14, s18
	s_addc_u32 s5, s15, s19
	global_load_ushort v44, v1, s[4:5]
	s_mov_b64 s[18:19], 0
	s_mov_b64 s[26:27], 0
	s_waitcnt vmcnt(1)
	v_cmp_eq_f16_e32 vcc, 0, v38
	v_cmp_neq_f16_e64 s[4:5], 0, v38
	s_cbranch_vccnz .LBB285_2
; %bb.1:
	s_mul_i32 s3, s16, s9
	s_mul_hi_u32 s9, s16, s8
	s_add_i32 s9, s9, s3
	s_mul_i32 s8, s16, s8
	s_lshl_b64 s[8:9], s[8:9], 1
	s_add_u32 s26, s6, s8
	s_addc_u32 s27, s7, s9
.LBB285_2:
	s_andn2_b64 vcc, exec, s[4:5]
	s_cbranch_vccnz .LBB285_4
; %bb.3:
	s_mul_i32 s3, s16, s13
	s_mul_hi_u32 s6, s16, s12
	s_add_i32 s7, s6, s3
	s_mul_i32 s6, s16, s12
	s_lshl_b64 s[6:7], s[6:7], 1
	s_add_u32 s18, s10, s6
	s_addc_u32 s19, s11, s7
.LBB285_4:
	s_load_dwordx4 s[12:15], s[0:1], 0x60
	s_waitcnt vmcnt(0)
	v_cmp_eq_f16_e32 vcc, 0, v44
	v_cmp_neq_f16_e64 s[8:9], 0, v44
	s_cbranch_vccnz .LBB285_6
; %bb.5:
	s_waitcnt lgkmcnt(0)
	s_mul_i32 s3, s16, s13
	s_mul_hi_u32 s6, s16, s12
	s_add_i32 s7, s6, s3
	s_mul_i32 s6, s16, s12
	s_lshl_b64 s[6:7], s[6:7], 1
	s_add_u32 s24, s20, s6
	s_addc_u32 s25, s21, s7
	s_branch .LBB285_7
.LBB285_6:
	s_mov_b64 s[24:25], 0
.LBB285_7:
	s_load_dwordx4 s[20:23], s[0:1], 0x0
	s_load_dword s28, s[0:1], 0x20
	v_and_b32_e32 v36, 0x3ff, v0
	v_bfe_u32 v37, v0, 10, 10
	v_lshl_add_u32 v2, v37, 3, v36
	s_waitcnt lgkmcnt(0)
	s_add_i32 s3, s20, -1
	s_ashr_i32 s6, s3, 31
	s_lshr_b32 s6, s6, 26
	s_add_i32 s3, s3, s6
	s_ashr_i32 s3, s3, 6
	s_add_i32 s11, s3, 1
	v_cvt_f32_u32_e32 v1, s11
	s_not_b32 s3, s3
	s_ashr_i32 s29, s28, 31
	v_and_b32_e32 v10, 63, v2
	v_rcp_iflag_f32_e32 v0, v1
	v_lshrrev_b32_e32 v39, 6, v2
	v_cmp_gt_i32_e64 s[6:7], s22, v39
	v_mov_b32_e32 v9, 0
	v_mul_f32_e32 v0, 0x4f7ffffe, v0
	v_cvt_u32_f32_e32 v0, v0
	v_mov_b32_e32 v11, 0
	v_readfirstlane_b32 s10, v0
	s_mul_i32 s3, s3, s10
	s_mul_hi_u32 s3, s10, s3
	s_add_i32 s10, s10, s3
	s_mul_hi_u32 s3, s2, s10
	s_mul_i32 s10, s3, s11
	s_sub_i32 s10, s2, s10
	s_add_i32 s12, s3, 1
	s_sub_i32 s13, s10, s11
	s_cmp_ge_u32 s10, s11
	s_cselect_b32 s3, s12, s3
	s_cselect_b32 s10, s13, s10
	s_add_i32 s12, s3, 1
	s_cmp_ge_u32 s10, s11
	s_cselect_b32 s10, s12, s3
	s_mul_i32 s3, s10, s11
	s_sub_i32 s2, s2, s3
	s_lshl_b32 s17, s2, 6
	v_or_b32_e32 v0, s17, v10
	v_cmp_gt_i32_e32 vcc, s20, v0
	s_and_b64 s[2:3], s[6:7], vcc
	v_ashrrev_i32_e32 v1, 31, v0
	s_and_b64 s[6:7], s[4:5], s[2:3]
	s_and_saveexec_b64 s[2:3], s[6:7]
	s_cbranch_execz .LBB285_9
; %bb.8:
	v_mad_i64_i32 v[4:5], s[6:7], s28, v39, 0
	v_lshl_add_u64 v[4:5], v[4:5], 1, s[26:27]
	v_lshl_add_u64 v[4:5], v[0:1], 1, v[4:5]
	flat_load_ushort v3, v[4:5]
	s_waitcnt vmcnt(0) lgkmcnt(0)
	v_mul_f16_e32 v11, v38, v3
.LBB285_9:
	s_or_b64 exec, exec, s[2:3]
	v_lshrrev_b32_e32 v12, 2, v2
	s_lshl_b32 s30, s10, 7
	s_load_dword s34, s[0:1], 0x38
	v_add_u32_e32 v4, s30, v12
	v_and_b32_e32 v40, 3, v36
	s_add_i32 s23, s22, -1
	v_cmp_le_i32_e64 s[2:3], s21, v4
	s_xor_b64 s[12:13], s[4:5], -1
	v_cmp_le_i32_e64 s[6:7], s22, v40
	v_min_i32_e32 v2, s23, v40
	s_or_b64 s[10:11], s[2:3], s[12:13]
	v_ashrrev_i32_e32 v3, 31, v2
	s_or_b64 s[2:3], s[6:7], s[10:11]
	v_lshl_add_u64 v[2:3], v[2:3], 1, s[18:19]
	s_xor_b64 s[36:37], s[2:3], -1
	s_and_saveexec_b64 s[2:3], s[36:37]
	s_cbranch_execz .LBB285_11
; %bb.10:
	s_waitcnt lgkmcnt(0)
	v_mad_i64_i32 v[6:7], s[36:37], v4, s34, 0
	v_lshl_add_u64 v[6:7], v[6:7], 1, v[2:3]
	flat_load_ushort v5, v[6:7]
	s_waitcnt vmcnt(0) lgkmcnt(0)
	v_mul_f16_e32 v9, v38, v5
.LBB285_11:
	s_or_b64 exec, exec, s[2:3]
	v_add_u32_e32 v5, 64, v4
	v_cmp_le_i32_e64 s[2:3], s21, v5
	s_or_b64 s[12:13], s[2:3], s[12:13]
	s_or_b64 s[2:3], s[6:7], s[12:13]
	s_xor_b64 s[6:7], s[2:3], -1
	v_mov_b32_e32 v6, 0
	v_mov_b32_e32 v13, 0
	s_and_saveexec_b64 s[2:3], s[6:7]
	s_cbranch_execz .LBB285_13
; %bb.12:
	s_waitcnt lgkmcnt(0)
	v_mad_i64_i32 v[14:15], s[6:7], v5, s34, 0
	v_lshl_add_u64 v[2:3], v[14:15], 1, v[2:3]
	flat_load_ushort v2, v[2:3]
	s_waitcnt vmcnt(0) lgkmcnt(0)
	v_mul_f16_e32 v13, v38, v2
.LBB285_13:
	s_or_b64 exec, exec, s[2:3]
	v_add_u32_e32 v2, 4, v39
	v_cmp_gt_i32_e64 s[2:3], s22, v2
	s_and_b64 s[2:3], vcc, s[2:3]
	s_and_b64 s[6:7], s[4:5], s[2:3]
	s_and_saveexec_b64 s[2:3], s[6:7]
	s_cbranch_execz .LBB285_15
; %bb.14:
	v_mad_u64_u32 v[6:7], s[6:7], s28, v2, 0
	v_mov_b32_e32 v8, v7
	v_mad_u64_u32 v[2:3], s[6:7], s29, v2, v[8:9]
	v_mov_b32_e32 v7, v2
	v_lshl_add_u64 v[2:3], v[6:7], 1, s[26:27]
	v_lshl_add_u64 v[2:3], v[0:1], 1, v[2:3]
	flat_load_ushort v2, v[2:3]
	s_waitcnt vmcnt(0) lgkmcnt(0)
	v_mul_f16_e32 v6, v38, v2
.LBB285_15:
	s_or_b64 exec, exec, s[2:3]
	v_or_b32_e32 v2, 4, v40
	v_cmp_le_i32_e64 s[6:7], s22, v2
	v_min_i32_e32 v2, s23, v2
	v_ashrrev_i32_e32 v3, 31, v2
	s_or_b64 s[2:3], s[6:7], s[10:11]
	v_lshl_add_u64 v[2:3], v[2:3], 1, s[18:19]
	s_xor_b64 s[36:37], s[2:3], -1
	v_mov_b32_e32 v7, 0
	v_mov_b32_e32 v8, 0
	s_and_saveexec_b64 s[2:3], s[36:37]
	s_cbranch_execz .LBB285_17
; %bb.16:
	s_waitcnt lgkmcnt(0)
	v_mad_i64_i32 v[14:15], s[36:37], v4, s34, 0
	v_lshl_add_u64 v[14:15], v[14:15], 1, v[2:3]
	flat_load_ushort v8, v[14:15]
	s_waitcnt vmcnt(0) lgkmcnt(0)
	v_mul_f16_e32 v8, v38, v8
.LBB285_17:
	s_or_b64 exec, exec, s[2:3]
	s_or_b64 s[2:3], s[6:7], s[12:13]
	s_xor_b64 s[6:7], s[2:3], -1
	s_and_saveexec_b64 s[2:3], s[6:7]
	s_cbranch_execz .LBB285_19
; %bb.18:
	s_waitcnt lgkmcnt(0)
	v_mad_i64_i32 v[14:15], s[6:7], v5, s34, 0
	v_lshl_add_u64 v[2:3], v[14:15], 1, v[2:3]
	flat_load_ushort v2, v[2:3]
	s_waitcnt vmcnt(0) lgkmcnt(0)
	v_mul_f16_e32 v7, v38, v2
.LBB285_19:
	s_or_b64 exec, exec, s[2:3]
	v_lshlrev_b32_e32 v2, 3, v10
	v_lshlrev_b32_e32 v3, 1, v40
	v_lshlrev_b32_e32 v42, 3, v36
	v_lshl_add_u32 v2, v39, 1, v2
	v_lshl_or_b32 v43, v12, 3, v3
	v_lshlrev_b32_e32 v41, 3, v37
	v_add_u32_e32 v70, 0x800, v42
	ds_write_b16 v2, v11 offset:2048
	ds_write_b16 v43, v9
	ds_write_b16 v43, v13 offset:512
	s_waitcnt lgkmcnt(0)
	s_barrier
	ds_read2_b64 v[10:13], v41 offset1:32
	ds_read2_b64 v[14:17], v70 offset0:48 offset1:56
	ds_read2_b64 v[18:21], v41 offset0:64 offset1:96
	ds_read2_b64 v[22:25], v70 offset1:8
	ds_read2_b64 v[26:29], v70 offset0:16 offset1:24
	ds_read2_b64 v[30:33], v70 offset0:32 offset1:40
	s_waitcnt lgkmcnt(5)
	v_pk_max_f16 v3, v10, v10
	s_waitcnt lgkmcnt(4)
	v_pk_max_f16 v9, v16, v16
	v_pk_max_f16 v12, v12, v12
	v_pk_min_f16 v10, v9, v3
	s_waitcnt lgkmcnt(3)
	v_pk_max_f16 v18, v18, v18
	s_waitcnt lgkmcnt(2)
	v_pk_max_f16 v22, v22, v22
	v_pk_max_f16 v20, v20, v20
	v_pk_max_f16 v24, v24, v24
	s_waitcnt lgkmcnt(1)
	v_pk_max_f16 v26, v26, v26
	v_pk_max_f16 v28, v28, v28
	;; [unrolled: 4-line block ×3, first 2 shown]
	v_pk_max_f16 v14, v14, v14
	v_pk_max_f16 v17, v17, v17
	v_pk_min_f16 v16, v9, v12
	v_pk_min_f16 v34, v22, v3
	v_pk_min_f16 v35, v22, v12
	v_pk_min_f16 v45, v22, v18
	v_pk_min_f16 v22, v22, v20
	v_pk_min_f16 v46, v24, v3
	v_pk_min_f16 v47, v24, v12
	v_pk_min_f16 v48, v24, v18
	v_pk_min_f16 v24, v24, v20
	v_pk_min_f16 v49, v26, v3
	v_pk_min_f16 v50, v26, v12
	v_pk_min_f16 v51, v26, v18
	v_pk_min_f16 v26, v26, v20
	v_pk_min_f16 v54, v28, v3
	v_pk_min_f16 v55, v28, v12
	v_pk_min_f16 v56, v28, v18
	v_pk_min_f16 v28, v28, v20
	v_pk_max_f16 v13, v13, v13
	v_pk_min_f16 v57, v30, v3
	v_pk_min_f16 v58, v30, v12
	;; [unrolled: 1-line block ×14, first 2 shown]
	v_pk_add_f16 v10, v10, 0
	v_pk_min_f16 v20, v17, v11
	v_pk_max_f16 v19, v19, v19
	v_pk_add_f16 v69, v10, v20
	v_pk_add_f16 v10, v16, 0
	v_pk_min_f16 v16, v17, v13
	v_pk_max_f16 v23, v23, v23
	v_pk_add_f16 v61, v10, v16
	;; [unrolled: 4-line block ×5, first 2 shown]
	v_pk_add_f16 v10, v45, 0
	v_pk_min_f16 v16, v23, v19
	v_pk_add_f16 v20, v50, 0
	v_pk_add_f16 v60, v10, v16
	;; [unrolled: 1-line block ×3, first 2 shown]
	v_pk_min_f16 v16, v23, v21
	v_pk_add_f16 v22, v51, 0
	v_pk_add_f16 v52, v10, v16
	;; [unrolled: 1-line block ×3, first 2 shown]
	v_pk_min_f16 v16, v25, v11
	v_pk_max_f16 v29, v29, v29
	v_pk_add_f16 v76, v10, v16
	v_pk_add_f16 v10, v47, 0
	v_pk_min_f16 v16, v25, v13
	v_pk_add_f16 v23, v26, 0
	v_pk_add_f16 v67, v10, v16
	;; [unrolled: 1-line block ×3, first 2 shown]
	v_pk_min_f16 v16, v25, v19
	v_pk_min_f16 v25, v25, v21
	v_pk_add_f16 v59, v10, v16
	v_pk_add_f16 v10, v24, 0
	;; [unrolled: 1-line block ×4, first 2 shown]
	v_pk_min_f16 v10, v27, v11
	v_pk_add_f16 v45, v58, 0
	v_pk_add_f16 v75, v16, v10
	v_pk_min_f16 v10, v27, v13
	v_pk_add_f16 v24, v54, 0
	v_pk_add_f16 v66, v20, v10
	v_pk_min_f16 v10, v27, v19
	v_pk_add_f16 v26, v55, 0
	v_pk_add_f16 v58, v22, v10
	v_pk_min_f16 v10, v27, v21
	v_pk_add_f16 v34, v56, 0
	v_pk_add_f16 v50, v23, v10
	v_pk_min_f16 v10, v29, v11
	v_pk_add_f16 v55, v65, 0
	v_pk_add_f16 v74, v24, v10
	v_pk_min_f16 v10, v29, v13
	v_pk_add_f16 v28, v28, 0
	v_pk_add_f16 v65, v26, v10
	v_pk_min_f16 v10, v29, v19
	v_pk_add_f16 v35, v57, 0
	v_pk_add_f16 v57, v34, v10
	v_pk_min_f16 v10, v29, v21
	v_pk_add_f16 v30, v30, 0
	v_pk_add_f16 v49, v28, v10
	v_pk_max_f16 v10, v31, v31
	v_pk_add_f16 v54, v64, 0
	v_pk_min_f16 v16, v10, v11
	v_pk_add_f16 v46, v62, 0
	v_pk_add_f16 v73, v35, v16
	v_pk_min_f16 v16, v10, v13
	v_pk_add_f16 v47, v63, 0
	v_pk_add_f16 v64, v45, v16
	v_pk_min_f16 v16, v10, v19
	v_pk_min_f16 v10, v10, v21
	v_pk_add_f16 v56, v46, v16
	v_pk_add_f16 v48, v30, v10
	v_pk_max_f16 v10, v33, v33
	v_pk_add_f16 v32, v32, 0
	v_pk_min_f16 v16, v10, v11
	v_pk_add_f16 v3, v3, 0
	v_pk_add_f16 v72, v47, v16
	v_pk_min_f16 v16, v10, v13
	v_pk_add_f16 v12, v12, 0
	v_pk_add_f16 v63, v54, v16
	v_pk_min_f16 v16, v10, v19
	v_pk_min_f16 v10, v10, v21
	v_pk_add_f16 v18, v18, 0
	v_pk_add_f16 v47, v32, v10
	v_pk_max_f16 v10, v15, v15
	v_pk_add_f16 v14, v14, 0
	v_pk_min_f16 v11, v10, v11
	v_pk_add_f16 v9, v9, 0
	v_pk_add_f16 v71, v3, v11
	v_pk_min_f16 v3, v10, v13
	s_mov_b32 s31, 0
	v_pk_add_f16 v62, v12, v3
	v_pk_min_f16 v3, v10, v19
	v_pk_add_f16 v55, v55, v16
	v_pk_add_f16 v54, v18, v3
	v_pk_min_f16 v3, v10, v21
	s_cmp_lt_i32 s22, 9
	v_pk_add_f16 v46, v14, v3
	v_pk_min_f16 v3, v17, v21
	ds_write_b16 v2, v6 offset:2560
	ds_write_b16 v43, v8 offset:1024
	;; [unrolled: 1-line block ×3, first 2 shown]
	v_pk_add_f16 v45, v9, v3
	s_waitcnt lgkmcnt(0)
	s_barrier
	s_cbranch_scc1 .LBB285_34
; %bb.20:
	v_lshl_add_u64 v[24:25], v[0:1], 1, s[26:27]
	v_mov_b32_e32 v0, 0xa00
	v_lshl_add_u32 v81, v36, 3, v0
	v_add_u32_e32 v0, v41, v36
	v_or_b32_e32 v78, 0x800, v2
	v_add_u32_e32 v79, 0xa00, v2
	v_lshrrev_b32_e32 v2, 6, v0
	v_add_u32_e32 v0, 12, v2
	v_mad_i64_i32 v[0:1], s[2:3], v0, s28, 0
	v_lshlrev_b64 v[30:31], 1, v[0:1]
	v_add_u32_e32 v0, 8, v2
	v_mad_i64_i32 v[0:1], s[2:3], v0, s28, 0
	v_add_u32_e32 v80, 0x400, v43
	s_add_i32 s33, s22, -8
	v_mad_i64_i32 v[26:27], s[2:3], v4, s34, 0
	v_mad_i64_i32 v[28:29], s[2:3], v5, s34, 0
	v_add_u32_e32 v82, 0x400, v41
	s_lshl_b64 s[26:27], s[28:29], 4
	v_lshlrev_b64 v[32:33], 1, v[0:1]
	s_branch .LBB285_22
.LBB285_21:                             ;   in Loop: Header=BB285_22 Depth=1
	s_or_b64 exec, exec, s[2:3]
	v_pk_add_f16 v20, v61, v20
	v_pk_add_f16 v12, v53, v12
	;; [unrolled: 1-line block ×19, first 2 shown]
	ds_read2_b64 v[6:9], v70 offset0:48 offset1:56
	ds_read2_b64 v[10:13], v41 offset1:32
	v_pk_add_f16 v2, v69, v2
	v_pk_add_f16 v22, v68, v22
	;; [unrolled: 1-line block ×5, first 2 shown]
	s_waitcnt lgkmcnt(1)
	v_pk_max_f16 v8, v8, v8
	s_waitcnt lgkmcnt(0)
	v_pk_max_f16 v10, v10, v10
	v_pk_add_f16 v16, v77, v16
	v_pk_add_f16 v61, v63, v99
	v_pk_add_f16 v45, v45, v105
	v_pk_add_f16 v63, v2, v3
	v_pk_add_f16 v22, v22, v23
	v_pk_add_f16 v23, v34, v106
	v_pk_add_f16 v34, v14, v15
	v_pk_add_f16 v67, v0, v123
	v_pk_add_f16 v46, v46, v1
	ds_read2_b64 v[0:3], v41 offset0:64 offset1:96
	v_pk_min_f16 v14, v8, v10
	v_pk_add_f16 v60, v64, v96
	v_pk_add_f16 v64, v16, v17
	;; [unrolled: 1-line block ×4, first 2 shown]
	ds_read2_b64 v[14:17], v70 offset1:8
	v_pk_max_f16 v12, v12, v12
	s_waitcnt lgkmcnt(1)
	v_pk_max_f16 v0, v0, v0
	v_pk_min_f16 v63, v8, v12
	v_pk_max_f16 v2, v2, v2
	v_pk_add_f16 v63, v20, v63
	v_pk_min_f16 v20, v8, v0
	s_waitcnt lgkmcnt(0)
	v_pk_max_f16 v14, v14, v14
	v_pk_add_f16 v68, v21, v20
	v_pk_min_f16 v20, v14, v10
	v_pk_max_f16 v16, v16, v16
	v_pk_add_f16 v64, v64, v20
	v_pk_min_f16 v20, v14, v12
	v_pk_add_f16 v51, v51, v89
	v_pk_add_f16 v22, v22, v20
	v_pk_min_f16 v20, v14, v0
	v_pk_min_f16 v14, v14, v2
	v_pk_add_f16 v23, v23, v20
	v_pk_min_f16 v20, v16, v10
	v_pk_add_f16 v14, v34, v14
	v_pk_add_f16 v34, v18, v20
	v_pk_min_f16 v18, v16, v12
	v_pk_add_f16 v51, v51, v109
	v_pk_add_f16 v71, v19, v18
	ds_read2_b64 v[18:21], v70 offset0:16 offset1:24
	v_pk_min_f16 v69, v16, v0
	v_pk_min_f16 v16, v16, v2
	v_pk_add_f16 v50, v50, v92
	v_pk_add_f16 v16, v51, v16
	s_waitcnt lgkmcnt(0)
	v_pk_max_f16 v18, v18, v18
	v_pk_add_f16 v53, v53, v110
	v_pk_min_f16 v51, v18, v10
	ds_read2_b64 v[86:89], v70 offset0:32 offset1:40
	v_pk_add_f16 v72, v52, v51
	v_pk_min_f16 v51, v18, v12
	v_pk_add_f16 v4, v73, v4
	v_pk_add_f16 v50, v50, v112
	;; [unrolled: 1-line block ×3, first 2 shown]
	v_pk_min_f16 v51, v18, v0
	v_pk_min_f16 v18, v18, v2
	v_pk_max_f16 v20, v20, v20
	v_pk_add_f16 v18, v50, v18
	v_pk_min_f16 v50, v20, v10
	v_pk_add_f16 v49, v49, v95
	v_pk_add_f16 v59, v59, v113
	;; [unrolled: 1-line block ×3, first 2 shown]
	v_pk_min_f16 v50, v20, v12
	v_pk_add_f16 v57, v57, v94
	v_pk_add_f16 v49, v49, v115
	;; [unrolled: 1-line block ×3, first 2 shown]
	v_pk_min_f16 v50, v20, v0
	v_pk_min_f16 v20, v20, v2
	v_pk_add_f16 v57, v57, v114
	v_pk_add_f16 v20, v49, v20
	s_waitcnt lgkmcnt(0)
	v_pk_max_f16 v49, v86, v86
	v_pk_add_f16 v4, v4, v116
	v_pk_add_f16 v57, v57, v50
	v_pk_min_f16 v50, v49, v10
	v_pk_add_f16 v48, v48, v98
	v_pk_add_f16 v60, v60, v117
	;; [unrolled: 1-line block ×3, first 2 shown]
	v_pk_min_f16 v50, v49, v12
	v_pk_add_f16 v56, v56, v97
	v_pk_add_f16 v48, v48, v119
	;; [unrolled: 1-line block ×3, first 2 shown]
	v_pk_min_f16 v50, v49, v0
	v_pk_min_f16 v49, v49, v2
	v_pk_add_f16 v56, v56, v118
	v_pk_add_f16 v48, v48, v49
	v_pk_max_f16 v49, v88, v88
	v_pk_add_f16 v56, v56, v50
	v_pk_min_f16 v50, v49, v10
	v_pk_add_f16 v61, v61, v120
	v_pk_add_f16 v88, v66, v50
	v_pk_min_f16 v50, v49, v12
	v_pk_max_f16 v6, v6, v6
	v_pk_add_f16 v58, v58, v91
	v_pk_add_f16 v91, v61, v50
	v_pk_min_f16 v50, v49, v0
	v_pk_min_f16 v49, v49, v2
	;; [unrolled: 1-line block ×7, first 2 shown]
	v_pk_max_f16 v8, v11, v11
	v_pk_add_f16 v2, v5, v2
	v_pk_max_f16 v5, v9, v9
	v_pk_add_f16 v35, v35, v69
	v_pk_min_f16 v9, v5, v8
	v_pk_max_f16 v1, v1, v1
	v_pk_add_f16 v69, v45, v9
	v_pk_max_f16 v9, v13, v13
	v_pk_max_f16 v3, v3, v3
	v_pk_min_f16 v11, v5, v9
	v_pk_add_f16 v58, v58, v111
	v_pk_add_f16 v61, v63, v11
	v_pk_min_f16 v11, v5, v1
	v_pk_add_f16 v10, v67, v10
	v_pk_add_f16 v53, v68, v11
	v_pk_max_f16 v11, v15, v15
	v_pk_add_f16 v58, v58, v51
	v_pk_min_f16 v13, v11, v8
	v_pk_add_f16 v55, v55, v100
	v_pk_add_f16 v77, v64, v13
	v_pk_min_f16 v13, v11, v9
	v_pk_add_f16 v55, v55, v121
	v_pk_add_f16 v68, v22, v13
	v_pk_min_f16 v13, v11, v1
	v_pk_min_f16 v11, v11, v3
	v_pk_add_f16 v60, v23, v13
	v_pk_add_f16 v52, v14, v11
	v_pk_max_f16 v11, v17, v17
	v_pk_add_f16 v55, v55, v50
	v_pk_min_f16 v13, v11, v8
	v_pk_add_f16 v47, v47, v101
	v_pk_add_f16 v76, v34, v13
	v_pk_min_f16 v13, v11, v9
	v_pk_add_f16 v47, v47, v122
	v_pk_add_f16 v67, v71, v13
	v_pk_min_f16 v13, v11, v1
	;; [unrolled: 12-line block ×4, first 2 shown]
	v_pk_min_f16 v11, v11, v3
	v_pk_add_f16 v57, v57, v13
	v_pk_add_f16 v49, v20, v11
	v_pk_max_f16 v11, v87, v87
	v_pk_add_f16 v6, v46, v6
	v_pk_min_f16 v13, v11, v8
	v_pk_add_f16 v12, v62, v12
	v_pk_add_f16 v73, v4, v13
	v_pk_min_f16 v4, v11, v9
	s_add_i32 s31, s31, 8
	v_pk_add_f16 v64, v86, v4
	v_pk_min_f16 v4, v11, v1
	s_cmp_ge_i32 s31, s33
	v_pk_add_f16 v56, v56, v4
	v_pk_min_f16 v4, v11, v3
	v_lshl_add_u64 v[24:25], v[24:25], 0, s[26:27]
	v_pk_add_f16 v48, v48, v4
	v_pk_max_f16 v4, v89, v89
	ds_write_b16 v79, v83
	ds_write_b16 v80, v85
	ds_write_b16 v80, v84 offset:512
	v_pk_min_f16 v11, v4, v8
	s_waitcnt lgkmcnt(0)
	v_pk_add_f16 v72, v88, v11
	v_pk_min_f16 v11, v4, v9
	s_barrier
	v_pk_add_f16 v63, v91, v11
	v_pk_min_f16 v11, v4, v1
	v_pk_min_f16 v4, v4, v3
	v_pk_add_f16 v55, v55, v11
	v_pk_add_f16 v47, v47, v4
	v_pk_max_f16 v4, v7, v7
	s_nop 0
	v_pk_min_f16 v1, v4, v1
	v_pk_min_f16 v7, v4, v8
	v_pk_add_f16 v54, v0, v1
	v_pk_min_f16 v0, v4, v3
	v_pk_add_f16 v71, v10, v7
	;; [unrolled: 2-line block ×4, first 2 shown]
	v_pk_add_f16 v45, v2, v0
	s_cbranch_scc1 .LBB285_34
.LBB285_22:                             ; =>This Inner Loop Header: Depth=1
	v_add_u32_e32 v34, s31, v39
	v_add_u32_e32 v0, 8, v34
	v_cmp_gt_i32_e64 s[2:3], s22, v0
	s_and_b64 s[2:3], vcc, s[2:3]
	s_and_b64 s[6:7], s[4:5], s[2:3]
	v_mov_b32_e32 v84, 0
	v_mov_b32_e32 v85, 0
	s_and_saveexec_b64 s[2:3], s[6:7]
	s_cbranch_execz .LBB285_24
; %bb.23:                               ;   in Loop: Header=BB285_22 Depth=1
	v_lshl_add_u64 v[0:1], v[24:25], 0, v[32:33]
	flat_load_ushort v0, v[0:1]
	s_waitcnt vmcnt(0) lgkmcnt(0)
	v_mul_f16_e32 v85, v38, v0
.LBB285_24:                             ;   in Loop: Header=BB285_22 Depth=1
	s_or_b64 exec, exec, s[2:3]
	v_add_u32_e32 v35, s31, v40
	v_add_u32_e32 v0, 8, v35
	v_cmp_le_i32_e64 s[6:7], s22, v0
	v_min_i32_e32 v0, s23, v0
	v_ashrrev_i32_e32 v1, 31, v0
	s_or_b64 s[2:3], s[10:11], s[6:7]
	v_lshl_add_u64 v[0:1], v[0:1], 1, s[18:19]
	s_xor_b64 s[28:29], s[2:3], -1
	s_and_saveexec_b64 s[2:3], s[28:29]
	s_cbranch_execz .LBB285_26
; %bb.25:                               ;   in Loop: Header=BB285_22 Depth=1
	v_lshl_add_u64 v[2:3], v[26:27], 1, v[0:1]
	flat_load_ushort v2, v[2:3]
	s_waitcnt vmcnt(0) lgkmcnt(0)
	v_mul_f16_e32 v84, v38, v2
.LBB285_26:                             ;   in Loop: Header=BB285_22 Depth=1
	s_or_b64 exec, exec, s[2:3]
	s_or_b64 s[2:3], s[12:13], s[6:7]
	s_xor_b64 s[6:7], s[2:3], -1
	v_mov_b32_e32 v83, 0
	v_mov_b32_e32 v86, 0
	s_and_saveexec_b64 s[2:3], s[6:7]
	s_cbranch_execz .LBB285_28
; %bb.27:                               ;   in Loop: Header=BB285_22 Depth=1
	v_lshl_add_u64 v[0:1], v[28:29], 1, v[0:1]
	flat_load_ushort v0, v[0:1]
	s_waitcnt vmcnt(0) lgkmcnt(0)
	v_mul_f16_e32 v86, v38, v0
.LBB285_28:                             ;   in Loop: Header=BB285_22 Depth=1
	s_or_b64 exec, exec, s[2:3]
	ds_read2_b64 v[0:3], v81 offset0:48 offset1:56
	ds_read2_b64 v[12:15], v82 offset0:64 offset1:96
	ds_read2_b64 v[20:23], v82 offset1:32
	ds_read2_b64 v[16:19], v81 offset1:8
	ds_read2_b64 v[8:11], v81 offset0:16 offset1:24
	ds_read2_b64 v[4:7], v81 offset0:32 offset1:40
	v_add_u32_e32 v34, 12, v34
	v_cmp_gt_i32_e64 s[2:3], s22, v34
	s_and_b64 s[2:3], vcc, s[2:3]
	s_and_b64 s[6:7], s[4:5], s[2:3]
	ds_write_b16 v78, v85
	ds_write_b16 v43, v84
	ds_write_b16 v43, v86 offset:512
	s_waitcnt lgkmcnt(0)
	s_barrier
	s_and_saveexec_b64 s[2:3], s[6:7]
	s_cbranch_execz .LBB285_30
; %bb.29:                               ;   in Loop: Header=BB285_22 Depth=1
	v_lshl_add_u64 v[84:85], v[24:25], 0, v[30:31]
	flat_load_ushort v34, v[84:85]
	s_waitcnt vmcnt(0) lgkmcnt(0)
	v_mul_f16_e32 v83, v38, v34
.LBB285_30:                             ;   in Loop: Header=BB285_22 Depth=1
	s_or_b64 exec, exec, s[2:3]
	v_add_u32_e32 v34, 12, v35
	v_cmp_le_i32_e64 s[6:7], s22, v34
	v_min_i32_e32 v34, s23, v34
	v_ashrrev_i32_e32 v35, 31, v34
	s_or_b64 s[2:3], s[10:11], s[6:7]
	v_lshl_add_u64 v[34:35], v[34:35], 1, s[18:19]
	s_xor_b64 s[28:29], s[2:3], -1
	v_mov_b32_e32 v84, 0
	v_mov_b32_e32 v85, 0
	s_and_saveexec_b64 s[2:3], s[28:29]
	s_cbranch_execz .LBB285_32
; %bb.31:                               ;   in Loop: Header=BB285_22 Depth=1
	v_lshl_add_u64 v[86:87], v[26:27], 1, v[34:35]
	flat_load_ushort v85, v[86:87]
	s_waitcnt vmcnt(0) lgkmcnt(0)
	v_mul_f16_e32 v85, v38, v85
.LBB285_32:                             ;   in Loop: Header=BB285_22 Depth=1
	s_or_b64 exec, exec, s[2:3]
	v_pk_max_f16 v105, v2, v2
	v_pk_max_f16 v102, v20, v20
	;; [unrolled: 1-line block ×17, first 2 shown]
	v_pk_min_f16 v2, v105, v102
	v_pk_min_f16 v20, v105, v103
	v_pk_min_f16 v12, v105, v104
	v_pk_min_f16 v16, v87, v102
	v_pk_min_f16 v22, v87, v103
	v_pk_min_f16 v86, v87, v104
	v_pk_min_f16 v14, v87, v106
	v_pk_min_f16 v18, v89, v102
	v_pk_min_f16 v87, v89, v103
	v_pk_min_f16 v88, v89, v104
	v_pk_min_f16 v8, v92, v102
	v_pk_min_f16 v90, v92, v103
	v_pk_min_f16 v91, v92, v104
	v_pk_min_f16 v10, v95, v102
	v_pk_min_f16 v93, v95, v103
	v_pk_min_f16 v94, v95, v104
	v_pk_min_f16 v4, v98, v102
	v_pk_min_f16 v96, v98, v103
	v_pk_min_f16 v97, v98, v104
	v_pk_min_f16 v6, v101, v102
	v_pk_min_f16 v99, v101, v103
	v_pk_min_f16 v100, v101, v104
	v_pk_min_f16 v0, v107, v102
	v_pk_min_f16 v102, v107, v103
	v_pk_min_f16 v103, v107, v104
	v_pk_min_f16 v104, v107, v106
	v_pk_max_f16 v126, v3, v3
	v_pk_max_f16 v107, v17, v17
	v_pk_max_f16 v109, v19, v19
	v_pk_max_f16 v112, v9, v9
	v_pk_max_f16 v115, v11, v11
	v_pk_min_f16 v116, v5, v123
	v_pk_min_f16 v117, v5, v124
	;; [unrolled: 1-line block ×4, first 2 shown]
	v_pk_max_f16 v5, v7, v7
	v_pk_max_f16 v1, v1, v1
	s_or_b64 s[2:3], s[12:13], s[6:7]
	v_pk_min_f16 v89, v89, v106
	v_pk_min_f16 v92, v92, v106
	;; [unrolled: 1-line block ×34, first 2 shown]
	s_xor_b64 s[6:7], s[2:3], -1
	s_and_saveexec_b64 s[2:3], s[6:7]
	s_cbranch_execz .LBB285_21
; %bb.33:                               ;   in Loop: Header=BB285_22 Depth=1
	v_lshl_add_u64 v[34:35], v[28:29], 1, v[34:35]
	flat_load_ushort v34, v[34:35]
	s_waitcnt vmcnt(0) lgkmcnt(0)
	v_mul_f16_e32 v84, v38, v34
	s_branch .LBB285_21
.LBB285_34:
	s_load_dwordx2 s[2:3], s[0:1], 0x78
	s_load_dword s29, s[0:1], 0x58
	s_load_dword s28, s[0:1], 0x70
	v_add_u32_e32 v8, 0x800, v42
	ds_read2_b64 v[0:3], v8 offset0:112 offset1:120
	ds_read2_b64 v[4:7], v41 offset0:192 offset1:224
	;; [unrolled: 1-line block ×6, first 2 shown]
	s_waitcnt lgkmcnt(0)
	s_mul_i32 s1, s16, s3
	s_mul_hi_u32 s3, s16, s2
	s_mul_i32 s0, s16, s2
	s_add_i32 s1, s3, s1
	s_lshl_b64 s[0:1], s[0:1], 1
	s_add_u32 s22, s14, s0
	v_add_u32_e32 v70, s30, v37
	s_addc_u32 s23, s15, s1
	v_mad_i64_i32 v[26:27], s[0:1], v70, s29, 0
	v_add_u32_e32 v24, s17, v36
	v_lshl_add_u64 v[42:43], v[26:27], 1, s[24:25]
	v_mad_i64_i32 v[26:27], s[0:1], v70, s28, 0
	v_cmp_gt_i32_e64 s[18:19], s21, v70
	v_lshl_add_u64 v[40:41], v[26:27], 1, s[22:23]
	v_cmp_gt_i32_e64 s[4:5], s20, v24
	v_cndmask_b32_e64 v26, 0, 1, s[8:9]
	s_and_b64 s[6:7], s[4:5], s[18:19]
	v_ashrrev_i32_e32 v25, 31, v24
	v_cmp_ne_u32_e64 s[0:1], 1, v26
	s_and_saveexec_b64 s[2:3], s[6:7]
	s_cbranch_execz .LBB285_39
; %bb.35:
	s_and_b64 vcc, exec, s[0:1]
	s_cbranch_vccnz .LBB285_37
; %bb.36:
	v_lshl_add_u64 v[26:27], v[24:25], 1, v[42:43]
	flat_load_ushort v26, v[26:27]
	s_waitcnt vmcnt(0) lgkmcnt(0)
	v_mul_f16_e32 v26, v44, v26
	s_branch .LBB285_38
.LBB285_37:
	v_mov_b32_e32 v26, 0
.LBB285_38:
	v_pk_max_f16 v27, v20, v20
	v_pk_max_f16 v28, v16, v16
	v_pk_max_f16 v29, v17, v17
	v_pk_min_f16 v27, v28, v27
	v_pk_max_f16 v28, v21, v21
	v_pk_add_f16 v27, v77, v27
	v_pk_min_f16 v28, v29, v28
	s_nop 0
	v_pk_add_f16 v27, v27, v28
	s_nop 0
	v_add_f16_sdwa v27, v27, v27 dst_sel:DWORD dst_unused:UNUSED_PAD src0_sel:DWORD src1_sel:WORD_1
	v_add_f16_e32 v28, v27, v26
	v_lshl_add_u64 v[26:27], v[24:25], 1, v[40:41]
	global_store_short v[26:27], v28, off
.LBB285_39:
	s_or_b64 exec, exec, s[2:3]
	v_add_u32_e32 v26, 8, v24
	v_cmp_gt_i32_e64 s[2:3], s20, v26
	s_and_b64 s[8:9], s[2:3], s[18:19]
	v_ashrrev_i32_e32 v27, 31, v26
	s_and_saveexec_b64 s[6:7], s[8:9]
	s_cbranch_execz .LBB285_44
; %bb.40:
	s_and_b64 vcc, exec, s[0:1]
	s_cbranch_vccnz .LBB285_42
; %bb.41:
	v_lshl_add_u64 v[28:29], v[26:27], 1, v[42:43]
	flat_load_ushort v28, v[28:29]
	s_waitcnt vmcnt(0) lgkmcnt(0)
	v_mul_f16_e32 v28, v44, v28
	s_branch .LBB285_43
.LBB285_42:
	v_mov_b32_e32 v28, 0
.LBB285_43:
	v_pk_max_f16 v29, v20, v20
	v_pk_max_f16 v30, v18, v18
	v_pk_max_f16 v31, v19, v19
	v_pk_min_f16 v29, v30, v29
	v_pk_max_f16 v30, v21, v21
	v_pk_add_f16 v29, v76, v29
	v_pk_min_f16 v30, v31, v30
	s_nop 0
	v_pk_add_f16 v29, v29, v30
	s_nop 0
	v_add_f16_sdwa v29, v29, v29 dst_sel:DWORD dst_unused:UNUSED_PAD src0_sel:DWORD src1_sel:WORD_1
	v_add_f16_e32 v30, v29, v28
	v_lshl_add_u64 v[28:29], v[26:27], 1, v[40:41]
	global_store_short v[28:29], v30, off
.LBB285_44:
	s_or_b64 exec, exec, s[6:7]
	v_add_u32_e32 v28, 16, v24
	v_cmp_gt_i32_e64 s[6:7], s20, v28
	s_and_b64 s[10:11], s[6:7], s[18:19]
	v_ashrrev_i32_e32 v29, 31, v28
	;; [unrolled: 34-line block ×6, first 2 shown]
	s_and_saveexec_b64 s[16:17], s[26:27]
	s_cbranch_execz .LBB285_69
; %bb.65:
	s_and_b64 vcc, exec, s[0:1]
	s_cbranch_vccnz .LBB285_67
; %bb.66:
	v_lshl_add_u64 v[38:39], v[36:37], 1, v[42:43]
	flat_load_ushort v38, v[38:39]
	s_waitcnt vmcnt(0) lgkmcnt(0)
	v_mul_f16_e32 v38, v44, v38
	s_branch .LBB285_68
.LBB285_67:
	v_mov_b32_e32 v38, 0
.LBB285_68:
	v_pk_max_f16 v39, v20, v20
	v_pk_max_f16 v72, v0, v0
	s_nop 0
	v_pk_min_f16 v39, v72, v39
	v_pk_max_f16 v72, v1, v1
	v_pk_add_f16 v39, v71, v39
	v_pk_max_f16 v71, v21, v21
	s_nop 0
	v_pk_min_f16 v71, v72, v71
	s_nop 0
	v_pk_add_f16 v39, v39, v71
	s_nop 0
	v_add_f16_sdwa v39, v39, v39 dst_sel:DWORD dst_unused:UNUSED_PAD src0_sel:DWORD src1_sel:WORD_1
	v_add_f16_e32 v71, v39, v38
	v_lshl_add_u64 v[38:39], v[36:37], 1, v[40:41]
	global_store_short v[38:39], v71, off
.LBB285_69:
	s_or_b64 exec, exec, s[16:17]
	v_add_u32_e32 v38, 56, v24
	v_cmp_gt_i32_e64 s[16:17], s20, v38
	s_and_b64 s[26:27], s[16:17], s[18:19]
	v_ashrrev_i32_e32 v39, 31, v38
	s_and_saveexec_b64 s[18:19], s[26:27]
	s_cbranch_execz .LBB285_74
; %bb.70:
	s_and_b64 vcc, exec, s[0:1]
	s_cbranch_vccnz .LBB285_72
; %bb.71:
	v_lshl_add_u64 v[42:43], v[38:39], 1, v[42:43]
	flat_load_ushort v42, v[42:43]
	s_waitcnt vmcnt(0) lgkmcnt(0)
	v_mul_f16_e32 v42, v44, v42
	s_branch .LBB285_73
.LBB285_72:
	v_mov_b32_e32 v42, 0
.LBB285_73:
	v_pk_max_f16 v20, v20, v20
	v_pk_max_f16 v43, v2, v2
	;; [unrolled: 1-line block ×3, first 2 shown]
	v_pk_min_f16 v20, v43, v20
	v_pk_max_f16 v43, v3, v3
	v_pk_add_f16 v20, v69, v20
	v_pk_min_f16 v21, v43, v21
	s_nop 0
	v_pk_add_f16 v20, v20, v21
	s_nop 0
	v_add_f16_sdwa v20, v20, v20 dst_sel:DWORD dst_unused:UNUSED_PAD src0_sel:DWORD src1_sel:WORD_1
	v_add_f16_e32 v42, v20, v42
	v_lshl_add_u64 v[20:21], v[38:39], 1, v[40:41]
	global_store_short v[20:21], v42, off
.LBB285_74:
	s_or_b64 exec, exec, s[18:19]
	v_add_u32_e32 v42, 32, v70
	v_mad_i64_i32 v[20:21], s[26:27], v42, s29, 0
	v_cmp_gt_i32_e64 s[18:19], s21, v42
	v_lshl_add_u64 v[40:41], v[20:21], 1, s[24:25]
	v_mad_i64_i32 v[20:21], s[26:27], v42, s28, 0
	v_lshl_add_u64 v[20:21], v[20:21], 1, s[22:23]
	s_and_b64 s[30:31], s[4:5], s[18:19]
	s_and_saveexec_b64 s[26:27], s[30:31]
	s_cbranch_execnz .LBB285_82
; %bb.75:
	s_or_b64 exec, exec, s[26:27]
	s_and_b64 s[30:31], s[2:3], s[18:19]
	s_and_saveexec_b64 s[26:27], s[30:31]
	s_cbranch_execnz .LBB285_86
.LBB285_76:
	s_or_b64 exec, exec, s[26:27]
	s_and_b64 s[30:31], s[6:7], s[18:19]
	s_and_saveexec_b64 s[26:27], s[30:31]
	s_cbranch_execnz .LBB285_90
.LBB285_77:
	s_or_b64 exec, exec, s[26:27]
	s_and_b64 s[30:31], s[8:9], s[18:19]
	s_and_saveexec_b64 s[26:27], s[30:31]
	s_cbranch_execnz .LBB285_94
.LBB285_78:
	s_or_b64 exec, exec, s[26:27]
	s_and_b64 s[30:31], s[10:11], s[18:19]
	s_and_saveexec_b64 s[26:27], s[30:31]
	s_cbranch_execnz .LBB285_98
.LBB285_79:
	s_or_b64 exec, exec, s[26:27]
	s_and_b64 s[30:31], s[12:13], s[18:19]
	s_and_saveexec_b64 s[26:27], s[30:31]
	s_cbranch_execnz .LBB285_102
.LBB285_80:
	s_or_b64 exec, exec, s[26:27]
	s_and_b64 s[30:31], s[14:15], s[18:19]
	s_and_saveexec_b64 s[26:27], s[30:31]
	s_cbranch_execnz .LBB285_106
.LBB285_81:
	s_or_b64 exec, exec, s[26:27]
	s_and_b64 s[26:27], s[16:17], s[18:19]
	s_and_saveexec_b64 s[18:19], s[26:27]
	s_cbranch_execnz .LBB285_110
	s_branch .LBB285_114
.LBB285_82:
	s_and_b64 vcc, exec, s[0:1]
	s_cbranch_vccnz .LBB285_84
; %bb.83:
	v_lshl_add_u64 v[42:43], v[24:25], 1, v[40:41]
	flat_load_ushort v42, v[42:43]
	s_waitcnt vmcnt(0) lgkmcnt(0)
	v_mul_f16_e32 v42, v44, v42
	s_branch .LBB285_85
.LBB285_84:
	v_mov_b32_e32 v42, 0
.LBB285_85:
	v_pk_max_f16 v43, v22, v22
	v_pk_max_f16 v69, v16, v16
	s_nop 0
	v_pk_min_f16 v43, v69, v43
	v_pk_max_f16 v69, v17, v17
	v_pk_add_f16 v43, v68, v43
	v_pk_max_f16 v68, v23, v23
	s_nop 0
	v_pk_min_f16 v68, v69, v68
	s_nop 0
	v_pk_add_f16 v43, v43, v68
	s_nop 0
	v_add_f16_sdwa v43, v43, v43 dst_sel:DWORD dst_unused:UNUSED_PAD src0_sel:DWORD src1_sel:WORD_1
	v_add_f16_e32 v68, v43, v42
	v_lshl_add_u64 v[42:43], v[24:25], 1, v[20:21]
	global_store_short v[42:43], v68, off
	s_or_b64 exec, exec, s[26:27]
	s_and_b64 s[30:31], s[2:3], s[18:19]
	s_and_saveexec_b64 s[26:27], s[30:31]
	s_cbranch_execz .LBB285_76
.LBB285_86:
	s_and_b64 vcc, exec, s[0:1]
	s_cbranch_vccnz .LBB285_88
; %bb.87:
	v_lshl_add_u64 v[42:43], v[26:27], 1, v[40:41]
	flat_load_ushort v42, v[42:43]
	s_waitcnt vmcnt(0) lgkmcnt(0)
	v_mul_f16_e32 v42, v44, v42
	s_branch .LBB285_89
.LBB285_88:
	v_mov_b32_e32 v42, 0
.LBB285_89:
	v_pk_max_f16 v43, v22, v22
	v_pk_max_f16 v68, v18, v18
	s_nop 0
	v_pk_min_f16 v43, v68, v43
	v_pk_max_f16 v68, v19, v19
	v_pk_add_f16 v43, v67, v43
	v_pk_max_f16 v67, v23, v23
	s_nop 0
	v_pk_min_f16 v67, v68, v67
	s_nop 0
	v_pk_add_f16 v43, v43, v67
	s_nop 0
	v_add_f16_sdwa v43, v43, v43 dst_sel:DWORD dst_unused:UNUSED_PAD src0_sel:DWORD src1_sel:WORD_1
	v_add_f16_e32 v67, v43, v42
	v_lshl_add_u64 v[42:43], v[26:27], 1, v[20:21]
	global_store_short v[42:43], v67, off
	s_or_b64 exec, exec, s[26:27]
	s_and_b64 s[30:31], s[6:7], s[18:19]
	s_and_saveexec_b64 s[26:27], s[30:31]
	s_cbranch_execz .LBB285_77
.LBB285_90:
	s_and_b64 vcc, exec, s[0:1]
	s_cbranch_vccnz .LBB285_92
; %bb.91:
	v_lshl_add_u64 v[42:43], v[28:29], 1, v[40:41]
	flat_load_ushort v42, v[42:43]
	s_waitcnt vmcnt(0) lgkmcnt(0)
	v_mul_f16_e32 v42, v44, v42
	s_branch .LBB285_93
.LBB285_92:
	v_mov_b32_e32 v42, 0
.LBB285_93:
	v_pk_max_f16 v43, v22, v22
	v_pk_max_f16 v67, v12, v12
	s_nop 0
	v_pk_min_f16 v43, v67, v43
	v_pk_max_f16 v67, v13, v13
	v_pk_add_f16 v43, v66, v43
	v_pk_max_f16 v66, v23, v23
	s_nop 0
	v_pk_min_f16 v66, v67, v66
	s_nop 0
	v_pk_add_f16 v43, v43, v66
	s_nop 0
	v_add_f16_sdwa v43, v43, v43 dst_sel:DWORD dst_unused:UNUSED_PAD src0_sel:DWORD src1_sel:WORD_1
	v_add_f16_e32 v66, v43, v42
	v_lshl_add_u64 v[42:43], v[28:29], 1, v[20:21]
	global_store_short v[42:43], v66, off
	s_or_b64 exec, exec, s[26:27]
	s_and_b64 s[30:31], s[8:9], s[18:19]
	s_and_saveexec_b64 s[26:27], s[30:31]
	s_cbranch_execz .LBB285_78
.LBB285_94:
	s_and_b64 vcc, exec, s[0:1]
	s_cbranch_vccnz .LBB285_96
; %bb.95:
	v_lshl_add_u64 v[42:43], v[30:31], 1, v[40:41]
	flat_load_ushort v42, v[42:43]
	s_waitcnt vmcnt(0) lgkmcnt(0)
	v_mul_f16_e32 v42, v44, v42
	s_branch .LBB285_97
.LBB285_96:
	v_mov_b32_e32 v42, 0
.LBB285_97:
	v_pk_max_f16 v43, v22, v22
	v_pk_max_f16 v66, v14, v14
	s_nop 0
	v_pk_min_f16 v43, v66, v43
	v_pk_max_f16 v66, v15, v15
	v_pk_add_f16 v43, v65, v43
	v_pk_max_f16 v65, v23, v23
	s_nop 0
	v_pk_min_f16 v65, v66, v65
	s_nop 0
	v_pk_add_f16 v43, v43, v65
	s_nop 0
	v_add_f16_sdwa v43, v43, v43 dst_sel:DWORD dst_unused:UNUSED_PAD src0_sel:DWORD src1_sel:WORD_1
	v_add_f16_e32 v65, v43, v42
	v_lshl_add_u64 v[42:43], v[30:31], 1, v[20:21]
	global_store_short v[42:43], v65, off
	s_or_b64 exec, exec, s[26:27]
	s_and_b64 s[30:31], s[10:11], s[18:19]
	s_and_saveexec_b64 s[26:27], s[30:31]
	s_cbranch_execz .LBB285_79
.LBB285_98:
	s_and_b64 vcc, exec, s[0:1]
	s_cbranch_vccnz .LBB285_100
; %bb.99:
	v_lshl_add_u64 v[42:43], v[32:33], 1, v[40:41]
	flat_load_ushort v42, v[42:43]
	s_waitcnt vmcnt(0) lgkmcnt(0)
	v_mul_f16_e32 v42, v44, v42
	s_branch .LBB285_101
.LBB285_100:
	v_mov_b32_e32 v42, 0
.LBB285_101:
	v_pk_max_f16 v43, v22, v22
	v_pk_max_f16 v65, v8, v8
	s_nop 0
	v_pk_min_f16 v43, v65, v43
	v_pk_max_f16 v65, v9, v9
	v_pk_add_f16 v43, v64, v43
	v_pk_max_f16 v64, v23, v23
	s_nop 0
	v_pk_min_f16 v64, v65, v64
	s_nop 0
	v_pk_add_f16 v43, v43, v64
	s_nop 0
	v_add_f16_sdwa v43, v43, v43 dst_sel:DWORD dst_unused:UNUSED_PAD src0_sel:DWORD src1_sel:WORD_1
	v_add_f16_e32 v64, v43, v42
	v_lshl_add_u64 v[42:43], v[32:33], 1, v[20:21]
	global_store_short v[42:43], v64, off
	s_or_b64 exec, exec, s[26:27]
	s_and_b64 s[30:31], s[12:13], s[18:19]
	s_and_saveexec_b64 s[26:27], s[30:31]
	s_cbranch_execz .LBB285_80
.LBB285_102:
	s_and_b64 vcc, exec, s[0:1]
	s_cbranch_vccnz .LBB285_104
; %bb.103:
	v_lshl_add_u64 v[42:43], v[34:35], 1, v[40:41]
	flat_load_ushort v42, v[42:43]
	s_waitcnt vmcnt(0) lgkmcnt(0)
	v_mul_f16_e32 v42, v44, v42
	s_branch .LBB285_105
.LBB285_104:
	v_mov_b32_e32 v42, 0
.LBB285_105:
	v_pk_max_f16 v43, v22, v22
	v_pk_max_f16 v64, v10, v10
	s_nop 0
	v_pk_min_f16 v43, v64, v43
	v_pk_max_f16 v64, v11, v11
	v_pk_add_f16 v43, v63, v43
	v_pk_max_f16 v63, v23, v23
	s_nop 0
	v_pk_min_f16 v63, v64, v63
	s_nop 0
	v_pk_add_f16 v43, v43, v63
	s_nop 0
	v_add_f16_sdwa v43, v43, v43 dst_sel:DWORD dst_unused:UNUSED_PAD src0_sel:DWORD src1_sel:WORD_1
	v_add_f16_e32 v63, v43, v42
	v_lshl_add_u64 v[42:43], v[34:35], 1, v[20:21]
	global_store_short v[42:43], v63, off
	s_or_b64 exec, exec, s[26:27]
	s_and_b64 s[30:31], s[14:15], s[18:19]
	s_and_saveexec_b64 s[26:27], s[30:31]
	s_cbranch_execz .LBB285_81
.LBB285_106:
	s_and_b64 vcc, exec, s[0:1]
	s_cbranch_vccnz .LBB285_108
; %bb.107:
	v_lshl_add_u64 v[42:43], v[36:37], 1, v[40:41]
	flat_load_ushort v42, v[42:43]
	s_waitcnt vmcnt(0) lgkmcnt(0)
	v_mul_f16_e32 v42, v44, v42
	s_branch .LBB285_109
.LBB285_108:
	v_mov_b32_e32 v42, 0
.LBB285_109:
	v_pk_max_f16 v43, v22, v22
	v_pk_max_f16 v63, v0, v0
	s_nop 0
	v_pk_min_f16 v43, v63, v43
	v_pk_max_f16 v63, v1, v1
	v_pk_add_f16 v43, v62, v43
	v_pk_max_f16 v62, v23, v23
	s_nop 0
	v_pk_min_f16 v62, v63, v62
	s_nop 0
	v_pk_add_f16 v43, v43, v62
	s_nop 0
	v_add_f16_sdwa v43, v43, v43 dst_sel:DWORD dst_unused:UNUSED_PAD src0_sel:DWORD src1_sel:WORD_1
	v_add_f16_e32 v62, v43, v42
	v_lshl_add_u64 v[42:43], v[36:37], 1, v[20:21]
	global_store_short v[42:43], v62, off
	s_or_b64 exec, exec, s[26:27]
	s_and_b64 s[26:27], s[16:17], s[18:19]
	s_and_saveexec_b64 s[18:19], s[26:27]
	s_cbranch_execz .LBB285_114
.LBB285_110:
	s_and_b64 vcc, exec, s[0:1]
	s_cbranch_vccnz .LBB285_112
; %bb.111:
	v_lshl_add_u64 v[40:41], v[38:39], 1, v[40:41]
	flat_load_ushort v40, v[40:41]
	s_waitcnt vmcnt(0) lgkmcnt(0)
	v_mul_f16_e32 v40, v44, v40
	s_branch .LBB285_113
.LBB285_112:
	v_mov_b32_e32 v40, 0
.LBB285_113:
	v_pk_max_f16 v22, v22, v22
	v_pk_max_f16 v41, v2, v2
	;; [unrolled: 1-line block ×3, first 2 shown]
	v_pk_min_f16 v22, v41, v22
	v_pk_max_f16 v41, v3, v3
	v_pk_add_f16 v22, v61, v22
	v_pk_min_f16 v23, v41, v23
	v_lshl_add_u64 v[20:21], v[38:39], 1, v[20:21]
	v_pk_add_f16 v22, v22, v23
	s_nop 0
	v_add_f16_sdwa v22, v22, v22 dst_sel:DWORD dst_unused:UNUSED_PAD src0_sel:DWORD src1_sel:WORD_1
	v_add_f16_e32 v22, v22, v40
	global_store_short v[20:21], v22, off
.LBB285_114:
	s_or_b64 exec, exec, s[18:19]
	v_add_u32_e32 v40, 64, v70
	v_mad_i64_i32 v[20:21], s[26:27], v40, s29, 0
	v_cmp_gt_i32_e64 s[18:19], s21, v40
	v_lshl_add_u64 v[22:23], v[20:21], 1, s[24:25]
	v_mad_i64_i32 v[20:21], s[26:27], v40, s28, 0
	v_lshl_add_u64 v[20:21], v[20:21], 1, s[22:23]
	s_and_b64 s[30:31], s[4:5], s[18:19]
	s_and_saveexec_b64 s[26:27], s[30:31]
	s_cbranch_execnz .LBB285_122
; %bb.115:
	s_or_b64 exec, exec, s[26:27]
	s_and_b64 s[30:31], s[2:3], s[18:19]
	s_and_saveexec_b64 s[26:27], s[30:31]
	s_cbranch_execnz .LBB285_126
.LBB285_116:
	s_or_b64 exec, exec, s[26:27]
	s_and_b64 s[30:31], s[6:7], s[18:19]
	s_and_saveexec_b64 s[26:27], s[30:31]
	s_cbranch_execnz .LBB285_130
.LBB285_117:
	s_or_b64 exec, exec, s[26:27]
	s_and_b64 s[30:31], s[8:9], s[18:19]
	s_and_saveexec_b64 s[26:27], s[30:31]
	s_cbranch_execnz .LBB285_134
.LBB285_118:
	s_or_b64 exec, exec, s[26:27]
	s_and_b64 s[30:31], s[10:11], s[18:19]
	s_and_saveexec_b64 s[26:27], s[30:31]
	s_cbranch_execnz .LBB285_138
.LBB285_119:
	s_or_b64 exec, exec, s[26:27]
	s_and_b64 s[30:31], s[12:13], s[18:19]
	s_and_saveexec_b64 s[26:27], s[30:31]
	s_cbranch_execnz .LBB285_142
.LBB285_120:
	s_or_b64 exec, exec, s[26:27]
	s_and_b64 s[30:31], s[14:15], s[18:19]
	s_and_saveexec_b64 s[26:27], s[30:31]
	s_cbranch_execnz .LBB285_146
.LBB285_121:
	s_or_b64 exec, exec, s[26:27]
	s_and_b64 s[26:27], s[16:17], s[18:19]
	s_and_saveexec_b64 s[18:19], s[26:27]
	s_cbranch_execnz .LBB285_150
	s_branch .LBB285_154
.LBB285_122:
	s_and_b64 vcc, exec, s[0:1]
	s_cbranch_vccnz .LBB285_124
; %bb.123:
	v_lshl_add_u64 v[40:41], v[24:25], 1, v[22:23]
	flat_load_ushort v40, v[40:41]
	s_waitcnt vmcnt(0) lgkmcnt(0)
	v_mul_f16_e32 v40, v44, v40
	s_branch .LBB285_125
.LBB285_124:
	v_mov_b32_e32 v40, 0
.LBB285_125:
	v_pk_max_f16 v41, v4, v4
	v_pk_max_f16 v42, v16, v16
	;; [unrolled: 1-line block ×3, first 2 shown]
	v_pk_min_f16 v41, v42, v41
	v_pk_max_f16 v42, v5, v5
	v_pk_add_f16 v41, v60, v41
	v_pk_min_f16 v42, v43, v42
	s_nop 0
	v_pk_add_f16 v41, v41, v42
	s_nop 0
	v_add_f16_sdwa v41, v41, v41 dst_sel:DWORD dst_unused:UNUSED_PAD src0_sel:DWORD src1_sel:WORD_1
	v_add_f16_e32 v42, v41, v40
	v_lshl_add_u64 v[40:41], v[24:25], 1, v[20:21]
	global_store_short v[40:41], v42, off
	s_or_b64 exec, exec, s[26:27]
	s_and_b64 s[30:31], s[2:3], s[18:19]
	s_and_saveexec_b64 s[26:27], s[30:31]
	s_cbranch_execz .LBB285_116
.LBB285_126:
	s_and_b64 vcc, exec, s[0:1]
	s_cbranch_vccnz .LBB285_128
; %bb.127:
	v_lshl_add_u64 v[40:41], v[26:27], 1, v[22:23]
	flat_load_ushort v40, v[40:41]
	s_waitcnt vmcnt(0) lgkmcnt(0)
	v_mul_f16_e32 v40, v44, v40
	s_branch .LBB285_129
.LBB285_128:
	v_mov_b32_e32 v40, 0
.LBB285_129:
	v_pk_max_f16 v41, v4, v4
	v_pk_max_f16 v42, v18, v18
	v_pk_max_f16 v43, v19, v19
	v_pk_min_f16 v41, v42, v41
	v_pk_max_f16 v42, v5, v5
	v_pk_add_f16 v41, v59, v41
	v_pk_min_f16 v42, v43, v42
	s_nop 0
	v_pk_add_f16 v41, v41, v42
	s_nop 0
	v_add_f16_sdwa v41, v41, v41 dst_sel:DWORD dst_unused:UNUSED_PAD src0_sel:DWORD src1_sel:WORD_1
	v_add_f16_e32 v42, v41, v40
	v_lshl_add_u64 v[40:41], v[26:27], 1, v[20:21]
	global_store_short v[40:41], v42, off
	s_or_b64 exec, exec, s[26:27]
	s_and_b64 s[30:31], s[6:7], s[18:19]
	s_and_saveexec_b64 s[26:27], s[30:31]
	s_cbranch_execz .LBB285_117
.LBB285_130:
	s_and_b64 vcc, exec, s[0:1]
	s_cbranch_vccnz .LBB285_132
; %bb.131:
	v_lshl_add_u64 v[40:41], v[28:29], 1, v[22:23]
	flat_load_ushort v40, v[40:41]
	s_waitcnt vmcnt(0) lgkmcnt(0)
	v_mul_f16_e32 v40, v44, v40
	s_branch .LBB285_133
.LBB285_132:
	v_mov_b32_e32 v40, 0
.LBB285_133:
	v_pk_max_f16 v41, v4, v4
	v_pk_max_f16 v42, v12, v12
	;; [unrolled: 1-line block ×3, first 2 shown]
	v_pk_min_f16 v41, v42, v41
	v_pk_max_f16 v42, v5, v5
	v_pk_add_f16 v41, v58, v41
	v_pk_min_f16 v42, v43, v42
	s_nop 0
	v_pk_add_f16 v41, v41, v42
	s_nop 0
	v_add_f16_sdwa v41, v41, v41 dst_sel:DWORD dst_unused:UNUSED_PAD src0_sel:DWORD src1_sel:WORD_1
	v_add_f16_e32 v42, v41, v40
	v_lshl_add_u64 v[40:41], v[28:29], 1, v[20:21]
	global_store_short v[40:41], v42, off
	s_or_b64 exec, exec, s[26:27]
	s_and_b64 s[30:31], s[8:9], s[18:19]
	s_and_saveexec_b64 s[26:27], s[30:31]
	s_cbranch_execz .LBB285_118
.LBB285_134:
	s_and_b64 vcc, exec, s[0:1]
	s_cbranch_vccnz .LBB285_136
; %bb.135:
	v_lshl_add_u64 v[40:41], v[30:31], 1, v[22:23]
	flat_load_ushort v40, v[40:41]
	s_waitcnt vmcnt(0) lgkmcnt(0)
	v_mul_f16_e32 v40, v44, v40
	s_branch .LBB285_137
.LBB285_136:
	v_mov_b32_e32 v40, 0
.LBB285_137:
	v_pk_max_f16 v41, v4, v4
	v_pk_max_f16 v42, v14, v14
	;; [unrolled: 1-line block ×3, first 2 shown]
	v_pk_min_f16 v41, v42, v41
	v_pk_max_f16 v42, v5, v5
	v_pk_add_f16 v41, v57, v41
	v_pk_min_f16 v42, v43, v42
	s_nop 0
	v_pk_add_f16 v41, v41, v42
	s_nop 0
	v_add_f16_sdwa v41, v41, v41 dst_sel:DWORD dst_unused:UNUSED_PAD src0_sel:DWORD src1_sel:WORD_1
	v_add_f16_e32 v42, v41, v40
	v_lshl_add_u64 v[40:41], v[30:31], 1, v[20:21]
	global_store_short v[40:41], v42, off
	s_or_b64 exec, exec, s[26:27]
	s_and_b64 s[30:31], s[10:11], s[18:19]
	s_and_saveexec_b64 s[26:27], s[30:31]
	s_cbranch_execz .LBB285_119
.LBB285_138:
	s_and_b64 vcc, exec, s[0:1]
	s_cbranch_vccnz .LBB285_140
; %bb.139:
	v_lshl_add_u64 v[40:41], v[32:33], 1, v[22:23]
	flat_load_ushort v40, v[40:41]
	s_waitcnt vmcnt(0) lgkmcnt(0)
	v_mul_f16_e32 v40, v44, v40
	s_branch .LBB285_141
.LBB285_140:
	v_mov_b32_e32 v40, 0
.LBB285_141:
	v_pk_max_f16 v41, v4, v4
	v_pk_max_f16 v42, v8, v8
	;; [unrolled: 1-line block ×3, first 2 shown]
	v_pk_min_f16 v41, v42, v41
	v_pk_max_f16 v42, v5, v5
	v_pk_add_f16 v41, v56, v41
	v_pk_min_f16 v42, v43, v42
	s_nop 0
	v_pk_add_f16 v41, v41, v42
	s_nop 0
	v_add_f16_sdwa v41, v41, v41 dst_sel:DWORD dst_unused:UNUSED_PAD src0_sel:DWORD src1_sel:WORD_1
	v_add_f16_e32 v42, v41, v40
	v_lshl_add_u64 v[40:41], v[32:33], 1, v[20:21]
	global_store_short v[40:41], v42, off
	s_or_b64 exec, exec, s[26:27]
	s_and_b64 s[30:31], s[12:13], s[18:19]
	s_and_saveexec_b64 s[26:27], s[30:31]
	s_cbranch_execz .LBB285_120
.LBB285_142:
	s_and_b64 vcc, exec, s[0:1]
	s_cbranch_vccnz .LBB285_144
; %bb.143:
	v_lshl_add_u64 v[40:41], v[34:35], 1, v[22:23]
	flat_load_ushort v40, v[40:41]
	s_waitcnt vmcnt(0) lgkmcnt(0)
	v_mul_f16_e32 v40, v44, v40
	s_branch .LBB285_145
.LBB285_144:
	v_mov_b32_e32 v40, 0
.LBB285_145:
	v_pk_max_f16 v41, v4, v4
	v_pk_max_f16 v42, v10, v10
	;; [unrolled: 1-line block ×3, first 2 shown]
	v_pk_min_f16 v41, v42, v41
	v_pk_max_f16 v42, v5, v5
	v_pk_add_f16 v41, v55, v41
	v_pk_min_f16 v42, v43, v42
	s_nop 0
	v_pk_add_f16 v41, v41, v42
	s_nop 0
	v_add_f16_sdwa v41, v41, v41 dst_sel:DWORD dst_unused:UNUSED_PAD src0_sel:DWORD src1_sel:WORD_1
	v_add_f16_e32 v42, v41, v40
	v_lshl_add_u64 v[40:41], v[34:35], 1, v[20:21]
	global_store_short v[40:41], v42, off
	s_or_b64 exec, exec, s[26:27]
	s_and_b64 s[30:31], s[14:15], s[18:19]
	s_and_saveexec_b64 s[26:27], s[30:31]
	s_cbranch_execz .LBB285_121
.LBB285_146:
	s_and_b64 vcc, exec, s[0:1]
	s_cbranch_vccnz .LBB285_148
; %bb.147:
	v_lshl_add_u64 v[40:41], v[36:37], 1, v[22:23]
	flat_load_ushort v40, v[40:41]
	s_waitcnt vmcnt(0) lgkmcnt(0)
	v_mul_f16_e32 v40, v44, v40
	s_branch .LBB285_149
.LBB285_148:
	v_mov_b32_e32 v40, 0
.LBB285_149:
	v_pk_max_f16 v41, v4, v4
	v_pk_max_f16 v42, v0, v0
	;; [unrolled: 1-line block ×3, first 2 shown]
	v_pk_min_f16 v41, v42, v41
	v_pk_max_f16 v42, v5, v5
	v_pk_add_f16 v41, v54, v41
	v_pk_min_f16 v42, v43, v42
	s_nop 0
	v_pk_add_f16 v41, v41, v42
	s_nop 0
	v_add_f16_sdwa v41, v41, v41 dst_sel:DWORD dst_unused:UNUSED_PAD src0_sel:DWORD src1_sel:WORD_1
	v_add_f16_e32 v42, v41, v40
	v_lshl_add_u64 v[40:41], v[36:37], 1, v[20:21]
	global_store_short v[40:41], v42, off
	s_or_b64 exec, exec, s[26:27]
	s_and_b64 s[26:27], s[16:17], s[18:19]
	s_and_saveexec_b64 s[18:19], s[26:27]
	s_cbranch_execz .LBB285_154
.LBB285_150:
	s_and_b64 vcc, exec, s[0:1]
	s_cbranch_vccnz .LBB285_152
; %bb.151:
	v_lshl_add_u64 v[22:23], v[38:39], 1, v[22:23]
	flat_load_ushort v22, v[22:23]
	s_waitcnt vmcnt(0) lgkmcnt(0)
	v_mul_f16_e32 v22, v44, v22
	s_branch .LBB285_153
.LBB285_152:
	v_mov_b32_e32 v22, 0
.LBB285_153:
	v_pk_max_f16 v4, v4, v4
	v_pk_max_f16 v23, v2, v2
	;; [unrolled: 1-line block ×3, first 2 shown]
	v_pk_min_f16 v4, v23, v4
	v_pk_max_f16 v23, v3, v3
	v_pk_add_f16 v4, v53, v4
	v_pk_min_f16 v5, v23, v5
	s_nop 0
	v_pk_add_f16 v4, v4, v5
	s_nop 0
	v_add_f16_sdwa v4, v4, v4 dst_sel:DWORD dst_unused:UNUSED_PAD src0_sel:DWORD src1_sel:WORD_1
	v_add_f16_e32 v22, v4, v22
	v_lshl_add_u64 v[4:5], v[38:39], 1, v[20:21]
	global_store_short v[4:5], v22, off
.LBB285_154:
	s_or_b64 exec, exec, s[18:19]
	v_add_u32_e32 v22, 0x60, v70
	v_cmp_gt_i32_e64 s[18:19], s21, v22
	v_mad_i64_i32 v[4:5], s[20:21], v22, s29, 0
	v_lshl_add_u64 v[20:21], v[4:5], 1, s[24:25]
	v_mad_i64_i32 v[4:5], s[20:21], v22, s28, 0
	v_lshl_add_u64 v[4:5], v[4:5], 1, s[22:23]
	s_and_b64 s[20:21], s[4:5], s[18:19]
	s_and_saveexec_b64 s[4:5], s[20:21]
	s_cbranch_execnz .LBB285_163
; %bb.155:
	s_or_b64 exec, exec, s[4:5]
	s_and_b64 s[4:5], s[2:3], s[18:19]
	s_and_saveexec_b64 s[2:3], s[4:5]
	s_cbranch_execnz .LBB285_167
.LBB285_156:
	s_or_b64 exec, exec, s[2:3]
	s_and_b64 s[4:5], s[6:7], s[18:19]
	s_and_saveexec_b64 s[2:3], s[4:5]
	s_cbranch_execnz .LBB285_171
.LBB285_157:
	s_or_b64 exec, exec, s[2:3]
	s_and_b64 s[4:5], s[8:9], s[18:19]
	s_and_saveexec_b64 s[2:3], s[4:5]
	s_cbranch_execnz .LBB285_175
.LBB285_158:
	s_or_b64 exec, exec, s[2:3]
	s_and_b64 s[4:5], s[10:11], s[18:19]
	s_and_saveexec_b64 s[2:3], s[4:5]
	s_cbranch_execnz .LBB285_179
.LBB285_159:
	s_or_b64 exec, exec, s[2:3]
	s_and_b64 s[4:5], s[12:13], s[18:19]
	s_and_saveexec_b64 s[2:3], s[4:5]
	s_cbranch_execnz .LBB285_183
.LBB285_160:
	s_or_b64 exec, exec, s[2:3]
	s_and_b64 s[4:5], s[14:15], s[18:19]
	s_and_saveexec_b64 s[2:3], s[4:5]
	s_cbranch_execnz .LBB285_187
.LBB285_161:
	s_or_b64 exec, exec, s[2:3]
	s_and_b64 s[2:3], s[16:17], s[18:19]
	s_and_saveexec_b64 s[4:5], s[2:3]
	s_cbranch_execnz .LBB285_191
.LBB285_162:
	s_endpgm
.LBB285_163:
	s_and_b64 vcc, exec, s[0:1]
	s_cbranch_vccnz .LBB285_165
; %bb.164:
	v_lshl_add_u64 v[22:23], v[24:25], 1, v[20:21]
	flat_load_ushort v22, v[22:23]
	s_waitcnt vmcnt(0) lgkmcnt(0)
	v_mul_f16_e32 v22, v44, v22
	s_branch .LBB285_166
.LBB285_165:
	v_mov_b32_e32 v22, 0
.LBB285_166:
	v_pk_max_f16 v23, v6, v6
	v_pk_max_f16 v16, v16, v16
	;; [unrolled: 1-line block ×3, first 2 shown]
	v_pk_min_f16 v16, v16, v23
	v_pk_max_f16 v23, v7, v7
	v_pk_add_f16 v16, v52, v16
	v_pk_min_f16 v17, v17, v23
	s_nop 0
	v_pk_add_f16 v16, v16, v17
	s_nop 0
	v_add_f16_sdwa v16, v16, v16 dst_sel:DWORD dst_unused:UNUSED_PAD src0_sel:DWORD src1_sel:WORD_1
	v_add_f16_e32 v22, v16, v22
	v_lshl_add_u64 v[16:17], v[24:25], 1, v[4:5]
	global_store_short v[16:17], v22, off
	s_or_b64 exec, exec, s[4:5]
	s_and_b64 s[4:5], s[2:3], s[18:19]
	s_and_saveexec_b64 s[2:3], s[4:5]
	s_cbranch_execz .LBB285_156
.LBB285_167:
	s_and_b64 vcc, exec, s[0:1]
	s_cbranch_vccnz .LBB285_169
; %bb.168:
	v_lshl_add_u64 v[16:17], v[26:27], 1, v[20:21]
	flat_load_ushort v16, v[16:17]
	s_waitcnt vmcnt(0) lgkmcnt(0)
	v_mul_f16_e32 v16, v44, v16
	s_branch .LBB285_170
.LBB285_169:
	v_mov_b32_e32 v16, 0
.LBB285_170:
	v_pk_max_f16 v17, v6, v6
	v_pk_max_f16 v18, v18, v18
	;; [unrolled: 1-line block ×3, first 2 shown]
	v_pk_min_f16 v17, v18, v17
	v_pk_max_f16 v18, v7, v7
	v_pk_add_f16 v17, v51, v17
	v_pk_min_f16 v18, v19, v18
	s_nop 0
	v_pk_add_f16 v17, v17, v18
	s_nop 0
	v_add_f16_sdwa v17, v17, v17 dst_sel:DWORD dst_unused:UNUSED_PAD src0_sel:DWORD src1_sel:WORD_1
	v_add_f16_e32 v18, v17, v16
	v_lshl_add_u64 v[16:17], v[26:27], 1, v[4:5]
	global_store_short v[16:17], v18, off
	s_or_b64 exec, exec, s[2:3]
	s_and_b64 s[4:5], s[6:7], s[18:19]
	s_and_saveexec_b64 s[2:3], s[4:5]
	s_cbranch_execz .LBB285_157
.LBB285_171:
	s_and_b64 vcc, exec, s[0:1]
	s_cbranch_vccnz .LBB285_173
; %bb.172:
	v_lshl_add_u64 v[16:17], v[28:29], 1, v[20:21]
	flat_load_ushort v16, v[16:17]
	s_waitcnt vmcnt(0) lgkmcnt(0)
	v_mul_f16_e32 v16, v44, v16
	s_branch .LBB285_174
.LBB285_173:
	v_mov_b32_e32 v16, 0
.LBB285_174:
	v_pk_max_f16 v17, v6, v6
	v_pk_max_f16 v12, v12, v12
	;; [unrolled: 1-line block ×3, first 2 shown]
	v_pk_min_f16 v12, v12, v17
	v_pk_max_f16 v17, v7, v7
	v_pk_add_f16 v12, v50, v12
	v_pk_min_f16 v13, v13, v17
	s_nop 0
	v_pk_add_f16 v12, v12, v13
	s_nop 0
	v_add_f16_sdwa v12, v12, v12 dst_sel:DWORD dst_unused:UNUSED_PAD src0_sel:DWORD src1_sel:WORD_1
	v_add_f16_e32 v16, v12, v16
	v_lshl_add_u64 v[12:13], v[28:29], 1, v[4:5]
	global_store_short v[12:13], v16, off
	s_or_b64 exec, exec, s[2:3]
	s_and_b64 s[4:5], s[8:9], s[18:19]
	s_and_saveexec_b64 s[2:3], s[4:5]
	s_cbranch_execz .LBB285_158
.LBB285_175:
	s_and_b64 vcc, exec, s[0:1]
	s_cbranch_vccnz .LBB285_177
; %bb.176:
	v_lshl_add_u64 v[12:13], v[30:31], 1, v[20:21]
	flat_load_ushort v12, v[12:13]
	s_waitcnt vmcnt(0) lgkmcnt(0)
	v_mul_f16_e32 v12, v44, v12
	s_branch .LBB285_178
.LBB285_177:
	v_mov_b32_e32 v12, 0
.LBB285_178:
	v_pk_max_f16 v13, v6, v6
	v_pk_max_f16 v14, v14, v14
	;; [unrolled: 1-line block ×3, first 2 shown]
	v_pk_min_f16 v13, v14, v13
	v_pk_max_f16 v14, v7, v7
	v_pk_add_f16 v13, v49, v13
	v_pk_min_f16 v14, v15, v14
	s_nop 0
	v_pk_add_f16 v13, v13, v14
	s_nop 0
	v_add_f16_sdwa v13, v13, v13 dst_sel:DWORD dst_unused:UNUSED_PAD src0_sel:DWORD src1_sel:WORD_1
	v_add_f16_e32 v14, v13, v12
	v_lshl_add_u64 v[12:13], v[30:31], 1, v[4:5]
	global_store_short v[12:13], v14, off
	s_or_b64 exec, exec, s[2:3]
	s_and_b64 s[4:5], s[10:11], s[18:19]
	s_and_saveexec_b64 s[2:3], s[4:5]
	s_cbranch_execz .LBB285_159
.LBB285_179:
	s_and_b64 vcc, exec, s[0:1]
	s_cbranch_vccnz .LBB285_181
; %bb.180:
	v_lshl_add_u64 v[12:13], v[32:33], 1, v[20:21]
	flat_load_ushort v12, v[12:13]
	s_waitcnt vmcnt(0) lgkmcnt(0)
	v_mul_f16_e32 v12, v44, v12
	s_branch .LBB285_182
.LBB285_181:
	v_mov_b32_e32 v12, 0
.LBB285_182:
	v_pk_max_f16 v13, v6, v6
	v_pk_max_f16 v8, v8, v8
	;; [unrolled: 1-line block ×3, first 2 shown]
	v_pk_min_f16 v8, v8, v13
	v_pk_max_f16 v13, v7, v7
	v_pk_add_f16 v8, v48, v8
	v_pk_min_f16 v9, v9, v13
	s_nop 0
	v_pk_add_f16 v8, v8, v9
	s_nop 0
	v_add_f16_sdwa v8, v8, v8 dst_sel:DWORD dst_unused:UNUSED_PAD src0_sel:DWORD src1_sel:WORD_1
	v_add_f16_e32 v12, v8, v12
	v_lshl_add_u64 v[8:9], v[32:33], 1, v[4:5]
	global_store_short v[8:9], v12, off
	s_or_b64 exec, exec, s[2:3]
	s_and_b64 s[4:5], s[12:13], s[18:19]
	s_and_saveexec_b64 s[2:3], s[4:5]
	s_cbranch_execz .LBB285_160
.LBB285_183:
	s_and_b64 vcc, exec, s[0:1]
	s_cbranch_vccnz .LBB285_185
; %bb.184:
	v_lshl_add_u64 v[8:9], v[34:35], 1, v[20:21]
	flat_load_ushort v8, v[8:9]
	s_waitcnt vmcnt(0) lgkmcnt(0)
	v_mul_f16_e32 v8, v44, v8
	s_branch .LBB285_186
.LBB285_185:
	v_mov_b32_e32 v8, 0
.LBB285_186:
	v_pk_max_f16 v9, v6, v6
	v_pk_max_f16 v10, v10, v10
	;; [unrolled: 1-line block ×3, first 2 shown]
	v_pk_min_f16 v9, v10, v9
	v_pk_max_f16 v10, v7, v7
	v_pk_add_f16 v9, v47, v9
	v_pk_min_f16 v10, v11, v10
	s_nop 0
	v_pk_add_f16 v9, v9, v10
	s_nop 0
	v_add_f16_sdwa v9, v9, v9 dst_sel:DWORD dst_unused:UNUSED_PAD src0_sel:DWORD src1_sel:WORD_1
	v_add_f16_e32 v10, v9, v8
	v_lshl_add_u64 v[8:9], v[34:35], 1, v[4:5]
	global_store_short v[8:9], v10, off
	s_or_b64 exec, exec, s[2:3]
	s_and_b64 s[4:5], s[14:15], s[18:19]
	s_and_saveexec_b64 s[2:3], s[4:5]
	s_cbranch_execz .LBB285_161
.LBB285_187:
	s_and_b64 vcc, exec, s[0:1]
	s_cbranch_vccnz .LBB285_189
; %bb.188:
	v_lshl_add_u64 v[8:9], v[36:37], 1, v[20:21]
	flat_load_ushort v8, v[8:9]
	s_waitcnt vmcnt(0) lgkmcnt(0)
	v_mul_f16_e32 v8, v44, v8
	s_branch .LBB285_190
.LBB285_189:
	v_mov_b32_e32 v8, 0
.LBB285_190:
	v_pk_max_f16 v9, v6, v6
	v_pk_max_f16 v0, v0, v0
	v_pk_max_f16 v1, v1, v1
	v_pk_min_f16 v0, v0, v9
	v_pk_max_f16 v9, v7, v7
	v_pk_add_f16 v0, v46, v0
	v_pk_min_f16 v1, v1, v9
	s_nop 0
	v_pk_add_f16 v0, v0, v1
	s_nop 0
	v_add_f16_sdwa v0, v0, v0 dst_sel:DWORD dst_unused:UNUSED_PAD src0_sel:DWORD src1_sel:WORD_1
	v_add_f16_e32 v8, v0, v8
	v_lshl_add_u64 v[0:1], v[36:37], 1, v[4:5]
	global_store_short v[0:1], v8, off
	s_or_b64 exec, exec, s[2:3]
	s_and_b64 s[2:3], s[16:17], s[18:19]
	s_and_saveexec_b64 s[4:5], s[2:3]
	s_cbranch_execz .LBB285_162
.LBB285_191:
	s_and_b64 vcc, exec, s[0:1]
	s_cbranch_vccnz .LBB285_193
; %bb.192:
	v_lshl_add_u64 v[0:1], v[38:39], 1, v[20:21]
	flat_load_ushort v0, v[0:1]
	s_waitcnt vmcnt(0) lgkmcnt(0)
	v_mul_f16_e32 v0, v44, v0
	s_branch .LBB285_194
.LBB285_193:
	v_mov_b32_e32 v0, 0
.LBB285_194:
	v_pk_max_f16 v1, v6, v6
	v_pk_max_f16 v2, v2, v2
	;; [unrolled: 1-line block ×3, first 2 shown]
	v_pk_min_f16 v1, v2, v1
	v_pk_max_f16 v2, v7, v7
	v_pk_add_f16 v1, v45, v1
	v_pk_min_f16 v2, v3, v2
	s_nop 0
	v_pk_add_f16 v1, v1, v2
	s_nop 0
	v_add_f16_sdwa v1, v1, v1 dst_sel:DWORD dst_unused:UNUSED_PAD src0_sel:DWORD src1_sel:WORD_1
	v_add_f16_e32 v2, v1, v0
	v_lshl_add_u64 v[0:1], v[38:39], 1, v[4:5]
	global_store_short v[0:1], v2, off
	s_endpgm
	.section	.rodata,"a",@progbits
	.p2align	6, 0x0
	.amdhsa_kernel _ZN12_GLOBAL__N_120geam_min_plus_kernelIDF16_Dv2_DF16_S1_Li8ELi32ELi64ELi128ELi4ELi64ELi4ELi4ELi64ELc78ELc78ELb0ELb1ELb0EPKDF16_S2_DF16_EEviiiT16_PT17_ilS6_ilS4_S6_ilPT18_ili26rocblas_geam_ex_operation_
		.amdhsa_group_segment_fixed_size 3072
		.amdhsa_private_segment_fixed_size 0
		.amdhsa_kernarg_size 136
		.amdhsa_user_sgpr_count 2
		.amdhsa_user_sgpr_dispatch_ptr 0
		.amdhsa_user_sgpr_queue_ptr 0
		.amdhsa_user_sgpr_kernarg_segment_ptr 1
		.amdhsa_user_sgpr_dispatch_id 0
		.amdhsa_user_sgpr_kernarg_preload_length 0
		.amdhsa_user_sgpr_kernarg_preload_offset 0
		.amdhsa_user_sgpr_private_segment_size 0
		.amdhsa_uses_dynamic_stack 0
		.amdhsa_enable_private_segment 0
		.amdhsa_system_sgpr_workgroup_id_x 1
		.amdhsa_system_sgpr_workgroup_id_y 0
		.amdhsa_system_sgpr_workgroup_id_z 1
		.amdhsa_system_sgpr_workgroup_info 0
		.amdhsa_system_vgpr_workitem_id 1
		.amdhsa_next_free_vgpr 128
		.amdhsa_next_free_sgpr 38
		.amdhsa_accum_offset 128
		.amdhsa_reserve_vcc 1
		.amdhsa_float_round_mode_32 0
		.amdhsa_float_round_mode_16_64 0
		.amdhsa_float_denorm_mode_32 3
		.amdhsa_float_denorm_mode_16_64 3
		.amdhsa_dx10_clamp 1
		.amdhsa_ieee_mode 1
		.amdhsa_fp16_overflow 0
		.amdhsa_tg_split 0
		.amdhsa_exception_fp_ieee_invalid_op 0
		.amdhsa_exception_fp_denorm_src 0
		.amdhsa_exception_fp_ieee_div_zero 0
		.amdhsa_exception_fp_ieee_overflow 0
		.amdhsa_exception_fp_ieee_underflow 0
		.amdhsa_exception_fp_ieee_inexact 0
		.amdhsa_exception_int_div_zero 0
	.end_amdhsa_kernel
	.section	.text._ZN12_GLOBAL__N_120geam_min_plus_kernelIDF16_Dv2_DF16_S1_Li8ELi32ELi64ELi128ELi4ELi64ELi4ELi4ELi64ELc78ELc78ELb0ELb1ELb0EPKDF16_S2_DF16_EEviiiT16_PT17_ilS6_ilS4_S6_ilPT18_ili26rocblas_geam_ex_operation_,"axG",@progbits,_ZN12_GLOBAL__N_120geam_min_plus_kernelIDF16_Dv2_DF16_S1_Li8ELi32ELi64ELi128ELi4ELi64ELi4ELi4ELi64ELc78ELc78ELb0ELb1ELb0EPKDF16_S2_DF16_EEviiiT16_PT17_ilS6_ilS4_S6_ilPT18_ili26rocblas_geam_ex_operation_,comdat
.Lfunc_end285:
	.size	_ZN12_GLOBAL__N_120geam_min_plus_kernelIDF16_Dv2_DF16_S1_Li8ELi32ELi64ELi128ELi4ELi64ELi4ELi4ELi64ELc78ELc78ELb0ELb1ELb0EPKDF16_S2_DF16_EEviiiT16_PT17_ilS6_ilS4_S6_ilPT18_ili26rocblas_geam_ex_operation_, .Lfunc_end285-_ZN12_GLOBAL__N_120geam_min_plus_kernelIDF16_Dv2_DF16_S1_Li8ELi32ELi64ELi128ELi4ELi64ELi4ELi4ELi64ELc78ELc78ELb0ELb1ELb0EPKDF16_S2_DF16_EEviiiT16_PT17_ilS6_ilS4_S6_ilPT18_ili26rocblas_geam_ex_operation_
                                        ; -- End function
	.section	.AMDGPU.csdata,"",@progbits
; Kernel info:
; codeLenInByte = 11340
; NumSgprs: 44
; NumVgprs: 128
; NumAgprs: 0
; TotalNumVgprs: 128
; ScratchSize: 0
; MemoryBound: 0
; FloatMode: 240
; IeeeMode: 1
; LDSByteSize: 3072 bytes/workgroup (compile time only)
; SGPRBlocks: 5
; VGPRBlocks: 15
; NumSGPRsForWavesPerEU: 44
; NumVGPRsForWavesPerEU: 128
; AccumOffset: 128
; Occupancy: 4
; WaveLimiterHint : 0
; COMPUTE_PGM_RSRC2:SCRATCH_EN: 0
; COMPUTE_PGM_RSRC2:USER_SGPR: 2
; COMPUTE_PGM_RSRC2:TRAP_HANDLER: 0
; COMPUTE_PGM_RSRC2:TGID_X_EN: 1
; COMPUTE_PGM_RSRC2:TGID_Y_EN: 0
; COMPUTE_PGM_RSRC2:TGID_Z_EN: 1
; COMPUTE_PGM_RSRC2:TIDIG_COMP_CNT: 1
; COMPUTE_PGM_RSRC3_GFX90A:ACCUM_OFFSET: 31
; COMPUTE_PGM_RSRC3_GFX90A:TG_SPLIT: 0
	.section	.text._ZN12_GLOBAL__N_120geam_min_plus_kernelIDF16_Dv2_DF16_S1_Li8ELi32ELi64ELi128ELi4ELi64ELi4ELi4ELi64ELc78ELc78ELb1ELb1ELb0EDF16_KDF16_DF16_EEviiiT16_PT17_ilS5_ilS3_S5_ilPT18_ili26rocblas_geam_ex_operation_,"axG",@progbits,_ZN12_GLOBAL__N_120geam_min_plus_kernelIDF16_Dv2_DF16_S1_Li8ELi32ELi64ELi128ELi4ELi64ELi4ELi4ELi64ELc78ELc78ELb1ELb1ELb0EDF16_KDF16_DF16_EEviiiT16_PT17_ilS5_ilS3_S5_ilPT18_ili26rocblas_geam_ex_operation_,comdat
	.globl	_ZN12_GLOBAL__N_120geam_min_plus_kernelIDF16_Dv2_DF16_S1_Li8ELi32ELi64ELi128ELi4ELi64ELi4ELi4ELi64ELc78ELc78ELb1ELb1ELb0EDF16_KDF16_DF16_EEviiiT16_PT17_ilS5_ilS3_S5_ilPT18_ili26rocblas_geam_ex_operation_ ; -- Begin function _ZN12_GLOBAL__N_120geam_min_plus_kernelIDF16_Dv2_DF16_S1_Li8ELi32ELi64ELi128ELi4ELi64ELi4ELi4ELi64ELc78ELc78ELb1ELb1ELb0EDF16_KDF16_DF16_EEviiiT16_PT17_ilS5_ilS3_S5_ilPT18_ili26rocblas_geam_ex_operation_
	.p2align	8
	.type	_ZN12_GLOBAL__N_120geam_min_plus_kernelIDF16_Dv2_DF16_S1_Li8ELi32ELi64ELi128ELi4ELi64ELi4ELi4ELi64ELc78ELc78ELb1ELb1ELb0EDF16_KDF16_DF16_EEviiiT16_PT17_ilS5_ilS3_S5_ilPT18_ili26rocblas_geam_ex_operation_,@function
_ZN12_GLOBAL__N_120geam_min_plus_kernelIDF16_Dv2_DF16_S1_Li8ELi32ELi64ELi128ELi4ELi64ELi4ELi4ELi64ELc78ELc78ELb1ELb1ELb0EDF16_KDF16_DF16_EEviiiT16_PT17_ilS5_ilS3_S5_ilPT18_ili26rocblas_geam_ex_operation_: ; @_ZN12_GLOBAL__N_120geam_min_plus_kernelIDF16_Dv2_DF16_S1_Li8ELi32ELi64ELi128ELi4ELi64ELi4ELi4ELi64ELc78ELc78ELb1ELb1ELb0EDF16_KDF16_DF16_EEviiiT16_PT17_ilS5_ilS3_S5_ilPT18_ili26rocblas_geam_ex_operation_
; %bb.0:
	s_load_dwordx4 s[20:23], s[0:1], 0x0
	s_load_dwordx4 s[4:7], s[0:1], 0x20
	s_waitcnt lgkmcnt(0)
	v_cmp_eq_f16_e64 s[8:9], s23, 0
	s_and_b64 vcc, exec, s[8:9]
	s_cbranch_vccnz .LBB286_3
; %bb.1:
	s_load_dwordx2 s[10:11], s[0:1], 0x10
	s_mul_i32 s5, s3, s5
	s_mul_hi_u32 s12, s3, s4
	s_add_i32 s5, s12, s5
	s_mul_i32 s4, s3, s4
	s_lshl_b64 s[4:5], s[4:5], 1
	s_waitcnt lgkmcnt(0)
	s_add_u32 s18, s10, s4
	s_addc_u32 s19, s11, s5
	s_andn2_b64 vcc, exec, s[8:9]
	s_cbranch_vccnz .LBB286_4
.LBB286_2:
	s_mov_b32 s15, 0
	s_mov_b64 s[26:27], 0
	s_cbranch_execz .LBB286_5
	s_branch .LBB286_6
.LBB286_3:
	s_mov_b64 s[18:19], 0
	s_andn2_b64 vcc, exec, s[8:9]
	s_cbranch_vccz .LBB286_2
.LBB286_4:
                                        ; implicit-def: $sgpr26_sgpr27
                                        ; implicit-def: $sgpr14_sgpr15
.LBB286_5:
	s_load_dwordx2 s[4:5], s[0:1], 0x38
	s_mov_b32 s15, 0
	s_waitcnt lgkmcnt(0)
	s_mul_i32 s5, s3, s5
	s_mul_hi_u32 s8, s3, s4
	s_add_i32 s5, s8, s5
	s_mul_i32 s4, s3, s4
	s_lshl_b64 s[4:5], s[4:5], 1
	s_add_u32 s26, s6, s4
	s_addc_u32 s27, s7, s5
.LBB286_6:
	s_load_dword s30, s[0:1], 0x40
	s_load_dwordx4 s[8:11], s[0:1], 0x58
	s_waitcnt lgkmcnt(0)
	v_cmp_eq_f16_e64 s[4:5], s30, 0
	v_cmp_neq_f16_e64 s[12:13], s30, 0
	s_and_b64 vcc, exec, s[4:5]
	s_cbranch_vccnz .LBB286_8
; %bb.7:
	s_load_dwordx2 s[4:5], s[0:1], 0x48
	s_mul_i32 s6, s3, s9
	s_mul_hi_u32 s7, s3, s8
	s_add_i32 s6, s7, s6
	s_mul_i32 s7, s15, s8
	s_add_i32 s7, s6, s7
	s_mul_i32 s6, s3, s8
	s_lshl_b64 s[6:7], s[6:7], 1
	s_waitcnt lgkmcnt(0)
	s_add_u32 s24, s4, s6
	s_addc_u32 s25, s5, s7
	s_branch .LBB286_9
.LBB286_8:
	s_mov_b64 s[24:25], 0
.LBB286_9:
	s_add_i32 s4, s20, -1
	s_ashr_i32 s5, s4, 31
	s_lshr_b32 s5, s5, 26
	s_add_i32 s4, s4, s5
	s_ashr_i32 s4, s4, 6
	s_add_i32 s5, s4, 1
	v_cvt_f32_u32_e32 v1, s5
	v_and_b32_e32 v40, 0x3ff, v0
	v_bfe_u32 v41, v0, 10, 10
	s_not_b32 s4, s4
	v_rcp_iflag_f32_e32 v1, v1
	s_load_dword s28, s[0:1], 0x18
	v_lshl_add_u32 v2, v41, 3, v40
	v_and_b32_e32 v9, 63, v2
	v_mul_f32_e32 v0, 0x4f7ffffe, v1
	v_cvt_u32_f32_e32 v0, v0
	s_waitcnt lgkmcnt(0)
	s_ashr_i32 s29, s28, 31
	v_lshrrev_b32_e32 v42, 6, v2
	v_mov_b32_e32 v25, 0
	v_readfirstlane_b32 s6, v0
	s_mul_i32 s4, s4, s6
	s_mul_hi_u32 s4, s6, s4
	s_add_i32 s6, s6, s4
	s_mul_hi_u32 s4, s2, s6
	s_mul_i32 s6, s4, s5
	s_sub_i32 s6, s2, s6
	s_add_i32 s7, s4, 1
	s_sub_i32 s8, s6, s5
	s_cmp_ge_u32 s6, s5
	s_cselect_b32 s4, s7, s4
	s_cselect_b32 s6, s8, s6
	s_add_i32 s7, s4, 1
	s_cmp_ge_u32 s6, s5
	s_cselect_b32 s8, s7, s4
	s_mul_i32 s4, s8, s5
	s_sub_i32 s2, s2, s4
	s_lshl_b32 s2, s2, 6
	v_or_b32_e32 v0, s2, v9
	v_cmp_gt_i32_e32 vcc, s20, v0
	v_cmp_gt_i32_e64 s[6:7], s22, v42
	v_cmp_le_i32_e64 s[4:5], s20, v0
	s_and_b64 s[16:17], s[6:7], vcc
	v_ashrrev_i32_e32 v1, 31, v0
	v_mov_b32_e32 v10, 0
	s_and_saveexec_b64 s[6:7], s[16:17]
	s_cbranch_execz .LBB286_11
; %bb.10:
	v_mad_i64_i32 v[4:5], s[16:17], s28, v42, 0
	v_lshl_add_u64 v[4:5], v[4:5], 1, s[18:19]
	v_lshl_add_u64 v[4:5], v[0:1], 1, v[4:5]
	flat_load_ushort v10, v[4:5]
.LBB286_11:
	s_or_b64 exec, exec, s[6:7]
	s_load_dword s33, s[0:1], 0x30
	v_lshrrev_b32_e32 v11, 2, v2
	s_lshl_b32 s14, s8, 7
	v_and_b32_e32 v70, 3, v40
	v_add_u32_e32 v4, s14, v11
	v_cmp_le_i32_e64 s[6:7], s22, v70
	v_cmp_le_i32_e32 vcc, s21, v4
	v_lshlrev_b32_e32 v24, 1, v70
	s_or_b64 s[8:9], s[6:7], vcc
	v_lshl_add_u64 v[2:3], s[26:27], 0, v[24:25]
	s_xor_b64 s[16:17], s[8:9], -1
	s_and_saveexec_b64 s[8:9], s[16:17]
	s_cbranch_execz .LBB286_13
; %bb.12:
	s_waitcnt lgkmcnt(0)
	v_mad_i64_i32 v[6:7], s[16:17], v4, s33, 0
	v_lshl_add_u64 v[6:7], v[6:7], 1, v[2:3]
	flat_load_ushort v25, v[6:7]
.LBB286_13:
	s_or_b64 exec, exec, s[8:9]
	v_add_u32_e32 v5, 64, v4
	v_cmp_le_i32_e64 s[8:9], s21, v5
	s_or_b64 s[6:7], s[6:7], s[8:9]
	s_xor_b64 s[16:17], s[6:7], -1
	v_mov_b32_e32 v6, 0
	v_mov_b32_e32 v12, 0
	s_and_saveexec_b64 s[6:7], s[16:17]
	s_cbranch_execz .LBB286_15
; %bb.14:
	s_waitcnt lgkmcnt(0)
	v_mad_i64_i32 v[12:13], s[16:17], v5, s33, 0
	v_lshl_add_u64 v[12:13], v[12:13], 1, v[2:3]
	flat_load_ushort v12, v[12:13]
.LBB286_15:
	s_or_b64 exec, exec, s[6:7]
	v_add_u32_e32 v7, 4, v42
	v_cmp_gt_i32_e64 s[6:7], s22, v7
	s_xor_b64 s[16:17], s[4:5], -1
	s_and_b64 s[6:7], s[16:17], s[6:7]
	s_and_saveexec_b64 s[4:5], s[6:7]
	s_cbranch_execz .LBB286_17
; %bb.16:
	v_mad_u64_u32 v[14:15], s[6:7], s28, v7, 0
	v_mov_b32_e32 v6, v15
	v_mad_u64_u32 v[6:7], s[6:7], s29, v7, v[6:7]
	v_mov_b32_e32 v15, v6
	v_lshl_add_u64 v[6:7], v[14:15], 1, s[18:19]
	v_lshl_add_u64 v[6:7], v[0:1], 1, v[6:7]
	flat_load_ushort v6, v[6:7]
.LBB286_17:
	s_or_b64 exec, exec, s[4:5]
	v_or_b32_e32 v7, 4, v70
	v_cmp_le_i32_e64 s[4:5], s22, v7
	s_or_b64 s[6:7], s[4:5], vcc
	s_xor_b64 s[34:35], s[6:7], -1
	v_mov_b32_e32 v7, 0
	v_mov_b32_e32 v8, 0
	s_and_saveexec_b64 s[6:7], s[34:35]
	s_cbranch_execz .LBB286_19
; %bb.18:
	s_waitcnt lgkmcnt(0)
	v_mad_i64_i32 v[14:15], s[34:35], v4, s33, 0
	v_lshl_add_u64 v[14:15], v[14:15], 1, v[2:3]
	flat_load_ushort v8, v[14:15] offset:8
.LBB286_19:
	s_or_b64 exec, exec, s[6:7]
	s_or_b64 s[4:5], s[4:5], s[8:9]
	s_xor_b64 s[6:7], s[4:5], -1
	s_and_saveexec_b64 s[4:5], s[6:7]
	s_cbranch_execz .LBB286_21
; %bb.20:
	s_waitcnt lgkmcnt(0)
	v_mad_i64_i32 v[14:15], s[6:7], v5, s33, 0
	v_lshl_add_u64 v[2:3], v[14:15], 1, v[2:3]
	flat_load_ushort v7, v[2:3] offset:8
.LBB286_21:
	s_or_b64 exec, exec, s[4:5]
	v_lshlrev_b32_e32 v2, 3, v9
	v_lshl_add_u32 v2, v42, 1, v2
	v_lshl_or_b32 v71, v11, 3, v24
	v_lshlrev_b32_e32 v69, 3, v40
	v_lshlrev_b32_e32 v43, 3, v41
	s_waitcnt vmcnt(0) lgkmcnt(0)
	ds_write_b16 v2, v10 offset:2048
	ds_write_b16 v71, v25
	ds_write_b16 v71, v12 offset:512
	s_waitcnt lgkmcnt(0)
	s_barrier
	ds_read2_b64 v[10:13], v43 offset1:32
	v_add_u32_e32 v72, 0x800, v69
	ds_read2_b64 v[14:17], v72 offset0:48 offset1:56
	ds_read2_b64 v[18:21], v43 offset0:64 offset1:96
	ds_read2_b64 v[26:29], v72 offset1:8
	ds_read2_b64 v[30:33], v72 offset0:16 offset1:24
	ds_read2_b64 v[34:37], v72 offset0:32 offset1:40
	s_waitcnt lgkmcnt(5)
	v_pk_max_f16 v3, v10, v10
	s_waitcnt lgkmcnt(4)
	v_pk_max_f16 v9, v16, v16
	v_pk_max_f16 v12, v12, v12
	v_pk_min_f16 v10, v9, v3
	s_waitcnt lgkmcnt(3)
	v_pk_max_f16 v16, v18, v18
	s_waitcnt lgkmcnt(2)
	v_pk_max_f16 v18, v26, v26
	v_pk_max_f16 v20, v20, v20
	v_pk_max_f16 v26, v28, v28
	s_waitcnt lgkmcnt(1)
	v_pk_max_f16 v30, v30, v30
	v_pk_max_f16 v32, v32, v32
	v_pk_max_f16 v11, v11, v11
	s_waitcnt lgkmcnt(0)
	v_pk_max_f16 v34, v34, v34
	v_pk_max_f16 v36, v36, v36
	v_pk_max_f16 v14, v14, v14
	v_pk_max_f16 v17, v17, v17
	v_pk_min_f16 v22, v18, v3
	v_pk_min_f16 v23, v18, v12
	;; [unrolled: 1-line block ×16, first 2 shown]
	v_pk_max_f16 v13, v13, v13
	v_pk_min_f16 v53, v34, v3
	v_pk_min_f16 v54, v34, v12
	;; [unrolled: 1-line block ×15, first 2 shown]
	v_pk_add_f16 v10, v10, 0
	v_pk_min_f16 v20, v17, v11
	v_pk_max_f16 v19, v19, v19
	v_pk_add_f16 v68, v10, v20
	v_pk_add_f16 v10, v50, 0
	v_pk_min_f16 v20, v17, v13
	v_pk_max_f16 v27, v27, v27
	v_pk_add_f16 v60, v10, v20
	;; [unrolled: 4-line block ×6, first 2 shown]
	v_pk_add_f16 v10, v18, 0
	v_pk_min_f16 v18, v27, v21
	v_pk_add_f16 v22, v49, 0
	v_pk_add_f16 v51, v10, v18
	v_pk_add_f16 v10, v28, 0
	v_pk_min_f16 v18, v29, v11
	v_pk_add_f16 v20, v48, 0
	v_pk_add_f16 v78, v10, v18
	;; [unrolled: 4-line block ×7, first 2 shown]
	v_pk_add_f16 v10, v46, 0
	v_pk_min_f16 v18, v31, v19
	v_pk_min_f16 v31, v31, v21
	v_pk_add_f16 v57, v10, v18
	v_pk_add_f16 v10, v30, 0
	;; [unrolled: 1-line block ×4, first 2 shown]
	v_pk_min_f16 v10, v33, v11
	v_pk_add_f16 v27, v55, 0
	v_pk_add_f16 v76, v18, v10
	v_pk_min_f16 v10, v33, v13
	v_pk_add_f16 v30, v61, 0
	v_pk_add_f16 v64, v20, v10
	;; [unrolled: 3-line block ×4, first 2 shown]
	v_pk_max_f16 v10, v35, v35
	v_pk_add_f16 v3, v3, 0
	v_pk_min_f16 v18, v10, v11
	v_pk_add_f16 v12, v12, 0
	v_pk_add_f16 v75, v25, v18
	v_pk_min_f16 v18, v10, v13
	v_pk_add_f16 v16, v16, 0
	v_pk_add_f16 v63, v26, v18
	v_pk_min_f16 v18, v10, v19
	v_pk_min_f16 v10, v10, v21
	v_pk_add_f16 v55, v27, v18
	v_pk_add_f16 v47, v28, v10
	v_pk_max_f16 v10, v37, v37
	v_pk_add_f16 v14, v14, 0
	v_pk_min_f16 v18, v10, v11
	v_pk_add_f16 v9, v9, 0
	v_pk_add_f16 v74, v29, v18
	v_pk_min_f16 v18, v10, v13
	s_mov_b32 s23, 0
	v_pk_add_f16 v62, v30, v18
	v_pk_min_f16 v18, v10, v19
	v_pk_min_f16 v10, v10, v21
	v_pk_add_f16 v54, v32, v18
	v_pk_add_f16 v46, v34, v10
	v_pk_max_f16 v10, v15, v15
	s_cmp_lt_i32 s22, 9
	v_pk_min_f16 v11, v10, v11
	ds_write_b16 v2, v6 offset:2560
	ds_write_b16 v71, v8 offset:1024
	ds_write_b16 v71, v7 offset:1536
	v_pk_add_f16 v73, v3, v11
	v_pk_min_f16 v3, v10, v13
	s_waitcnt lgkmcnt(0)
	v_pk_add_f16 v61, v12, v3
	v_pk_min_f16 v3, v10, v19
	s_barrier
	v_pk_add_f16 v53, v16, v3
	v_pk_min_f16 v3, v10, v21
	s_nop 0
	v_pk_add_f16 v45, v14, v3
	v_pk_min_f16 v3, v17, v21
	s_nop 0
	v_pk_add_f16 v44, v9, v3
	s_cbranch_scc1 .LBB286_36
; %bb.22:
	v_lshl_add_u64 v[26:27], v[0:1], 1, s[18:19]
	v_mov_b32_e32 v0, 0xa00
	v_lshl_add_u32 v83, v40, 3, v0
	v_mad_i64_i32 v[0:1], s[4:5], s33, v4, 0
	v_lshl_add_u64 v[28:29], v[0:1], 1, s[26:27]
	v_mad_i64_i32 v[0:1], s[4:5], s33, v5, 0
	v_lshl_add_u64 v[30:31], v[0:1], 1, s[26:27]
	v_add_u32_e32 v0, v43, v40
	v_or_b32_e32 v80, 0x800, v2
	v_add_u32_e32 v81, 0xa00, v2
	v_lshrrev_b32_e32 v2, 6, v0
	v_add_u32_e32 v0, 12, v2
	v_mad_i64_i32 v[0:1], s[4:5], v0, s28, 0
	v_lshlrev_b64 v[32:33], 1, v[0:1]
	v_add_u32_e32 v0, 8, v2
	v_mad_i64_i32 v[0:1], s[4:5], v0, s28, 0
	v_add_u32_e32 v82, 0x400, v71
	s_add_i32 s31, s22, -8
	v_add_u32_e32 v84, 0x400, v43
	v_mov_b32_e32 v25, 0
	s_lshl_b64 s[6:7], s[28:29], 4
	v_lshlrev_b64 v[34:35], 1, v[0:1]
	s_branch .LBB286_24
.LBB286_23:                             ;   in Loop: Header=BB286_24 Depth=1
	s_or_b64 exec, exec, s[4:5]
	v_pk_add_f16 v20, v60, v20
	v_pk_add_f16 v12, v52, v12
	;; [unrolled: 1-line block ×23, first 2 shown]
	ds_read2_b64 v[6:9], v72 offset0:48 offset1:56
	ds_read2_b64 v[10:13], v43 offset1:32
	v_pk_add_f16 v2, v68, v2
	v_pk_add_f16 v22, v67, v22
	;; [unrolled: 1-line block ×4, first 2 shown]
	s_waitcnt lgkmcnt(0)
	v_pk_max_f16 v8, v8, v8
	v_pk_max_f16 v10, v10, v10
	v_pk_add_f16 v16, v79, v16
	v_pk_add_f16 v52, v64, v92
	v_pk_add_f16 v60, v61, v102
	v_pk_add_f16 v45, v45, v104
	v_pk_add_f16 v61, v2, v3
	v_pk_add_f16 v22, v22, v23
	v_pk_add_f16 v23, v36, v106
	v_pk_add_f16 v36, v14, v15
	v_pk_add_f16 v64, v4, v116
	v_pk_add_f16 v44, v44, v5
	ds_read2_b64 v[2:5], v43 offset0:64 offset1:96
	v_pk_min_f16 v14, v8, v10
	v_pk_add_f16 v58, v62, v98
	v_pk_add_f16 v62, v16, v17
	;; [unrolled: 1-line block ×4, first 2 shown]
	ds_read2_b64 v[14:17], v72 offset1:8
	v_pk_max_f16 v12, v12, v12
	s_waitcnt lgkmcnt(0)
	v_pk_max_f16 v2, v2, v2
	v_pk_min_f16 v61, v8, v12
	v_pk_add_f16 v59, v73, v101
	v_pk_add_f16 v61, v20, v61
	v_pk_min_f16 v20, v8, v2
	v_pk_max_f16 v14, v14, v14
	v_pk_add_f16 v66, v21, v20
	v_pk_min_f16 v20, v14, v10
	v_pk_max_f16 v16, v16, v16
	;; [unrolled: 3-line block ×3, first 2 shown]
	v_pk_add_f16 v22, v22, v20
	v_pk_min_f16 v20, v14, v2
	v_pk_min_f16 v14, v14, v4
	v_pk_add_f16 v23, v23, v20
	v_pk_min_f16 v20, v16, v10
	v_pk_add_f16 v14, v36, v14
	v_pk_add_f16 v73, v18, v20
	v_pk_min_f16 v18, v16, v12
	v_pk_min_f16 v36, v16, v2
	v_pk_add_f16 v74, v19, v18
	ds_read2_b64 v[18:21], v72 offset0:16 offset1:24
	v_pk_add_f16 v75, v37, v36
	v_pk_add_f16 v50, v50, v110
	;; [unrolled: 1-line block ×4, first 2 shown]
	s_waitcnt lgkmcnt(0)
	v_pk_max_f16 v18, v18, v18
	v_pk_max_f16 v20, v20, v20
	v_pk_min_f16 v36, v18, v10
	v_pk_min_f16 v16, v16, v4
	v_pk_add_f16 v76, v39, v36
	v_pk_min_f16 v36, v18, v12
	v_pk_add_f16 v16, v38, v16
	v_pk_add_f16 v87, v50, v36
	v_pk_min_f16 v36, v18, v2
	v_pk_add_f16 v49, v49, v91
	;; [unrolled: 3-line block ×4, first 2 shown]
	v_pk_add_f16 v89, v52, v36
	ds_read2_b64 v[36:39], v72 offset0:32 offset1:40
	v_pk_min_f16 v18, v18, v4
	v_pk_add_f16 v48, v48, v115
	v_pk_add_f16 v18, v49, v18
	v_pk_min_f16 v49, v20, v2
	v_pk_min_f16 v20, v20, v4
	s_waitcnt lgkmcnt(0)
	v_pk_max_f16 v36, v36, v36
	v_pk_add_f16 v20, v48, v20
	v_pk_min_f16 v48, v36, v10
	v_pk_add_f16 v47, v47, v97
	v_pk_add_f16 v57, v57, v117
	;; [unrolled: 1-line block ×3, first 2 shown]
	v_pk_min_f16 v48, v36, v12
	v_pk_add_f16 v47, v47, v119
	v_pk_add_f16 v91, v57, v48
	v_pk_min_f16 v48, v36, v2
	v_pk_min_f16 v36, v36, v4
	v_pk_max_f16 v38, v38, v38
	v_pk_add_f16 v36, v47, v36
	v_pk_min_f16 v47, v38, v10
	v_pk_add_f16 v58, v58, v120
	v_pk_add_f16 v92, v65, v47
	v_pk_min_f16 v47, v38, v12
	v_pk_max_f16 v6, v6, v6
	v_pk_add_f16 v56, v56, v93
	v_pk_add_f16 v93, v58, v47
	v_pk_min_f16 v47, v38, v2
	v_pk_min_f16 v10, v6, v10
	;; [unrolled: 1-line block ×6, first 2 shown]
	v_pk_add_f16 v1, v1, v6
	v_pk_min_f16 v4, v8, v4
	v_pk_max_f16 v6, v9, v9
	v_pk_max_f16 v8, v11, v11
	v_pk_add_f16 v60, v60, v124
	v_pk_min_f16 v9, v6, v8
	v_pk_max_f16 v3, v3, v3
	v_pk_add_f16 v68, v45, v9
	v_pk_max_f16 v9, v13, v13
	v_pk_add_f16 v12, v60, v12
	v_pk_min_f16 v11, v6, v9
	v_pk_max_f16 v5, v5, v5
	v_pk_add_f16 v60, v61, v11
	v_pk_min_f16 v11, v6, v3
	v_pk_add_f16 v59, v59, v123
	v_pk_add_f16 v52, v66, v11
	v_pk_max_f16 v11, v15, v15
	v_pk_add_f16 v10, v59, v10
	v_pk_min_f16 v13, v11, v8
	v_pk_add_f16 v56, v56, v114
	v_pk_add_f16 v79, v62, v13
	v_pk_min_f16 v13, v11, v9
	v_pk_add_f16 v56, v56, v49
	v_pk_add_f16 v67, v22, v13
	v_pk_min_f16 v13, v11, v3
	v_pk_min_f16 v11, v11, v5
	v_pk_add_f16 v59, v23, v13
	v_pk_add_f16 v51, v14, v11
	v_pk_max_f16 v11, v17, v17
	v_pk_add_f16 v55, v55, v96
	v_pk_min_f16 v13, v11, v8
	v_pk_add_f16 v55, v55, v118
	v_pk_add_f16 v78, v73, v13
	v_pk_min_f16 v13, v11, v9
	v_pk_add_f16 v55, v55, v48
	v_pk_add_f16 v66, v74, v13
	v_pk_min_f16 v13, v11, v3
	v_pk_min_f16 v11, v11, v5
	v_pk_add_f16 v58, v75, v13
	v_pk_add_f16 v50, v16, v11
	v_pk_max_f16 v11, v19, v19
	v_pk_add_f16 v54, v54, v99
	v_pk_min_f16 v13, v11, v8
	v_pk_add_f16 v54, v54, v121
	v_pk_add_f16 v77, v76, v13
	v_pk_min_f16 v13, v11, v9
	v_pk_add_f16 v54, v54, v47
	v_pk_add_f16 v65, v87, v13
	v_pk_min_f16 v13, v11, v3
	v_pk_min_f16 v11, v11, v5
	v_pk_add_f16 v57, v88, v13
	v_pk_add_f16 v49, v18, v11
	v_pk_max_f16 v11, v21, v21
	v_pk_add_f16 v53, v53, v103
	v_pk_min_f16 v13, v11, v8
	v_pk_add_f16 v53, v53, v125
	v_pk_add_f16 v76, v63, v13
	v_pk_min_f16 v13, v11, v9
	v_pk_max_f16 v7, v7, v7
	v_pk_add_f16 v64, v89, v13
	v_pk_min_f16 v13, v11, v3
	v_pk_min_f16 v11, v11, v5
	v_pk_add_f16 v56, v56, v13
	v_pk_add_f16 v48, v20, v11
	v_pk_max_f16 v11, v37, v37
	v_pk_add_f16 v46, v46, v100
	v_pk_min_f16 v13, v11, v8
	v_pk_add_f16 v2, v53, v2
	v_pk_add_f16 v75, v90, v13
	v_pk_min_f16 v13, v11, v9
	v_pk_add_f16 v46, v46, v122
	v_pk_add_f16 v63, v91, v13
	v_pk_min_f16 v13, v11, v3
	v_pk_min_f16 v11, v11, v5
	v_pk_add_f16 v55, v55, v13
	v_pk_add_f16 v47, v36, v11
	v_pk_max_f16 v11, v39, v39
	v_pk_add_f16 v38, v46, v38
	v_pk_min_f16 v13, v11, v8
	v_pk_min_f16 v8, v7, v8
	v_pk_add_f16 v74, v92, v13
	v_pk_min_f16 v13, v11, v9
	v_pk_add_f16 v4, v44, v4
	v_pk_add_f16 v62, v93, v13
	v_pk_min_f16 v13, v11, v3
	v_pk_min_f16 v3, v7, v3
	;; [unrolled: 1-line block ×3, first 2 shown]
	v_pk_add_f16 v53, v2, v3
	v_pk_min_f16 v2, v7, v5
	v_pk_add_f16 v73, v10, v8
	v_pk_min_f16 v8, v7, v9
	;; [unrolled: 2-line block ×3, first 2 shown]
	s_add_i32 s23, s23, 8
	v_pk_add_f16 v54, v54, v13
	v_pk_add_f16 v46, v38, v11
	;; [unrolled: 1-line block ×4, first 2 shown]
	v_lshl_add_u64 v[28:29], v[28:29], 0, 16
	v_lshl_add_u64 v[30:31], v[30:31], 0, 16
	s_cmp_ge_i32 s23, s31
	v_lshl_add_u64 v[26:27], v[26:27], 0, s[6:7]
	s_waitcnt vmcnt(0)
	ds_write_b16 v81, v86
	ds_write_b16 v82, v85
	ds_write_b16 v82, v0 offset:512
	s_waitcnt lgkmcnt(0)
	s_barrier
	s_cbranch_scc1 .LBB286_36
.LBB286_24:                             ; =>This Inner Loop Header: Depth=1
	v_add_u32_e32 v85, s23, v42
	v_add_u32_e32 v0, 8, v85
	v_cmp_gt_i32_e64 s[4:5], s22, v0
	s_and_b64 s[18:19], s[16:17], s[4:5]
	v_mov_b32_e32 v86, 0
	s_and_saveexec_b64 s[4:5], s[18:19]
	s_cbranch_execz .LBB286_26
; %bb.25:                               ;   in Loop: Header=BB286_24 Depth=1
	v_lshl_add_u64 v[0:1], v[26:27], 0, v[34:35]
	flat_load_ushort v86, v[0:1]
.LBB286_26:                             ;   in Loop: Header=BB286_24 Depth=1
	s_or_b64 exec, exec, s[4:5]
	v_add_u32_e32 v87, s23, v70
	v_add_u32_e32 v0, 8, v87
	v_cmp_le_i32_e64 s[4:5], s22, v0
	s_or_b64 s[18:19], vcc, s[4:5]
	s_xor_b64 s[26:27], s[18:19], -1
	v_mov_b32_e32 v88, 0
	v_lshl_add_u64 v[38:39], v[28:29], 0, v[24:25]
	v_mov_b32_e32 v89, 0
	s_and_saveexec_b64 s[18:19], s[26:27]
	s_cbranch_execz .LBB286_28
; %bb.27:                               ;   in Loop: Header=BB286_24 Depth=1
	flat_load_ushort v89, v[38:39] offset:16
.LBB286_28:                             ;   in Loop: Header=BB286_24 Depth=1
	s_or_b64 exec, exec, s[18:19]
	s_or_b64 s[4:5], s[8:9], s[4:5]
	s_xor_b64 s[18:19], s[4:5], -1
	v_lshl_add_u64 v[36:37], v[30:31], 0, v[24:25]
	s_and_saveexec_b64 s[4:5], s[18:19]
	s_cbranch_execz .LBB286_30
; %bb.29:                               ;   in Loop: Header=BB286_24 Depth=1
	flat_load_ushort v88, v[36:37] offset:16
.LBB286_30:                             ;   in Loop: Header=BB286_24 Depth=1
	s_or_b64 exec, exec, s[4:5]
	ds_read2_b64 v[0:3], v83 offset0:48 offset1:56
	ds_read2_b64 v[12:15], v84 offset0:64 offset1:96
	ds_read2_b64 v[20:23], v84 offset1:32
	ds_read2_b64 v[16:19], v83 offset1:8
	ds_read2_b64 v[8:11], v83 offset0:16 offset1:24
	ds_read2_b64 v[4:7], v83 offset0:32 offset1:40
	v_add_u32_e32 v85, 12, v85
	v_cmp_gt_i32_e64 s[4:5], s22, v85
	s_waitcnt vmcnt(0) lgkmcnt(0)
	ds_write_b16 v80, v86
	ds_write_b16 v71, v89
	ds_write_b16 v71, v88 offset:512
	s_and_b64 s[18:19], s[16:17], s[4:5]
	v_mov_b32_e32 v85, 0
	v_mov_b32_e32 v86, 0
	s_waitcnt lgkmcnt(0)
	s_barrier
	s_and_saveexec_b64 s[4:5], s[18:19]
	s_cbranch_execz .LBB286_32
; %bb.31:                               ;   in Loop: Header=BB286_24 Depth=1
	v_lshl_add_u64 v[88:89], v[26:27], 0, v[32:33]
	flat_load_ushort v86, v[88:89]
.LBB286_32:                             ;   in Loop: Header=BB286_24 Depth=1
	s_or_b64 exec, exec, s[4:5]
	v_add_u32_e32 v87, 12, v87
	v_cmp_le_i32_e64 s[4:5], s22, v87
	s_or_b64 s[18:19], vcc, s[4:5]
	s_xor_b64 s[26:27], s[18:19], -1
	s_and_saveexec_b64 s[18:19], s[26:27]
	s_cbranch_execz .LBB286_34
; %bb.33:                               ;   in Loop: Header=BB286_24 Depth=1
	flat_load_ushort v85, v[38:39] offset:24
.LBB286_34:                             ;   in Loop: Header=BB286_24 Depth=1
	s_or_b64 exec, exec, s[18:19]
	v_pk_max_f16 v105, v2, v2
	v_pk_max_f16 v101, v20, v20
	;; [unrolled: 1-line block ×17, first 2 shown]
	v_pk_min_f16 v2, v105, v101
	v_pk_min_f16 v20, v105, v102
	;; [unrolled: 1-line block ×26, first 2 shown]
	v_pk_max_f16 v0, v3, v3
	v_pk_max_f16 v107, v17, v17
	;; [unrolled: 1-line block ×5, first 2 shown]
	v_pk_min_f16 v116, v5, v123
	v_pk_min_f16 v117, v5, v124
	;; [unrolled: 1-line block ×4, first 2 shown]
	v_pk_max_f16 v5, v7, v7
	v_pk_max_f16 v1, v1, v1
	s_or_b64 s[4:5], s[8:9], s[4:5]
	v_pk_min_f16 v88, v88, v106
	v_pk_min_f16 v91, v91, v106
	;; [unrolled: 1-line block ×34, first 2 shown]
	s_xor_b64 s[18:19], s[4:5], -1
	v_mov_b32_e32 v0, 0
	s_and_saveexec_b64 s[4:5], s[18:19]
	s_cbranch_execz .LBB286_23
; %bb.35:                               ;   in Loop: Header=BB286_24 Depth=1
	flat_load_ushort v0, v[36:37] offset:24
	s_branch .LBB286_23
.LBB286_36:
	s_load_dwordx2 s[4:5], s[0:1], 0x70
	s_load_dword s29, s[0:1], 0x50
	s_load_dword s28, s[0:1], 0x68
	v_add_u32_e32 v8, 0x800, v69
	ds_read2_b64 v[0:3], v8 offset0:112 offset1:120
	ds_read2_b64 v[4:7], v43 offset0:192 offset1:224
	;; [unrolled: 1-line block ×6, first 2 shown]
	s_waitcnt lgkmcnt(0)
	s_mul_i32 s0, s3, s5
	s_mul_hi_u32 s1, s3, s4
	s_mul_i32 s5, s15, s4
	s_add_i32 s0, s1, s0
	s_add_i32 s1, s0, s5
	s_mul_i32 s0, s3, s4
	s_lshl_b64 s[0:1], s[0:1], 1
	s_add_u32 s22, s10, s0
	v_add_u32_e32 v69, s14, v41
	s_addc_u32 s23, s11, s1
	v_mad_i64_i32 v[26:27], s[0:1], v69, s29, 0
	v_add_u32_e32 v24, s2, v40
	v_lshl_add_u64 v[42:43], v[26:27], 1, s[24:25]
	v_mad_i64_i32 v[26:27], s[0:1], v69, s28, 0
	v_cmp_gt_i32_e64 s[18:19], s21, v69
	v_lshl_add_u64 v[40:41], v[26:27], 1, s[22:23]
	v_cmp_gt_i32_e64 s[2:3], s20, v24
	v_cndmask_b32_e64 v26, 0, 1, s[12:13]
	s_and_b64 s[6:7], s[2:3], s[18:19]
	v_ashrrev_i32_e32 v25, 31, v24
	v_cmp_ne_u32_e64 s[0:1], 1, v26
	s_and_saveexec_b64 s[4:5], s[6:7]
	s_cbranch_execz .LBB286_41
; %bb.37:
	s_and_b64 vcc, exec, s[0:1]
	s_cbranch_vccnz .LBB286_39
; %bb.38:
	v_lshl_add_u64 v[26:27], v[24:25], 1, v[42:43]
	flat_load_ushort v26, v[26:27]
	s_waitcnt vmcnt(0) lgkmcnt(0)
	v_mul_f16_e32 v26, s30, v26
	s_branch .LBB286_40
.LBB286_39:
	v_mov_b32_e32 v26, 0
.LBB286_40:
	v_pk_max_f16 v27, v20, v20
	v_pk_max_f16 v28, v16, v16
	v_pk_max_f16 v29, v17, v17
	v_pk_min_f16 v27, v28, v27
	v_pk_max_f16 v28, v21, v21
	v_pk_add_f16 v27, v79, v27
	v_pk_min_f16 v28, v29, v28
	s_nop 0
	v_pk_add_f16 v27, v27, v28
	s_nop 0
	v_add_f16_sdwa v27, v27, v27 dst_sel:DWORD dst_unused:UNUSED_PAD src0_sel:DWORD src1_sel:WORD_1
	v_add_f16_e32 v28, v27, v26
	v_lshl_add_u64 v[26:27], v[24:25], 1, v[40:41]
	global_store_short v[26:27], v28, off
.LBB286_41:
	s_or_b64 exec, exec, s[4:5]
	v_add_u32_e32 v26, 8, v24
	v_cmp_gt_i32_e64 s[4:5], s20, v26
	s_and_b64 s[8:9], s[4:5], s[18:19]
	v_ashrrev_i32_e32 v27, 31, v26
	s_and_saveexec_b64 s[6:7], s[8:9]
	s_cbranch_execz .LBB286_46
; %bb.42:
	s_and_b64 vcc, exec, s[0:1]
	s_cbranch_vccnz .LBB286_44
; %bb.43:
	v_lshl_add_u64 v[28:29], v[26:27], 1, v[42:43]
	flat_load_ushort v28, v[28:29]
	s_waitcnt vmcnt(0) lgkmcnt(0)
	v_mul_f16_e32 v28, s30, v28
	s_branch .LBB286_45
.LBB286_44:
	v_mov_b32_e32 v28, 0
.LBB286_45:
	v_pk_max_f16 v29, v20, v20
	v_pk_max_f16 v30, v18, v18
	v_pk_max_f16 v31, v19, v19
	v_pk_min_f16 v29, v30, v29
	v_pk_max_f16 v30, v21, v21
	v_pk_add_f16 v29, v78, v29
	v_pk_min_f16 v30, v31, v30
	s_nop 0
	v_pk_add_f16 v29, v29, v30
	s_nop 0
	v_add_f16_sdwa v29, v29, v29 dst_sel:DWORD dst_unused:UNUSED_PAD src0_sel:DWORD src1_sel:WORD_1
	v_add_f16_e32 v30, v29, v28
	v_lshl_add_u64 v[28:29], v[26:27], 1, v[40:41]
	global_store_short v[28:29], v30, off
.LBB286_46:
	s_or_b64 exec, exec, s[6:7]
	v_add_u32_e32 v28, 16, v24
	v_cmp_gt_i32_e64 s[6:7], s20, v28
	s_and_b64 s[10:11], s[6:7], s[18:19]
	v_ashrrev_i32_e32 v29, 31, v28
	;; [unrolled: 34-line block ×7, first 2 shown]
	s_and_saveexec_b64 s[18:19], s[26:27]
	s_cbranch_execz .LBB286_76
; %bb.72:
	s_and_b64 vcc, exec, s[0:1]
	s_cbranch_vccnz .LBB286_74
; %bb.73:
	v_lshl_add_u64 v[42:43], v[38:39], 1, v[42:43]
	flat_load_ushort v42, v[42:43]
	s_waitcnt vmcnt(0) lgkmcnt(0)
	v_mul_f16_e32 v42, s30, v42
	s_branch .LBB286_75
.LBB286_74:
	v_mov_b32_e32 v42, 0
.LBB286_75:
	v_pk_max_f16 v20, v20, v20
	v_pk_max_f16 v43, v2, v2
	;; [unrolled: 1-line block ×3, first 2 shown]
	v_pk_min_f16 v20, v43, v20
	v_pk_max_f16 v43, v3, v3
	v_pk_add_f16 v20, v68, v20
	v_pk_min_f16 v21, v43, v21
	s_nop 0
	v_pk_add_f16 v20, v20, v21
	s_nop 0
	v_add_f16_sdwa v20, v20, v20 dst_sel:DWORD dst_unused:UNUSED_PAD src0_sel:DWORD src1_sel:WORD_1
	v_add_f16_e32 v42, v20, v42
	v_lshl_add_u64 v[20:21], v[38:39], 1, v[40:41]
	global_store_short v[20:21], v42, off
.LBB286_76:
	s_or_b64 exec, exec, s[18:19]
	v_add_u32_e32 v42, 32, v69
	v_mad_i64_i32 v[20:21], s[26:27], v42, s29, 0
	v_cmp_gt_i32_e64 s[18:19], s21, v42
	v_lshl_add_u64 v[40:41], v[20:21], 1, s[24:25]
	v_mad_i64_i32 v[20:21], s[26:27], v42, s28, 0
	v_lshl_add_u64 v[20:21], v[20:21], 1, s[22:23]
	s_and_b64 s[34:35], s[2:3], s[18:19]
	s_and_saveexec_b64 s[26:27], s[34:35]
	s_cbranch_execnz .LBB286_84
; %bb.77:
	s_or_b64 exec, exec, s[26:27]
	s_and_b64 s[34:35], s[4:5], s[18:19]
	s_and_saveexec_b64 s[26:27], s[34:35]
	s_cbranch_execnz .LBB286_88
.LBB286_78:
	s_or_b64 exec, exec, s[26:27]
	s_and_b64 s[34:35], s[6:7], s[18:19]
	s_and_saveexec_b64 s[26:27], s[34:35]
	s_cbranch_execnz .LBB286_92
.LBB286_79:
	s_or_b64 exec, exec, s[26:27]
	s_and_b64 s[34:35], s[8:9], s[18:19]
	s_and_saveexec_b64 s[26:27], s[34:35]
	s_cbranch_execnz .LBB286_96
.LBB286_80:
	s_or_b64 exec, exec, s[26:27]
	s_and_b64 s[34:35], s[10:11], s[18:19]
	s_and_saveexec_b64 s[26:27], s[34:35]
	s_cbranch_execnz .LBB286_100
.LBB286_81:
	s_or_b64 exec, exec, s[26:27]
	s_and_b64 s[34:35], s[12:13], s[18:19]
	s_and_saveexec_b64 s[26:27], s[34:35]
	s_cbranch_execnz .LBB286_104
.LBB286_82:
	s_or_b64 exec, exec, s[26:27]
	s_and_b64 s[34:35], s[14:15], s[18:19]
	s_and_saveexec_b64 s[26:27], s[34:35]
	s_cbranch_execnz .LBB286_108
.LBB286_83:
	s_or_b64 exec, exec, s[26:27]
	s_and_b64 s[26:27], s[16:17], s[18:19]
	s_and_saveexec_b64 s[18:19], s[26:27]
	s_cbranch_execnz .LBB286_112
	s_branch .LBB286_116
.LBB286_84:
	s_and_b64 vcc, exec, s[0:1]
	s_cbranch_vccnz .LBB286_86
; %bb.85:
	v_lshl_add_u64 v[42:43], v[24:25], 1, v[40:41]
	flat_load_ushort v42, v[42:43]
	s_waitcnt vmcnt(0) lgkmcnt(0)
	v_mul_f16_e32 v42, s30, v42
	s_branch .LBB286_87
.LBB286_86:
	v_mov_b32_e32 v42, 0
.LBB286_87:
	v_pk_max_f16 v43, v22, v22
	v_pk_max_f16 v68, v16, v16
	s_nop 0
	v_pk_min_f16 v43, v68, v43
	v_pk_max_f16 v68, v17, v17
	v_pk_add_f16 v43, v67, v43
	v_pk_max_f16 v67, v23, v23
	s_nop 0
	v_pk_min_f16 v67, v68, v67
	s_nop 0
	v_pk_add_f16 v43, v43, v67
	s_nop 0
	v_add_f16_sdwa v43, v43, v43 dst_sel:DWORD dst_unused:UNUSED_PAD src0_sel:DWORD src1_sel:WORD_1
	v_add_f16_e32 v67, v43, v42
	v_lshl_add_u64 v[42:43], v[24:25], 1, v[20:21]
	global_store_short v[42:43], v67, off
	s_or_b64 exec, exec, s[26:27]
	s_and_b64 s[34:35], s[4:5], s[18:19]
	s_and_saveexec_b64 s[26:27], s[34:35]
	s_cbranch_execz .LBB286_78
.LBB286_88:
	s_and_b64 vcc, exec, s[0:1]
	s_cbranch_vccnz .LBB286_90
; %bb.89:
	v_lshl_add_u64 v[42:43], v[26:27], 1, v[40:41]
	flat_load_ushort v42, v[42:43]
	s_waitcnt vmcnt(0) lgkmcnt(0)
	v_mul_f16_e32 v42, s30, v42
	s_branch .LBB286_91
.LBB286_90:
	v_mov_b32_e32 v42, 0
.LBB286_91:
	v_pk_max_f16 v43, v22, v22
	v_pk_max_f16 v67, v18, v18
	s_nop 0
	v_pk_min_f16 v43, v67, v43
	v_pk_max_f16 v67, v19, v19
	v_pk_add_f16 v43, v66, v43
	v_pk_max_f16 v66, v23, v23
	s_nop 0
	v_pk_min_f16 v66, v67, v66
	s_nop 0
	v_pk_add_f16 v43, v43, v66
	s_nop 0
	v_add_f16_sdwa v43, v43, v43 dst_sel:DWORD dst_unused:UNUSED_PAD src0_sel:DWORD src1_sel:WORD_1
	v_add_f16_e32 v66, v43, v42
	v_lshl_add_u64 v[42:43], v[26:27], 1, v[20:21]
	global_store_short v[42:43], v66, off
	s_or_b64 exec, exec, s[26:27]
	s_and_b64 s[34:35], s[6:7], s[18:19]
	s_and_saveexec_b64 s[26:27], s[34:35]
	s_cbranch_execz .LBB286_79
.LBB286_92:
	s_and_b64 vcc, exec, s[0:1]
	s_cbranch_vccnz .LBB286_94
; %bb.93:
	v_lshl_add_u64 v[42:43], v[28:29], 1, v[40:41]
	flat_load_ushort v42, v[42:43]
	s_waitcnt vmcnt(0) lgkmcnt(0)
	v_mul_f16_e32 v42, s30, v42
	s_branch .LBB286_95
.LBB286_94:
	v_mov_b32_e32 v42, 0
.LBB286_95:
	v_pk_max_f16 v43, v22, v22
	v_pk_max_f16 v66, v12, v12
	s_nop 0
	v_pk_min_f16 v43, v66, v43
	v_pk_max_f16 v66, v13, v13
	v_pk_add_f16 v43, v65, v43
	v_pk_max_f16 v65, v23, v23
	s_nop 0
	v_pk_min_f16 v65, v66, v65
	s_nop 0
	v_pk_add_f16 v43, v43, v65
	s_nop 0
	v_add_f16_sdwa v43, v43, v43 dst_sel:DWORD dst_unused:UNUSED_PAD src0_sel:DWORD src1_sel:WORD_1
	v_add_f16_e32 v65, v43, v42
	v_lshl_add_u64 v[42:43], v[28:29], 1, v[20:21]
	global_store_short v[42:43], v65, off
	s_or_b64 exec, exec, s[26:27]
	s_and_b64 s[34:35], s[8:9], s[18:19]
	s_and_saveexec_b64 s[26:27], s[34:35]
	s_cbranch_execz .LBB286_80
.LBB286_96:
	s_and_b64 vcc, exec, s[0:1]
	s_cbranch_vccnz .LBB286_98
; %bb.97:
	v_lshl_add_u64 v[42:43], v[30:31], 1, v[40:41]
	flat_load_ushort v42, v[42:43]
	s_waitcnt vmcnt(0) lgkmcnt(0)
	v_mul_f16_e32 v42, s30, v42
	s_branch .LBB286_99
.LBB286_98:
	v_mov_b32_e32 v42, 0
.LBB286_99:
	v_pk_max_f16 v43, v22, v22
	v_pk_max_f16 v65, v14, v14
	s_nop 0
	v_pk_min_f16 v43, v65, v43
	v_pk_max_f16 v65, v15, v15
	v_pk_add_f16 v43, v64, v43
	v_pk_max_f16 v64, v23, v23
	s_nop 0
	v_pk_min_f16 v64, v65, v64
	s_nop 0
	v_pk_add_f16 v43, v43, v64
	s_nop 0
	v_add_f16_sdwa v43, v43, v43 dst_sel:DWORD dst_unused:UNUSED_PAD src0_sel:DWORD src1_sel:WORD_1
	v_add_f16_e32 v64, v43, v42
	v_lshl_add_u64 v[42:43], v[30:31], 1, v[20:21]
	global_store_short v[42:43], v64, off
	s_or_b64 exec, exec, s[26:27]
	s_and_b64 s[34:35], s[10:11], s[18:19]
	s_and_saveexec_b64 s[26:27], s[34:35]
	s_cbranch_execz .LBB286_81
.LBB286_100:
	s_and_b64 vcc, exec, s[0:1]
	s_cbranch_vccnz .LBB286_102
; %bb.101:
	v_lshl_add_u64 v[42:43], v[32:33], 1, v[40:41]
	flat_load_ushort v42, v[42:43]
	s_waitcnt vmcnt(0) lgkmcnt(0)
	v_mul_f16_e32 v42, s30, v42
	s_branch .LBB286_103
.LBB286_102:
	v_mov_b32_e32 v42, 0
.LBB286_103:
	v_pk_max_f16 v43, v22, v22
	v_pk_max_f16 v64, v8, v8
	s_nop 0
	v_pk_min_f16 v43, v64, v43
	v_pk_max_f16 v64, v9, v9
	v_pk_add_f16 v43, v63, v43
	v_pk_max_f16 v63, v23, v23
	s_nop 0
	v_pk_min_f16 v63, v64, v63
	s_nop 0
	v_pk_add_f16 v43, v43, v63
	s_nop 0
	v_add_f16_sdwa v43, v43, v43 dst_sel:DWORD dst_unused:UNUSED_PAD src0_sel:DWORD src1_sel:WORD_1
	v_add_f16_e32 v63, v43, v42
	v_lshl_add_u64 v[42:43], v[32:33], 1, v[20:21]
	global_store_short v[42:43], v63, off
	s_or_b64 exec, exec, s[26:27]
	s_and_b64 s[34:35], s[12:13], s[18:19]
	s_and_saveexec_b64 s[26:27], s[34:35]
	s_cbranch_execz .LBB286_82
.LBB286_104:
	s_and_b64 vcc, exec, s[0:1]
	s_cbranch_vccnz .LBB286_106
; %bb.105:
	v_lshl_add_u64 v[42:43], v[34:35], 1, v[40:41]
	flat_load_ushort v42, v[42:43]
	s_waitcnt vmcnt(0) lgkmcnt(0)
	v_mul_f16_e32 v42, s30, v42
	s_branch .LBB286_107
.LBB286_106:
	v_mov_b32_e32 v42, 0
.LBB286_107:
	v_pk_max_f16 v43, v22, v22
	v_pk_max_f16 v63, v10, v10
	s_nop 0
	v_pk_min_f16 v43, v63, v43
	v_pk_max_f16 v63, v11, v11
	v_pk_add_f16 v43, v62, v43
	v_pk_max_f16 v62, v23, v23
	s_nop 0
	v_pk_min_f16 v62, v63, v62
	s_nop 0
	v_pk_add_f16 v43, v43, v62
	s_nop 0
	v_add_f16_sdwa v43, v43, v43 dst_sel:DWORD dst_unused:UNUSED_PAD src0_sel:DWORD src1_sel:WORD_1
	v_add_f16_e32 v62, v43, v42
	v_lshl_add_u64 v[42:43], v[34:35], 1, v[20:21]
	global_store_short v[42:43], v62, off
	s_or_b64 exec, exec, s[26:27]
	s_and_b64 s[34:35], s[14:15], s[18:19]
	s_and_saveexec_b64 s[26:27], s[34:35]
	s_cbranch_execz .LBB286_83
.LBB286_108:
	s_and_b64 vcc, exec, s[0:1]
	s_cbranch_vccnz .LBB286_110
; %bb.109:
	v_lshl_add_u64 v[42:43], v[36:37], 1, v[40:41]
	flat_load_ushort v42, v[42:43]
	s_waitcnt vmcnt(0) lgkmcnt(0)
	v_mul_f16_e32 v42, s30, v42
	s_branch .LBB286_111
.LBB286_110:
	v_mov_b32_e32 v42, 0
.LBB286_111:
	v_pk_max_f16 v43, v22, v22
	v_pk_max_f16 v62, v0, v0
	s_nop 0
	v_pk_min_f16 v43, v62, v43
	v_pk_max_f16 v62, v1, v1
	v_pk_add_f16 v43, v61, v43
	v_pk_max_f16 v61, v23, v23
	s_nop 0
	v_pk_min_f16 v61, v62, v61
	s_nop 0
	v_pk_add_f16 v43, v43, v61
	s_nop 0
	v_add_f16_sdwa v43, v43, v43 dst_sel:DWORD dst_unused:UNUSED_PAD src0_sel:DWORD src1_sel:WORD_1
	v_add_f16_e32 v61, v43, v42
	v_lshl_add_u64 v[42:43], v[36:37], 1, v[20:21]
	global_store_short v[42:43], v61, off
	s_or_b64 exec, exec, s[26:27]
	s_and_b64 s[26:27], s[16:17], s[18:19]
	s_and_saveexec_b64 s[18:19], s[26:27]
	s_cbranch_execz .LBB286_116
.LBB286_112:
	s_and_b64 vcc, exec, s[0:1]
	s_cbranch_vccnz .LBB286_114
; %bb.113:
	v_lshl_add_u64 v[40:41], v[38:39], 1, v[40:41]
	flat_load_ushort v40, v[40:41]
	s_waitcnt vmcnt(0) lgkmcnt(0)
	v_mul_f16_e32 v40, s30, v40
	s_branch .LBB286_115
.LBB286_114:
	v_mov_b32_e32 v40, 0
.LBB286_115:
	v_pk_max_f16 v22, v22, v22
	v_pk_max_f16 v41, v2, v2
	;; [unrolled: 1-line block ×3, first 2 shown]
	v_pk_min_f16 v22, v41, v22
	v_pk_max_f16 v41, v3, v3
	v_pk_add_f16 v22, v60, v22
	v_pk_min_f16 v23, v41, v23
	v_lshl_add_u64 v[20:21], v[38:39], 1, v[20:21]
	v_pk_add_f16 v22, v22, v23
	s_nop 0
	v_add_f16_sdwa v22, v22, v22 dst_sel:DWORD dst_unused:UNUSED_PAD src0_sel:DWORD src1_sel:WORD_1
	v_add_f16_e32 v22, v22, v40
	global_store_short v[20:21], v22, off
.LBB286_116:
	s_or_b64 exec, exec, s[18:19]
	v_add_u32_e32 v40, 64, v69
	v_mad_i64_i32 v[20:21], s[26:27], v40, s29, 0
	v_cmp_gt_i32_e64 s[18:19], s21, v40
	v_lshl_add_u64 v[22:23], v[20:21], 1, s[24:25]
	v_mad_i64_i32 v[20:21], s[26:27], v40, s28, 0
	v_lshl_add_u64 v[20:21], v[20:21], 1, s[22:23]
	s_and_b64 s[34:35], s[2:3], s[18:19]
	s_and_saveexec_b64 s[26:27], s[34:35]
	s_cbranch_execnz .LBB286_124
; %bb.117:
	s_or_b64 exec, exec, s[26:27]
	s_and_b64 s[34:35], s[4:5], s[18:19]
	s_and_saveexec_b64 s[26:27], s[34:35]
	s_cbranch_execnz .LBB286_128
.LBB286_118:
	s_or_b64 exec, exec, s[26:27]
	s_and_b64 s[34:35], s[6:7], s[18:19]
	s_and_saveexec_b64 s[26:27], s[34:35]
	s_cbranch_execnz .LBB286_132
.LBB286_119:
	s_or_b64 exec, exec, s[26:27]
	s_and_b64 s[34:35], s[8:9], s[18:19]
	s_and_saveexec_b64 s[26:27], s[34:35]
	s_cbranch_execnz .LBB286_136
.LBB286_120:
	s_or_b64 exec, exec, s[26:27]
	s_and_b64 s[34:35], s[10:11], s[18:19]
	s_and_saveexec_b64 s[26:27], s[34:35]
	s_cbranch_execnz .LBB286_140
.LBB286_121:
	s_or_b64 exec, exec, s[26:27]
	s_and_b64 s[34:35], s[12:13], s[18:19]
	s_and_saveexec_b64 s[26:27], s[34:35]
	s_cbranch_execnz .LBB286_144
.LBB286_122:
	s_or_b64 exec, exec, s[26:27]
	s_and_b64 s[34:35], s[14:15], s[18:19]
	s_and_saveexec_b64 s[26:27], s[34:35]
	s_cbranch_execnz .LBB286_148
.LBB286_123:
	s_or_b64 exec, exec, s[26:27]
	s_and_b64 s[26:27], s[16:17], s[18:19]
	s_and_saveexec_b64 s[18:19], s[26:27]
	s_cbranch_execnz .LBB286_152
	s_branch .LBB286_156
.LBB286_124:
	s_and_b64 vcc, exec, s[0:1]
	s_cbranch_vccnz .LBB286_126
; %bb.125:
	v_lshl_add_u64 v[40:41], v[24:25], 1, v[22:23]
	flat_load_ushort v40, v[40:41]
	s_waitcnt vmcnt(0) lgkmcnt(0)
	v_mul_f16_e32 v40, s30, v40
	s_branch .LBB286_127
.LBB286_126:
	v_mov_b32_e32 v40, 0
.LBB286_127:
	v_pk_max_f16 v41, v4, v4
	v_pk_max_f16 v42, v16, v16
	;; [unrolled: 1-line block ×3, first 2 shown]
	v_pk_min_f16 v41, v42, v41
	v_pk_max_f16 v42, v5, v5
	v_pk_add_f16 v41, v59, v41
	v_pk_min_f16 v42, v43, v42
	s_nop 0
	v_pk_add_f16 v41, v41, v42
	s_nop 0
	v_add_f16_sdwa v41, v41, v41 dst_sel:DWORD dst_unused:UNUSED_PAD src0_sel:DWORD src1_sel:WORD_1
	v_add_f16_e32 v42, v41, v40
	v_lshl_add_u64 v[40:41], v[24:25], 1, v[20:21]
	global_store_short v[40:41], v42, off
	s_or_b64 exec, exec, s[26:27]
	s_and_b64 s[34:35], s[4:5], s[18:19]
	s_and_saveexec_b64 s[26:27], s[34:35]
	s_cbranch_execz .LBB286_118
.LBB286_128:
	s_and_b64 vcc, exec, s[0:1]
	s_cbranch_vccnz .LBB286_130
; %bb.129:
	v_lshl_add_u64 v[40:41], v[26:27], 1, v[22:23]
	flat_load_ushort v40, v[40:41]
	s_waitcnt vmcnt(0) lgkmcnt(0)
	v_mul_f16_e32 v40, s30, v40
	s_branch .LBB286_131
.LBB286_130:
	v_mov_b32_e32 v40, 0
.LBB286_131:
	v_pk_max_f16 v41, v4, v4
	v_pk_max_f16 v42, v18, v18
	;; [unrolled: 1-line block ×3, first 2 shown]
	v_pk_min_f16 v41, v42, v41
	v_pk_max_f16 v42, v5, v5
	v_pk_add_f16 v41, v58, v41
	v_pk_min_f16 v42, v43, v42
	s_nop 0
	v_pk_add_f16 v41, v41, v42
	s_nop 0
	v_add_f16_sdwa v41, v41, v41 dst_sel:DWORD dst_unused:UNUSED_PAD src0_sel:DWORD src1_sel:WORD_1
	v_add_f16_e32 v42, v41, v40
	v_lshl_add_u64 v[40:41], v[26:27], 1, v[20:21]
	global_store_short v[40:41], v42, off
	s_or_b64 exec, exec, s[26:27]
	s_and_b64 s[34:35], s[6:7], s[18:19]
	s_and_saveexec_b64 s[26:27], s[34:35]
	s_cbranch_execz .LBB286_119
.LBB286_132:
	s_and_b64 vcc, exec, s[0:1]
	s_cbranch_vccnz .LBB286_134
; %bb.133:
	v_lshl_add_u64 v[40:41], v[28:29], 1, v[22:23]
	flat_load_ushort v40, v[40:41]
	s_waitcnt vmcnt(0) lgkmcnt(0)
	v_mul_f16_e32 v40, s30, v40
	s_branch .LBB286_135
.LBB286_134:
	v_mov_b32_e32 v40, 0
.LBB286_135:
	v_pk_max_f16 v41, v4, v4
	v_pk_max_f16 v42, v12, v12
	;; [unrolled: 1-line block ×3, first 2 shown]
	v_pk_min_f16 v41, v42, v41
	v_pk_max_f16 v42, v5, v5
	v_pk_add_f16 v41, v57, v41
	v_pk_min_f16 v42, v43, v42
	s_nop 0
	v_pk_add_f16 v41, v41, v42
	s_nop 0
	v_add_f16_sdwa v41, v41, v41 dst_sel:DWORD dst_unused:UNUSED_PAD src0_sel:DWORD src1_sel:WORD_1
	v_add_f16_e32 v42, v41, v40
	v_lshl_add_u64 v[40:41], v[28:29], 1, v[20:21]
	global_store_short v[40:41], v42, off
	s_or_b64 exec, exec, s[26:27]
	s_and_b64 s[34:35], s[8:9], s[18:19]
	s_and_saveexec_b64 s[26:27], s[34:35]
	s_cbranch_execz .LBB286_120
.LBB286_136:
	s_and_b64 vcc, exec, s[0:1]
	s_cbranch_vccnz .LBB286_138
; %bb.137:
	v_lshl_add_u64 v[40:41], v[30:31], 1, v[22:23]
	flat_load_ushort v40, v[40:41]
	s_waitcnt vmcnt(0) lgkmcnt(0)
	v_mul_f16_e32 v40, s30, v40
	s_branch .LBB286_139
.LBB286_138:
	v_mov_b32_e32 v40, 0
.LBB286_139:
	v_pk_max_f16 v41, v4, v4
	v_pk_max_f16 v42, v14, v14
	v_pk_max_f16 v43, v15, v15
	v_pk_min_f16 v41, v42, v41
	v_pk_max_f16 v42, v5, v5
	v_pk_add_f16 v41, v56, v41
	v_pk_min_f16 v42, v43, v42
	s_nop 0
	v_pk_add_f16 v41, v41, v42
	s_nop 0
	v_add_f16_sdwa v41, v41, v41 dst_sel:DWORD dst_unused:UNUSED_PAD src0_sel:DWORD src1_sel:WORD_1
	v_add_f16_e32 v42, v41, v40
	v_lshl_add_u64 v[40:41], v[30:31], 1, v[20:21]
	global_store_short v[40:41], v42, off
	s_or_b64 exec, exec, s[26:27]
	s_and_b64 s[34:35], s[10:11], s[18:19]
	s_and_saveexec_b64 s[26:27], s[34:35]
	s_cbranch_execz .LBB286_121
.LBB286_140:
	s_and_b64 vcc, exec, s[0:1]
	s_cbranch_vccnz .LBB286_142
; %bb.141:
	v_lshl_add_u64 v[40:41], v[32:33], 1, v[22:23]
	flat_load_ushort v40, v[40:41]
	s_waitcnt vmcnt(0) lgkmcnt(0)
	v_mul_f16_e32 v40, s30, v40
	s_branch .LBB286_143
.LBB286_142:
	v_mov_b32_e32 v40, 0
.LBB286_143:
	v_pk_max_f16 v41, v4, v4
	v_pk_max_f16 v42, v8, v8
	;; [unrolled: 1-line block ×3, first 2 shown]
	v_pk_min_f16 v41, v42, v41
	v_pk_max_f16 v42, v5, v5
	v_pk_add_f16 v41, v55, v41
	v_pk_min_f16 v42, v43, v42
	s_nop 0
	v_pk_add_f16 v41, v41, v42
	s_nop 0
	v_add_f16_sdwa v41, v41, v41 dst_sel:DWORD dst_unused:UNUSED_PAD src0_sel:DWORD src1_sel:WORD_1
	v_add_f16_e32 v42, v41, v40
	v_lshl_add_u64 v[40:41], v[32:33], 1, v[20:21]
	global_store_short v[40:41], v42, off
	s_or_b64 exec, exec, s[26:27]
	s_and_b64 s[34:35], s[12:13], s[18:19]
	s_and_saveexec_b64 s[26:27], s[34:35]
	s_cbranch_execz .LBB286_122
.LBB286_144:
	s_and_b64 vcc, exec, s[0:1]
	s_cbranch_vccnz .LBB286_146
; %bb.145:
	v_lshl_add_u64 v[40:41], v[34:35], 1, v[22:23]
	flat_load_ushort v40, v[40:41]
	s_waitcnt vmcnt(0) lgkmcnt(0)
	v_mul_f16_e32 v40, s30, v40
	s_branch .LBB286_147
.LBB286_146:
	v_mov_b32_e32 v40, 0
.LBB286_147:
	v_pk_max_f16 v41, v4, v4
	v_pk_max_f16 v42, v10, v10
	;; [unrolled: 1-line block ×3, first 2 shown]
	v_pk_min_f16 v41, v42, v41
	v_pk_max_f16 v42, v5, v5
	v_pk_add_f16 v41, v54, v41
	v_pk_min_f16 v42, v43, v42
	s_nop 0
	v_pk_add_f16 v41, v41, v42
	s_nop 0
	v_add_f16_sdwa v41, v41, v41 dst_sel:DWORD dst_unused:UNUSED_PAD src0_sel:DWORD src1_sel:WORD_1
	v_add_f16_e32 v42, v41, v40
	v_lshl_add_u64 v[40:41], v[34:35], 1, v[20:21]
	global_store_short v[40:41], v42, off
	s_or_b64 exec, exec, s[26:27]
	s_and_b64 s[34:35], s[14:15], s[18:19]
	s_and_saveexec_b64 s[26:27], s[34:35]
	s_cbranch_execz .LBB286_123
.LBB286_148:
	s_and_b64 vcc, exec, s[0:1]
	s_cbranch_vccnz .LBB286_150
; %bb.149:
	v_lshl_add_u64 v[40:41], v[36:37], 1, v[22:23]
	flat_load_ushort v40, v[40:41]
	s_waitcnt vmcnt(0) lgkmcnt(0)
	v_mul_f16_e32 v40, s30, v40
	s_branch .LBB286_151
.LBB286_150:
	v_mov_b32_e32 v40, 0
.LBB286_151:
	v_pk_max_f16 v41, v4, v4
	v_pk_max_f16 v42, v0, v0
	;; [unrolled: 1-line block ×3, first 2 shown]
	v_pk_min_f16 v41, v42, v41
	v_pk_max_f16 v42, v5, v5
	v_pk_add_f16 v41, v53, v41
	v_pk_min_f16 v42, v43, v42
	s_nop 0
	v_pk_add_f16 v41, v41, v42
	s_nop 0
	v_add_f16_sdwa v41, v41, v41 dst_sel:DWORD dst_unused:UNUSED_PAD src0_sel:DWORD src1_sel:WORD_1
	v_add_f16_e32 v42, v41, v40
	v_lshl_add_u64 v[40:41], v[36:37], 1, v[20:21]
	global_store_short v[40:41], v42, off
	s_or_b64 exec, exec, s[26:27]
	s_and_b64 s[26:27], s[16:17], s[18:19]
	s_and_saveexec_b64 s[18:19], s[26:27]
	s_cbranch_execz .LBB286_156
.LBB286_152:
	s_and_b64 vcc, exec, s[0:1]
	s_cbranch_vccnz .LBB286_154
; %bb.153:
	v_lshl_add_u64 v[22:23], v[38:39], 1, v[22:23]
	flat_load_ushort v22, v[22:23]
	s_waitcnt vmcnt(0) lgkmcnt(0)
	v_mul_f16_e32 v22, s30, v22
	s_branch .LBB286_155
.LBB286_154:
	v_mov_b32_e32 v22, 0
.LBB286_155:
	v_pk_max_f16 v4, v4, v4
	v_pk_max_f16 v23, v2, v2
	;; [unrolled: 1-line block ×3, first 2 shown]
	v_pk_min_f16 v4, v23, v4
	v_pk_max_f16 v23, v3, v3
	v_pk_add_f16 v4, v52, v4
	v_pk_min_f16 v5, v23, v5
	s_nop 0
	v_pk_add_f16 v4, v4, v5
	s_nop 0
	v_add_f16_sdwa v4, v4, v4 dst_sel:DWORD dst_unused:UNUSED_PAD src0_sel:DWORD src1_sel:WORD_1
	v_add_f16_e32 v22, v4, v22
	v_lshl_add_u64 v[4:5], v[38:39], 1, v[20:21]
	global_store_short v[4:5], v22, off
.LBB286_156:
	s_or_b64 exec, exec, s[18:19]
	v_add_u32_e32 v22, 0x60, v69
	v_cmp_gt_i32_e64 s[18:19], s21, v22
	v_mad_i64_i32 v[4:5], s[20:21], v22, s29, 0
	v_lshl_add_u64 v[20:21], v[4:5], 1, s[24:25]
	v_mad_i64_i32 v[4:5], s[20:21], v22, s28, 0
	v_lshl_add_u64 v[4:5], v[4:5], 1, s[22:23]
	s_and_b64 s[20:21], s[2:3], s[18:19]
	s_and_saveexec_b64 s[2:3], s[20:21]
	s_cbranch_execnz .LBB286_165
; %bb.157:
	s_or_b64 exec, exec, s[2:3]
	s_and_b64 s[4:5], s[4:5], s[18:19]
	s_and_saveexec_b64 s[2:3], s[4:5]
	s_cbranch_execnz .LBB286_169
.LBB286_158:
	s_or_b64 exec, exec, s[2:3]
	s_and_b64 s[4:5], s[6:7], s[18:19]
	s_and_saveexec_b64 s[2:3], s[4:5]
	s_cbranch_execnz .LBB286_173
.LBB286_159:
	s_or_b64 exec, exec, s[2:3]
	s_and_b64 s[4:5], s[8:9], s[18:19]
	s_and_saveexec_b64 s[2:3], s[4:5]
	s_cbranch_execnz .LBB286_177
.LBB286_160:
	s_or_b64 exec, exec, s[2:3]
	s_and_b64 s[4:5], s[10:11], s[18:19]
	s_and_saveexec_b64 s[2:3], s[4:5]
	s_cbranch_execnz .LBB286_181
.LBB286_161:
	s_or_b64 exec, exec, s[2:3]
	s_and_b64 s[4:5], s[12:13], s[18:19]
	s_and_saveexec_b64 s[2:3], s[4:5]
	s_cbranch_execnz .LBB286_185
.LBB286_162:
	s_or_b64 exec, exec, s[2:3]
	s_and_b64 s[4:5], s[14:15], s[18:19]
	s_and_saveexec_b64 s[2:3], s[4:5]
	s_cbranch_execnz .LBB286_189
.LBB286_163:
	s_or_b64 exec, exec, s[2:3]
	s_and_b64 s[2:3], s[16:17], s[18:19]
	s_and_saveexec_b64 s[4:5], s[2:3]
	s_cbranch_execnz .LBB286_193
.LBB286_164:
	s_endpgm
.LBB286_165:
	s_and_b64 vcc, exec, s[0:1]
	s_cbranch_vccnz .LBB286_167
; %bb.166:
	v_lshl_add_u64 v[22:23], v[24:25], 1, v[20:21]
	flat_load_ushort v22, v[22:23]
	s_waitcnt vmcnt(0) lgkmcnt(0)
	v_mul_f16_e32 v22, s30, v22
	s_branch .LBB286_168
.LBB286_167:
	v_mov_b32_e32 v22, 0
.LBB286_168:
	v_pk_max_f16 v23, v6, v6
	v_pk_max_f16 v16, v16, v16
	;; [unrolled: 1-line block ×3, first 2 shown]
	v_pk_min_f16 v16, v16, v23
	v_pk_max_f16 v23, v7, v7
	v_pk_add_f16 v16, v51, v16
	v_pk_min_f16 v17, v17, v23
	s_nop 0
	v_pk_add_f16 v16, v16, v17
	s_nop 0
	v_add_f16_sdwa v16, v16, v16 dst_sel:DWORD dst_unused:UNUSED_PAD src0_sel:DWORD src1_sel:WORD_1
	v_add_f16_e32 v22, v16, v22
	v_lshl_add_u64 v[16:17], v[24:25], 1, v[4:5]
	global_store_short v[16:17], v22, off
	s_or_b64 exec, exec, s[2:3]
	s_and_b64 s[4:5], s[4:5], s[18:19]
	s_and_saveexec_b64 s[2:3], s[4:5]
	s_cbranch_execz .LBB286_158
.LBB286_169:
	s_and_b64 vcc, exec, s[0:1]
	s_cbranch_vccnz .LBB286_171
; %bb.170:
	v_lshl_add_u64 v[16:17], v[26:27], 1, v[20:21]
	flat_load_ushort v16, v[16:17]
	s_waitcnt vmcnt(0) lgkmcnt(0)
	v_mul_f16_e32 v16, s30, v16
	s_branch .LBB286_172
.LBB286_171:
	v_mov_b32_e32 v16, 0
.LBB286_172:
	v_pk_max_f16 v17, v6, v6
	v_pk_max_f16 v18, v18, v18
	;; [unrolled: 1-line block ×3, first 2 shown]
	v_pk_min_f16 v17, v18, v17
	v_pk_max_f16 v18, v7, v7
	v_pk_add_f16 v17, v50, v17
	v_pk_min_f16 v18, v19, v18
	s_nop 0
	v_pk_add_f16 v17, v17, v18
	s_nop 0
	v_add_f16_sdwa v17, v17, v17 dst_sel:DWORD dst_unused:UNUSED_PAD src0_sel:DWORD src1_sel:WORD_1
	v_add_f16_e32 v18, v17, v16
	v_lshl_add_u64 v[16:17], v[26:27], 1, v[4:5]
	global_store_short v[16:17], v18, off
	s_or_b64 exec, exec, s[2:3]
	s_and_b64 s[4:5], s[6:7], s[18:19]
	s_and_saveexec_b64 s[2:3], s[4:5]
	s_cbranch_execz .LBB286_159
.LBB286_173:
	s_and_b64 vcc, exec, s[0:1]
	s_cbranch_vccnz .LBB286_175
; %bb.174:
	v_lshl_add_u64 v[16:17], v[28:29], 1, v[20:21]
	flat_load_ushort v16, v[16:17]
	s_waitcnt vmcnt(0) lgkmcnt(0)
	v_mul_f16_e32 v16, s30, v16
	s_branch .LBB286_176
.LBB286_175:
	v_mov_b32_e32 v16, 0
.LBB286_176:
	v_pk_max_f16 v17, v6, v6
	v_pk_max_f16 v12, v12, v12
	;; [unrolled: 1-line block ×3, first 2 shown]
	v_pk_min_f16 v12, v12, v17
	v_pk_max_f16 v17, v7, v7
	v_pk_add_f16 v12, v49, v12
	v_pk_min_f16 v13, v13, v17
	s_nop 0
	v_pk_add_f16 v12, v12, v13
	s_nop 0
	v_add_f16_sdwa v12, v12, v12 dst_sel:DWORD dst_unused:UNUSED_PAD src0_sel:DWORD src1_sel:WORD_1
	v_add_f16_e32 v16, v12, v16
	v_lshl_add_u64 v[12:13], v[28:29], 1, v[4:5]
	global_store_short v[12:13], v16, off
	s_or_b64 exec, exec, s[2:3]
	s_and_b64 s[4:5], s[8:9], s[18:19]
	s_and_saveexec_b64 s[2:3], s[4:5]
	s_cbranch_execz .LBB286_160
.LBB286_177:
	s_and_b64 vcc, exec, s[0:1]
	s_cbranch_vccnz .LBB286_179
; %bb.178:
	v_lshl_add_u64 v[12:13], v[30:31], 1, v[20:21]
	flat_load_ushort v12, v[12:13]
	s_waitcnt vmcnt(0) lgkmcnt(0)
	v_mul_f16_e32 v12, s30, v12
	s_branch .LBB286_180
.LBB286_179:
	v_mov_b32_e32 v12, 0
.LBB286_180:
	v_pk_max_f16 v13, v6, v6
	v_pk_max_f16 v14, v14, v14
	;; [unrolled: 1-line block ×3, first 2 shown]
	v_pk_min_f16 v13, v14, v13
	v_pk_max_f16 v14, v7, v7
	v_pk_add_f16 v13, v48, v13
	v_pk_min_f16 v14, v15, v14
	s_nop 0
	v_pk_add_f16 v13, v13, v14
	s_nop 0
	v_add_f16_sdwa v13, v13, v13 dst_sel:DWORD dst_unused:UNUSED_PAD src0_sel:DWORD src1_sel:WORD_1
	v_add_f16_e32 v14, v13, v12
	v_lshl_add_u64 v[12:13], v[30:31], 1, v[4:5]
	global_store_short v[12:13], v14, off
	s_or_b64 exec, exec, s[2:3]
	s_and_b64 s[4:5], s[10:11], s[18:19]
	s_and_saveexec_b64 s[2:3], s[4:5]
	s_cbranch_execz .LBB286_161
.LBB286_181:
	s_and_b64 vcc, exec, s[0:1]
	s_cbranch_vccnz .LBB286_183
; %bb.182:
	v_lshl_add_u64 v[12:13], v[32:33], 1, v[20:21]
	flat_load_ushort v12, v[12:13]
	s_waitcnt vmcnt(0) lgkmcnt(0)
	v_mul_f16_e32 v12, s30, v12
	s_branch .LBB286_184
.LBB286_183:
	v_mov_b32_e32 v12, 0
.LBB286_184:
	v_pk_max_f16 v13, v6, v6
	v_pk_max_f16 v8, v8, v8
	v_pk_max_f16 v9, v9, v9
	v_pk_min_f16 v8, v8, v13
	v_pk_max_f16 v13, v7, v7
	v_pk_add_f16 v8, v47, v8
	v_pk_min_f16 v9, v9, v13
	s_nop 0
	v_pk_add_f16 v8, v8, v9
	s_nop 0
	v_add_f16_sdwa v8, v8, v8 dst_sel:DWORD dst_unused:UNUSED_PAD src0_sel:DWORD src1_sel:WORD_1
	v_add_f16_e32 v12, v8, v12
	v_lshl_add_u64 v[8:9], v[32:33], 1, v[4:5]
	global_store_short v[8:9], v12, off
	s_or_b64 exec, exec, s[2:3]
	s_and_b64 s[4:5], s[12:13], s[18:19]
	s_and_saveexec_b64 s[2:3], s[4:5]
	s_cbranch_execz .LBB286_162
.LBB286_185:
	s_and_b64 vcc, exec, s[0:1]
	s_cbranch_vccnz .LBB286_187
; %bb.186:
	v_lshl_add_u64 v[8:9], v[34:35], 1, v[20:21]
	flat_load_ushort v8, v[8:9]
	s_waitcnt vmcnt(0) lgkmcnt(0)
	v_mul_f16_e32 v8, s30, v8
	s_branch .LBB286_188
.LBB286_187:
	v_mov_b32_e32 v8, 0
.LBB286_188:
	v_pk_max_f16 v9, v6, v6
	v_pk_max_f16 v10, v10, v10
	;; [unrolled: 1-line block ×3, first 2 shown]
	v_pk_min_f16 v9, v10, v9
	v_pk_max_f16 v10, v7, v7
	v_pk_add_f16 v9, v46, v9
	v_pk_min_f16 v10, v11, v10
	s_nop 0
	v_pk_add_f16 v9, v9, v10
	s_nop 0
	v_add_f16_sdwa v9, v9, v9 dst_sel:DWORD dst_unused:UNUSED_PAD src0_sel:DWORD src1_sel:WORD_1
	v_add_f16_e32 v10, v9, v8
	v_lshl_add_u64 v[8:9], v[34:35], 1, v[4:5]
	global_store_short v[8:9], v10, off
	s_or_b64 exec, exec, s[2:3]
	s_and_b64 s[4:5], s[14:15], s[18:19]
	s_and_saveexec_b64 s[2:3], s[4:5]
	s_cbranch_execz .LBB286_163
.LBB286_189:
	s_and_b64 vcc, exec, s[0:1]
	s_cbranch_vccnz .LBB286_191
; %bb.190:
	v_lshl_add_u64 v[8:9], v[36:37], 1, v[20:21]
	flat_load_ushort v8, v[8:9]
	s_waitcnt vmcnt(0) lgkmcnt(0)
	v_mul_f16_e32 v8, s30, v8
	s_branch .LBB286_192
.LBB286_191:
	v_mov_b32_e32 v8, 0
.LBB286_192:
	v_pk_max_f16 v9, v6, v6
	v_pk_max_f16 v0, v0, v0
	v_pk_max_f16 v1, v1, v1
	v_pk_min_f16 v0, v0, v9
	v_pk_max_f16 v9, v7, v7
	v_pk_add_f16 v0, v45, v0
	v_pk_min_f16 v1, v1, v9
	s_nop 0
	v_pk_add_f16 v0, v0, v1
	s_nop 0
	v_add_f16_sdwa v0, v0, v0 dst_sel:DWORD dst_unused:UNUSED_PAD src0_sel:DWORD src1_sel:WORD_1
	v_add_f16_e32 v8, v0, v8
	v_lshl_add_u64 v[0:1], v[36:37], 1, v[4:5]
	global_store_short v[0:1], v8, off
	s_or_b64 exec, exec, s[2:3]
	s_and_b64 s[2:3], s[16:17], s[18:19]
	s_and_saveexec_b64 s[4:5], s[2:3]
	s_cbranch_execz .LBB286_164
.LBB286_193:
	s_and_b64 vcc, exec, s[0:1]
	s_cbranch_vccnz .LBB286_195
; %bb.194:
	v_lshl_add_u64 v[0:1], v[38:39], 1, v[20:21]
	flat_load_ushort v0, v[0:1]
	s_waitcnt vmcnt(0) lgkmcnt(0)
	v_mul_f16_e32 v0, s30, v0
	s_branch .LBB286_196
.LBB286_195:
	v_mov_b32_e32 v0, 0
.LBB286_196:
	v_pk_max_f16 v1, v6, v6
	v_pk_max_f16 v2, v2, v2
	;; [unrolled: 1-line block ×3, first 2 shown]
	v_pk_min_f16 v1, v2, v1
	v_pk_max_f16 v2, v7, v7
	v_pk_add_f16 v1, v44, v1
	v_pk_min_f16 v2, v3, v2
	s_nop 0
	v_pk_add_f16 v1, v1, v2
	s_nop 0
	v_add_f16_sdwa v1, v1, v1 dst_sel:DWORD dst_unused:UNUSED_PAD src0_sel:DWORD src1_sel:WORD_1
	v_add_f16_e32 v2, v1, v0
	v_lshl_add_u64 v[0:1], v[38:39], 1, v[4:5]
	global_store_short v[0:1], v2, off
	s_endpgm
	.section	.rodata,"a",@progbits
	.p2align	6, 0x0
	.amdhsa_kernel _ZN12_GLOBAL__N_120geam_min_plus_kernelIDF16_Dv2_DF16_S1_Li8ELi32ELi64ELi128ELi4ELi64ELi4ELi4ELi64ELc78ELc78ELb1ELb1ELb0EDF16_KDF16_DF16_EEviiiT16_PT17_ilS5_ilS3_S5_ilPT18_ili26rocblas_geam_ex_operation_
		.amdhsa_group_segment_fixed_size 3072
		.amdhsa_private_segment_fixed_size 0
		.amdhsa_kernarg_size 128
		.amdhsa_user_sgpr_count 2
		.amdhsa_user_sgpr_dispatch_ptr 0
		.amdhsa_user_sgpr_queue_ptr 0
		.amdhsa_user_sgpr_kernarg_segment_ptr 1
		.amdhsa_user_sgpr_dispatch_id 0
		.amdhsa_user_sgpr_kernarg_preload_length 0
		.amdhsa_user_sgpr_kernarg_preload_offset 0
		.amdhsa_user_sgpr_private_segment_size 0
		.amdhsa_uses_dynamic_stack 0
		.amdhsa_enable_private_segment 0
		.amdhsa_system_sgpr_workgroup_id_x 1
		.amdhsa_system_sgpr_workgroup_id_y 0
		.amdhsa_system_sgpr_workgroup_id_z 1
		.amdhsa_system_sgpr_workgroup_info 0
		.amdhsa_system_vgpr_workitem_id 1
		.amdhsa_next_free_vgpr 127
		.amdhsa_next_free_sgpr 36
		.amdhsa_accum_offset 128
		.amdhsa_reserve_vcc 1
		.amdhsa_float_round_mode_32 0
		.amdhsa_float_round_mode_16_64 0
		.amdhsa_float_denorm_mode_32 3
		.amdhsa_float_denorm_mode_16_64 3
		.amdhsa_dx10_clamp 1
		.amdhsa_ieee_mode 1
		.amdhsa_fp16_overflow 0
		.amdhsa_tg_split 0
		.amdhsa_exception_fp_ieee_invalid_op 0
		.amdhsa_exception_fp_denorm_src 0
		.amdhsa_exception_fp_ieee_div_zero 0
		.amdhsa_exception_fp_ieee_overflow 0
		.amdhsa_exception_fp_ieee_underflow 0
		.amdhsa_exception_fp_ieee_inexact 0
		.amdhsa_exception_int_div_zero 0
	.end_amdhsa_kernel
	.section	.text._ZN12_GLOBAL__N_120geam_min_plus_kernelIDF16_Dv2_DF16_S1_Li8ELi32ELi64ELi128ELi4ELi64ELi4ELi4ELi64ELc78ELc78ELb1ELb1ELb0EDF16_KDF16_DF16_EEviiiT16_PT17_ilS5_ilS3_S5_ilPT18_ili26rocblas_geam_ex_operation_,"axG",@progbits,_ZN12_GLOBAL__N_120geam_min_plus_kernelIDF16_Dv2_DF16_S1_Li8ELi32ELi64ELi128ELi4ELi64ELi4ELi4ELi64ELc78ELc78ELb1ELb1ELb0EDF16_KDF16_DF16_EEviiiT16_PT17_ilS5_ilS3_S5_ilPT18_ili26rocblas_geam_ex_operation_,comdat
.Lfunc_end286:
	.size	_ZN12_GLOBAL__N_120geam_min_plus_kernelIDF16_Dv2_DF16_S1_Li8ELi32ELi64ELi128ELi4ELi64ELi4ELi4ELi64ELc78ELc78ELb1ELb1ELb0EDF16_KDF16_DF16_EEviiiT16_PT17_ilS5_ilS3_S5_ilPT18_ili26rocblas_geam_ex_operation_, .Lfunc_end286-_ZN12_GLOBAL__N_120geam_min_plus_kernelIDF16_Dv2_DF16_S1_Li8ELi32ELi64ELi128ELi4ELi64ELi4ELi4ELi64ELc78ELc78ELb1ELb1ELb0EDF16_KDF16_DF16_EEviiiT16_PT17_ilS5_ilS3_S5_ilPT18_ili26rocblas_geam_ex_operation_
                                        ; -- End function
	.section	.AMDGPU.csdata,"",@progbits
; Kernel info:
; codeLenInByte = 11196
; NumSgprs: 42
; NumVgprs: 127
; NumAgprs: 0
; TotalNumVgprs: 127
; ScratchSize: 0
; MemoryBound: 0
; FloatMode: 240
; IeeeMode: 1
; LDSByteSize: 3072 bytes/workgroup (compile time only)
; SGPRBlocks: 5
; VGPRBlocks: 15
; NumSGPRsForWavesPerEU: 42
; NumVGPRsForWavesPerEU: 127
; AccumOffset: 128
; Occupancy: 4
; WaveLimiterHint : 0
; COMPUTE_PGM_RSRC2:SCRATCH_EN: 0
; COMPUTE_PGM_RSRC2:USER_SGPR: 2
; COMPUTE_PGM_RSRC2:TRAP_HANDLER: 0
; COMPUTE_PGM_RSRC2:TGID_X_EN: 1
; COMPUTE_PGM_RSRC2:TGID_Y_EN: 0
; COMPUTE_PGM_RSRC2:TGID_Z_EN: 1
; COMPUTE_PGM_RSRC2:TIDIG_COMP_CNT: 1
; COMPUTE_PGM_RSRC3_GFX90A:ACCUM_OFFSET: 31
; COMPUTE_PGM_RSRC3_GFX90A:TG_SPLIT: 0
	.section	.text._ZN12_GLOBAL__N_120geam_min_plus_kernelIDF16_Dv2_DF16_S1_Li8ELi32ELi64ELi128ELi4ELi64ELi4ELi4ELi64ELc78ELc78ELb0ELb1ELb0EDF16_KDF16_DF16_EEviiiT16_PT17_ilS5_ilS3_S5_ilPT18_ili26rocblas_geam_ex_operation_,"axG",@progbits,_ZN12_GLOBAL__N_120geam_min_plus_kernelIDF16_Dv2_DF16_S1_Li8ELi32ELi64ELi128ELi4ELi64ELi4ELi4ELi64ELc78ELc78ELb0ELb1ELb0EDF16_KDF16_DF16_EEviiiT16_PT17_ilS5_ilS3_S5_ilPT18_ili26rocblas_geam_ex_operation_,comdat
	.globl	_ZN12_GLOBAL__N_120geam_min_plus_kernelIDF16_Dv2_DF16_S1_Li8ELi32ELi64ELi128ELi4ELi64ELi4ELi4ELi64ELc78ELc78ELb0ELb1ELb0EDF16_KDF16_DF16_EEviiiT16_PT17_ilS5_ilS3_S5_ilPT18_ili26rocblas_geam_ex_operation_ ; -- Begin function _ZN12_GLOBAL__N_120geam_min_plus_kernelIDF16_Dv2_DF16_S1_Li8ELi32ELi64ELi128ELi4ELi64ELi4ELi4ELi64ELc78ELc78ELb0ELb1ELb0EDF16_KDF16_DF16_EEviiiT16_PT17_ilS5_ilS3_S5_ilPT18_ili26rocblas_geam_ex_operation_
	.p2align	8
	.type	_ZN12_GLOBAL__N_120geam_min_plus_kernelIDF16_Dv2_DF16_S1_Li8ELi32ELi64ELi128ELi4ELi64ELi4ELi4ELi64ELc78ELc78ELb0ELb1ELb0EDF16_KDF16_DF16_EEviiiT16_PT17_ilS5_ilS3_S5_ilPT18_ili26rocblas_geam_ex_operation_,@function
_ZN12_GLOBAL__N_120geam_min_plus_kernelIDF16_Dv2_DF16_S1_Li8ELi32ELi64ELi128ELi4ELi64ELi4ELi4ELi64ELc78ELc78ELb0ELb1ELb0EDF16_KDF16_DF16_EEviiiT16_PT17_ilS5_ilS3_S5_ilPT18_ili26rocblas_geam_ex_operation_: ; @_ZN12_GLOBAL__N_120geam_min_plus_kernelIDF16_Dv2_DF16_S1_Li8ELi32ELi64ELi128ELi4ELi64ELi4ELi4ELi64ELc78ELc78ELb0ELb1ELb0EDF16_KDF16_DF16_EEviiiT16_PT17_ilS5_ilS3_S5_ilPT18_ili26rocblas_geam_ex_operation_
; %bb.0:
	s_load_dwordx4 s[20:23], s[0:1], 0x0
	s_load_dwordx4 s[4:7], s[0:1], 0x20
	s_waitcnt lgkmcnt(0)
	v_cmp_eq_f16_e64 s[8:9], s23, 0
	v_cmp_neq_f16_e64 s[16:17], s23, 0
	s_and_b64 vcc, exec, s[8:9]
	s_cbranch_vccnz .LBB287_3
; %bb.1:
	s_load_dwordx2 s[10:11], s[0:1], 0x10
	s_mul_i32 s5, s3, s5
	s_mul_hi_u32 s12, s3, s4
	s_add_i32 s5, s12, s5
	s_mul_i32 s4, s3, s4
	s_lshl_b64 s[4:5], s[4:5], 1
	s_waitcnt lgkmcnt(0)
	s_add_u32 s26, s10, s4
	s_addc_u32 s27, s11, s5
	s_andn2_b64 vcc, exec, s[8:9]
	s_cbranch_vccnz .LBB287_4
.LBB287_2:
	s_mov_b32 s15, 0
	s_mov_b64 s[18:19], 0
	s_cbranch_execz .LBB287_5
	s_branch .LBB287_6
.LBB287_3:
	s_mov_b64 s[26:27], 0
	s_andn2_b64 vcc, exec, s[8:9]
	s_cbranch_vccz .LBB287_2
.LBB287_4:
                                        ; implicit-def: $sgpr18_sgpr19
                                        ; implicit-def: $sgpr14_sgpr15
.LBB287_5:
	s_load_dwordx2 s[4:5], s[0:1], 0x38
	s_mov_b32 s15, 0
	s_waitcnt lgkmcnt(0)
	s_mul_i32 s5, s3, s5
	s_mul_hi_u32 s8, s3, s4
	s_add_i32 s5, s8, s5
	s_mul_i32 s4, s3, s4
	s_lshl_b64 s[4:5], s[4:5], 1
	s_add_u32 s18, s6, s4
	s_addc_u32 s19, s7, s5
.LBB287_6:
	s_load_dword s33, s[0:1], 0x40
	s_load_dwordx4 s[8:11], s[0:1], 0x58
	s_waitcnt lgkmcnt(0)
	v_cmp_eq_f16_e64 s[4:5], s33, 0
	v_cmp_neq_f16_e64 s[12:13], s33, 0
	s_and_b64 vcc, exec, s[4:5]
	s_cbranch_vccnz .LBB287_8
; %bb.7:
	s_load_dwordx2 s[4:5], s[0:1], 0x48
	s_mul_i32 s6, s3, s9
	s_mul_hi_u32 s7, s3, s8
	s_add_i32 s6, s7, s6
	s_mul_i32 s7, s15, s8
	s_add_i32 s7, s6, s7
	s_mul_i32 s6, s3, s8
	s_lshl_b64 s[6:7], s[6:7], 1
	s_waitcnt lgkmcnt(0)
	s_add_u32 s24, s4, s6
	s_addc_u32 s25, s5, s7
	s_branch .LBB287_9
.LBB287_8:
	s_mov_b64 s[24:25], 0
.LBB287_9:
	s_add_i32 s4, s20, -1
	s_ashr_i32 s5, s4, 31
	s_lshr_b32 s5, s5, 26
	s_add_i32 s4, s4, s5
	s_ashr_i32 s4, s4, 6
	s_add_i32 s5, s4, 1
	v_cvt_f32_u32_e32 v1, s5
	v_and_b32_e32 v36, 0x3ff, v0
	v_bfe_u32 v37, v0, 10, 10
	s_not_b32 s4, s4
	v_rcp_iflag_f32_e32 v1, v1
	s_load_dword s28, s[0:1], 0x18
	v_lshl_add_u32 v2, v37, 3, v36
	v_and_b32_e32 v9, 63, v2
	v_mul_f32_e32 v0, 0x4f7ffffe, v1
	v_cvt_u32_f32_e32 v0, v0
	s_waitcnt lgkmcnt(0)
	s_ashr_i32 s29, s28, 31
	v_lshrrev_b32_e32 v38, 6, v2
	v_mov_b32_e32 v10, 0
	v_readfirstlane_b32 s6, v0
	s_mul_i32 s4, s4, s6
	s_mul_hi_u32 s4, s6, s4
	s_add_i32 s6, s6, s4
	s_mul_hi_u32 s4, s2, s6
	s_mul_i32 s6, s4, s5
	s_sub_i32 s6, s2, s6
	s_add_i32 s7, s4, 1
	s_sub_i32 s8, s6, s5
	s_cmp_ge_u32 s6, s5
	s_cselect_b32 s4, s7, s4
	s_cselect_b32 s6, s8, s6
	s_add_i32 s7, s4, 1
	s_cmp_ge_u32 s6, s5
	s_cselect_b32 s6, s7, s4
	s_mul_i32 s4, s6, s5
	s_sub_i32 s2, s2, s4
	s_lshl_b32 s2, s2, 6
	v_or_b32_e32 v0, s2, v9
	v_cmp_gt_i32_e32 vcc, s20, v0
	v_cmp_gt_i32_e64 s[4:5], s22, v38
	s_and_b64 s[4:5], s[4:5], vcc
	s_and_b64 s[8:9], s[16:17], s[4:5]
	v_ashrrev_i32_e32 v1, 31, v0
	v_mov_b32_e32 v11, 0
	s_and_saveexec_b64 s[4:5], s[8:9]
	s_cbranch_execz .LBB287_11
; %bb.10:
	v_mad_i64_i32 v[4:5], s[8:9], s28, v38, 0
	v_lshl_add_u64 v[4:5], v[4:5], 1, s[26:27]
	v_lshl_add_u64 v[4:5], v[0:1], 1, v[4:5]
	flat_load_ushort v3, v[4:5]
	s_waitcnt vmcnt(0) lgkmcnt(0)
	v_mul_f16_e32 v11, s23, v3
.LBB287_11:
	s_or_b64 exec, exec, s[4:5]
	v_lshrrev_b32_e32 v12, 2, v2
	s_lshl_b32 s14, s6, 7
	s_load_dword s35, s[0:1], 0x30
	v_add_u32_e32 v4, s14, v12
	v_and_b32_e32 v39, 3, v36
	s_add_i32 s34, s22, -1
	v_cmp_le_i32_e64 s[6:7], s21, v4
	s_xor_b64 s[30:31], s[16:17], -1
	v_cmp_le_i32_e64 s[4:5], s22, v39
	v_min_i32_e32 v2, s34, v39
	s_or_b64 s[8:9], s[6:7], s[30:31]
	v_ashrrev_i32_e32 v3, 31, v2
	s_or_b64 s[6:7], s[4:5], s[8:9]
	v_lshl_add_u64 v[2:3], v[2:3], 1, s[18:19]
	s_xor_b64 s[36:37], s[6:7], -1
	s_and_saveexec_b64 s[6:7], s[36:37]
	s_cbranch_execz .LBB287_13
; %bb.12:
	s_waitcnt lgkmcnt(0)
	v_mad_i64_i32 v[6:7], s[36:37], v4, s35, 0
	v_lshl_add_u64 v[6:7], v[6:7], 1, v[2:3]
	flat_load_ushort v5, v[6:7]
	s_waitcnt vmcnt(0) lgkmcnt(0)
	v_mul_f16_e32 v10, s23, v5
.LBB287_13:
	s_or_b64 exec, exec, s[6:7]
	v_add_u32_e32 v5, 64, v4
	v_cmp_le_i32_e64 s[6:7], s21, v5
	s_or_b64 s[6:7], s[6:7], s[30:31]
	s_or_b64 s[4:5], s[4:5], s[6:7]
	s_xor_b64 s[30:31], s[4:5], -1
	v_mov_b32_e32 v6, 0
	v_mov_b32_e32 v13, 0
	s_and_saveexec_b64 s[4:5], s[30:31]
	s_cbranch_execz .LBB287_15
; %bb.14:
	s_waitcnt lgkmcnt(0)
	v_mad_i64_i32 v[14:15], s[30:31], v5, s35, 0
	v_lshl_add_u64 v[2:3], v[14:15], 1, v[2:3]
	flat_load_ushort v2, v[2:3]
	s_waitcnt vmcnt(0) lgkmcnt(0)
	v_mul_f16_e32 v13, s23, v2
.LBB287_15:
	s_or_b64 exec, exec, s[4:5]
	v_add_u32_e32 v2, 4, v38
	v_cmp_gt_i32_e64 s[4:5], s22, v2
	s_and_b64 s[4:5], vcc, s[4:5]
	s_and_b64 s[30:31], s[16:17], s[4:5]
	s_and_saveexec_b64 s[4:5], s[30:31]
	s_cbranch_execz .LBB287_17
; %bb.16:
	v_mad_u64_u32 v[6:7], s[30:31], s28, v2, 0
	v_mov_b32_e32 v8, v7
	v_mad_u64_u32 v[2:3], s[30:31], s29, v2, v[8:9]
	v_mov_b32_e32 v7, v2
	v_lshl_add_u64 v[2:3], v[6:7], 1, s[26:27]
	v_lshl_add_u64 v[2:3], v[0:1], 1, v[2:3]
	flat_load_ushort v2, v[2:3]
	s_waitcnt vmcnt(0) lgkmcnt(0)
	v_mul_f16_e32 v6, s23, v2
.LBB287_17:
	s_or_b64 exec, exec, s[4:5]
	v_or_b32_e32 v2, 4, v39
	v_cmp_le_i32_e64 s[4:5], s22, v2
	v_min_i32_e32 v2, s34, v2
	v_ashrrev_i32_e32 v3, 31, v2
	s_or_b64 s[30:31], s[4:5], s[8:9]
	v_lshl_add_u64 v[2:3], v[2:3], 1, s[18:19]
	s_xor_b64 s[36:37], s[30:31], -1
	v_mov_b32_e32 v7, 0
	v_mov_b32_e32 v8, 0
	s_and_saveexec_b64 s[30:31], s[36:37]
	s_cbranch_execz .LBB287_19
; %bb.18:
	s_waitcnt lgkmcnt(0)
	v_mad_i64_i32 v[14:15], s[36:37], v4, s35, 0
	v_lshl_add_u64 v[14:15], v[14:15], 1, v[2:3]
	flat_load_ushort v8, v[14:15]
	s_waitcnt vmcnt(0) lgkmcnt(0)
	v_mul_f16_e32 v8, s23, v8
.LBB287_19:
	s_or_b64 exec, exec, s[30:31]
	s_or_b64 s[4:5], s[4:5], s[6:7]
	s_xor_b64 s[30:31], s[4:5], -1
	s_and_saveexec_b64 s[4:5], s[30:31]
	s_cbranch_execz .LBB287_21
; %bb.20:
	s_waitcnt lgkmcnt(0)
	v_mad_i64_i32 v[14:15], s[30:31], v5, s35, 0
	v_lshl_add_u64 v[2:3], v[14:15], 1, v[2:3]
	flat_load_ushort v2, v[2:3]
	s_waitcnt vmcnt(0) lgkmcnt(0)
	v_mul_f16_e32 v7, s23, v2
.LBB287_21:
	s_or_b64 exec, exec, s[4:5]
	v_lshlrev_b32_e32 v2, 3, v9
	v_lshlrev_b32_e32 v3, 1, v39
	;; [unrolled: 1-line block ×3, first 2 shown]
	v_lshl_add_u32 v2, v38, 1, v2
	v_lshl_or_b32 v42, v12, 3, v3
	v_lshlrev_b32_e32 v40, 3, v37
	v_add_u32_e32 v43, 0x800, v41
	ds_write_b16 v2, v11 offset:2048
	ds_write_b16 v42, v10
	ds_write_b16 v42, v13 offset:512
	s_waitcnt lgkmcnt(0)
	s_barrier
	ds_read2_b64 v[10:13], v40 offset1:32
	ds_read2_b64 v[14:17], v43 offset0:48 offset1:56
	ds_read2_b64 v[18:21], v40 offset0:64 offset1:96
	ds_read2_b64 v[22:25], v43 offset1:8
	ds_read2_b64 v[26:29], v43 offset0:16 offset1:24
	ds_read2_b64 v[30:33], v43 offset0:32 offset1:40
	s_waitcnt lgkmcnt(5)
	v_pk_max_f16 v3, v10, v10
	s_waitcnt lgkmcnt(4)
	v_pk_max_f16 v9, v16, v16
	v_pk_max_f16 v12, v12, v12
	v_pk_min_f16 v10, v9, v3
	s_waitcnt lgkmcnt(3)
	v_pk_max_f16 v18, v18, v18
	s_waitcnt lgkmcnt(2)
	v_pk_max_f16 v22, v22, v22
	v_pk_max_f16 v20, v20, v20
	v_pk_max_f16 v24, v24, v24
	s_waitcnt lgkmcnt(1)
	v_pk_max_f16 v26, v26, v26
	v_pk_max_f16 v28, v28, v28
	;; [unrolled: 4-line block ×3, first 2 shown]
	v_pk_max_f16 v14, v14, v14
	v_pk_max_f16 v17, v17, v17
	v_pk_min_f16 v16, v9, v12
	v_pk_min_f16 v34, v22, v3
	;; [unrolled: 1-line block ×17, first 2 shown]
	v_pk_max_f16 v13, v13, v13
	v_pk_min_f16 v56, v30, v3
	v_pk_min_f16 v57, v30, v12
	;; [unrolled: 1-line block ×14, first 2 shown]
	v_pk_add_f16 v10, v10, 0
	v_pk_min_f16 v20, v17, v11
	v_pk_max_f16 v19, v19, v19
	v_pk_add_f16 v68, v10, v20
	v_pk_add_f16 v10, v16, 0
	v_pk_min_f16 v16, v17, v13
	v_pk_max_f16 v23, v23, v23
	v_pk_add_f16 v60, v10, v16
	;; [unrolled: 4-line block ×5, first 2 shown]
	v_pk_add_f16 v10, v44, 0
	v_pk_min_f16 v16, v23, v19
	v_pk_add_f16 v20, v49, 0
	v_pk_add_f16 v59, v10, v16
	;; [unrolled: 1-line block ×3, first 2 shown]
	v_pk_min_f16 v16, v23, v21
	v_pk_add_f16 v22, v50, 0
	v_pk_add_f16 v51, v10, v16
	;; [unrolled: 1-line block ×3, first 2 shown]
	v_pk_min_f16 v16, v25, v11
	v_pk_max_f16 v29, v29, v29
	v_pk_add_f16 v75, v10, v16
	v_pk_add_f16 v10, v46, 0
	v_pk_min_f16 v16, v25, v13
	v_pk_add_f16 v23, v26, 0
	v_pk_add_f16 v66, v10, v16
	v_pk_add_f16 v10, v47, 0
	v_pk_min_f16 v16, v25, v19
	v_pk_min_f16 v25, v25, v21
	v_pk_add_f16 v58, v10, v16
	v_pk_add_f16 v10, v24, 0
	;; [unrolled: 1-line block ×4, first 2 shown]
	v_pk_min_f16 v10, v27, v11
	v_pk_add_f16 v44, v57, 0
	v_pk_add_f16 v74, v16, v10
	v_pk_min_f16 v10, v27, v13
	v_pk_add_f16 v24, v53, 0
	v_pk_add_f16 v65, v20, v10
	;; [unrolled: 3-line block ×8, first 2 shown]
	v_pk_max_f16 v10, v31, v31
	v_pk_add_f16 v53, v63, 0
	v_pk_min_f16 v16, v10, v11
	v_pk_add_f16 v45, v61, 0
	v_pk_add_f16 v72, v35, v16
	v_pk_min_f16 v16, v10, v13
	v_pk_add_f16 v46, v62, 0
	v_pk_add_f16 v63, v44, v16
	v_pk_min_f16 v16, v10, v19
	v_pk_min_f16 v10, v10, v21
	v_pk_add_f16 v55, v45, v16
	v_pk_add_f16 v47, v30, v10
	v_pk_max_f16 v10, v33, v33
	v_pk_add_f16 v32, v32, 0
	v_pk_min_f16 v16, v10, v11
	v_pk_add_f16 v3, v3, 0
	v_pk_add_f16 v71, v46, v16
	v_pk_min_f16 v16, v10, v13
	v_pk_add_f16 v12, v12, 0
	v_pk_add_f16 v62, v53, v16
	v_pk_min_f16 v16, v10, v19
	v_pk_min_f16 v10, v10, v21
	v_pk_add_f16 v18, v18, 0
	v_pk_add_f16 v46, v32, v10
	v_pk_max_f16 v10, v15, v15
	v_pk_add_f16 v14, v14, 0
	v_pk_min_f16 v11, v10, v11
	v_pk_add_f16 v9, v9, 0
	v_pk_add_f16 v70, v3, v11
	v_pk_min_f16 v3, v10, v13
	s_mov_b32 s30, 0
	v_pk_add_f16 v61, v12, v3
	v_pk_min_f16 v3, v10, v19
	v_pk_add_f16 v54, v54, v16
	v_pk_add_f16 v53, v18, v3
	v_pk_min_f16 v3, v10, v21
	s_cmp_lt_i32 s22, 9
	v_pk_add_f16 v45, v14, v3
	v_pk_min_f16 v3, v17, v21
	ds_write_b16 v2, v6 offset:2560
	ds_write_b16 v42, v8 offset:1024
	;; [unrolled: 1-line block ×3, first 2 shown]
	v_pk_add_f16 v44, v9, v3
	s_waitcnt lgkmcnt(0)
	s_barrier
	s_cbranch_scc1 .LBB287_36
; %bb.22:
	v_lshl_add_u64 v[24:25], v[0:1], 1, s[26:27]
	v_mov_b32_e32 v0, 0xa00
	v_lshl_add_u32 v79, v36, 3, v0
	v_add_u32_e32 v0, v40, v36
	v_or_b32_e32 v69, 0x800, v2
	v_add_u32_e32 v77, 0xa00, v2
	v_lshrrev_b32_e32 v2, 6, v0
	v_add_u32_e32 v0, 12, v2
	v_mad_i64_i32 v[0:1], s[4:5], v0, s28, 0
	v_lshlrev_b64 v[30:31], 1, v[0:1]
	v_add_u32_e32 v0, 8, v2
	v_mad_i64_i32 v[0:1], s[4:5], v0, s28, 0
	v_add_u32_e32 v78, 0x400, v42
	s_add_i32 s31, s22, -8
	v_mad_i64_i32 v[26:27], s[4:5], v4, s35, 0
	v_mad_i64_i32 v[28:29], s[4:5], v5, s35, 0
	v_add_u32_e32 v80, 0x400, v40
	s_lshl_b64 s[26:27], s[28:29], 4
	v_lshlrev_b64 v[32:33], 1, v[0:1]
	s_branch .LBB287_24
.LBB287_23:                             ;   in Loop: Header=BB287_24 Depth=1
	s_or_b64 exec, exec, s[4:5]
	v_pk_add_f16 v20, v60, v20
	v_pk_add_f16 v12, v52, v12
	;; [unrolled: 1-line block ×19, first 2 shown]
	ds_read2_b64 v[6:9], v43 offset0:48 offset1:56
	ds_read2_b64 v[10:13], v40 offset1:32
	v_pk_add_f16 v2, v68, v2
	v_pk_add_f16 v22, v67, v22
	;; [unrolled: 1-line block ×5, first 2 shown]
	s_waitcnt lgkmcnt(1)
	v_pk_max_f16 v8, v8, v8
	s_waitcnt lgkmcnt(0)
	v_pk_max_f16 v10, v10, v10
	v_pk_add_f16 v16, v76, v16
	v_pk_add_f16 v60, v62, v97
	;; [unrolled: 1-line block ×9, first 2 shown]
	ds_read2_b64 v[0:3], v40 offset0:64 offset1:96
	v_pk_min_f16 v14, v8, v10
	v_pk_add_f16 v59, v63, v94
	v_pk_add_f16 v63, v16, v17
	;; [unrolled: 1-line block ×4, first 2 shown]
	ds_read2_b64 v[14:17], v43 offset1:8
	v_pk_max_f16 v12, v12, v12
	s_waitcnt lgkmcnt(1)
	v_pk_max_f16 v0, v0, v0
	v_pk_min_f16 v62, v8, v12
	v_pk_max_f16 v2, v2, v2
	v_pk_add_f16 v62, v20, v62
	v_pk_min_f16 v20, v8, v0
	s_waitcnt lgkmcnt(0)
	v_pk_max_f16 v14, v14, v14
	v_pk_add_f16 v67, v21, v20
	v_pk_min_f16 v20, v14, v10
	v_pk_max_f16 v16, v16, v16
	v_pk_add_f16 v63, v63, v20
	v_pk_min_f16 v20, v14, v12
	v_pk_add_f16 v50, v50, v87
	v_pk_add_f16 v22, v22, v20
	v_pk_min_f16 v20, v14, v0
	v_pk_min_f16 v14, v14, v2
	v_pk_add_f16 v23, v23, v20
	v_pk_min_f16 v20, v16, v10
	v_pk_add_f16 v14, v34, v14
	v_pk_add_f16 v34, v18, v20
	v_pk_min_f16 v18, v16, v12
	v_pk_add_f16 v50, v50, v107
	v_pk_add_f16 v70, v19, v18
	ds_read2_b64 v[18:21], v43 offset0:16 offset1:24
	v_pk_min_f16 v68, v16, v0
	v_pk_min_f16 v16, v16, v2
	v_pk_add_f16 v49, v49, v90
	v_pk_add_f16 v16, v50, v16
	s_waitcnt lgkmcnt(0)
	v_pk_max_f16 v18, v18, v18
	v_pk_add_f16 v52, v52, v108
	v_pk_min_f16 v50, v18, v10
	ds_read2_b64 v[84:87], v43 offset0:32 offset1:40
	v_pk_add_f16 v71, v51, v50
	v_pk_min_f16 v50, v18, v12
	v_pk_add_f16 v4, v72, v4
	v_pk_add_f16 v49, v49, v110
	v_pk_add_f16 v72, v52, v50
	v_pk_min_f16 v50, v18, v0
	v_pk_min_f16 v18, v18, v2
	v_pk_max_f16 v20, v20, v20
	v_pk_add_f16 v18, v49, v18
	v_pk_min_f16 v49, v20, v10
	v_pk_add_f16 v48, v48, v93
	v_pk_add_f16 v58, v58, v111
	v_pk_add_f16 v64, v64, v49
	v_pk_min_f16 v49, v20, v12
	v_pk_add_f16 v56, v56, v92
	v_pk_add_f16 v48, v48, v113
	;; [unrolled: 1-line block ×3, first 2 shown]
	v_pk_min_f16 v49, v20, v0
	v_pk_min_f16 v20, v20, v2
	v_pk_add_f16 v56, v56, v112
	v_pk_add_f16 v20, v48, v20
	s_waitcnt lgkmcnt(0)
	v_pk_max_f16 v48, v84, v84
	v_pk_add_f16 v4, v4, v114
	v_pk_add_f16 v56, v56, v49
	v_pk_min_f16 v49, v48, v10
	v_pk_add_f16 v47, v47, v96
	v_pk_add_f16 v59, v59, v115
	;; [unrolled: 1-line block ×3, first 2 shown]
	v_pk_min_f16 v49, v48, v12
	v_pk_add_f16 v55, v55, v95
	v_pk_add_f16 v47, v47, v117
	;; [unrolled: 1-line block ×3, first 2 shown]
	v_pk_min_f16 v49, v48, v0
	v_pk_min_f16 v48, v48, v2
	v_pk_add_f16 v55, v55, v116
	v_pk_add_f16 v47, v47, v48
	v_pk_max_f16 v48, v86, v86
	v_pk_add_f16 v55, v55, v49
	v_pk_min_f16 v49, v48, v10
	v_pk_add_f16 v60, v60, v118
	v_pk_add_f16 v86, v65, v49
	v_pk_min_f16 v49, v48, v12
	v_pk_max_f16 v6, v6, v6
	v_pk_add_f16 v57, v57, v89
	v_pk_add_f16 v89, v60, v49
	v_pk_min_f16 v49, v48, v0
	v_pk_min_f16 v48, v48, v2
	;; [unrolled: 1-line block ×7, first 2 shown]
	v_pk_max_f16 v8, v11, v11
	v_pk_add_f16 v2, v5, v2
	v_pk_max_f16 v5, v9, v9
	v_pk_add_f16 v35, v35, v68
	v_pk_min_f16 v9, v5, v8
	v_pk_max_f16 v1, v1, v1
	v_pk_add_f16 v68, v44, v9
	v_pk_max_f16 v9, v13, v13
	v_pk_max_f16 v3, v3, v3
	v_pk_min_f16 v11, v5, v9
	v_pk_add_f16 v57, v57, v109
	v_pk_add_f16 v60, v62, v11
	v_pk_min_f16 v11, v5, v1
	v_pk_add_f16 v10, v66, v10
	v_pk_add_f16 v52, v67, v11
	v_pk_max_f16 v11, v15, v15
	v_pk_add_f16 v57, v57, v50
	v_pk_min_f16 v13, v11, v8
	v_pk_add_f16 v54, v54, v98
	v_pk_add_f16 v76, v63, v13
	v_pk_min_f16 v13, v11, v9
	v_pk_add_f16 v54, v54, v119
	v_pk_add_f16 v67, v22, v13
	v_pk_min_f16 v13, v11, v1
	v_pk_min_f16 v11, v11, v3
	v_pk_add_f16 v59, v23, v13
	v_pk_add_f16 v51, v14, v11
	v_pk_max_f16 v11, v17, v17
	v_pk_add_f16 v54, v54, v49
	v_pk_min_f16 v13, v11, v8
	v_pk_add_f16 v46, v46, v99
	v_pk_add_f16 v75, v34, v13
	v_pk_min_f16 v13, v11, v9
	v_pk_add_f16 v46, v46, v120
	v_pk_add_f16 v66, v70, v13
	v_pk_min_f16 v13, v11, v1
	;; [unrolled: 12-line block ×4, first 2 shown]
	v_pk_min_f16 v11, v11, v3
	v_pk_add_f16 v56, v56, v13
	v_pk_add_f16 v48, v20, v11
	v_pk_max_f16 v11, v85, v85
	v_pk_add_f16 v6, v45, v6
	v_pk_min_f16 v13, v11, v8
	v_pk_add_f16 v12, v61, v12
	v_pk_add_f16 v72, v4, v13
	v_pk_min_f16 v4, v11, v9
	s_add_i32 s30, s30, 8
	v_pk_add_f16 v63, v84, v4
	v_pk_min_f16 v4, v11, v1
	s_cmp_ge_i32 s30, s31
	v_pk_add_f16 v55, v55, v4
	v_pk_min_f16 v4, v11, v3
	v_lshl_add_u64 v[24:25], v[24:25], 0, s[26:27]
	v_pk_add_f16 v47, v47, v4
	v_pk_max_f16 v4, v87, v87
	ds_write_b16 v77, v81
	ds_write_b16 v78, v83
	ds_write_b16 v78, v82 offset:512
	v_pk_min_f16 v11, v4, v8
	s_waitcnt lgkmcnt(0)
	v_pk_add_f16 v71, v86, v11
	v_pk_min_f16 v11, v4, v9
	s_barrier
	v_pk_add_f16 v62, v89, v11
	v_pk_min_f16 v11, v4, v1
	v_pk_min_f16 v4, v4, v3
	v_pk_add_f16 v54, v54, v11
	v_pk_add_f16 v46, v46, v4
	v_pk_max_f16 v4, v7, v7
	s_nop 0
	v_pk_min_f16 v1, v4, v1
	v_pk_min_f16 v7, v4, v8
	v_pk_add_f16 v53, v0, v1
	v_pk_min_f16 v0, v4, v3
	v_pk_add_f16 v70, v10, v7
	;; [unrolled: 2-line block ×4, first 2 shown]
	v_pk_add_f16 v44, v2, v0
	s_cbranch_scc1 .LBB287_36
.LBB287_24:                             ; =>This Inner Loop Header: Depth=1
	v_add_u32_e32 v34, s30, v38
	v_add_u32_e32 v0, 8, v34
	v_cmp_gt_i32_e64 s[4:5], s22, v0
	s_and_b64 s[4:5], vcc, s[4:5]
	s_and_b64 s[28:29], s[16:17], s[4:5]
	v_mov_b32_e32 v82, 0
	v_mov_b32_e32 v83, 0
	s_and_saveexec_b64 s[4:5], s[28:29]
	s_cbranch_execz .LBB287_26
; %bb.25:                               ;   in Loop: Header=BB287_24 Depth=1
	v_lshl_add_u64 v[0:1], v[24:25], 0, v[32:33]
	flat_load_ushort v0, v[0:1]
	s_waitcnt vmcnt(0) lgkmcnt(0)
	v_mul_f16_e32 v83, s23, v0
.LBB287_26:                             ;   in Loop: Header=BB287_24 Depth=1
	s_or_b64 exec, exec, s[4:5]
	v_add_u32_e32 v35, s30, v39
	v_add_u32_e32 v0, 8, v35
	v_cmp_le_i32_e64 s[4:5], s22, v0
	v_min_i32_e32 v0, s34, v0
	v_ashrrev_i32_e32 v1, 31, v0
	s_or_b64 s[28:29], s[8:9], s[4:5]
	v_lshl_add_u64 v[0:1], v[0:1], 1, s[18:19]
	s_xor_b64 s[36:37], s[28:29], -1
	s_and_saveexec_b64 s[28:29], s[36:37]
	s_cbranch_execz .LBB287_28
; %bb.27:                               ;   in Loop: Header=BB287_24 Depth=1
	v_lshl_add_u64 v[2:3], v[26:27], 1, v[0:1]
	flat_load_ushort v2, v[2:3]
	s_waitcnt vmcnt(0) lgkmcnt(0)
	v_mul_f16_e32 v82, s23, v2
.LBB287_28:                             ;   in Loop: Header=BB287_24 Depth=1
	s_or_b64 exec, exec, s[28:29]
	s_or_b64 s[4:5], s[6:7], s[4:5]
	s_xor_b64 s[28:29], s[4:5], -1
	v_mov_b32_e32 v81, 0
	v_mov_b32_e32 v84, 0
	s_and_saveexec_b64 s[4:5], s[28:29]
	s_cbranch_execz .LBB287_30
; %bb.29:                               ;   in Loop: Header=BB287_24 Depth=1
	v_lshl_add_u64 v[0:1], v[28:29], 1, v[0:1]
	flat_load_ushort v0, v[0:1]
	s_waitcnt vmcnt(0) lgkmcnt(0)
	v_mul_f16_e32 v84, s23, v0
.LBB287_30:                             ;   in Loop: Header=BB287_24 Depth=1
	s_or_b64 exec, exec, s[4:5]
	ds_read2_b64 v[0:3], v79 offset0:48 offset1:56
	ds_read2_b64 v[12:15], v80 offset0:64 offset1:96
	ds_read2_b64 v[20:23], v80 offset1:32
	ds_read2_b64 v[16:19], v79 offset1:8
	ds_read2_b64 v[8:11], v79 offset0:16 offset1:24
	ds_read2_b64 v[4:7], v79 offset0:32 offset1:40
	v_add_u32_e32 v34, 12, v34
	v_cmp_gt_i32_e64 s[4:5], s22, v34
	s_and_b64 s[4:5], vcc, s[4:5]
	s_and_b64 s[28:29], s[16:17], s[4:5]
	ds_write_b16 v69, v83
	ds_write_b16 v42, v82
	ds_write_b16 v42, v84 offset:512
	s_waitcnt lgkmcnt(0)
	s_barrier
	s_and_saveexec_b64 s[4:5], s[28:29]
	s_cbranch_execz .LBB287_32
; %bb.31:                               ;   in Loop: Header=BB287_24 Depth=1
	v_lshl_add_u64 v[82:83], v[24:25], 0, v[30:31]
	flat_load_ushort v34, v[82:83]
	s_waitcnt vmcnt(0) lgkmcnt(0)
	v_mul_f16_e32 v81, s23, v34
.LBB287_32:                             ;   in Loop: Header=BB287_24 Depth=1
	s_or_b64 exec, exec, s[4:5]
	v_add_u32_e32 v34, 12, v35
	v_cmp_le_i32_e64 s[4:5], s22, v34
	v_min_i32_e32 v34, s34, v34
	v_ashrrev_i32_e32 v35, 31, v34
	s_or_b64 s[28:29], s[8:9], s[4:5]
	v_lshl_add_u64 v[34:35], v[34:35], 1, s[18:19]
	s_xor_b64 s[36:37], s[28:29], -1
	v_mov_b32_e32 v82, 0
	v_mov_b32_e32 v83, 0
	s_and_saveexec_b64 s[28:29], s[36:37]
	s_cbranch_execz .LBB287_34
; %bb.33:                               ;   in Loop: Header=BB287_24 Depth=1
	v_lshl_add_u64 v[84:85], v[26:27], 1, v[34:35]
	flat_load_ushort v83, v[84:85]
	s_waitcnt vmcnt(0) lgkmcnt(0)
	v_mul_f16_e32 v83, s23, v83
.LBB287_34:                             ;   in Loop: Header=BB287_24 Depth=1
	s_or_b64 exec, exec, s[28:29]
	v_pk_max_f16 v103, v2, v2
	v_pk_max_f16 v100, v20, v20
	;; [unrolled: 1-line block ×17, first 2 shown]
	v_pk_min_f16 v2, v103, v100
	v_pk_min_f16 v20, v103, v101
	;; [unrolled: 1-line block ×26, first 2 shown]
	v_pk_max_f16 v124, v3, v3
	v_pk_max_f16 v105, v17, v17
	v_pk_max_f16 v107, v19, v19
	v_pk_max_f16 v110, v9, v9
	v_pk_max_f16 v113, v11, v11
	v_pk_min_f16 v114, v5, v121
	v_pk_min_f16 v115, v5, v122
	;; [unrolled: 1-line block ×4, first 2 shown]
	v_pk_max_f16 v5, v7, v7
	v_pk_max_f16 v1, v1, v1
	s_or_b64 s[4:5], s[6:7], s[4:5]
	v_pk_min_f16 v87, v87, v104
	v_pk_min_f16 v90, v90, v104
	;; [unrolled: 1-line block ×34, first 2 shown]
	s_xor_b64 s[28:29], s[4:5], -1
	s_and_saveexec_b64 s[4:5], s[28:29]
	s_cbranch_execz .LBB287_23
; %bb.35:                               ;   in Loop: Header=BB287_24 Depth=1
	v_lshl_add_u64 v[34:35], v[28:29], 1, v[34:35]
	flat_load_ushort v34, v[34:35]
	s_waitcnt vmcnt(0) lgkmcnt(0)
	v_mul_f16_e32 v82, s23, v34
	s_branch .LBB287_23
.LBB287_36:
	s_load_dwordx2 s[4:5], s[0:1], 0x70
	s_load_dword s29, s[0:1], 0x50
	s_load_dword s28, s[0:1], 0x68
	v_add_u32_e32 v8, 0x800, v41
	ds_read2_b64 v[0:3], v8 offset0:112 offset1:120
	ds_read2_b64 v[4:7], v40 offset0:192 offset1:224
	;; [unrolled: 1-line block ×6, first 2 shown]
	s_waitcnt lgkmcnt(0)
	s_mul_i32 s0, s3, s5
	s_mul_hi_u32 s1, s3, s4
	s_mul_i32 s5, s15, s4
	s_add_i32 s0, s1, s0
	s_add_i32 s1, s0, s5
	s_mul_i32 s0, s3, s4
	s_lshl_b64 s[0:1], s[0:1], 1
	s_add_u32 s22, s10, s0
	v_add_u32_e32 v69, s14, v37
	s_addc_u32 s23, s11, s1
	v_mad_i64_i32 v[26:27], s[0:1], v69, s29, 0
	v_add_u32_e32 v24, s2, v36
	v_lshl_add_u64 v[42:43], v[26:27], 1, s[24:25]
	v_mad_i64_i32 v[26:27], s[0:1], v69, s28, 0
	v_cmp_gt_i32_e64 s[18:19], s21, v69
	v_lshl_add_u64 v[40:41], v[26:27], 1, s[22:23]
	v_cmp_gt_i32_e64 s[2:3], s20, v24
	v_cndmask_b32_e64 v26, 0, 1, s[12:13]
	s_and_b64 s[6:7], s[2:3], s[18:19]
	v_ashrrev_i32_e32 v25, 31, v24
	v_cmp_ne_u32_e64 s[0:1], 1, v26
	s_and_saveexec_b64 s[4:5], s[6:7]
	s_cbranch_execz .LBB287_41
; %bb.37:
	s_and_b64 vcc, exec, s[0:1]
	s_cbranch_vccnz .LBB287_39
; %bb.38:
	v_lshl_add_u64 v[26:27], v[24:25], 1, v[42:43]
	flat_load_ushort v26, v[26:27]
	s_waitcnt vmcnt(0) lgkmcnt(0)
	v_mul_f16_e32 v26, s33, v26
	s_branch .LBB287_40
.LBB287_39:
	v_mov_b32_e32 v26, 0
.LBB287_40:
	v_pk_max_f16 v27, v20, v20
	v_pk_max_f16 v28, v16, v16
	v_pk_max_f16 v29, v17, v17
	v_pk_min_f16 v27, v28, v27
	v_pk_max_f16 v28, v21, v21
	v_pk_add_f16 v27, v76, v27
	v_pk_min_f16 v28, v29, v28
	s_nop 0
	v_pk_add_f16 v27, v27, v28
	s_nop 0
	v_add_f16_sdwa v27, v27, v27 dst_sel:DWORD dst_unused:UNUSED_PAD src0_sel:DWORD src1_sel:WORD_1
	v_add_f16_e32 v28, v27, v26
	v_lshl_add_u64 v[26:27], v[24:25], 1, v[40:41]
	global_store_short v[26:27], v28, off
.LBB287_41:
	s_or_b64 exec, exec, s[4:5]
	v_add_u32_e32 v26, 8, v24
	v_cmp_gt_i32_e64 s[4:5], s20, v26
	s_and_b64 s[8:9], s[4:5], s[18:19]
	v_ashrrev_i32_e32 v27, 31, v26
	s_and_saveexec_b64 s[6:7], s[8:9]
	s_cbranch_execz .LBB287_46
; %bb.42:
	s_and_b64 vcc, exec, s[0:1]
	s_cbranch_vccnz .LBB287_44
; %bb.43:
	v_lshl_add_u64 v[28:29], v[26:27], 1, v[42:43]
	flat_load_ushort v28, v[28:29]
	s_waitcnt vmcnt(0) lgkmcnt(0)
	v_mul_f16_e32 v28, s33, v28
	s_branch .LBB287_45
.LBB287_44:
	v_mov_b32_e32 v28, 0
.LBB287_45:
	v_pk_max_f16 v29, v20, v20
	v_pk_max_f16 v30, v18, v18
	v_pk_max_f16 v31, v19, v19
	v_pk_min_f16 v29, v30, v29
	v_pk_max_f16 v30, v21, v21
	v_pk_add_f16 v29, v75, v29
	v_pk_min_f16 v30, v31, v30
	s_nop 0
	v_pk_add_f16 v29, v29, v30
	s_nop 0
	v_add_f16_sdwa v29, v29, v29 dst_sel:DWORD dst_unused:UNUSED_PAD src0_sel:DWORD src1_sel:WORD_1
	v_add_f16_e32 v30, v29, v28
	v_lshl_add_u64 v[28:29], v[26:27], 1, v[40:41]
	global_store_short v[28:29], v30, off
.LBB287_46:
	s_or_b64 exec, exec, s[6:7]
	v_add_u32_e32 v28, 16, v24
	v_cmp_gt_i32_e64 s[6:7], s20, v28
	s_and_b64 s[10:11], s[6:7], s[18:19]
	v_ashrrev_i32_e32 v29, 31, v28
	;; [unrolled: 34-line block ×6, first 2 shown]
	s_and_saveexec_b64 s[16:17], s[26:27]
	s_cbranch_execz .LBB287_71
; %bb.67:
	s_and_b64 vcc, exec, s[0:1]
	s_cbranch_vccnz .LBB287_69
; %bb.68:
	v_lshl_add_u64 v[38:39], v[36:37], 1, v[42:43]
	flat_load_ushort v38, v[38:39]
	s_waitcnt vmcnt(0) lgkmcnt(0)
	v_mul_f16_e32 v38, s33, v38
	s_branch .LBB287_70
.LBB287_69:
	v_mov_b32_e32 v38, 0
.LBB287_70:
	v_pk_max_f16 v39, v20, v20
	v_pk_max_f16 v71, v0, v0
	s_nop 0
	v_pk_min_f16 v39, v71, v39
	v_pk_max_f16 v71, v1, v1
	v_pk_add_f16 v39, v70, v39
	v_pk_max_f16 v70, v21, v21
	s_nop 0
	v_pk_min_f16 v70, v71, v70
	s_nop 0
	v_pk_add_f16 v39, v39, v70
	s_nop 0
	v_add_f16_sdwa v39, v39, v39 dst_sel:DWORD dst_unused:UNUSED_PAD src0_sel:DWORD src1_sel:WORD_1
	v_add_f16_e32 v70, v39, v38
	v_lshl_add_u64 v[38:39], v[36:37], 1, v[40:41]
	global_store_short v[38:39], v70, off
.LBB287_71:
	s_or_b64 exec, exec, s[16:17]
	v_add_u32_e32 v38, 56, v24
	v_cmp_gt_i32_e64 s[16:17], s20, v38
	s_and_b64 s[26:27], s[16:17], s[18:19]
	v_ashrrev_i32_e32 v39, 31, v38
	s_and_saveexec_b64 s[18:19], s[26:27]
	s_cbranch_execz .LBB287_76
; %bb.72:
	s_and_b64 vcc, exec, s[0:1]
	s_cbranch_vccnz .LBB287_74
; %bb.73:
	v_lshl_add_u64 v[42:43], v[38:39], 1, v[42:43]
	flat_load_ushort v42, v[42:43]
	s_waitcnt vmcnt(0) lgkmcnt(0)
	v_mul_f16_e32 v42, s33, v42
	s_branch .LBB287_75
.LBB287_74:
	v_mov_b32_e32 v42, 0
.LBB287_75:
	v_pk_max_f16 v20, v20, v20
	v_pk_max_f16 v43, v2, v2
	;; [unrolled: 1-line block ×3, first 2 shown]
	v_pk_min_f16 v20, v43, v20
	v_pk_max_f16 v43, v3, v3
	v_pk_add_f16 v20, v68, v20
	v_pk_min_f16 v21, v43, v21
	s_nop 0
	v_pk_add_f16 v20, v20, v21
	s_nop 0
	v_add_f16_sdwa v20, v20, v20 dst_sel:DWORD dst_unused:UNUSED_PAD src0_sel:DWORD src1_sel:WORD_1
	v_add_f16_e32 v42, v20, v42
	v_lshl_add_u64 v[20:21], v[38:39], 1, v[40:41]
	global_store_short v[20:21], v42, off
.LBB287_76:
	s_or_b64 exec, exec, s[18:19]
	v_add_u32_e32 v42, 32, v69
	v_mad_i64_i32 v[20:21], s[26:27], v42, s29, 0
	v_cmp_gt_i32_e64 s[18:19], s21, v42
	v_lshl_add_u64 v[40:41], v[20:21], 1, s[24:25]
	v_mad_i64_i32 v[20:21], s[26:27], v42, s28, 0
	v_lshl_add_u64 v[20:21], v[20:21], 1, s[22:23]
	s_and_b64 s[30:31], s[2:3], s[18:19]
	s_and_saveexec_b64 s[26:27], s[30:31]
	s_cbranch_execnz .LBB287_84
; %bb.77:
	s_or_b64 exec, exec, s[26:27]
	s_and_b64 s[30:31], s[4:5], s[18:19]
	s_and_saveexec_b64 s[26:27], s[30:31]
	s_cbranch_execnz .LBB287_88
.LBB287_78:
	s_or_b64 exec, exec, s[26:27]
	s_and_b64 s[30:31], s[6:7], s[18:19]
	s_and_saveexec_b64 s[26:27], s[30:31]
	s_cbranch_execnz .LBB287_92
.LBB287_79:
	s_or_b64 exec, exec, s[26:27]
	s_and_b64 s[30:31], s[8:9], s[18:19]
	s_and_saveexec_b64 s[26:27], s[30:31]
	s_cbranch_execnz .LBB287_96
.LBB287_80:
	s_or_b64 exec, exec, s[26:27]
	s_and_b64 s[30:31], s[10:11], s[18:19]
	s_and_saveexec_b64 s[26:27], s[30:31]
	s_cbranch_execnz .LBB287_100
.LBB287_81:
	s_or_b64 exec, exec, s[26:27]
	s_and_b64 s[30:31], s[12:13], s[18:19]
	s_and_saveexec_b64 s[26:27], s[30:31]
	s_cbranch_execnz .LBB287_104
.LBB287_82:
	s_or_b64 exec, exec, s[26:27]
	s_and_b64 s[30:31], s[14:15], s[18:19]
	s_and_saveexec_b64 s[26:27], s[30:31]
	s_cbranch_execnz .LBB287_108
.LBB287_83:
	s_or_b64 exec, exec, s[26:27]
	s_and_b64 s[26:27], s[16:17], s[18:19]
	s_and_saveexec_b64 s[18:19], s[26:27]
	s_cbranch_execnz .LBB287_112
	s_branch .LBB287_116
.LBB287_84:
	s_and_b64 vcc, exec, s[0:1]
	s_cbranch_vccnz .LBB287_86
; %bb.85:
	v_lshl_add_u64 v[42:43], v[24:25], 1, v[40:41]
	flat_load_ushort v42, v[42:43]
	s_waitcnt vmcnt(0) lgkmcnt(0)
	v_mul_f16_e32 v42, s33, v42
	s_branch .LBB287_87
.LBB287_86:
	v_mov_b32_e32 v42, 0
.LBB287_87:
	v_pk_max_f16 v43, v22, v22
	v_pk_max_f16 v68, v16, v16
	s_nop 0
	v_pk_min_f16 v43, v68, v43
	v_pk_max_f16 v68, v17, v17
	v_pk_add_f16 v43, v67, v43
	v_pk_max_f16 v67, v23, v23
	s_nop 0
	v_pk_min_f16 v67, v68, v67
	s_nop 0
	v_pk_add_f16 v43, v43, v67
	s_nop 0
	v_add_f16_sdwa v43, v43, v43 dst_sel:DWORD dst_unused:UNUSED_PAD src0_sel:DWORD src1_sel:WORD_1
	v_add_f16_e32 v67, v43, v42
	v_lshl_add_u64 v[42:43], v[24:25], 1, v[20:21]
	global_store_short v[42:43], v67, off
	s_or_b64 exec, exec, s[26:27]
	s_and_b64 s[30:31], s[4:5], s[18:19]
	s_and_saveexec_b64 s[26:27], s[30:31]
	s_cbranch_execz .LBB287_78
.LBB287_88:
	s_and_b64 vcc, exec, s[0:1]
	s_cbranch_vccnz .LBB287_90
; %bb.89:
	v_lshl_add_u64 v[42:43], v[26:27], 1, v[40:41]
	flat_load_ushort v42, v[42:43]
	s_waitcnt vmcnt(0) lgkmcnt(0)
	v_mul_f16_e32 v42, s33, v42
	s_branch .LBB287_91
.LBB287_90:
	v_mov_b32_e32 v42, 0
.LBB287_91:
	v_pk_max_f16 v43, v22, v22
	v_pk_max_f16 v67, v18, v18
	s_nop 0
	v_pk_min_f16 v43, v67, v43
	v_pk_max_f16 v67, v19, v19
	v_pk_add_f16 v43, v66, v43
	v_pk_max_f16 v66, v23, v23
	s_nop 0
	v_pk_min_f16 v66, v67, v66
	s_nop 0
	v_pk_add_f16 v43, v43, v66
	s_nop 0
	v_add_f16_sdwa v43, v43, v43 dst_sel:DWORD dst_unused:UNUSED_PAD src0_sel:DWORD src1_sel:WORD_1
	v_add_f16_e32 v66, v43, v42
	v_lshl_add_u64 v[42:43], v[26:27], 1, v[20:21]
	global_store_short v[42:43], v66, off
	s_or_b64 exec, exec, s[26:27]
	s_and_b64 s[30:31], s[6:7], s[18:19]
	s_and_saveexec_b64 s[26:27], s[30:31]
	s_cbranch_execz .LBB287_79
.LBB287_92:
	s_and_b64 vcc, exec, s[0:1]
	s_cbranch_vccnz .LBB287_94
; %bb.93:
	v_lshl_add_u64 v[42:43], v[28:29], 1, v[40:41]
	flat_load_ushort v42, v[42:43]
	s_waitcnt vmcnt(0) lgkmcnt(0)
	v_mul_f16_e32 v42, s33, v42
	s_branch .LBB287_95
.LBB287_94:
	v_mov_b32_e32 v42, 0
.LBB287_95:
	v_pk_max_f16 v43, v22, v22
	v_pk_max_f16 v66, v12, v12
	s_nop 0
	v_pk_min_f16 v43, v66, v43
	v_pk_max_f16 v66, v13, v13
	v_pk_add_f16 v43, v65, v43
	v_pk_max_f16 v65, v23, v23
	s_nop 0
	v_pk_min_f16 v65, v66, v65
	s_nop 0
	v_pk_add_f16 v43, v43, v65
	s_nop 0
	v_add_f16_sdwa v43, v43, v43 dst_sel:DWORD dst_unused:UNUSED_PAD src0_sel:DWORD src1_sel:WORD_1
	v_add_f16_e32 v65, v43, v42
	v_lshl_add_u64 v[42:43], v[28:29], 1, v[20:21]
	global_store_short v[42:43], v65, off
	s_or_b64 exec, exec, s[26:27]
	s_and_b64 s[30:31], s[8:9], s[18:19]
	s_and_saveexec_b64 s[26:27], s[30:31]
	s_cbranch_execz .LBB287_80
.LBB287_96:
	s_and_b64 vcc, exec, s[0:1]
	s_cbranch_vccnz .LBB287_98
; %bb.97:
	v_lshl_add_u64 v[42:43], v[30:31], 1, v[40:41]
	flat_load_ushort v42, v[42:43]
	s_waitcnt vmcnt(0) lgkmcnt(0)
	v_mul_f16_e32 v42, s33, v42
	s_branch .LBB287_99
.LBB287_98:
	v_mov_b32_e32 v42, 0
.LBB287_99:
	v_pk_max_f16 v43, v22, v22
	v_pk_max_f16 v65, v14, v14
	s_nop 0
	v_pk_min_f16 v43, v65, v43
	v_pk_max_f16 v65, v15, v15
	v_pk_add_f16 v43, v64, v43
	v_pk_max_f16 v64, v23, v23
	s_nop 0
	v_pk_min_f16 v64, v65, v64
	s_nop 0
	v_pk_add_f16 v43, v43, v64
	s_nop 0
	v_add_f16_sdwa v43, v43, v43 dst_sel:DWORD dst_unused:UNUSED_PAD src0_sel:DWORD src1_sel:WORD_1
	v_add_f16_e32 v64, v43, v42
	v_lshl_add_u64 v[42:43], v[30:31], 1, v[20:21]
	global_store_short v[42:43], v64, off
	s_or_b64 exec, exec, s[26:27]
	s_and_b64 s[30:31], s[10:11], s[18:19]
	s_and_saveexec_b64 s[26:27], s[30:31]
	s_cbranch_execz .LBB287_81
.LBB287_100:
	s_and_b64 vcc, exec, s[0:1]
	s_cbranch_vccnz .LBB287_102
; %bb.101:
	v_lshl_add_u64 v[42:43], v[32:33], 1, v[40:41]
	flat_load_ushort v42, v[42:43]
	s_waitcnt vmcnt(0) lgkmcnt(0)
	v_mul_f16_e32 v42, s33, v42
	s_branch .LBB287_103
.LBB287_102:
	v_mov_b32_e32 v42, 0
.LBB287_103:
	v_pk_max_f16 v43, v22, v22
	v_pk_max_f16 v64, v8, v8
	s_nop 0
	v_pk_min_f16 v43, v64, v43
	v_pk_max_f16 v64, v9, v9
	v_pk_add_f16 v43, v63, v43
	v_pk_max_f16 v63, v23, v23
	s_nop 0
	v_pk_min_f16 v63, v64, v63
	s_nop 0
	v_pk_add_f16 v43, v43, v63
	s_nop 0
	v_add_f16_sdwa v43, v43, v43 dst_sel:DWORD dst_unused:UNUSED_PAD src0_sel:DWORD src1_sel:WORD_1
	v_add_f16_e32 v63, v43, v42
	v_lshl_add_u64 v[42:43], v[32:33], 1, v[20:21]
	global_store_short v[42:43], v63, off
	s_or_b64 exec, exec, s[26:27]
	s_and_b64 s[30:31], s[12:13], s[18:19]
	s_and_saveexec_b64 s[26:27], s[30:31]
	s_cbranch_execz .LBB287_82
.LBB287_104:
	s_and_b64 vcc, exec, s[0:1]
	s_cbranch_vccnz .LBB287_106
; %bb.105:
	v_lshl_add_u64 v[42:43], v[34:35], 1, v[40:41]
	flat_load_ushort v42, v[42:43]
	s_waitcnt vmcnt(0) lgkmcnt(0)
	v_mul_f16_e32 v42, s33, v42
	s_branch .LBB287_107
.LBB287_106:
	v_mov_b32_e32 v42, 0
.LBB287_107:
	v_pk_max_f16 v43, v22, v22
	v_pk_max_f16 v63, v10, v10
	s_nop 0
	v_pk_min_f16 v43, v63, v43
	v_pk_max_f16 v63, v11, v11
	v_pk_add_f16 v43, v62, v43
	v_pk_max_f16 v62, v23, v23
	s_nop 0
	v_pk_min_f16 v62, v63, v62
	s_nop 0
	v_pk_add_f16 v43, v43, v62
	s_nop 0
	v_add_f16_sdwa v43, v43, v43 dst_sel:DWORD dst_unused:UNUSED_PAD src0_sel:DWORD src1_sel:WORD_1
	v_add_f16_e32 v62, v43, v42
	v_lshl_add_u64 v[42:43], v[34:35], 1, v[20:21]
	global_store_short v[42:43], v62, off
	s_or_b64 exec, exec, s[26:27]
	s_and_b64 s[30:31], s[14:15], s[18:19]
	s_and_saveexec_b64 s[26:27], s[30:31]
	s_cbranch_execz .LBB287_83
.LBB287_108:
	s_and_b64 vcc, exec, s[0:1]
	s_cbranch_vccnz .LBB287_110
; %bb.109:
	v_lshl_add_u64 v[42:43], v[36:37], 1, v[40:41]
	flat_load_ushort v42, v[42:43]
	s_waitcnt vmcnt(0) lgkmcnt(0)
	v_mul_f16_e32 v42, s33, v42
	s_branch .LBB287_111
.LBB287_110:
	v_mov_b32_e32 v42, 0
.LBB287_111:
	v_pk_max_f16 v43, v22, v22
	v_pk_max_f16 v62, v0, v0
	s_nop 0
	v_pk_min_f16 v43, v62, v43
	v_pk_max_f16 v62, v1, v1
	v_pk_add_f16 v43, v61, v43
	v_pk_max_f16 v61, v23, v23
	s_nop 0
	v_pk_min_f16 v61, v62, v61
	s_nop 0
	v_pk_add_f16 v43, v43, v61
	s_nop 0
	v_add_f16_sdwa v43, v43, v43 dst_sel:DWORD dst_unused:UNUSED_PAD src0_sel:DWORD src1_sel:WORD_1
	v_add_f16_e32 v61, v43, v42
	v_lshl_add_u64 v[42:43], v[36:37], 1, v[20:21]
	global_store_short v[42:43], v61, off
	s_or_b64 exec, exec, s[26:27]
	s_and_b64 s[26:27], s[16:17], s[18:19]
	s_and_saveexec_b64 s[18:19], s[26:27]
	s_cbranch_execz .LBB287_116
.LBB287_112:
	s_and_b64 vcc, exec, s[0:1]
	s_cbranch_vccnz .LBB287_114
; %bb.113:
	v_lshl_add_u64 v[40:41], v[38:39], 1, v[40:41]
	flat_load_ushort v40, v[40:41]
	s_waitcnt vmcnt(0) lgkmcnt(0)
	v_mul_f16_e32 v40, s33, v40
	s_branch .LBB287_115
.LBB287_114:
	v_mov_b32_e32 v40, 0
.LBB287_115:
	v_pk_max_f16 v22, v22, v22
	v_pk_max_f16 v41, v2, v2
	;; [unrolled: 1-line block ×3, first 2 shown]
	v_pk_min_f16 v22, v41, v22
	v_pk_max_f16 v41, v3, v3
	v_pk_add_f16 v22, v60, v22
	v_pk_min_f16 v23, v41, v23
	v_lshl_add_u64 v[20:21], v[38:39], 1, v[20:21]
	v_pk_add_f16 v22, v22, v23
	s_nop 0
	v_add_f16_sdwa v22, v22, v22 dst_sel:DWORD dst_unused:UNUSED_PAD src0_sel:DWORD src1_sel:WORD_1
	v_add_f16_e32 v22, v22, v40
	global_store_short v[20:21], v22, off
.LBB287_116:
	s_or_b64 exec, exec, s[18:19]
	v_add_u32_e32 v40, 64, v69
	v_mad_i64_i32 v[20:21], s[26:27], v40, s29, 0
	v_cmp_gt_i32_e64 s[18:19], s21, v40
	v_lshl_add_u64 v[22:23], v[20:21], 1, s[24:25]
	v_mad_i64_i32 v[20:21], s[26:27], v40, s28, 0
	v_lshl_add_u64 v[20:21], v[20:21], 1, s[22:23]
	s_and_b64 s[30:31], s[2:3], s[18:19]
	s_and_saveexec_b64 s[26:27], s[30:31]
	s_cbranch_execnz .LBB287_124
; %bb.117:
	s_or_b64 exec, exec, s[26:27]
	s_and_b64 s[30:31], s[4:5], s[18:19]
	s_and_saveexec_b64 s[26:27], s[30:31]
	s_cbranch_execnz .LBB287_128
.LBB287_118:
	s_or_b64 exec, exec, s[26:27]
	s_and_b64 s[30:31], s[6:7], s[18:19]
	s_and_saveexec_b64 s[26:27], s[30:31]
	s_cbranch_execnz .LBB287_132
.LBB287_119:
	s_or_b64 exec, exec, s[26:27]
	s_and_b64 s[30:31], s[8:9], s[18:19]
	s_and_saveexec_b64 s[26:27], s[30:31]
	s_cbranch_execnz .LBB287_136
.LBB287_120:
	s_or_b64 exec, exec, s[26:27]
	s_and_b64 s[30:31], s[10:11], s[18:19]
	s_and_saveexec_b64 s[26:27], s[30:31]
	s_cbranch_execnz .LBB287_140
.LBB287_121:
	s_or_b64 exec, exec, s[26:27]
	s_and_b64 s[30:31], s[12:13], s[18:19]
	s_and_saveexec_b64 s[26:27], s[30:31]
	s_cbranch_execnz .LBB287_144
.LBB287_122:
	s_or_b64 exec, exec, s[26:27]
	s_and_b64 s[30:31], s[14:15], s[18:19]
	s_and_saveexec_b64 s[26:27], s[30:31]
	s_cbranch_execnz .LBB287_148
.LBB287_123:
	s_or_b64 exec, exec, s[26:27]
	s_and_b64 s[26:27], s[16:17], s[18:19]
	s_and_saveexec_b64 s[18:19], s[26:27]
	s_cbranch_execnz .LBB287_152
	s_branch .LBB287_156
.LBB287_124:
	s_and_b64 vcc, exec, s[0:1]
	s_cbranch_vccnz .LBB287_126
; %bb.125:
	v_lshl_add_u64 v[40:41], v[24:25], 1, v[22:23]
	flat_load_ushort v40, v[40:41]
	s_waitcnt vmcnt(0) lgkmcnt(0)
	v_mul_f16_e32 v40, s33, v40
	s_branch .LBB287_127
.LBB287_126:
	v_mov_b32_e32 v40, 0
.LBB287_127:
	v_pk_max_f16 v41, v4, v4
	v_pk_max_f16 v42, v16, v16
	;; [unrolled: 1-line block ×3, first 2 shown]
	v_pk_min_f16 v41, v42, v41
	v_pk_max_f16 v42, v5, v5
	v_pk_add_f16 v41, v59, v41
	v_pk_min_f16 v42, v43, v42
	s_nop 0
	v_pk_add_f16 v41, v41, v42
	s_nop 0
	v_add_f16_sdwa v41, v41, v41 dst_sel:DWORD dst_unused:UNUSED_PAD src0_sel:DWORD src1_sel:WORD_1
	v_add_f16_e32 v42, v41, v40
	v_lshl_add_u64 v[40:41], v[24:25], 1, v[20:21]
	global_store_short v[40:41], v42, off
	s_or_b64 exec, exec, s[26:27]
	s_and_b64 s[30:31], s[4:5], s[18:19]
	s_and_saveexec_b64 s[26:27], s[30:31]
	s_cbranch_execz .LBB287_118
.LBB287_128:
	s_and_b64 vcc, exec, s[0:1]
	s_cbranch_vccnz .LBB287_130
; %bb.129:
	v_lshl_add_u64 v[40:41], v[26:27], 1, v[22:23]
	flat_load_ushort v40, v[40:41]
	s_waitcnt vmcnt(0) lgkmcnt(0)
	v_mul_f16_e32 v40, s33, v40
	s_branch .LBB287_131
.LBB287_130:
	v_mov_b32_e32 v40, 0
.LBB287_131:
	v_pk_max_f16 v41, v4, v4
	v_pk_max_f16 v42, v18, v18
	;; [unrolled: 1-line block ×3, first 2 shown]
	v_pk_min_f16 v41, v42, v41
	v_pk_max_f16 v42, v5, v5
	v_pk_add_f16 v41, v58, v41
	v_pk_min_f16 v42, v43, v42
	s_nop 0
	v_pk_add_f16 v41, v41, v42
	s_nop 0
	v_add_f16_sdwa v41, v41, v41 dst_sel:DWORD dst_unused:UNUSED_PAD src0_sel:DWORD src1_sel:WORD_1
	v_add_f16_e32 v42, v41, v40
	v_lshl_add_u64 v[40:41], v[26:27], 1, v[20:21]
	global_store_short v[40:41], v42, off
	s_or_b64 exec, exec, s[26:27]
	s_and_b64 s[30:31], s[6:7], s[18:19]
	s_and_saveexec_b64 s[26:27], s[30:31]
	s_cbranch_execz .LBB287_119
.LBB287_132:
	s_and_b64 vcc, exec, s[0:1]
	s_cbranch_vccnz .LBB287_134
; %bb.133:
	v_lshl_add_u64 v[40:41], v[28:29], 1, v[22:23]
	flat_load_ushort v40, v[40:41]
	s_waitcnt vmcnt(0) lgkmcnt(0)
	v_mul_f16_e32 v40, s33, v40
	s_branch .LBB287_135
.LBB287_134:
	v_mov_b32_e32 v40, 0
.LBB287_135:
	v_pk_max_f16 v41, v4, v4
	v_pk_max_f16 v42, v12, v12
	v_pk_max_f16 v43, v13, v13
	v_pk_min_f16 v41, v42, v41
	v_pk_max_f16 v42, v5, v5
	v_pk_add_f16 v41, v57, v41
	v_pk_min_f16 v42, v43, v42
	s_nop 0
	v_pk_add_f16 v41, v41, v42
	s_nop 0
	v_add_f16_sdwa v41, v41, v41 dst_sel:DWORD dst_unused:UNUSED_PAD src0_sel:DWORD src1_sel:WORD_1
	v_add_f16_e32 v42, v41, v40
	v_lshl_add_u64 v[40:41], v[28:29], 1, v[20:21]
	global_store_short v[40:41], v42, off
	s_or_b64 exec, exec, s[26:27]
	s_and_b64 s[30:31], s[8:9], s[18:19]
	s_and_saveexec_b64 s[26:27], s[30:31]
	s_cbranch_execz .LBB287_120
.LBB287_136:
	s_and_b64 vcc, exec, s[0:1]
	s_cbranch_vccnz .LBB287_138
; %bb.137:
	v_lshl_add_u64 v[40:41], v[30:31], 1, v[22:23]
	flat_load_ushort v40, v[40:41]
	s_waitcnt vmcnt(0) lgkmcnt(0)
	v_mul_f16_e32 v40, s33, v40
	s_branch .LBB287_139
.LBB287_138:
	v_mov_b32_e32 v40, 0
.LBB287_139:
	v_pk_max_f16 v41, v4, v4
	v_pk_max_f16 v42, v14, v14
	;; [unrolled: 1-line block ×3, first 2 shown]
	v_pk_min_f16 v41, v42, v41
	v_pk_max_f16 v42, v5, v5
	v_pk_add_f16 v41, v56, v41
	v_pk_min_f16 v42, v43, v42
	s_nop 0
	v_pk_add_f16 v41, v41, v42
	s_nop 0
	v_add_f16_sdwa v41, v41, v41 dst_sel:DWORD dst_unused:UNUSED_PAD src0_sel:DWORD src1_sel:WORD_1
	v_add_f16_e32 v42, v41, v40
	v_lshl_add_u64 v[40:41], v[30:31], 1, v[20:21]
	global_store_short v[40:41], v42, off
	s_or_b64 exec, exec, s[26:27]
	s_and_b64 s[30:31], s[10:11], s[18:19]
	s_and_saveexec_b64 s[26:27], s[30:31]
	s_cbranch_execz .LBB287_121
.LBB287_140:
	s_and_b64 vcc, exec, s[0:1]
	s_cbranch_vccnz .LBB287_142
; %bb.141:
	v_lshl_add_u64 v[40:41], v[32:33], 1, v[22:23]
	flat_load_ushort v40, v[40:41]
	s_waitcnt vmcnt(0) lgkmcnt(0)
	v_mul_f16_e32 v40, s33, v40
	s_branch .LBB287_143
.LBB287_142:
	v_mov_b32_e32 v40, 0
.LBB287_143:
	v_pk_max_f16 v41, v4, v4
	v_pk_max_f16 v42, v8, v8
	;; [unrolled: 1-line block ×3, first 2 shown]
	v_pk_min_f16 v41, v42, v41
	v_pk_max_f16 v42, v5, v5
	v_pk_add_f16 v41, v55, v41
	v_pk_min_f16 v42, v43, v42
	s_nop 0
	v_pk_add_f16 v41, v41, v42
	s_nop 0
	v_add_f16_sdwa v41, v41, v41 dst_sel:DWORD dst_unused:UNUSED_PAD src0_sel:DWORD src1_sel:WORD_1
	v_add_f16_e32 v42, v41, v40
	v_lshl_add_u64 v[40:41], v[32:33], 1, v[20:21]
	global_store_short v[40:41], v42, off
	s_or_b64 exec, exec, s[26:27]
	s_and_b64 s[30:31], s[12:13], s[18:19]
	s_and_saveexec_b64 s[26:27], s[30:31]
	s_cbranch_execz .LBB287_122
.LBB287_144:
	s_and_b64 vcc, exec, s[0:1]
	s_cbranch_vccnz .LBB287_146
; %bb.145:
	v_lshl_add_u64 v[40:41], v[34:35], 1, v[22:23]
	flat_load_ushort v40, v[40:41]
	s_waitcnt vmcnt(0) lgkmcnt(0)
	v_mul_f16_e32 v40, s33, v40
	s_branch .LBB287_147
.LBB287_146:
	v_mov_b32_e32 v40, 0
.LBB287_147:
	v_pk_max_f16 v41, v4, v4
	v_pk_max_f16 v42, v10, v10
	v_pk_max_f16 v43, v11, v11
	v_pk_min_f16 v41, v42, v41
	v_pk_max_f16 v42, v5, v5
	v_pk_add_f16 v41, v54, v41
	v_pk_min_f16 v42, v43, v42
	s_nop 0
	v_pk_add_f16 v41, v41, v42
	s_nop 0
	v_add_f16_sdwa v41, v41, v41 dst_sel:DWORD dst_unused:UNUSED_PAD src0_sel:DWORD src1_sel:WORD_1
	v_add_f16_e32 v42, v41, v40
	v_lshl_add_u64 v[40:41], v[34:35], 1, v[20:21]
	global_store_short v[40:41], v42, off
	s_or_b64 exec, exec, s[26:27]
	s_and_b64 s[30:31], s[14:15], s[18:19]
	s_and_saveexec_b64 s[26:27], s[30:31]
	s_cbranch_execz .LBB287_123
.LBB287_148:
	s_and_b64 vcc, exec, s[0:1]
	s_cbranch_vccnz .LBB287_150
; %bb.149:
	v_lshl_add_u64 v[40:41], v[36:37], 1, v[22:23]
	flat_load_ushort v40, v[40:41]
	s_waitcnt vmcnt(0) lgkmcnt(0)
	v_mul_f16_e32 v40, s33, v40
	s_branch .LBB287_151
.LBB287_150:
	v_mov_b32_e32 v40, 0
.LBB287_151:
	v_pk_max_f16 v41, v4, v4
	v_pk_max_f16 v42, v0, v0
	;; [unrolled: 1-line block ×3, first 2 shown]
	v_pk_min_f16 v41, v42, v41
	v_pk_max_f16 v42, v5, v5
	v_pk_add_f16 v41, v53, v41
	v_pk_min_f16 v42, v43, v42
	s_nop 0
	v_pk_add_f16 v41, v41, v42
	s_nop 0
	v_add_f16_sdwa v41, v41, v41 dst_sel:DWORD dst_unused:UNUSED_PAD src0_sel:DWORD src1_sel:WORD_1
	v_add_f16_e32 v42, v41, v40
	v_lshl_add_u64 v[40:41], v[36:37], 1, v[20:21]
	global_store_short v[40:41], v42, off
	s_or_b64 exec, exec, s[26:27]
	s_and_b64 s[26:27], s[16:17], s[18:19]
	s_and_saveexec_b64 s[18:19], s[26:27]
	s_cbranch_execz .LBB287_156
.LBB287_152:
	s_and_b64 vcc, exec, s[0:1]
	s_cbranch_vccnz .LBB287_154
; %bb.153:
	v_lshl_add_u64 v[22:23], v[38:39], 1, v[22:23]
	flat_load_ushort v22, v[22:23]
	s_waitcnt vmcnt(0) lgkmcnt(0)
	v_mul_f16_e32 v22, s33, v22
	s_branch .LBB287_155
.LBB287_154:
	v_mov_b32_e32 v22, 0
.LBB287_155:
	v_pk_max_f16 v4, v4, v4
	v_pk_max_f16 v23, v2, v2
	;; [unrolled: 1-line block ×3, first 2 shown]
	v_pk_min_f16 v4, v23, v4
	v_pk_max_f16 v23, v3, v3
	v_pk_add_f16 v4, v52, v4
	v_pk_min_f16 v5, v23, v5
	s_nop 0
	v_pk_add_f16 v4, v4, v5
	s_nop 0
	v_add_f16_sdwa v4, v4, v4 dst_sel:DWORD dst_unused:UNUSED_PAD src0_sel:DWORD src1_sel:WORD_1
	v_add_f16_e32 v22, v4, v22
	v_lshl_add_u64 v[4:5], v[38:39], 1, v[20:21]
	global_store_short v[4:5], v22, off
.LBB287_156:
	s_or_b64 exec, exec, s[18:19]
	v_add_u32_e32 v22, 0x60, v69
	v_cmp_gt_i32_e64 s[18:19], s21, v22
	v_mad_i64_i32 v[4:5], s[20:21], v22, s29, 0
	v_lshl_add_u64 v[20:21], v[4:5], 1, s[24:25]
	v_mad_i64_i32 v[4:5], s[20:21], v22, s28, 0
	v_lshl_add_u64 v[4:5], v[4:5], 1, s[22:23]
	s_and_b64 s[20:21], s[2:3], s[18:19]
	s_and_saveexec_b64 s[2:3], s[20:21]
	s_cbranch_execnz .LBB287_165
; %bb.157:
	s_or_b64 exec, exec, s[2:3]
	s_and_b64 s[4:5], s[4:5], s[18:19]
	s_and_saveexec_b64 s[2:3], s[4:5]
	s_cbranch_execnz .LBB287_169
.LBB287_158:
	s_or_b64 exec, exec, s[2:3]
	s_and_b64 s[4:5], s[6:7], s[18:19]
	s_and_saveexec_b64 s[2:3], s[4:5]
	s_cbranch_execnz .LBB287_173
.LBB287_159:
	s_or_b64 exec, exec, s[2:3]
	s_and_b64 s[4:5], s[8:9], s[18:19]
	s_and_saveexec_b64 s[2:3], s[4:5]
	s_cbranch_execnz .LBB287_177
.LBB287_160:
	s_or_b64 exec, exec, s[2:3]
	s_and_b64 s[4:5], s[10:11], s[18:19]
	s_and_saveexec_b64 s[2:3], s[4:5]
	s_cbranch_execnz .LBB287_181
.LBB287_161:
	s_or_b64 exec, exec, s[2:3]
	s_and_b64 s[4:5], s[12:13], s[18:19]
	s_and_saveexec_b64 s[2:3], s[4:5]
	s_cbranch_execnz .LBB287_185
.LBB287_162:
	s_or_b64 exec, exec, s[2:3]
	s_and_b64 s[4:5], s[14:15], s[18:19]
	s_and_saveexec_b64 s[2:3], s[4:5]
	s_cbranch_execnz .LBB287_189
.LBB287_163:
	s_or_b64 exec, exec, s[2:3]
	s_and_b64 s[2:3], s[16:17], s[18:19]
	s_and_saveexec_b64 s[4:5], s[2:3]
	s_cbranch_execnz .LBB287_193
.LBB287_164:
	s_endpgm
.LBB287_165:
	s_and_b64 vcc, exec, s[0:1]
	s_cbranch_vccnz .LBB287_167
; %bb.166:
	v_lshl_add_u64 v[22:23], v[24:25], 1, v[20:21]
	flat_load_ushort v22, v[22:23]
	s_waitcnt vmcnt(0) lgkmcnt(0)
	v_mul_f16_e32 v22, s33, v22
	s_branch .LBB287_168
.LBB287_167:
	v_mov_b32_e32 v22, 0
.LBB287_168:
	v_pk_max_f16 v23, v6, v6
	v_pk_max_f16 v16, v16, v16
	;; [unrolled: 1-line block ×3, first 2 shown]
	v_pk_min_f16 v16, v16, v23
	v_pk_max_f16 v23, v7, v7
	v_pk_add_f16 v16, v51, v16
	v_pk_min_f16 v17, v17, v23
	s_nop 0
	v_pk_add_f16 v16, v16, v17
	s_nop 0
	v_add_f16_sdwa v16, v16, v16 dst_sel:DWORD dst_unused:UNUSED_PAD src0_sel:DWORD src1_sel:WORD_1
	v_add_f16_e32 v22, v16, v22
	v_lshl_add_u64 v[16:17], v[24:25], 1, v[4:5]
	global_store_short v[16:17], v22, off
	s_or_b64 exec, exec, s[2:3]
	s_and_b64 s[4:5], s[4:5], s[18:19]
	s_and_saveexec_b64 s[2:3], s[4:5]
	s_cbranch_execz .LBB287_158
.LBB287_169:
	s_and_b64 vcc, exec, s[0:1]
	s_cbranch_vccnz .LBB287_171
; %bb.170:
	v_lshl_add_u64 v[16:17], v[26:27], 1, v[20:21]
	flat_load_ushort v16, v[16:17]
	s_waitcnt vmcnt(0) lgkmcnt(0)
	v_mul_f16_e32 v16, s33, v16
	s_branch .LBB287_172
.LBB287_171:
	v_mov_b32_e32 v16, 0
.LBB287_172:
	v_pk_max_f16 v17, v6, v6
	v_pk_max_f16 v18, v18, v18
	v_pk_max_f16 v19, v19, v19
	v_pk_min_f16 v17, v18, v17
	v_pk_max_f16 v18, v7, v7
	v_pk_add_f16 v17, v50, v17
	v_pk_min_f16 v18, v19, v18
	s_nop 0
	v_pk_add_f16 v17, v17, v18
	s_nop 0
	v_add_f16_sdwa v17, v17, v17 dst_sel:DWORD dst_unused:UNUSED_PAD src0_sel:DWORD src1_sel:WORD_1
	v_add_f16_e32 v18, v17, v16
	v_lshl_add_u64 v[16:17], v[26:27], 1, v[4:5]
	global_store_short v[16:17], v18, off
	s_or_b64 exec, exec, s[2:3]
	s_and_b64 s[4:5], s[6:7], s[18:19]
	s_and_saveexec_b64 s[2:3], s[4:5]
	s_cbranch_execz .LBB287_159
.LBB287_173:
	s_and_b64 vcc, exec, s[0:1]
	s_cbranch_vccnz .LBB287_175
; %bb.174:
	v_lshl_add_u64 v[16:17], v[28:29], 1, v[20:21]
	flat_load_ushort v16, v[16:17]
	s_waitcnt vmcnt(0) lgkmcnt(0)
	v_mul_f16_e32 v16, s33, v16
	s_branch .LBB287_176
.LBB287_175:
	v_mov_b32_e32 v16, 0
.LBB287_176:
	v_pk_max_f16 v17, v6, v6
	v_pk_max_f16 v12, v12, v12
	;; [unrolled: 1-line block ×3, first 2 shown]
	v_pk_min_f16 v12, v12, v17
	v_pk_max_f16 v17, v7, v7
	v_pk_add_f16 v12, v49, v12
	v_pk_min_f16 v13, v13, v17
	s_nop 0
	v_pk_add_f16 v12, v12, v13
	s_nop 0
	v_add_f16_sdwa v12, v12, v12 dst_sel:DWORD dst_unused:UNUSED_PAD src0_sel:DWORD src1_sel:WORD_1
	v_add_f16_e32 v16, v12, v16
	v_lshl_add_u64 v[12:13], v[28:29], 1, v[4:5]
	global_store_short v[12:13], v16, off
	s_or_b64 exec, exec, s[2:3]
	s_and_b64 s[4:5], s[8:9], s[18:19]
	s_and_saveexec_b64 s[2:3], s[4:5]
	s_cbranch_execz .LBB287_160
.LBB287_177:
	s_and_b64 vcc, exec, s[0:1]
	s_cbranch_vccnz .LBB287_179
; %bb.178:
	v_lshl_add_u64 v[12:13], v[30:31], 1, v[20:21]
	flat_load_ushort v12, v[12:13]
	s_waitcnt vmcnt(0) lgkmcnt(0)
	v_mul_f16_e32 v12, s33, v12
	s_branch .LBB287_180
.LBB287_179:
	v_mov_b32_e32 v12, 0
.LBB287_180:
	v_pk_max_f16 v13, v6, v6
	v_pk_max_f16 v14, v14, v14
	;; [unrolled: 1-line block ×3, first 2 shown]
	v_pk_min_f16 v13, v14, v13
	v_pk_max_f16 v14, v7, v7
	v_pk_add_f16 v13, v48, v13
	v_pk_min_f16 v14, v15, v14
	s_nop 0
	v_pk_add_f16 v13, v13, v14
	s_nop 0
	v_add_f16_sdwa v13, v13, v13 dst_sel:DWORD dst_unused:UNUSED_PAD src0_sel:DWORD src1_sel:WORD_1
	v_add_f16_e32 v14, v13, v12
	v_lshl_add_u64 v[12:13], v[30:31], 1, v[4:5]
	global_store_short v[12:13], v14, off
	s_or_b64 exec, exec, s[2:3]
	s_and_b64 s[4:5], s[10:11], s[18:19]
	s_and_saveexec_b64 s[2:3], s[4:5]
	s_cbranch_execz .LBB287_161
.LBB287_181:
	s_and_b64 vcc, exec, s[0:1]
	s_cbranch_vccnz .LBB287_183
; %bb.182:
	v_lshl_add_u64 v[12:13], v[32:33], 1, v[20:21]
	flat_load_ushort v12, v[12:13]
	s_waitcnt vmcnt(0) lgkmcnt(0)
	v_mul_f16_e32 v12, s33, v12
	s_branch .LBB287_184
.LBB287_183:
	v_mov_b32_e32 v12, 0
.LBB287_184:
	v_pk_max_f16 v13, v6, v6
	v_pk_max_f16 v8, v8, v8
	;; [unrolled: 1-line block ×3, first 2 shown]
	v_pk_min_f16 v8, v8, v13
	v_pk_max_f16 v13, v7, v7
	v_pk_add_f16 v8, v47, v8
	v_pk_min_f16 v9, v9, v13
	s_nop 0
	v_pk_add_f16 v8, v8, v9
	s_nop 0
	v_add_f16_sdwa v8, v8, v8 dst_sel:DWORD dst_unused:UNUSED_PAD src0_sel:DWORD src1_sel:WORD_1
	v_add_f16_e32 v12, v8, v12
	v_lshl_add_u64 v[8:9], v[32:33], 1, v[4:5]
	global_store_short v[8:9], v12, off
	s_or_b64 exec, exec, s[2:3]
	s_and_b64 s[4:5], s[12:13], s[18:19]
	s_and_saveexec_b64 s[2:3], s[4:5]
	s_cbranch_execz .LBB287_162
.LBB287_185:
	s_and_b64 vcc, exec, s[0:1]
	s_cbranch_vccnz .LBB287_187
; %bb.186:
	v_lshl_add_u64 v[8:9], v[34:35], 1, v[20:21]
	flat_load_ushort v8, v[8:9]
	s_waitcnt vmcnt(0) lgkmcnt(0)
	v_mul_f16_e32 v8, s33, v8
	s_branch .LBB287_188
.LBB287_187:
	v_mov_b32_e32 v8, 0
.LBB287_188:
	v_pk_max_f16 v9, v6, v6
	v_pk_max_f16 v10, v10, v10
	;; [unrolled: 1-line block ×3, first 2 shown]
	v_pk_min_f16 v9, v10, v9
	v_pk_max_f16 v10, v7, v7
	v_pk_add_f16 v9, v46, v9
	v_pk_min_f16 v10, v11, v10
	s_nop 0
	v_pk_add_f16 v9, v9, v10
	s_nop 0
	v_add_f16_sdwa v9, v9, v9 dst_sel:DWORD dst_unused:UNUSED_PAD src0_sel:DWORD src1_sel:WORD_1
	v_add_f16_e32 v10, v9, v8
	v_lshl_add_u64 v[8:9], v[34:35], 1, v[4:5]
	global_store_short v[8:9], v10, off
	s_or_b64 exec, exec, s[2:3]
	s_and_b64 s[4:5], s[14:15], s[18:19]
	s_and_saveexec_b64 s[2:3], s[4:5]
	s_cbranch_execz .LBB287_163
.LBB287_189:
	s_and_b64 vcc, exec, s[0:1]
	s_cbranch_vccnz .LBB287_191
; %bb.190:
	v_lshl_add_u64 v[8:9], v[36:37], 1, v[20:21]
	flat_load_ushort v8, v[8:9]
	s_waitcnt vmcnt(0) lgkmcnt(0)
	v_mul_f16_e32 v8, s33, v8
	s_branch .LBB287_192
.LBB287_191:
	v_mov_b32_e32 v8, 0
.LBB287_192:
	v_pk_max_f16 v9, v6, v6
	v_pk_max_f16 v0, v0, v0
	;; [unrolled: 1-line block ×3, first 2 shown]
	v_pk_min_f16 v0, v0, v9
	v_pk_max_f16 v9, v7, v7
	v_pk_add_f16 v0, v45, v0
	v_pk_min_f16 v1, v1, v9
	s_nop 0
	v_pk_add_f16 v0, v0, v1
	s_nop 0
	v_add_f16_sdwa v0, v0, v0 dst_sel:DWORD dst_unused:UNUSED_PAD src0_sel:DWORD src1_sel:WORD_1
	v_add_f16_e32 v8, v0, v8
	v_lshl_add_u64 v[0:1], v[36:37], 1, v[4:5]
	global_store_short v[0:1], v8, off
	s_or_b64 exec, exec, s[2:3]
	s_and_b64 s[2:3], s[16:17], s[18:19]
	s_and_saveexec_b64 s[4:5], s[2:3]
	s_cbranch_execz .LBB287_164
.LBB287_193:
	s_and_b64 vcc, exec, s[0:1]
	s_cbranch_vccnz .LBB287_195
; %bb.194:
	v_lshl_add_u64 v[0:1], v[38:39], 1, v[20:21]
	flat_load_ushort v0, v[0:1]
	s_waitcnt vmcnt(0) lgkmcnt(0)
	v_mul_f16_e32 v0, s33, v0
	s_branch .LBB287_196
.LBB287_195:
	v_mov_b32_e32 v0, 0
.LBB287_196:
	v_pk_max_f16 v1, v6, v6
	v_pk_max_f16 v2, v2, v2
	v_pk_max_f16 v3, v3, v3
	v_pk_min_f16 v1, v2, v1
	v_pk_max_f16 v2, v7, v7
	v_pk_add_f16 v1, v44, v1
	v_pk_min_f16 v2, v3, v2
	s_nop 0
	v_pk_add_f16 v1, v1, v2
	s_nop 0
	v_add_f16_sdwa v1, v1, v1 dst_sel:DWORD dst_unused:UNUSED_PAD src0_sel:DWORD src1_sel:WORD_1
	v_add_f16_e32 v2, v1, v0
	v_lshl_add_u64 v[0:1], v[38:39], 1, v[4:5]
	global_store_short v[0:1], v2, off
	s_endpgm
	.section	.rodata,"a",@progbits
	.p2align	6, 0x0
	.amdhsa_kernel _ZN12_GLOBAL__N_120geam_min_plus_kernelIDF16_Dv2_DF16_S1_Li8ELi32ELi64ELi128ELi4ELi64ELi4ELi4ELi64ELc78ELc78ELb0ELb1ELb0EDF16_KDF16_DF16_EEviiiT16_PT17_ilS5_ilS3_S5_ilPT18_ili26rocblas_geam_ex_operation_
		.amdhsa_group_segment_fixed_size 3072
		.amdhsa_private_segment_fixed_size 0
		.amdhsa_kernarg_size 128
		.amdhsa_user_sgpr_count 2
		.amdhsa_user_sgpr_dispatch_ptr 0
		.amdhsa_user_sgpr_queue_ptr 0
		.amdhsa_user_sgpr_kernarg_segment_ptr 1
		.amdhsa_user_sgpr_dispatch_id 0
		.amdhsa_user_sgpr_kernarg_preload_length 0
		.amdhsa_user_sgpr_kernarg_preload_offset 0
		.amdhsa_user_sgpr_private_segment_size 0
		.amdhsa_uses_dynamic_stack 0
		.amdhsa_enable_private_segment 0
		.amdhsa_system_sgpr_workgroup_id_x 1
		.amdhsa_system_sgpr_workgroup_id_y 0
		.amdhsa_system_sgpr_workgroup_id_z 1
		.amdhsa_system_sgpr_workgroup_info 0
		.amdhsa_system_vgpr_workitem_id 1
		.amdhsa_next_free_vgpr 126
		.amdhsa_next_free_sgpr 38
		.amdhsa_accum_offset 128
		.amdhsa_reserve_vcc 1
		.amdhsa_float_round_mode_32 0
		.amdhsa_float_round_mode_16_64 0
		.amdhsa_float_denorm_mode_32 3
		.amdhsa_float_denorm_mode_16_64 3
		.amdhsa_dx10_clamp 1
		.amdhsa_ieee_mode 1
		.amdhsa_fp16_overflow 0
		.amdhsa_tg_split 0
		.amdhsa_exception_fp_ieee_invalid_op 0
		.amdhsa_exception_fp_denorm_src 0
		.amdhsa_exception_fp_ieee_div_zero 0
		.amdhsa_exception_fp_ieee_overflow 0
		.amdhsa_exception_fp_ieee_underflow 0
		.amdhsa_exception_fp_ieee_inexact 0
		.amdhsa_exception_int_div_zero 0
	.end_amdhsa_kernel
	.section	.text._ZN12_GLOBAL__N_120geam_min_plus_kernelIDF16_Dv2_DF16_S1_Li8ELi32ELi64ELi128ELi4ELi64ELi4ELi4ELi64ELc78ELc78ELb0ELb1ELb0EDF16_KDF16_DF16_EEviiiT16_PT17_ilS5_ilS3_S5_ilPT18_ili26rocblas_geam_ex_operation_,"axG",@progbits,_ZN12_GLOBAL__N_120geam_min_plus_kernelIDF16_Dv2_DF16_S1_Li8ELi32ELi64ELi128ELi4ELi64ELi4ELi4ELi64ELc78ELc78ELb0ELb1ELb0EDF16_KDF16_DF16_EEviiiT16_PT17_ilS5_ilS3_S5_ilPT18_ili26rocblas_geam_ex_operation_,comdat
.Lfunc_end287:
	.size	_ZN12_GLOBAL__N_120geam_min_plus_kernelIDF16_Dv2_DF16_S1_Li8ELi32ELi64ELi128ELi4ELi64ELi4ELi4ELi64ELc78ELc78ELb0ELb1ELb0EDF16_KDF16_DF16_EEviiiT16_PT17_ilS5_ilS3_S5_ilPT18_ili26rocblas_geam_ex_operation_, .Lfunc_end287-_ZN12_GLOBAL__N_120geam_min_plus_kernelIDF16_Dv2_DF16_S1_Li8ELi32ELi64ELi128ELi4ELi64ELi4ELi4ELi64ELc78ELc78ELb0ELb1ELb0EDF16_KDF16_DF16_EEviiiT16_PT17_ilS5_ilS3_S5_ilPT18_ili26rocblas_geam_ex_operation_
                                        ; -- End function
	.section	.AMDGPU.csdata,"",@progbits
; Kernel info:
; codeLenInByte = 11360
; NumSgprs: 44
; NumVgprs: 126
; NumAgprs: 0
; TotalNumVgprs: 126
; ScratchSize: 0
; MemoryBound: 0
; FloatMode: 240
; IeeeMode: 1
; LDSByteSize: 3072 bytes/workgroup (compile time only)
; SGPRBlocks: 5
; VGPRBlocks: 15
; NumSGPRsForWavesPerEU: 44
; NumVGPRsForWavesPerEU: 126
; AccumOffset: 128
; Occupancy: 4
; WaveLimiterHint : 0
; COMPUTE_PGM_RSRC2:SCRATCH_EN: 0
; COMPUTE_PGM_RSRC2:USER_SGPR: 2
; COMPUTE_PGM_RSRC2:TRAP_HANDLER: 0
; COMPUTE_PGM_RSRC2:TGID_X_EN: 1
; COMPUTE_PGM_RSRC2:TGID_Y_EN: 0
; COMPUTE_PGM_RSRC2:TGID_Z_EN: 1
; COMPUTE_PGM_RSRC2:TIDIG_COMP_CNT: 1
; COMPUTE_PGM_RSRC3_GFX90A:ACCUM_OFFSET: 31
; COMPUTE_PGM_RSRC3_GFX90A:TG_SPLIT: 0
	.section	.text._ZN12_GLOBAL__N_120geam_min_plus_kernelIDF16_Dv2_DF16_S1_Li8ELi32ELi64ELi128ELi4ELi4ELi64ELi4ELi64ELc84ELc78ELb0ELb0ELb0EPKDF16_S2_DF16_EEviiiT16_PT17_ilS6_ilS4_S6_ilPT18_ili26rocblas_geam_ex_operation_,"axG",@progbits,_ZN12_GLOBAL__N_120geam_min_plus_kernelIDF16_Dv2_DF16_S1_Li8ELi32ELi64ELi128ELi4ELi4ELi64ELi4ELi64ELc84ELc78ELb0ELb0ELb0EPKDF16_S2_DF16_EEviiiT16_PT17_ilS6_ilS4_S6_ilPT18_ili26rocblas_geam_ex_operation_,comdat
	.globl	_ZN12_GLOBAL__N_120geam_min_plus_kernelIDF16_Dv2_DF16_S1_Li8ELi32ELi64ELi128ELi4ELi4ELi64ELi4ELi64ELc84ELc78ELb0ELb0ELb0EPKDF16_S2_DF16_EEviiiT16_PT17_ilS6_ilS4_S6_ilPT18_ili26rocblas_geam_ex_operation_ ; -- Begin function _ZN12_GLOBAL__N_120geam_min_plus_kernelIDF16_Dv2_DF16_S1_Li8ELi32ELi64ELi128ELi4ELi4ELi64ELi4ELi64ELc84ELc78ELb0ELb0ELb0EPKDF16_S2_DF16_EEviiiT16_PT17_ilS6_ilS4_S6_ilPT18_ili26rocblas_geam_ex_operation_
	.p2align	8
	.type	_ZN12_GLOBAL__N_120geam_min_plus_kernelIDF16_Dv2_DF16_S1_Li8ELi32ELi64ELi128ELi4ELi4ELi64ELi4ELi64ELc84ELc78ELb0ELb0ELb0EPKDF16_S2_DF16_EEviiiT16_PT17_ilS6_ilS4_S6_ilPT18_ili26rocblas_geam_ex_operation_,@function
_ZN12_GLOBAL__N_120geam_min_plus_kernelIDF16_Dv2_DF16_S1_Li8ELi32ELi64ELi128ELi4ELi4ELi64ELi4ELi64ELc84ELc78ELb0ELb0ELb0EPKDF16_S2_DF16_EEviiiT16_PT17_ilS6_ilS4_S6_ilPT18_ili26rocblas_geam_ex_operation_: ; @_ZN12_GLOBAL__N_120geam_min_plus_kernelIDF16_Dv2_DF16_S1_Li8ELi32ELi64ELi128ELi4ELi4ELi64ELi4ELi64ELc84ELc78ELb0ELb0ELb0EPKDF16_S2_DF16_EEviiiT16_PT17_ilS6_ilS4_S6_ilPT18_ili26rocblas_geam_ex_operation_
; %bb.0:
	s_load_dwordx4 s[16:19], s[0:1], 0x10
	s_load_dwordx4 s[8:11], s[0:1], 0x28
	s_mov_b32 s20, s3
	s_mov_b32 s21, 0
	s_lshl_b64 s[4:5], s[20:21], 1
	s_waitcnt lgkmcnt(0)
	s_add_u32 s6, s16, s4
	s_addc_u32 s7, s17, s5
	v_mov_b32_e32 v1, 0
	global_load_ushort v48, v1, s[6:7]
	s_load_dwordx4 s[12:15], s[0:1], 0x40
	s_load_dwordx2 s[22:23], s[0:1], 0x50
	s_mov_b64 s[16:17], 0
	s_waitcnt lgkmcnt(0)
	s_add_u32 s4, s14, s4
	s_addc_u32 s5, s15, s5
	s_mov_b64 s[14:15], 0
	s_waitcnt vmcnt(0)
	v_cmp_eq_f16_e32 vcc, 0, v48
	v_cmp_neq_f16_e64 s[6:7], 0, v48
	s_cbranch_vccnz .LBB288_2
; %bb.1:
	s_mul_i32 s3, s20, s9
	s_mul_hi_u32 s9, s20, s8
	s_add_i32 s9, s9, s3
	s_mul_i32 s8, s20, s8
	s_lshl_b64 s[8:9], s[8:9], 1
	s_add_u32 s14, s18, s8
	s_addc_u32 s15, s19, s9
.LBB288_2:
	global_load_ushort v38, v1, s[4:5]
	v_cndmask_b32_e64 v1, 0, 1, s[6:7]
	v_cmp_ne_u32_e64 s[4:5], 1, v1
	s_andn2_b64 vcc, exec, s[6:7]
	s_cbranch_vccnz .LBB288_4
; %bb.3:
	s_mul_i32 s3, s20, s13
	s_mul_hi_u32 s6, s20, s12
	s_add_i32 s7, s6, s3
	s_mul_i32 s6, s20, s12
	s_lshl_b64 s[6:7], s[6:7], 1
	s_add_u32 s16, s10, s6
	s_addc_u32 s17, s11, s7
.LBB288_4:
	s_load_dwordx4 s[8:11], s[0:1], 0x60
	s_waitcnt vmcnt(0)
	v_cmp_eq_f16_e32 vcc, 0, v38
	s_and_b64 s[6:7], exec, vcc
	s_mov_b64 vcc, s[6:7]
	s_cbranch_vccnz .LBB288_6
; %bb.5:
	s_waitcnt lgkmcnt(0)
	s_mul_i32 s3, s20, s9
	s_mul_hi_u32 s9, s20, s8
	s_add_i32 s9, s9, s3
	s_mul_i32 s8, s20, s8
	s_lshl_b64 s[8:9], s[8:9], 1
	s_add_u32 s8, s22, s8
	s_addc_u32 s9, s23, s9
	s_branch .LBB288_7
.LBB288_6:
	s_waitcnt lgkmcnt(0)
	s_mov_b64 s[8:9], 0
.LBB288_7:
	s_load_dword s3, s[0:1], 0x0
	s_load_dword s13, s[0:1], 0x20
	v_and_b32_e32 v49, 0x3ff, v0
	v_bfe_u32 v50, v0, 10, 10
	v_lshl_add_u32 v0, v50, 3, v49
	s_waitcnt lgkmcnt(0)
	s_add_i32 s3, s3, -1
	s_ashr_i32 s12, s3, 31
	s_lshr_b32 s12, s12, 26
	s_add_i32 s3, s3, s12
	s_ashr_i32 s3, s3, 6
	s_add_i32 s12, s3, 1
	v_cvt_f32_u32_e32 v1, s12
	s_not_b32 s3, s3
	v_and_b32_e32 v2, 3, v49
	v_lshrrev_b32_e32 v6, 2, v0
	v_rcp_iflag_f32_e32 v1, v1
	v_lshlrev_b32_e32 v24, 1, v2
	v_mul_f32_e32 v1, 0x4f7ffffe, v1
	v_cvt_u32_f32_e32 v1, v1
	s_nop 0
	v_readfirstlane_b32 s18, v1
	s_mul_i32 s3, s3, s18
	s_mul_hi_u32 s3, s18, s3
	s_add_i32 s18, s18, s3
	s_mul_hi_u32 s3, s2, s18
	s_mul_i32 s18, s3, s12
	s_sub_i32 s18, s2, s18
	s_add_i32 s19, s3, 1
	s_sub_i32 s21, s18, s12
	s_cmp_ge_u32 s18, s12
	s_cselect_b32 s3, s19, s3
	s_cselect_b32 s18, s21, s18
	s_add_i32 s19, s3, 1
	s_cmp_ge_u32 s18, s12
	s_cselect_b32 s3, s19, s3
	s_mul_i32 s12, s3, s12
	s_sub_i32 s2, s2, s12
	s_lshl_b32 s2, s2, 6
	s_and_b64 vcc, exec, s[4:5]
	v_add_u32_e32 v0, s2, v6
	s_cbranch_vccnz .LBB288_9
; %bb.8:
	v_mad_i64_i32 v[2:3], s[18:19], v0, s13, 0
	v_lshl_add_u64 v[2:3], v[2:3], 1, s[14:15]
	v_mov_b32_e32 v25, 0
	v_lshl_add_u64 v[2:3], v[2:3], 0, v[24:25]
	flat_load_ushort v1, v[2:3]
	s_waitcnt vmcnt(0) lgkmcnt(0)
	v_mul_f16_e32 v7, v48, v1
	s_branch .LBB288_10
.LBB288_9:
	v_mov_b32_e32 v7, 0
.LBB288_10:
	s_load_dword s18, s[0:1], 0x38
	s_lshl_b32 s3, s3, 7
	v_add_u32_e32 v1, s3, v6
	s_and_b64 vcc, exec, s[4:5]
	v_add_u32_e32 v2, 64, v1
	s_cbranch_vccnz .LBB288_14
; %bb.11:
	v_mov_b32_e32 v25, 0
	v_lshl_add_u64 v[4:5], s[16:17], 0, v[24:25]
	s_waitcnt lgkmcnt(0)
	v_mad_i64_i32 v[8:9], s[22:23], v1, s18, 0
	v_lshl_add_u64 v[8:9], v[8:9], 1, v[4:5]
	v_mad_i64_i32 v[10:11], s[22:23], v2, s18, 0
	v_lshl_add_u64 v[4:5], v[10:11], 1, v[4:5]
	flat_load_ushort v3, v[8:9]
	flat_load_ushort v10, v[4:5]
	s_waitcnt vmcnt(0) lgkmcnt(0)
	v_mul_f16_e32 v8, v48, v3
	v_mul_f16_e32 v9, v48, v10
	s_and_b64 vcc, exec, s[4:5]
	s_cbranch_vccnz .LBB288_15
.LBB288_12:
	v_mad_i64_i32 v[4:5], s[22:23], v0, s13, 0
	v_lshl_add_u64 v[4:5], v[4:5], 1, s[14:15]
	v_mov_b32_e32 v25, 0
	v_lshl_add_u64 v[4:5], v[4:5], 0, v[24:25]
	flat_load_ushort v3, v[4:5] offset:8
	s_waitcnt vmcnt(0) lgkmcnt(0)
	v_mul_f16_e32 v3, v48, v3
	s_and_b64 vcc, exec, s[4:5]
	s_cbranch_vccnz .LBB288_16
.LBB288_13:
	v_mov_b32_e32 v25, 0
	v_lshl_add_u64 v[4:5], s[16:17], 0, v[24:25]
	s_waitcnt lgkmcnt(0)
	v_mad_i64_i32 v[10:11], s[22:23], v1, s18, 0
	v_lshl_add_u64 v[10:11], v[10:11], 1, v[4:5]
	v_mad_i64_i32 v[12:13], s[22:23], v2, s18, 0
	v_lshl_add_u64 v[4:5], v[12:13], 1, v[4:5]
	flat_load_ushort v12, v[10:11] offset:8
	flat_load_ushort v13, v[4:5] offset:8
	s_waitcnt vmcnt(0) lgkmcnt(0)
	v_mul_f16_e32 v4, v48, v12
	v_mul_f16_e32 v5, v48, v13
	s_branch .LBB288_17
.LBB288_14:
	v_mov_b32_e32 v8, 0
	v_mov_b32_e32 v9, 0
	s_and_b64 vcc, exec, s[4:5]
	s_cbranch_vccz .LBB288_12
.LBB288_15:
	v_mov_b32_e32 v3, 0
	s_and_b64 vcc, exec, s[4:5]
	s_cbranch_vccz .LBB288_13
.LBB288_16:
	v_mov_b32_e32 v4, 0
	v_mov_b32_e32 v5, 0
.LBB288_17:
	v_lshl_or_b32 v69, v6, 3, v24
	v_lshlrev_b32_e32 v59, 3, v49
	v_lshlrev_b32_e32 v60, 3, v50
	ds_write_b16 v69, v7 offset:2048
	ds_write_b16 v69, v8
	ds_write_b16 v69, v9 offset:512
	s_waitcnt lgkmcnt(0)
	s_barrier
	ds_read2_b64 v[6:9], v60 offset1:32
	v_add_u32_e32 v70, 0x800, v59
	ds_read2_b64 v[10:13], v70 offset0:48 offset1:56
	ds_read2_b64 v[14:17], v60 offset0:64 offset1:96
	ds_read2_b64 v[18:21], v70 offset1:8
	ds_read2_b64 v[26:29], v70 offset0:16 offset1:24
	ds_read2_b64 v[30:33], v70 offset0:32 offset1:40
	s_waitcnt lgkmcnt(5)
	v_pk_max_f16 v6, v6, v6
	s_waitcnt lgkmcnt(4)
	v_pk_max_f16 v12, v12, v12
	v_pk_max_f16 v8, v8, v8
	v_pk_min_f16 v22, v12, v6
	s_waitcnt lgkmcnt(3)
	v_pk_max_f16 v14, v14, v14
	s_waitcnt lgkmcnt(2)
	v_pk_max_f16 v18, v18, v18
	v_pk_max_f16 v16, v16, v16
	;; [unrolled: 1-line block ×3, first 2 shown]
	s_waitcnt lgkmcnt(1)
	v_pk_max_f16 v26, v26, v26
	v_pk_max_f16 v28, v28, v28
	s_waitcnt lgkmcnt(0)
	v_pk_max_f16 v30, v30, v30
	v_pk_max_f16 v7, v7, v7
	;; [unrolled: 1-line block ×5, first 2 shown]
	v_pk_min_f16 v23, v18, v6
	v_pk_min_f16 v25, v18, v8
	v_pk_min_f16 v34, v18, v14
	v_pk_min_f16 v18, v18, v16
	v_pk_min_f16 v35, v20, v6
	v_pk_min_f16 v36, v20, v8
	v_pk_min_f16 v37, v20, v14
	v_pk_min_f16 v20, v20, v16
	v_pk_min_f16 v39, v26, v6
	v_pk_min_f16 v40, v26, v8
	v_pk_min_f16 v41, v26, v14
	v_pk_min_f16 v26, v26, v16
	v_pk_min_f16 v43, v28, v6
	v_pk_min_f16 v44, v28, v8
	v_pk_min_f16 v46, v28, v14
	v_pk_min_f16 v28, v28, v16
	v_pk_min_f16 v51, v30, v6
	v_pk_max_f16 v9, v9, v9
	v_pk_min_f16 v53, v30, v8
	v_pk_min_f16 v55, v30, v14
	;; [unrolled: 1-line block ×14, first 2 shown]
	v_pk_add_f16 v16, v22, 0
	v_pk_min_f16 v22, v13, v7
	v_pk_max_f16 v15, v15, v15
	v_pk_add_f16 v68, v22, v16
	v_pk_add_f16 v16, v42, 0
	v_pk_min_f16 v22, v13, v9
	v_pk_max_f16 v19, v19, v19
	v_pk_add_f16 v58, v22, v16
	;; [unrolled: 4-line block ×5, first 2 shown]
	v_pk_add_f16 v16, v34, 0
	v_pk_min_f16 v22, v19, v15
	v_pk_add_f16 v25, v30, 0
	v_pk_add_f16 v56, v22, v16
	v_pk_add_f16 v16, v18, 0
	v_pk_min_f16 v18, v19, v17
	v_pk_add_f16 v30, v32, 0
	v_pk_add_f16 v45, v18, v16
	;; [unrolled: 1-line block ×3, first 2 shown]
	v_pk_min_f16 v18, v21, v7
	v_pk_min_f16 v32, v29, v7
	v_pk_add_f16 v75, v18, v16
	v_pk_add_f16 v16, v36, 0
	v_pk_min_f16 v18, v21, v9
	v_pk_add_f16 v22, v53, 0
	v_pk_add_f16 v64, v18, v16
	v_pk_add_f16 v16, v37, 0
	v_pk_min_f16 v18, v21, v15
	v_pk_add_f16 v23, v55, 0
	;; [unrolled: 4-line block ×3, first 2 shown]
	v_pk_add_f16 v42, v18, v16
	v_pk_max_f16 v18, v27, v27
	v_pk_add_f16 v16, v39, 0
	v_pk_min_f16 v19, v18, v7
	v_pk_add_f16 v21, v51, 0
	v_pk_add_f16 v74, v19, v16
	;; [unrolled: 1-line block ×3, first 2 shown]
	v_pk_min_f16 v19, v18, v9
	v_pk_max_f16 v11, v11, v11
	v_pk_add_f16 v62, v19, v16
	v_pk_add_f16 v16, v41, 0
	v_pk_min_f16 v19, v18, v15
	v_pk_min_f16 v18, v18, v17
	v_pk_add_f16 v52, v19, v16
	v_pk_add_f16 v16, v26, 0
	;; [unrolled: 1-line block ×7, first 2 shown]
	v_pk_min_f16 v16, v29, v9
	v_pk_add_f16 v26, v57, 0
	v_pk_add_f16 v67, v16, v18
	v_pk_min_f16 v16, v29, v15
	s_load_dword s12, s[0:1], 0x8
	v_pk_add_f16 v57, v16, v19
	v_pk_min_f16 v16, v29, v17
	v_pk_add_f16 v6, v6, 0
	v_pk_add_f16 v46, v16, v20
	v_pk_max_f16 v16, v31, v31
	v_pk_add_f16 v8, v8, 0
	v_pk_min_f16 v18, v16, v7
	v_pk_add_f16 v27, v61, 0
	v_pk_add_f16 v73, v18, v21
	v_pk_min_f16 v18, v16, v9
	v_pk_add_f16 v14, v14, 0
	v_pk_add_f16 v65, v18, v22
	v_pk_min_f16 v18, v16, v15
	v_pk_min_f16 v16, v16, v17
	v_pk_add_f16 v55, v18, v23
	v_pk_add_f16 v43, v16, v25
	v_pk_max_f16 v16, v33, v33
	v_pk_add_f16 v10, v10, 0
	v_pk_min_f16 v18, v16, v7
	v_pk_min_f16 v7, v11, v7
	v_pk_add_f16 v72, v18, v26
	v_pk_add_f16 v71, v7, v6
	v_pk_min_f16 v6, v11, v9
	v_pk_min_f16 v18, v16, v9
	v_pk_add_f16 v61, v6, v8
	v_pk_min_f16 v6, v11, v15
	v_pk_add_f16 v28, v63, 0
	v_pk_add_f16 v51, v6, v14
	v_pk_min_f16 v6, v11, v17
	v_pk_add_f16 v12, v12, 0
	v_pk_add_f16 v63, v18, v27
	v_pk_min_f16 v18, v16, v15
	v_pk_min_f16 v16, v16, v17
	v_pk_add_f16 v44, v6, v10
	v_pk_min_f16 v6, v13, v17
	v_pk_add_f16 v53, v18, v28
	v_pk_add_f16 v40, v16, v30
	;; [unrolled: 1-line block ×3, first 2 shown]
	s_waitcnt lgkmcnt(0)
	s_cmp_lt_i32 s12, 9
	ds_write_b16 v69, v3 offset:2560
	ds_write_b16 v69, v4 offset:1024
	ds_write_b16 v69, v5 offset:1536
	s_waitcnt lgkmcnt(0)
	s_barrier
	s_cbranch_scc1 .LBB288_31
; %bb.18:
	v_mad_i64_i32 v[4:5], s[22:23], v0, s13, 0
	v_mov_b32_e32 v0, 0xa00
	v_lshl_add_u32 v81, v49, 3, v0
	v_mov_b32_e32 v0, 0x400
	v_lshl_add_u64 v[26:27], v[4:5], 1, s[14:15]
	v_lshl_add_u32 v82, v50, 3, v0
	v_mad_i64_i32 v[2:3], s[14:15], s18, v2, 0
	v_mad_i64_i32 v[0:1], s[14:15], s18, v1, 0
	v_add_u32_e32 v78, 0x800, v69
	v_add_u32_e32 v79, 0xa00, v69
	;; [unrolled: 1-line block ×3, first 2 shown]
	s_add_i32 s12, s12, -8
	v_mov_b32_e32 v25, 0
	v_lshl_add_u64 v[28:29], v[2:3], 1, s[16:17]
	v_lshl_add_u64 v[30:31], v[0:1], 1, s[16:17]
	s_mov_b32 s13, 0
	s_branch .LBB288_21
.LBB288_19:                             ;   in Loop: Header=BB288_21 Depth=1
	flat_load_ushort v0, v[32:33] offset:24
	flat_load_ushort v1, v[34:35] offset:24
	s_waitcnt vmcnt(0) lgkmcnt(0)
	v_mul_f16_e32 v0, v48, v0
	v_mul_f16_e32 v1, v48, v1
.LBB288_20:                             ;   in Loop: Header=BB288_21 Depth=1
	v_pk_add_f16 v20, v20, v58
	v_pk_add_f16 v12, v12, v47
	;; [unrolled: 1-line block ×18, first 2 shown]
	ds_read2_b64 v[8:11], v70 offset0:48 offset1:56
	ds_read2_b64 v[12:15], v60 offset1:32
	v_pk_add_f16 v2, v2, v68
	v_pk_add_f16 v16, v16, v77
	;; [unrolled: 1-line block ×4, first 2 shown]
	s_waitcnt lgkmcnt(1)
	v_pk_max_f16 v10, v10, v10
	s_waitcnt lgkmcnt(0)
	v_pk_max_f16 v12, v12, v12
	v_pk_add_f16 v18, v18, v75
	v_pk_add_f16 v35, v85, v42
	;; [unrolled: 1-line block ×11, first 2 shown]
	ds_read2_b64 v[2:5], v60 offset0:64 offset1:96
	v_pk_min_f16 v16, v10, v12
	v_pk_add_f16 v37, v86, v62
	v_pk_add_f16 v62, v19, v18
	;; [unrolled: 1-line block ×4, first 2 shown]
	ds_read2_b64 v[16:19], v70 offset1:8
	v_pk_max_f16 v14, v14, v14
	s_waitcnt lgkmcnt(1)
	v_pk_max_f16 v2, v2, v2
	v_pk_min_f16 v58, v10, v14
	v_pk_add_f16 v45, v89, v67
	v_pk_add_f16 v58, v58, v20
	v_pk_min_f16 v20, v10, v2
	s_waitcnt lgkmcnt(0)
	v_pk_max_f16 v16, v16, v16
	v_pk_add_f16 v66, v20, v21
	v_pk_min_f16 v20, v16, v12
	v_pk_max_f16 v18, v18, v18
	v_pk_add_f16 v61, v20, v61
	v_pk_min_f16 v20, v16, v14
	v_pk_add_f16 v56, v98, v71
	v_pk_add_f16 v67, v20, v22
	v_pk_min_f16 v20, v16, v2
	v_pk_add_f16 v33, v104, v33
	;; [unrolled: 3-line block ×3, first 2 shown]
	v_pk_add_f16 v62, v20, v62
	v_pk_min_f16 v20, v18, v14
	v_pk_max_f16 v4, v4, v4
	v_pk_add_f16 v72, v20, v33
	ds_read2_b64 v[20:23], v70 offset0:16 offset1:24
	v_pk_min_f16 v16, v16, v4
	v_pk_add_f16 v34, v105, v34
	v_pk_add_f16 v16, v16, v32
	v_pk_min_f16 v32, v18, v2
	s_waitcnt lgkmcnt(0)
	v_pk_max_f16 v20, v20, v20
	v_pk_add_f16 v73, v32, v34
	v_pk_min_f16 v32, v20, v12
	v_pk_add_f16 v37, v107, v37
	v_pk_add_f16 v63, v32, v63
	v_pk_min_f16 v32, v20, v14
	v_pk_add_f16 v42, v108, v42
	v_pk_add_f16 v37, v32, v37
	v_pk_min_f16 v32, v20, v2
	v_pk_max_f16 v22, v22, v22
	v_pk_add_f16 v76, v32, v42
	v_pk_min_f16 v32, v22, v12
	v_pk_add_f16 v35, v106, v35
	v_pk_add_f16 v45, v110, v45
	v_pk_min_f16 v18, v18, v4
	v_pk_add_f16 v83, v32, v64
	v_pk_min_f16 v32, v22, v14
	v_pk_add_f16 v18, v18, v35
	v_pk_add_f16 v84, v32, v45
	ds_read2_b64 v[32:35], v70 offset0:32 offset1:40
	v_pk_add_f16 v41, v88, v41
	v_pk_min_f16 v20, v20, v4
	v_pk_add_f16 v41, v109, v41
	v_pk_add_f16 v47, v111, v47
	;; [unrolled: 1-line block ×3, first 2 shown]
	v_pk_min_f16 v41, v22, v2
	s_waitcnt lgkmcnt(0)
	v_pk_max_f16 v32, v32, v32
	v_pk_add_f16 v85, v41, v47
	v_pk_min_f16 v41, v32, v12
	v_pk_add_f16 v52, v114, v52
	v_pk_add_f16 v65, v41, v65
	v_pk_min_f16 v41, v32, v14
	v_pk_add_f16 v54, v115, v54
	v_pk_add_f16 v86, v41, v52
	v_pk_min_f16 v41, v32, v2
	v_pk_max_f16 v34, v34, v34
	v_pk_add_f16 v6, v117, v6
	v_pk_add_f16 v87, v41, v54
	v_pk_min_f16 v41, v34, v12
	v_pk_add_f16 v55, v118, v55
	v_pk_add_f16 v6, v41, v6
	v_pk_min_f16 v41, v34, v14
	v_pk_max_f16 v8, v8, v8
	v_pk_min_f16 v22, v22, v4
	v_pk_min_f16 v32, v32, v4
	v_pk_add_f16 v88, v41, v55
	v_pk_min_f16 v41, v34, v2
	v_pk_min_f16 v34, v34, v4
	;; [unrolled: 1-line block ×7, first 2 shown]
	v_pk_max_f16 v10, v13, v13
	v_pk_add_f16 v4, v4, v7
	v_pk_max_f16 v7, v11, v11
	v_pk_max_f16 v3, v3, v3
	v_pk_min_f16 v11, v7, v10
	v_pk_max_f16 v5, v5, v5
	v_pk_add_f16 v68, v11, v39
	v_pk_max_f16 v11, v15, v15
	v_pk_add_f16 v56, v121, v56
	v_pk_min_f16 v13, v7, v11
	v_pk_add_f16 v12, v12, v56
	v_pk_add_f16 v58, v13, v58
	v_pk_min_f16 v13, v7, v3
	v_pk_add_f16 v53, v96, v53
	v_pk_add_f16 v47, v13, v66
	v_pk_max_f16 v13, v17, v17
	v_pk_add_f16 v53, v119, v53
	v_pk_min_f16 v15, v13, v10
	v_pk_add_f16 v53, v41, v53
	v_pk_add_f16 v77, v15, v61
	v_pk_min_f16 v15, v13, v11
	v_pk_add_f16 v46, v91, v46
	v_pk_add_f16 v66, v15, v67
	v_pk_min_f16 v15, v13, v3
	v_pk_min_f16 v13, v13, v5
	v_pk_add_f16 v56, v15, v71
	v_pk_add_f16 v45, v13, v16
	v_pk_max_f16 v13, v19, v19
	v_pk_add_f16 v46, v112, v46
	v_pk_min_f16 v15, v13, v10
	v_pk_add_f16 v22, v22, v46
	v_pk_add_f16 v75, v15, v62
	v_pk_min_f16 v15, v13, v11
	v_pk_add_f16 v57, v122, v57
	v_pk_add_f16 v64, v15, v72
	v_pk_min_f16 v15, v13, v3
	;; [unrolled: 12-line block ×5, first 2 shown]
	v_pk_min_f16 v13, v13, v5
	v_pk_add_f16 v55, v15, v87
	v_pk_add_f16 v43, v13, v32
	v_pk_max_f16 v13, v35, v35
	v_pk_add_f16 v2, v2, v51
	v_pk_min_f16 v15, v13, v10
	v_pk_add_f16 v8, v8, v44
	v_pk_add_f16 v72, v15, v6
	v_pk_min_f16 v6, v13, v11
	s_add_i32 s13, s13, 8
	v_pk_add_f16 v63, v6, v88
	v_pk_min_f16 v6, v13, v3
	v_lshl_add_u64 v[28:29], v[28:29], 0, 16
	v_pk_add_f16 v53, v6, v53
	v_pk_min_f16 v6, v13, v5
	v_lshl_add_u64 v[30:31], v[30:31], 0, 16
	v_pk_add_f16 v40, v6, v34
	v_pk_max_f16 v6, v9, v9
	s_cmp_ge_i32 s13, s12
	v_pk_min_f16 v3, v6, v3
	v_pk_min_f16 v9, v6, v10
	v_pk_add_f16 v51, v3, v2
	v_pk_min_f16 v2, v6, v5
	v_pk_add_f16 v71, v9, v12
	;; [unrolled: 2-line block ×4, first 2 shown]
	v_pk_add_f16 v39, v2, v4
	v_lshl_add_u64 v[26:27], v[26:27], 0, 16
	ds_write_b16 v79, v36
	ds_write_b16 v80, v0
	ds_write_b16 v80, v1 offset:512
	s_waitcnt lgkmcnt(0)
	s_barrier
	s_cbranch_scc1 .LBB288_31
.LBB288_21:                             ; =>This Inner Loop Header: Depth=1
	s_and_b64 vcc, exec, s[4:5]
	v_lshl_add_u64 v[36:37], v[26:27], 0, v[24:25]
	v_mov_b32_e32 v83, 0
	s_cbranch_vccnz .LBB288_23
; %bb.22:                               ;   in Loop: Header=BB288_21 Depth=1
	flat_load_ushort v0, v[36:37] offset:16
	s_waitcnt vmcnt(0) lgkmcnt(0)
	v_mul_f16_e32 v83, v48, v0
.LBB288_23:                             ;   in Loop: Header=BB288_21 Depth=1
	s_and_b64 vcc, exec, s[4:5]
	v_lshl_add_u64 v[32:33], v[30:31], 0, v[24:25]
	v_lshl_add_u64 v[34:35], v[28:29], 0, v[24:25]
	s_cbranch_vccnz .LBB288_25
; %bb.24:                               ;   in Loop: Header=BB288_21 Depth=1
	flat_load_ushort v0, v[32:33] offset:16
	flat_load_ushort v1, v[34:35] offset:16
	s_waitcnt vmcnt(0) lgkmcnt(0)
	v_mul_f16_e32 v84, v48, v0
	v_mul_f16_e32 v85, v48, v1
	s_branch .LBB288_26
.LBB288_25:                             ;   in Loop: Header=BB288_21 Depth=1
	v_mov_b32_e32 v84, 0
	v_mov_b32_e32 v85, 0
.LBB288_26:                             ;   in Loop: Header=BB288_21 Depth=1
	ds_read2_b64 v[0:3], v81 offset0:48 offset1:56
	ds_read2_b64 v[12:15], v82 offset0:64 offset1:96
	ds_read2_b64 v[20:23], v82 offset1:32
	ds_read2_b64 v[16:19], v81 offset1:8
	ds_read2_b64 v[8:11], v81 offset0:16 offset1:24
	ds_read2_b64 v[4:7], v81 offset0:32 offset1:40
	s_and_b64 vcc, exec, s[4:5]
	ds_write_b16 v78, v83
	ds_write_b16 v69, v84
	ds_write_b16 v69, v85 offset:512
	s_waitcnt lgkmcnt(0)
	s_barrier
	s_cbranch_vccnz .LBB288_28
; %bb.27:                               ;   in Loop: Header=BB288_21 Depth=1
	flat_load_ushort v36, v[36:37] offset:24
	s_waitcnt vmcnt(0) lgkmcnt(0)
	v_mul_f16_e32 v36, v48, v36
	s_branch .LBB288_29
.LBB288_28:                             ;   in Loop: Header=BB288_21 Depth=1
	v_mov_b32_e32 v36, 0
.LBB288_29:                             ;   in Loop: Header=BB288_21 Depth=1
	v_pk_max_f16 v102, v2, v2
	v_pk_max_f16 v98, v20, v20
	;; [unrolled: 1-line block ×17, first 2 shown]
	v_pk_min_f16 v2, v102, v98
	v_pk_min_f16 v20, v102, v99
	;; [unrolled: 1-line block ×26, first 2 shown]
	v_pk_max_f16 v0, v3, v3
	v_pk_max_f16 v104, v17, v17
	;; [unrolled: 1-line block ×5, first 2 shown]
	v_pk_min_f16 v113, v5, v121
	v_pk_min_f16 v114, v5, v122
	v_pk_min_f16 v115, v5, v123
	v_pk_min_f16 v116, v5, v124
	v_pk_max_f16 v5, v7, v7
	v_pk_max_f16 v1, v1, v1
	v_pk_min_f16 v85, v85, v103
	v_pk_min_f16 v88, v88, v103
	;; [unrolled: 1-line block ×33, first 2 shown]
	s_and_b64 vcc, exec, s[4:5]
	v_pk_min_f16 v7, v0, v124
	s_cbranch_vccz .LBB288_19
; %bb.30:                               ;   in Loop: Header=BB288_21 Depth=1
	v_mov_b32_e32 v0, 0
	v_mov_b32_e32 v1, 0
	s_branch .LBB288_20
.LBB288_31:
	s_load_dword s12, s[0:1], 0x58
	ds_read_b64 v[20:21], v60 offset:1024
	ds_read_b64 v[26:27], v59 offset:2560
	v_add_u32_e32 v28, s3, v50
	v_cmp_neq_f16_e64 s[4:5], 0, v38
	v_add_u32_e32 v16, s2, v49
	s_waitcnt lgkmcnt(0)
	v_mad_i64_i32 v[0:1], s[2:3], v28, s12, 0
	v_ashrrev_i32_e32 v17, 31, v16
	v_lshl_add_u64 v[22:23], v[0:1], 1, s[8:9]
	s_and_b64 vcc, exec, s[4:5]
	v_mov_b32_e32 v33, 0
	v_mov_b32_e32 v31, 0
	s_cbranch_vccz .LBB288_33
; %bb.32:
	v_lshl_add_u64 v[0:1], v[16:17], 1, v[22:23]
	flat_load_ushort v0, v[0:1]
	s_waitcnt vmcnt(0) lgkmcnt(0)
	v_mul_f16_e32 v31, v38, v0
.LBB288_33:
	ds_read_b64 v[24:25], v59 offset:3008
	ds_read_b64 v[18:19], v60 offset:1792
	ds_read2_b64 v[0:3], v60 offset0:160 offset1:192
	s_load_dword s13, s[0:1], 0x70
	s_load_dwordx2 s[2:3], s[0:1], 0x78
	v_add_u32_e32 v4, 0x800, v59
	v_pk_max_f16 v69, v20, v20
	v_pk_max_f16 v29, v26, v26
	ds_read2_b64 v[12:15], v4 offset0:72 offset1:80
	ds_read2_b64 v[8:11], v4 offset0:88 offset1:96
	;; [unrolled: 1-line block ×3, first 2 shown]
	s_waitcnt lgkmcnt(0)
	s_mul_i32 s0, s20, s3
	s_mul_hi_u32 s1, s20, s2
	s_add_i32 s1, s1, s0
	s_mul_i32 s0, s20, s2
	v_pk_min_f16 v20, v29, v69
	v_pk_max_f16 v70, v21, v21
	v_pk_max_f16 v30, v27, v27
	s_lshl_b64 s[0:1], s[0:1], 1
	v_pk_add_f16 v20, v20, v77
	v_pk_min_f16 v21, v30, v70
	s_add_u32 s2, s10, s0
	v_pk_add_f16 v32, v21, v20
	s_addc_u32 s3, s11, s1
	v_mad_i64_i32 v[26:27], s[0:1], v28, s13, 0
	v_add_f16_sdwa v32, v32, v32 dst_sel:DWORD dst_unused:UNUSED_PAD src0_sel:DWORD src1_sel:WORD_1
	v_add_u32_e32 v20, 8, v16
	v_lshl_add_u64 v[26:27], v[26:27], 1, s[2:3]
	v_add_f16_e32 v31, v32, v31
	v_cndmask_b32_e64 v32, 0, 1, s[4:5]
	v_ashrrev_i32_e32 v21, 31, v20
	v_lshl_add_u64 v[34:35], v[16:17], 1, v[26:27]
	v_cmp_ne_u32_e64 s[0:1], 1, v32
	s_andn2_b64 vcc, exec, s[4:5]
	global_store_short v[34:35], v31, off
	s_cbranch_vccnz .LBB288_35
; %bb.34:
	v_lshl_add_u64 v[32:33], v[20:21], 1, v[22:23]
	flat_load_ushort v31, v[32:33]
	s_waitcnt vmcnt(0) lgkmcnt(0)
	v_mul_f16_e32 v33, v38, v31
.LBB288_35:
	v_pk_max_f16 v31, v12, v12
	v_pk_max_f16 v32, v13, v13
	v_pk_min_f16 v12, v31, v69
	v_pk_min_f16 v13, v32, v70
	v_pk_add_f16 v12, v12, v75
	s_and_b64 vcc, exec, s[0:1]
	v_pk_add_f16 v12, v13, v12
	v_mov_b32_e32 v37, 0
	v_add_f16_sdwa v34, v12, v12 dst_sel:DWORD dst_unused:UNUSED_PAD src0_sel:DWORD src1_sel:WORD_1
	v_add_u32_e32 v12, 16, v16
	v_add_f16_e32 v33, v34, v33
	v_lshl_add_u64 v[34:35], v[20:21], 1, v[26:27]
	v_ashrrev_i32_e32 v13, 31, v12
	global_store_short v[34:35], v33, off
	v_mov_b32_e32 v35, 0
	s_cbranch_vccnz .LBB288_37
; %bb.36:
	v_lshl_add_u64 v[34:35], v[12:13], 1, v[22:23]
	flat_load_ushort v33, v[34:35]
	s_waitcnt vmcnt(0) lgkmcnt(0)
	v_mul_f16_e32 v35, v38, v33
.LBB288_37:
	v_pk_max_f16 v33, v14, v14
	v_pk_max_f16 v34, v15, v15
	v_pk_min_f16 v14, v33, v69
	v_pk_min_f16 v15, v34, v70
	v_pk_add_f16 v14, v14, v74
	v_lshl_add_u64 v[48:49], v[12:13], 1, v[26:27]
	v_pk_add_f16 v14, v15, v14
	s_and_b64 vcc, exec, s[0:1]
	v_add_f16_sdwa v36, v14, v14 dst_sel:DWORD dst_unused:UNUSED_PAD src0_sel:DWORD src1_sel:WORD_1
	v_add_u32_e32 v14, 24, v16
	v_ashrrev_i32_e32 v15, 31, v14
	v_add_f16_e32 v35, v36, v35
	global_store_short v[48:49], v35, off
	s_cbranch_vccnz .LBB288_39
; %bb.38:
	v_lshl_add_u64 v[36:37], v[14:15], 1, v[22:23]
	flat_load_ushort v35, v[36:37]
	s_waitcnt vmcnt(0) lgkmcnt(0)
	v_mul_f16_e32 v37, v38, v35
.LBB288_39:
	v_pk_max_f16 v35, v8, v8
	v_pk_max_f16 v36, v9, v9
	v_pk_min_f16 v8, v35, v69
	v_pk_min_f16 v9, v36, v70
	v_pk_add_f16 v8, v8, v76
	s_and_b64 vcc, exec, s[0:1]
	v_pk_add_f16 v8, v9, v8
	v_mov_b32_e32 v59, 0
	v_add_f16_sdwa v48, v8, v8 dst_sel:DWORD dst_unused:UNUSED_PAD src0_sel:DWORD src1_sel:WORD_1
	v_add_u32_e32 v8, 32, v16
	v_add_f16_e32 v37, v48, v37
	v_lshl_add_u64 v[48:49], v[14:15], 1, v[26:27]
	v_ashrrev_i32_e32 v9, 31, v8
	global_store_short v[48:49], v37, off
	v_mov_b32_e32 v49, 0
	s_cbranch_vccnz .LBB288_41
; %bb.40:
	v_lshl_add_u64 v[48:49], v[8:9], 1, v[22:23]
	flat_load_ushort v37, v[48:49]
	s_waitcnt vmcnt(0) lgkmcnt(0)
	v_mul_f16_e32 v49, v38, v37
.LBB288_41:
	v_pk_max_f16 v37, v10, v10
	v_pk_max_f16 v48, v11, v11
	v_pk_min_f16 v10, v37, v69
	v_pk_min_f16 v11, v48, v70
	v_pk_add_f16 v10, v10, v73
	v_lshl_add_u64 v[74:75], v[8:9], 1, v[26:27]
	v_pk_add_f16 v10, v11, v10
	s_and_b64 vcc, exec, s[0:1]
	v_add_f16_sdwa v50, v10, v10 dst_sel:DWORD dst_unused:UNUSED_PAD src0_sel:DWORD src1_sel:WORD_1
	v_add_u32_e32 v10, 40, v16
	v_ashrrev_i32_e32 v11, 31, v10
	v_add_f16_e32 v49, v50, v49
	global_store_short v[74:75], v49, off
	s_cbranch_vccnz .LBB288_43
; %bb.42:
	v_lshl_add_u64 v[74:75], v[10:11], 1, v[22:23]
	flat_load_ushort v49, v[74:75]
	s_waitcnt vmcnt(0) lgkmcnt(0)
	v_mul_f16_e32 v59, v38, v49
.LBB288_43:
	v_pk_max_f16 v49, v4, v4
	v_pk_max_f16 v50, v5, v5
	v_pk_min_f16 v4, v49, v69
	v_pk_min_f16 v5, v50, v70
	v_pk_add_f16 v4, v4, v72
	v_lshl_add_u64 v[72:73], v[10:11], 1, v[26:27]
	v_pk_add_f16 v4, v5, v4
	s_and_b64 vcc, exec, s[0:1]
	v_add_f16_sdwa v60, v4, v4 dst_sel:DWORD dst_unused:UNUSED_PAD src0_sel:DWORD src1_sel:WORD_1
	v_add_u32_e32 v4, 48, v16
	v_add_f16_e32 v59, v60, v59
	v_ashrrev_i32_e32 v5, 31, v4
	global_store_short v[72:73], v59, off
	v_mov_b32_e32 v72, 0
	v_mov_b32_e32 v73, 0
	s_cbranch_vccnz .LBB288_45
; %bb.44:
	v_lshl_add_u64 v[74:75], v[4:5], 1, v[22:23]
	flat_load_ushort v59, v[74:75]
	s_waitcnt vmcnt(0) lgkmcnt(0)
	v_mul_f16_e32 v73, v38, v59
.LBB288_45:
	v_pk_max_f16 v59, v6, v6
	v_pk_max_f16 v60, v7, v7
	v_pk_min_f16 v6, v59, v69
	v_pk_min_f16 v7, v60, v70
	v_pk_add_f16 v6, v6, v71
	v_lshl_add_u64 v[74:75], v[4:5], 1, v[26:27]
	v_pk_add_f16 v6, v7, v6
	s_and_b64 vcc, exec, s[0:1]
	v_add_f16_sdwa v71, v6, v6 dst_sel:DWORD dst_unused:UNUSED_PAD src0_sel:DWORD src1_sel:WORD_1
	v_add_u32_e32 v6, 56, v16
	v_ashrrev_i32_e32 v7, 31, v6
	v_add_f16_e32 v71, v71, v73
	global_store_short v[74:75], v71, off
	s_cbranch_vccnz .LBB288_47
; %bb.46:
	v_lshl_add_u64 v[22:23], v[6:7], 1, v[22:23]
	flat_load_ushort v22, v[22:23]
	s_waitcnt vmcnt(0) lgkmcnt(0)
	v_mul_f16_e32 v72, v38, v22
.LBB288_47:
	v_pk_max_f16 v24, v24, v24
	v_pk_max_f16 v25, v25, v25
	v_pk_min_f16 v22, v24, v69
	v_pk_min_f16 v23, v25, v70
	v_pk_add_f16 v22, v22, v68
	v_add_u32_e32 v69, 32, v28
	v_pk_add_f16 v22, v23, v22
	s_and_b64 vcc, exec, s[0:1]
	v_add_f16_sdwa v22, v22, v22 dst_sel:DWORD dst_unused:UNUSED_PAD src0_sel:DWORD src1_sel:WORD_1
	v_add_f16_e32 v68, v22, v72
	v_lshl_add_u64 v[22:23], v[6:7], 1, v[26:27]
	global_store_short v[22:23], v68, off
	v_mad_i64_i32 v[22:23], s[4:5], v69, s12, 0
	v_lshl_add_u64 v[22:23], v[22:23], 1, s[8:9]
	v_mov_b32_e32 v68, 0
	v_mov_b32_e32 v70, 0
	s_cbranch_vccnz .LBB288_49
; %bb.48:
	v_lshl_add_u64 v[26:27], v[16:17], 1, v[22:23]
	flat_load_ushort v26, v[26:27]
	s_waitcnt vmcnt(0) lgkmcnt(0)
	v_mul_f16_e32 v70, v38, v26
.LBB288_49:
	v_pk_max_f16 v26, v0, v0
	v_pk_max_f16 v27, v1, v1
	v_pk_min_f16 v0, v29, v26
	v_pk_min_f16 v1, v30, v27
	v_pk_add_f16 v0, v0, v66
	s_and_b64 vcc, exec, s[0:1]
	v_pk_add_f16 v66, v1, v0
	v_mad_i64_i32 v[0:1], s[4:5], v69, s13, 0
	v_lshl_add_u64 v[0:1], v[0:1], 1, s[2:3]
	v_add_f16_sdwa v66, v66, v66 dst_sel:DWORD dst_unused:UNUSED_PAD src0_sel:DWORD src1_sel:WORD_1
	v_add_f16_e32 v66, v66, v70
	v_lshl_add_u64 v[70:71], v[16:17], 1, v[0:1]
	global_store_short v[70:71], v66, off
	s_cbranch_vccnz .LBB288_51
; %bb.50:
	v_lshl_add_u64 v[68:69], v[20:21], 1, v[22:23]
	flat_load_ushort v66, v[68:69]
	s_waitcnt vmcnt(0) lgkmcnt(0)
	v_mul_f16_e32 v68, v38, v66
.LBB288_51:
	v_pk_min_f16 v66, v31, v26
	s_and_b64 vcc, exec, s[0:1]
	v_pk_add_f16 v64, v66, v64
	v_pk_min_f16 v66, v32, v27
	s_nop 0
	v_pk_add_f16 v64, v66, v64
	v_mov_b32_e32 v66, 0
	v_add_f16_sdwa v64, v64, v64 dst_sel:DWORD dst_unused:UNUSED_PAD src0_sel:DWORD src1_sel:WORD_1
	v_add_f16_e32 v64, v64, v68
	v_lshl_add_u64 v[68:69], v[20:21], 1, v[0:1]
	global_store_short v[68:69], v64, off
	v_mov_b32_e32 v64, 0
	s_cbranch_vccnz .LBB288_53
; %bb.52:
	v_lshl_add_u64 v[68:69], v[12:13], 1, v[22:23]
	flat_load_ushort v66, v[68:69]
	s_waitcnt vmcnt(0) lgkmcnt(0)
	v_mul_f16_e32 v66, v38, v66
.LBB288_53:
	v_pk_min_f16 v68, v33, v26
	s_and_b64 vcc, exec, s[0:1]
	v_pk_add_f16 v62, v68, v62
	v_pk_min_f16 v68, v34, v27
	s_nop 0
	v_pk_add_f16 v62, v68, v62
	v_lshl_add_u64 v[68:69], v[12:13], 1, v[0:1]
	v_add_f16_sdwa v62, v62, v62 dst_sel:DWORD dst_unused:UNUSED_PAD src0_sel:DWORD src1_sel:WORD_1
	v_add_f16_e32 v62, v62, v66
	global_store_short v[68:69], v62, off
	s_cbranch_vccnz .LBB288_55
; %bb.54:
	v_lshl_add_u64 v[68:69], v[14:15], 1, v[22:23]
	flat_load_ushort v62, v[68:69]
	s_waitcnt vmcnt(0) lgkmcnt(0)
	v_mul_f16_e32 v64, v38, v62
.LBB288_55:
	v_pk_min_f16 v62, v35, v26
	v_pk_min_f16 v66, v36, v27
	v_pk_add_f16 v62, v62, v67
	s_and_b64 vcc, exec, s[0:1]
	v_pk_add_f16 v62, v66, v62
	v_lshl_add_u64 v[66:67], v[14:15], 1, v[0:1]
	v_add_f16_sdwa v62, v62, v62 dst_sel:DWORD dst_unused:UNUSED_PAD src0_sel:DWORD src1_sel:WORD_1
	v_add_f16_e32 v62, v62, v64
	global_store_short v[66:67], v62, off
	v_mov_b32_e32 v62, 0
	v_mov_b32_e32 v64, 0
	s_cbranch_vccnz .LBB288_57
; %bb.56:
	v_lshl_add_u64 v[66:67], v[8:9], 1, v[22:23]
	flat_load_ushort v64, v[66:67]
	s_waitcnt vmcnt(0) lgkmcnt(0)
	v_mul_f16_e32 v64, v38, v64
.LBB288_57:
	v_pk_min_f16 v66, v37, v26
	s_and_b64 vcc, exec, s[0:1]
	v_pk_add_f16 v65, v66, v65
	v_pk_min_f16 v66, v48, v27
	s_nop 0
	v_pk_add_f16 v65, v66, v65
	s_nop 0
	v_add_f16_sdwa v65, v65, v65 dst_sel:DWORD dst_unused:UNUSED_PAD src0_sel:DWORD src1_sel:WORD_1
	v_add_f16_e32 v66, v65, v64
	v_lshl_add_u64 v[64:65], v[8:9], 1, v[0:1]
	global_store_short v[64:65], v66, off
	s_cbranch_vccnz .LBB288_59
; %bb.58:
	v_lshl_add_u64 v[64:65], v[10:11], 1, v[22:23]
	flat_load_ushort v62, v[64:65]
	s_waitcnt vmcnt(0) lgkmcnt(0)
	v_mul_f16_e32 v62, v38, v62
.LBB288_59:
	v_pk_min_f16 v64, v49, v26
	s_and_b64 vcc, exec, s[0:1]
	v_pk_add_f16 v63, v64, v63
	v_pk_min_f16 v64, v50, v27
	s_nop 0
	v_pk_add_f16 v63, v64, v63
	s_nop 0
	v_add_f16_sdwa v63, v63, v63 dst_sel:DWORD dst_unused:UNUSED_PAD src0_sel:DWORD src1_sel:WORD_1
	v_add_f16_e32 v64, v63, v62
	v_lshl_add_u64 v[62:63], v[10:11], 1, v[0:1]
	global_store_short v[62:63], v64, off
	v_mov_b32_e32 v62, 0
	v_mov_b32_e32 v63, 0
	s_cbranch_vccnz .LBB288_61
; %bb.60:
	v_lshl_add_u64 v[64:65], v[4:5], 1, v[22:23]
	flat_load_ushort v63, v[64:65]
	s_waitcnt vmcnt(0) lgkmcnt(0)
	v_mul_f16_e32 v63, v38, v63
.LBB288_61:
	v_pk_min_f16 v64, v59, v26
	s_and_b64 vcc, exec, s[0:1]
	v_pk_add_f16 v61, v64, v61
	v_pk_min_f16 v64, v60, v27
	s_nop 0
	v_pk_add_f16 v61, v64, v61
	v_lshl_add_u64 v[64:65], v[4:5], 1, v[0:1]
	v_add_f16_sdwa v61, v61, v61 dst_sel:DWORD dst_unused:UNUSED_PAD src0_sel:DWORD src1_sel:WORD_1
	v_add_f16_e32 v61, v61, v63
	global_store_short v[64:65], v61, off
	s_cbranch_vccnz .LBB288_63
; %bb.62:
	v_lshl_add_u64 v[22:23], v[6:7], 1, v[22:23]
	flat_load_ushort v22, v[22:23]
	s_waitcnt vmcnt(0) lgkmcnt(0)
	v_mul_f16_e32 v62, v38, v22
.LBB288_63:
	v_pk_min_f16 v22, v24, v26
	v_pk_min_f16 v23, v25, v27
	v_pk_add_f16 v22, v22, v58
	v_lshl_add_u64 v[0:1], v[6:7], 1, v[0:1]
	v_pk_add_f16 v22, v23, v22
	v_add_u32_e32 v27, 64, v28
	v_add_f16_sdwa v22, v22, v22 dst_sel:DWORD dst_unused:UNUSED_PAD src0_sel:DWORD src1_sel:WORD_1
	v_add_f16_e32 v22, v22, v62
	global_store_short v[0:1], v22, off
	v_mad_i64_i32 v[0:1], s[4:5], v27, s12, 0
	v_lshl_add_u64 v[0:1], v[0:1], 1, s[8:9]
	s_and_b64 vcc, exec, s[0:1]
	v_mov_b32_e32 v26, 0
	v_mov_b32_e32 v58, 0
	s_cbranch_vccnz .LBB288_65
; %bb.64:
	v_lshl_add_u64 v[22:23], v[16:17], 1, v[0:1]
	flat_load_ushort v22, v[22:23]
	s_waitcnt vmcnt(0) lgkmcnt(0)
	v_mul_f16_e32 v58, v38, v22
.LBB288_65:
	v_pk_max_f16 v22, v2, v2
	v_pk_max_f16 v23, v3, v3
	v_pk_min_f16 v2, v29, v22
	v_pk_min_f16 v3, v30, v23
	v_pk_add_f16 v2, v2, v56
	s_and_b64 vcc, exec, s[0:1]
	v_pk_add_f16 v56, v3, v2
	v_mad_i64_i32 v[2:3], s[4:5], v27, s13, 0
	v_lshl_add_u64 v[2:3], v[2:3], 1, s[2:3]
	v_add_f16_sdwa v27, v56, v56 dst_sel:DWORD dst_unused:UNUSED_PAD src0_sel:DWORD src1_sel:WORD_1
	v_add_f16_e32 v27, v27, v58
	v_lshl_add_u64 v[62:63], v[16:17], 1, v[2:3]
	global_store_short v[62:63], v27, off
	s_cbranch_vccnz .LBB288_67
; %bb.66:
	v_lshl_add_u64 v[26:27], v[20:21], 1, v[0:1]
	flat_load_ushort v26, v[26:27]
	s_waitcnt vmcnt(0) lgkmcnt(0)
	v_mul_f16_e32 v26, v38, v26
.LBB288_67:
	v_pk_min_f16 v27, v31, v22
	s_and_b64 vcc, exec, s[0:1]
	v_pk_add_f16 v27, v27, v54
	v_pk_min_f16 v54, v32, v23
	s_nop 0
	v_pk_add_f16 v27, v54, v27
	s_nop 0
	v_add_f16_sdwa v27, v27, v27 dst_sel:DWORD dst_unused:UNUSED_PAD src0_sel:DWORD src1_sel:WORD_1
	v_add_f16_e32 v54, v27, v26
	v_lshl_add_u64 v[26:27], v[20:21], 1, v[2:3]
	global_store_short v[26:27], v54, off
	v_mov_b32_e32 v26, 0
	v_mov_b32_e32 v27, 0
	s_cbranch_vccnz .LBB288_69
; %bb.68:
	v_lshl_add_u64 v[62:63], v[12:13], 1, v[0:1]
	flat_load_ushort v27, v[62:63]
	s_waitcnt vmcnt(0) lgkmcnt(0)
	v_mul_f16_e32 v27, v38, v27
.LBB288_69:
	v_pk_min_f16 v54, v33, v22
	v_lshl_add_u64 v[62:63], v[12:13], 1, v[2:3]
	v_pk_add_f16 v52, v54, v52
	v_pk_min_f16 v54, v34, v23
	s_and_b64 vcc, exec, s[0:1]
	v_pk_add_f16 v52, v54, v52
	s_nop 0
	v_add_f16_sdwa v52, v52, v52 dst_sel:DWORD dst_unused:UNUSED_PAD src0_sel:DWORD src1_sel:WORD_1
	v_add_f16_e32 v27, v52, v27
	global_store_short v[62:63], v27, off
	s_cbranch_vccnz .LBB288_71
; %bb.70:
	v_lshl_add_u64 v[26:27], v[14:15], 1, v[0:1]
	flat_load_ushort v26, v[26:27]
	s_waitcnt vmcnt(0) lgkmcnt(0)
	v_mul_f16_e32 v26, v38, v26
.LBB288_71:
	v_pk_min_f16 v27, v35, v22
	v_pk_min_f16 v52, v36, v23
	v_pk_add_f16 v27, v27, v57
	s_and_b64 vcc, exec, s[0:1]
	v_pk_add_f16 v27, v52, v27
	s_nop 0
	v_add_f16_sdwa v27, v27, v27 dst_sel:DWORD dst_unused:UNUSED_PAD src0_sel:DWORD src1_sel:WORD_1
	v_add_f16_e32 v52, v27, v26
	v_lshl_add_u64 v[26:27], v[14:15], 1, v[2:3]
	global_store_short v[26:27], v52, off
	v_mov_b32_e32 v26, 0
	v_mov_b32_e32 v27, 0
	s_cbranch_vccnz .LBB288_73
; %bb.72:
	v_lshl_add_u64 v[56:57], v[8:9], 1, v[0:1]
	flat_load_ushort v27, v[56:57]
	s_waitcnt vmcnt(0) lgkmcnt(0)
	v_mul_f16_e32 v27, v38, v27
.LBB288_73:
	v_pk_min_f16 v52, v37, v22
	v_pk_min_f16 v54, v48, v23
	v_pk_add_f16 v52, v52, v55
	s_and_b64 vcc, exec, s[0:1]
	v_pk_add_f16 v52, v54, v52
	v_lshl_add_u64 v[54:55], v[8:9], 1, v[2:3]
	v_add_f16_sdwa v52, v52, v52 dst_sel:DWORD dst_unused:UNUSED_PAD src0_sel:DWORD src1_sel:WORD_1
	v_add_f16_e32 v27, v52, v27
	global_store_short v[54:55], v27, off
	s_cbranch_vccnz .LBB288_75
; %bb.74:
	v_lshl_add_u64 v[26:27], v[10:11], 1, v[0:1]
	flat_load_ushort v26, v[26:27]
	s_waitcnt vmcnt(0) lgkmcnt(0)
	v_mul_f16_e32 v26, v38, v26
.LBB288_75:
	v_pk_min_f16 v27, v49, v22
	v_pk_min_f16 v52, v50, v23
	v_pk_add_f16 v27, v27, v53
	s_and_b64 vcc, exec, s[0:1]
	v_pk_add_f16 v27, v52, v27
	s_nop 0
	v_add_f16_sdwa v27, v27, v27 dst_sel:DWORD dst_unused:UNUSED_PAD src0_sel:DWORD src1_sel:WORD_1
	v_add_f16_e32 v52, v27, v26
	v_lshl_add_u64 v[26:27], v[10:11], 1, v[2:3]
	global_store_short v[26:27], v52, off
	v_mov_b32_e32 v26, 0
	v_mov_b32_e32 v27, 0
	s_cbranch_vccnz .LBB288_77
; %bb.76:
	v_lshl_add_u64 v[52:53], v[4:5], 1, v[0:1]
	flat_load_ushort v27, v[52:53]
	s_waitcnt vmcnt(0) lgkmcnt(0)
	v_mul_f16_e32 v27, v38, v27
.LBB288_77:
	v_pk_min_f16 v52, v59, v22
	s_and_b64 vcc, exec, s[0:1]
	v_pk_add_f16 v51, v52, v51
	v_pk_min_f16 v52, v60, v23
	s_nop 0
	v_pk_add_f16 v51, v52, v51
	v_lshl_add_u64 v[52:53], v[4:5], 1, v[2:3]
	v_add_f16_sdwa v51, v51, v51 dst_sel:DWORD dst_unused:UNUSED_PAD src0_sel:DWORD src1_sel:WORD_1
	v_add_f16_e32 v27, v51, v27
	global_store_short v[52:53], v27, off
	s_cbranch_vccnz .LBB288_79
; %bb.78:
	v_lshl_add_u64 v[0:1], v[6:7], 1, v[0:1]
	flat_load_ushort v0, v[0:1]
	s_waitcnt vmcnt(0) lgkmcnt(0)
	v_mul_f16_e32 v26, v38, v0
.LBB288_79:
	v_pk_min_f16 v0, v24, v22
	v_pk_min_f16 v1, v25, v23
	v_pk_add_f16 v0, v0, v47
	s_and_b64 vcc, exec, s[0:1]
	v_pk_add_f16 v0, v1, v0
	v_mov_b32_e32 v23, 0
	v_add_f16_sdwa v0, v0, v0 dst_sel:DWORD dst_unused:UNUSED_PAD src0_sel:DWORD src1_sel:WORD_1
	v_add_f16_e32 v22, v0, v26
	v_lshl_add_u64 v[0:1], v[6:7], 1, v[2:3]
	v_add_u32_e32 v2, 0x60, v28
	global_store_short v[0:1], v22, off
	v_mad_i64_i32 v[0:1], s[4:5], v2, s12, 0
	v_lshl_add_u64 v[0:1], v[0:1], 1, s[8:9]
	v_mov_b32_e32 v22, 0
	s_cbranch_vccnz .LBB288_81
; %bb.80:
	v_lshl_add_u64 v[26:27], v[16:17], 1, v[0:1]
	flat_load_ushort v3, v[26:27]
	s_waitcnt vmcnt(0) lgkmcnt(0)
	v_mul_f16_e32 v23, v38, v3
.LBB288_81:
	v_pk_max_f16 v18, v18, v18
	v_pk_max_f16 v19, v19, v19
	v_pk_min_f16 v3, v29, v18
	v_pk_min_f16 v26, v30, v19
	v_pk_add_f16 v3, v3, v45
	s_and_b64 vcc, exec, s[0:1]
	v_pk_add_f16 v26, v26, v3
	v_mad_i64_i32 v[2:3], s[4:5], v2, s13, 0
	v_lshl_add_u64 v[2:3], v[2:3], 1, s[2:3]
	v_add_f16_sdwa v26, v26, v26 dst_sel:DWORD dst_unused:UNUSED_PAD src0_sel:DWORD src1_sel:WORD_1
	v_add_f16_e32 v23, v26, v23
	v_lshl_add_u64 v[16:17], v[16:17], 1, v[2:3]
	global_store_short v[16:17], v23, off
	s_cbranch_vccnz .LBB288_83
; %bb.82:
	v_lshl_add_u64 v[16:17], v[20:21], 1, v[0:1]
	flat_load_ushort v16, v[16:17]
	s_waitcnt vmcnt(0) lgkmcnt(0)
	v_mul_f16_e32 v22, v38, v16
.LBB288_83:
	v_pk_min_f16 v16, v31, v18
	v_pk_min_f16 v17, v32, v19
	v_pk_add_f16 v16, v16, v42
	s_and_b64 vcc, exec, s[0:1]
	v_pk_add_f16 v16, v17, v16
	s_nop 0
	v_add_f16_sdwa v16, v16, v16 dst_sel:DWORD dst_unused:UNUSED_PAD src0_sel:DWORD src1_sel:WORD_1
	v_add_f16_e32 v22, v16, v22
	v_lshl_add_u64 v[16:17], v[20:21], 1, v[2:3]
	global_store_short v[16:17], v22, off
	v_mov_b32_e32 v16, 0
	v_mov_b32_e32 v17, 0
	s_cbranch_vccnz .LBB288_85
; %bb.84:
	v_lshl_add_u64 v[20:21], v[12:13], 1, v[0:1]
	flat_load_ushort v17, v[20:21]
	s_waitcnt vmcnt(0) lgkmcnt(0)
	v_mul_f16_e32 v17, v38, v17
.LBB288_85:
	v_pk_min_f16 v20, v33, v18
	v_pk_min_f16 v21, v34, v19
	v_pk_add_f16 v20, v20, v41
	v_lshl_add_u64 v[12:13], v[12:13], 1, v[2:3]
	v_pk_add_f16 v20, v21, v20
	s_and_b64 vcc, exec, s[0:1]
	v_add_f16_sdwa v20, v20, v20 dst_sel:DWORD dst_unused:UNUSED_PAD src0_sel:DWORD src1_sel:WORD_1
	v_add_f16_e32 v17, v20, v17
	global_store_short v[12:13], v17, off
	s_cbranch_vccnz .LBB288_87
; %bb.86:
	v_lshl_add_u64 v[12:13], v[14:15], 1, v[0:1]
	flat_load_ushort v12, v[12:13]
	s_waitcnt vmcnt(0) lgkmcnt(0)
	v_mul_f16_e32 v16, v38, v12
.LBB288_87:
	v_pk_min_f16 v12, v35, v18
	v_pk_min_f16 v13, v36, v19
	v_pk_add_f16 v12, v12, v46
	s_and_b64 vcc, exec, s[0:1]
	v_pk_add_f16 v12, v13, v12
	s_nop 0
	v_add_f16_sdwa v12, v12, v12 dst_sel:DWORD dst_unused:UNUSED_PAD src0_sel:DWORD src1_sel:WORD_1
	v_add_f16_e32 v16, v12, v16
	v_lshl_add_u64 v[12:13], v[14:15], 1, v[2:3]
	global_store_short v[12:13], v16, off
	v_mov_b32_e32 v12, 0
	v_mov_b32_e32 v13, 0
	s_cbranch_vccnz .LBB288_89
; %bb.88:
	v_lshl_add_u64 v[14:15], v[8:9], 1, v[0:1]
	flat_load_ushort v13, v[14:15]
	s_waitcnt vmcnt(0) lgkmcnt(0)
	v_mul_f16_e32 v13, v38, v13
.LBB288_89:
	v_pk_min_f16 v14, v37, v18
	v_pk_min_f16 v15, v48, v19
	v_pk_add_f16 v14, v14, v43
	v_lshl_add_u64 v[8:9], v[8:9], 1, v[2:3]
	v_pk_add_f16 v14, v15, v14
	s_and_b64 vcc, exec, s[0:1]
	v_add_f16_sdwa v14, v14, v14 dst_sel:DWORD dst_unused:UNUSED_PAD src0_sel:DWORD src1_sel:WORD_1
	v_add_f16_e32 v13, v14, v13
	global_store_short v[8:9], v13, off
	s_cbranch_vccnz .LBB288_91
; %bb.90:
	v_lshl_add_u64 v[8:9], v[10:11], 1, v[0:1]
	flat_load_ushort v8, v[8:9]
	s_waitcnt vmcnt(0) lgkmcnt(0)
	v_mul_f16_e32 v12, v38, v8
.LBB288_91:
	v_pk_min_f16 v8, v49, v18
	v_pk_min_f16 v9, v50, v19
	v_pk_add_f16 v8, v8, v40
	v_pk_min_f16 v13, v60, v19
	v_pk_add_f16 v8, v9, v8
	v_pk_min_f16 v9, v59, v18
	v_add_f16_sdwa v8, v8, v8 dst_sel:DWORD dst_unused:UNUSED_PAD src0_sel:DWORD src1_sel:WORD_1
	v_pk_add_f16 v9, v9, v44
	v_add_f16_e32 v12, v8, v12
	v_pk_add_f16 v13, v13, v9
	v_lshl_add_u64 v[8:9], v[10:11], 1, v[2:3]
	global_store_short v[8:9], v12, off
	v_add_f16_sdwa v8, v13, v13 dst_sel:DWORD dst_unused:UNUSED_PAD src0_sel:DWORD src1_sel:WORD_1
	s_mov_b64 vcc, s[6:7]
	s_cbranch_vccz .LBB288_94
; %bb.92:
	v_add_f16_e32 v9, 0, v8
	v_lshl_add_u64 v[10:11], v[4:5], 1, v[2:3]
	s_mov_b32 s2, 0
	global_store_short v[10:11], v9, off
	s_cbranch_execz .LBB288_95
; %bb.93:
	v_mov_b32_e32 v0, s2
	s_branch .LBB288_96
.LBB288_94:
                                        ; implicit-def: $sgpr2
.LBB288_95:
	v_lshlrev_b64 v[4:5], 1, v[4:5]
	v_lshl_add_u64 v[10:11], v[0:1], 0, v[4:5]
	flat_load_ushort v9, v[10:11]
	v_lshl_add_u64 v[4:5], v[2:3], 0, v[4:5]
	v_lshl_add_u64 v[0:1], v[6:7], 1, v[0:1]
	s_waitcnt vmcnt(0) lgkmcnt(0)
	v_fma_f16 v8, v38, v9, v8
	global_store_short v[4:5], v8, off
	flat_load_ushort v0, v[0:1]
	s_waitcnt vmcnt(0) lgkmcnt(0)
	v_mul_f16_e32 v0, v38, v0
.LBB288_96:
	v_pk_min_f16 v4, v24, v18
	v_pk_min_f16 v1, v25, v19
	v_pk_add_f16 v4, v4, v39
	s_nop 0
	v_pk_add_f16 v1, v1, v4
	s_nop 0
	v_add_f16_sdwa v1, v1, v1 dst_sel:DWORD dst_unused:UNUSED_PAD src0_sel:DWORD src1_sel:WORD_1
	v_add_f16_e32 v4, v1, v0
	v_lshl_add_u64 v[0:1], v[6:7], 1, v[2:3]
	global_store_short v[0:1], v4, off
	s_endpgm
	.section	.rodata,"a",@progbits
	.p2align	6, 0x0
	.amdhsa_kernel _ZN12_GLOBAL__N_120geam_min_plus_kernelIDF16_Dv2_DF16_S1_Li8ELi32ELi64ELi128ELi4ELi4ELi64ELi4ELi64ELc84ELc78ELb0ELb0ELb0EPKDF16_S2_DF16_EEviiiT16_PT17_ilS6_ilS4_S6_ilPT18_ili26rocblas_geam_ex_operation_
		.amdhsa_group_segment_fixed_size 3072
		.amdhsa_private_segment_fixed_size 0
		.amdhsa_kernarg_size 136
		.amdhsa_user_sgpr_count 2
		.amdhsa_user_sgpr_dispatch_ptr 0
		.amdhsa_user_sgpr_queue_ptr 0
		.amdhsa_user_sgpr_kernarg_segment_ptr 1
		.amdhsa_user_sgpr_dispatch_id 0
		.amdhsa_user_sgpr_kernarg_preload_length 0
		.amdhsa_user_sgpr_kernarg_preload_offset 0
		.amdhsa_user_sgpr_private_segment_size 0
		.amdhsa_uses_dynamic_stack 0
		.amdhsa_enable_private_segment 0
		.amdhsa_system_sgpr_workgroup_id_x 1
		.amdhsa_system_sgpr_workgroup_id_y 0
		.amdhsa_system_sgpr_workgroup_id_z 1
		.amdhsa_system_sgpr_workgroup_info 0
		.amdhsa_system_vgpr_workitem_id 1
		.amdhsa_next_free_vgpr 125
		.amdhsa_next_free_sgpr 24
		.amdhsa_accum_offset 128
		.amdhsa_reserve_vcc 1
		.amdhsa_float_round_mode_32 0
		.amdhsa_float_round_mode_16_64 0
		.amdhsa_float_denorm_mode_32 3
		.amdhsa_float_denorm_mode_16_64 3
		.amdhsa_dx10_clamp 1
		.amdhsa_ieee_mode 1
		.amdhsa_fp16_overflow 0
		.amdhsa_tg_split 0
		.amdhsa_exception_fp_ieee_invalid_op 0
		.amdhsa_exception_fp_denorm_src 0
		.amdhsa_exception_fp_ieee_div_zero 0
		.amdhsa_exception_fp_ieee_overflow 0
		.amdhsa_exception_fp_ieee_underflow 0
		.amdhsa_exception_fp_ieee_inexact 0
		.amdhsa_exception_int_div_zero 0
	.end_amdhsa_kernel
	.section	.text._ZN12_GLOBAL__N_120geam_min_plus_kernelIDF16_Dv2_DF16_S1_Li8ELi32ELi64ELi128ELi4ELi4ELi64ELi4ELi64ELc84ELc78ELb0ELb0ELb0EPKDF16_S2_DF16_EEviiiT16_PT17_ilS6_ilS4_S6_ilPT18_ili26rocblas_geam_ex_operation_,"axG",@progbits,_ZN12_GLOBAL__N_120geam_min_plus_kernelIDF16_Dv2_DF16_S1_Li8ELi32ELi64ELi128ELi4ELi4ELi64ELi4ELi64ELc84ELc78ELb0ELb0ELb0EPKDF16_S2_DF16_EEviiiT16_PT17_ilS6_ilS4_S6_ilPT18_ili26rocblas_geam_ex_operation_,comdat
.Lfunc_end288:
	.size	_ZN12_GLOBAL__N_120geam_min_plus_kernelIDF16_Dv2_DF16_S1_Li8ELi32ELi64ELi128ELi4ELi4ELi64ELi4ELi64ELc84ELc78ELb0ELb0ELb0EPKDF16_S2_DF16_EEviiiT16_PT17_ilS6_ilS4_S6_ilPT18_ili26rocblas_geam_ex_operation_, .Lfunc_end288-_ZN12_GLOBAL__N_120geam_min_plus_kernelIDF16_Dv2_DF16_S1_Li8ELi32ELi64ELi128ELi4ELi4ELi64ELi4ELi64ELc84ELc78ELb0ELb0ELb0EPKDF16_S2_DF16_EEviiiT16_PT17_ilS6_ilS4_S6_ilPT18_ili26rocblas_geam_ex_operation_
                                        ; -- End function
	.section	.AMDGPU.csdata,"",@progbits
; Kernel info:
; codeLenInByte = 8872
; NumSgprs: 30
; NumVgprs: 125
; NumAgprs: 0
; TotalNumVgprs: 125
; ScratchSize: 0
; MemoryBound: 0
; FloatMode: 240
; IeeeMode: 1
; LDSByteSize: 3072 bytes/workgroup (compile time only)
; SGPRBlocks: 3
; VGPRBlocks: 15
; NumSGPRsForWavesPerEU: 30
; NumVGPRsForWavesPerEU: 125
; AccumOffset: 128
; Occupancy: 4
; WaveLimiterHint : 0
; COMPUTE_PGM_RSRC2:SCRATCH_EN: 0
; COMPUTE_PGM_RSRC2:USER_SGPR: 2
; COMPUTE_PGM_RSRC2:TRAP_HANDLER: 0
; COMPUTE_PGM_RSRC2:TGID_X_EN: 1
; COMPUTE_PGM_RSRC2:TGID_Y_EN: 0
; COMPUTE_PGM_RSRC2:TGID_Z_EN: 1
; COMPUTE_PGM_RSRC2:TIDIG_COMP_CNT: 1
; COMPUTE_PGM_RSRC3_GFX90A:ACCUM_OFFSET: 31
; COMPUTE_PGM_RSRC3_GFX90A:TG_SPLIT: 0
	.section	.text._ZN12_GLOBAL__N_120geam_min_plus_kernelIDF16_Dv2_DF16_S1_Li8ELi32ELi64ELi128ELi4ELi4ELi64ELi4ELi64ELc84ELc78ELb1ELb0ELb0EDF16_KDF16_DF16_EEviiiT16_PT17_ilS5_ilS3_S5_ilPT18_ili26rocblas_geam_ex_operation_,"axG",@progbits,_ZN12_GLOBAL__N_120geam_min_plus_kernelIDF16_Dv2_DF16_S1_Li8ELi32ELi64ELi128ELi4ELi4ELi64ELi4ELi64ELc84ELc78ELb1ELb0ELb0EDF16_KDF16_DF16_EEviiiT16_PT17_ilS5_ilS3_S5_ilPT18_ili26rocblas_geam_ex_operation_,comdat
	.globl	_ZN12_GLOBAL__N_120geam_min_plus_kernelIDF16_Dv2_DF16_S1_Li8ELi32ELi64ELi128ELi4ELi4ELi64ELi4ELi64ELc84ELc78ELb1ELb0ELb0EDF16_KDF16_DF16_EEviiiT16_PT17_ilS5_ilS3_S5_ilPT18_ili26rocblas_geam_ex_operation_ ; -- Begin function _ZN12_GLOBAL__N_120geam_min_plus_kernelIDF16_Dv2_DF16_S1_Li8ELi32ELi64ELi128ELi4ELi4ELi64ELi4ELi64ELc84ELc78ELb1ELb0ELb0EDF16_KDF16_DF16_EEviiiT16_PT17_ilS5_ilS3_S5_ilPT18_ili26rocblas_geam_ex_operation_
	.p2align	8
	.type	_ZN12_GLOBAL__N_120geam_min_plus_kernelIDF16_Dv2_DF16_S1_Li8ELi32ELi64ELi128ELi4ELi4ELi64ELi4ELi64ELc84ELc78ELb1ELb0ELb0EDF16_KDF16_DF16_EEviiiT16_PT17_ilS5_ilS3_S5_ilPT18_ili26rocblas_geam_ex_operation_,@function
_ZN12_GLOBAL__N_120geam_min_plus_kernelIDF16_Dv2_DF16_S1_Li8ELi32ELi64ELi128ELi4ELi4ELi64ELi4ELi64ELc84ELc78ELb1ELb0ELb0EDF16_KDF16_DF16_EEviiiT16_PT17_ilS5_ilS3_S5_ilPT18_ili26rocblas_geam_ex_operation_: ; @_ZN12_GLOBAL__N_120geam_min_plus_kernelIDF16_Dv2_DF16_S1_Li8ELi32ELi64ELi128ELi4ELi4ELi64ELi4ELi64ELc84ELc78ELb1ELb0ELb0EDF16_KDF16_DF16_EEviiiT16_PT17_ilS5_ilS3_S5_ilPT18_ili26rocblas_geam_ex_operation_
; %bb.0:
	s_load_dwordx2 s[14:15], s[0:1], 0x8
	s_load_dwordx4 s[4:7], s[0:1], 0x20
	s_waitcnt lgkmcnt(0)
	v_cmp_eq_f16_e64 s[8:9], s15, 0
	s_and_b64 vcc, exec, s[8:9]
	s_cbranch_vccnz .LBB289_3
; %bb.1:
	s_load_dwordx2 s[10:11], s[0:1], 0x10
	s_mul_i32 s5, s3, s5
	s_mul_hi_u32 s12, s3, s4
	s_add_i32 s5, s12, s5
	s_mul_i32 s4, s3, s4
	s_lshl_b64 s[4:5], s[4:5], 1
	s_waitcnt lgkmcnt(0)
	s_add_u32 s18, s10, s4
	s_addc_u32 s19, s11, s5
	s_andn2_b64 vcc, exec, s[8:9]
	s_cbranch_vccnz .LBB289_4
.LBB289_2:
	s_mov_b32 s13, 0
	s_mov_b64 s[16:17], 0
	s_cbranch_execz .LBB289_5
	s_branch .LBB289_6
.LBB289_3:
	s_mov_b64 s[18:19], 0
	s_andn2_b64 vcc, exec, s[8:9]
	s_cbranch_vccz .LBB289_2
.LBB289_4:
                                        ; implicit-def: $sgpr16_sgpr17
                                        ; implicit-def: $sgpr12_sgpr13
.LBB289_5:
	s_load_dwordx2 s[4:5], s[0:1], 0x38
	s_mov_b32 s13, 0
	s_waitcnt lgkmcnt(0)
	s_mul_i32 s5, s3, s5
	s_mul_hi_u32 s8, s3, s4
	s_add_i32 s5, s8, s5
	s_mul_i32 s4, s3, s4
	s_lshl_b64 s[4:5], s[4:5], 1
	s_add_u32 s16, s6, s4
	s_addc_u32 s17, s7, s5
.LBB289_6:
	s_load_dword s12, s[0:1], 0x40
	s_load_dwordx4 s[8:11], s[0:1], 0x58
	s_waitcnt lgkmcnt(0)
	v_cmp_eq_f16_e64 s[4:5], s12, 0
	s_and_b64 s[4:5], exec, s[4:5]
	s_mov_b64 vcc, s[4:5]
	s_cbranch_vccnz .LBB289_8
; %bb.7:
	s_load_dwordx2 s[6:7], s[0:1], 0x48
	s_mul_i32 s9, s3, s9
	s_mul_hi_u32 s15, s3, s8
	s_add_i32 s9, s15, s9
	s_mul_i32 s15, s13, s8
	s_add_i32 s9, s9, s15
	s_mul_i32 s8, s3, s8
	s_lshl_b64 s[8:9], s[8:9], 1
	s_waitcnt lgkmcnt(0)
	s_add_u32 s6, s6, s8
	s_addc_u32 s7, s7, s9
	s_branch .LBB289_9
.LBB289_8:
	s_mov_b64 s[6:7], 0
.LBB289_9:
	s_load_dword s8, s[0:1], 0x0
	s_load_dword s9, s[0:1], 0x18
	;; [unrolled: 1-line block ×3, first 2 shown]
	v_and_b32_e32 v39, 0x3ff, v0
	v_bfe_u32 v40, v0, 10, 10
	s_waitcnt lgkmcnt(0)
	s_add_i32 s8, s8, -1
	s_ashr_i32 s15, s8, 31
	s_lshr_b32 s15, s15, 26
	s_add_i32 s8, s8, s15
	s_ashr_i32 s8, s8, 6
	s_add_i32 s15, s8, 1
	v_cvt_f32_u32_e32 v1, s15
	s_not_b32 s8, s8
	v_lshlrev_b32_e32 v38, 3, v40
	v_and_b32_e32 v2, 3, v39
	v_rcp_iflag_f32_e32 v1, v1
	v_lshlrev_b32_e32 v26, 1, v2
	v_mov_b32_e32 v27, 0
	v_lshl_add_u64 v[2:3], s[16:17], 0, v[26:27]
	v_mul_f32_e32 v0, 0x4f7ffffe, v1
	v_cvt_u32_f32_e32 v0, v0
	v_add_u32_e32 v1, v38, v39
	v_lshrrev_b32_e32 v10, 2, v1
	v_lshlrev_b32_e32 v41, 3, v39
	v_readfirstlane_b32 s21, v0
	s_mul_i32 s8, s8, s21
	s_mul_hi_u32 s8, s21, s8
	s_add_i32 s21, s21, s8
	s_mul_hi_u32 s8, s2, s21
	s_mul_i32 s21, s8, s15
	s_sub_i32 s21, s2, s21
	s_add_i32 s22, s8, 1
	s_sub_i32 s23, s21, s15
	s_cmp_ge_u32 s21, s15
	s_cselect_b32 s8, s22, s8
	s_cselect_b32 s21, s23, s21
	s_add_i32 s22, s8, 1
	s_cmp_ge_u32 s21, s15
	s_cselect_b32 s8, s22, s8
	s_mul_i32 s21, s8, s15
	s_sub_i32 s2, s2, s21
	s_lshl_b32 s15, s8, 7
	s_lshl_b32 s2, s2, 6
	v_add_u32_e32 v0, s2, v10
	v_add_u32_e32 v6, s15, v10
	v_mad_i64_i32 v[0:1], s[8:9], v0, s9, 0
	v_mad_i64_i32 v[4:5], s[8:9], v6, s20, 0
	v_add_u32_e32 v6, 64, v6
	v_mad_i64_i32 v[6:7], s[8:9], v6, s20, 0
	v_lshl_add_u64 v[24:25], v[0:1], 1, s[18:19]
	v_lshl_add_u64 v[8:9], v[4:5], 1, v[2:3]
	;; [unrolled: 1-line block ×4, first 2 shown]
	flat_load_ushort v11, v[8:9]
	flat_load_ushort v12, v[2:3]
	;; [unrolled: 1-line block ×3, first 2 shown]
	flat_load_ushort v32, v[2:3] offset:8
	flat_load_ushort v33, v[8:9] offset:8
	;; [unrolled: 1-line block ×3, first 2 shown]
	v_add_u32_e32 v42, 0x800, v41
	v_lshl_or_b32 v43, v10, 3, v26
	s_cmp_lt_i32 s14, 9
	s_waitcnt vmcnt(0) lgkmcnt(0)
	ds_write_b16 v43, v11
	ds_write_b16 v43, v12 offset:512
	ds_write_b16 v43, v13 offset:2048
	s_waitcnt lgkmcnt(0)
	s_barrier
	ds_read2_b64 v[0:3], v42 offset0:48 offset1:56
	ds_read2_b64 v[8:11], v38 offset1:32
	ds_read2_b64 v[12:15], v38 offset0:64 offset1:96
	ds_read2_b64 v[16:19], v42 offset1:8
	ds_read2_b64 v[20:23], v42 offset0:16 offset1:24
	ds_read2_b64 v[28:31], v42 offset0:32 offset1:40
	s_waitcnt lgkmcnt(4)
	v_pk_max_f16 v8, v8, v8
	v_pk_max_f16 v2, v2, v2
	;; [unrolled: 1-line block ×3, first 2 shown]
	s_waitcnt lgkmcnt(3)
	v_pk_max_f16 v12, v12, v12
	s_waitcnt lgkmcnt(2)
	v_pk_max_f16 v16, v16, v16
	v_pk_max_f16 v14, v14, v14
	v_pk_max_f16 v18, v18, v18
	s_waitcnt lgkmcnt(1)
	v_pk_max_f16 v20, v20, v20
	v_pk_max_f16 v22, v22, v22
	s_waitcnt lgkmcnt(0)
	v_pk_max_f16 v28, v28, v28
	v_pk_max_f16 v30, v30, v30
	;; [unrolled: 1-line block ×5, first 2 shown]
	v_pk_min_f16 v51, v2, v8
	v_pk_max_f16 v11, v11, v11
	v_pk_min_f16 v35, v16, v8
	v_pk_min_f16 v36, v16, v10
	;; [unrolled: 1-line block ×31, first 2 shown]
	v_pk_add_f16 v14, v51, 0
	v_pk_min_f16 v51, v3, v9
	v_pk_max_f16 v13, v13, v13
	v_pk_add_f16 v66, v51, v14
	v_pk_add_f16 v14, v52, 0
	v_pk_min_f16 v51, v3, v11
	v_pk_max_f16 v17, v17, v17
	v_pk_add_f16 v61, v51, v14
	;; [unrolled: 4-line block ×9, first 2 shown]
	v_pk_add_f16 v14, v46, 0
	v_pk_min_f16 v16, v19, v13
	v_pk_add_f16 v8, v8, 0
	v_pk_add_f16 v60, v16, v14
	v_pk_add_f16 v14, v18, 0
	v_pk_min_f16 v16, v19, v15
	v_pk_add_f16 v17, v71, 0
	v_pk_add_f16 v52, v16, v14
	;; [unrolled: 4-line block ×5, first 2 shown]
	v_pk_add_f16 v14, v20, 0
	v_pk_min_f16 v16, v21, v15
	v_pk_min_f16 v20, v29, v15
	v_pk_add_f16 v49, v16, v14
	v_pk_add_f16 v14, v50, 0
	v_pk_min_f16 v16, v23, v9
	v_pk_add_f16 v19, v30, 0
	v_pk_add_f16 v76, v16, v14
	v_pk_add_f16 v14, v53, 0
	v_pk_min_f16 v16, v23, v11
	v_pk_add_f16 v12, v12, 0
	;; [unrolled: 4-line block ×3, first 2 shown]
	v_pk_add_f16 v59, v16, v14
	v_pk_add_f16 v14, v22, 0
	v_pk_min_f16 v16, v23, v15
	ds_write_b16 v43, v34 offset:2560
	ds_write_b16 v43, v33 offset:1024
	;; [unrolled: 1-line block ×3, first 2 shown]
	v_pk_add_f16 v50, v16, v14
	v_pk_add_f16 v14, v58, 0
	v_pk_min_f16 v16, v29, v9
	s_waitcnt lgkmcnt(0)
	v_pk_add_f16 v72, v16, v14
	v_pk_add_f16 v14, v62, 0
	v_pk_min_f16 v16, v29, v11
	s_barrier
	v_pk_add_f16 v65, v16, v14
	v_pk_add_f16 v14, v69, 0
	v_pk_min_f16 v16, v29, v13
	s_nop 0
	v_pk_add_f16 v58, v16, v14
	v_pk_add_f16 v14, v28, 0
	;; [unrolled: 1-line block ×4, first 2 shown]
	v_pk_min_f16 v14, v31, v9
	v_pk_min_f16 v9, v1, v9
	v_pk_add_f16 v75, v14, v16
	v_pk_min_f16 v14, v31, v11
	v_pk_add_f16 v83, v9, v8
	;; [unrolled: 2-line block ×4, first 2 shown]
	v_pk_min_f16 v8, v1, v13
	v_pk_min_f16 v1, v1, v15
	v_pk_add_f16 v62, v14, v18
	v_pk_min_f16 v14, v31, v15
	v_pk_add_f16 v71, v1, v0
	;; [unrolled: 2-line block ×3, first 2 shown]
	v_pk_add_f16 v78, v8, v12
	v_pk_add_f16 v70, v0, v2
	s_cbranch_scc1 .LBB289_12
; %bb.10:
	v_mov_b32_e32 v0, 0xa00
	v_lshl_add_u32 v47, v39, 3, v0
	v_mov_b32_e32 v0, 0x400
	v_add_u32_e32 v44, 0x800, v43
	v_add_u32_e32 v45, 0xa00, v43
	;; [unrolled: 1-line block ×3, first 2 shown]
	s_add_i32 s8, s14, -8
	v_lshl_add_u32 v48, v40, 3, v0
	v_lshl_add_u64 v[28:29], v[6:7], 1, s[16:17]
	v_lshl_add_u64 v[30:31], v[4:5], 1, s[16:17]
	s_mov_b32 s9, 0
.LBB289_11:                             ; =>This Inner Loop Header: Depth=1
	v_lshl_add_u64 v[32:33], v[24:25], 0, v[26:27]
	flat_load_ushort v80, v[32:33] offset:16
	v_lshl_add_u64 v[34:35], v[30:31], 0, v[26:27]
	flat_load_ushort v81, v[34:35] offset:16
	;; [unrolled: 2-line block ×3, first 2 shown]
	ds_read2_b64 v[0:3], v47 offset0:48 offset1:56
	ds_read2_b64 v[4:7], v48 offset0:64 offset1:96
	ds_read2_b64 v[20:23], v48 offset1:32
	ds_read2_b64 v[16:19], v47 offset1:8
	ds_read2_b64 v[12:15], v47 offset0:16 offset1:24
	s_waitcnt lgkmcnt(0)
	v_pk_max_f16 v2, v2, v2
	v_pk_max_f16 v4, v4, v4
	;; [unrolled: 1-line block ×4, first 2 shown]
	v_pk_min_f16 v8, v2, v20
	v_pk_max_f16 v6, v6, v6
	v_pk_add_f16 v66, v8, v66
	v_pk_min_f16 v8, v2, v22
	v_pk_max_f16 v0, v0, v0
	v_pk_add_f16 v61, v8, v61
	v_pk_min_f16 v8, v2, v4
	v_pk_max_f16 v5, v5, v5
	v_pk_add_f16 v55, v8, v55
	v_pk_max_f16 v8, v16, v16
	v_pk_max_f16 v17, v17, v17
	v_pk_min_f16 v9, v8, v20
	v_pk_max_f16 v7, v7, v7
	v_pk_add_f16 v16, v9, v74
	v_pk_min_f16 v9, v8, v22
	v_pk_max_f16 v13, v13, v13
	v_pk_add_f16 v63, v9, v63
	v_pk_min_f16 v9, v8, v4
	v_pk_min_f16 v8, v8, v6
	v_pk_add_f16 v56, v9, v56
	v_pk_add_f16 v51, v8, v51
	v_pk_max_f16 v8, v18, v18
	v_pk_max_f16 v1, v1, v1
	v_pk_min_f16 v9, v8, v20
	s_add_i32 s9, s9, 8
	v_pk_add_f16 v18, v9, v77
	v_pk_min_f16 v9, v8, v22
	v_lshl_add_u64 v[28:29], v[28:29], 0, 16
	v_pk_add_f16 v68, v9, v68
	v_pk_min_f16 v9, v8, v4
	v_pk_min_f16 v8, v8, v6
	v_pk_add_f16 v60, v9, v60
	v_pk_add_f16 v52, v8, v52
	v_pk_max_f16 v8, v12, v12
	v_lshl_add_u64 v[30:31], v[30:31], 0, 16
	v_pk_min_f16 v9, v8, v20
	v_lshl_add_u64 v[24:25], v[24:25], 0, 16
	v_pk_add_f16 v12, v9, v73
	v_pk_min_f16 v9, v8, v22
	s_cmp_ge_i32 s9, s8
	v_pk_add_f16 v64, v9, v64
	v_pk_min_f16 v9, v8, v4
	v_pk_min_f16 v8, v8, v6
	v_pk_add_f16 v57, v9, v57
	v_pk_add_f16 v49, v8, v49
	v_pk_max_f16 v8, v14, v14
	s_nop 0
	v_pk_min_f16 v9, v8, v20
	s_nop 0
	v_pk_add_f16 v14, v9, v76
	v_pk_min_f16 v9, v8, v22
	s_nop 0
	v_pk_add_f16 v67, v9, v67
	v_pk_min_f16 v9, v8, v4
	v_pk_min_f16 v8, v8, v6
	v_pk_add_f16 v59, v9, v59
	v_pk_add_f16 v50, v8, v50
	ds_read2_b64 v[8:11], v47 offset0:32 offset1:40
	s_waitcnt vmcnt(0)
	ds_write_b16 v44, v80
	ds_write_b16 v43, v81
	ds_write_b16 v43, v82 offset:512
	s_waitcnt lgkmcnt(3)
	v_pk_max_f16 v8, v8, v8
	v_pk_max_f16 v10, v10, v10
	v_pk_min_f16 v73, v8, v20
	v_pk_max_f16 v9, v9, v9
	v_pk_add_f16 v72, v73, v72
	v_pk_min_f16 v73, v8, v22
	s_waitcnt lgkmcnt(0)
	v_pk_add_f16 v65, v73, v65
	v_pk_min_f16 v73, v8, v4
	v_pk_min_f16 v8, v8, v6
	v_pk_add_f16 v58, v73, v58
	v_pk_min_f16 v73, v10, v22
	v_pk_add_f16 v8, v8, v53
	;; [unrolled: 2-line block ×3, first 2 shown]
	v_pk_min_f16 v73, v10, v4
	v_pk_min_f16 v10, v10, v6
	;; [unrolled: 1-line block ×6, first 2 shown]
	v_pk_add_f16 v10, v10, v54
	v_pk_add_f16 v54, v0, v71
	v_pk_min_f16 v0, v2, v6
	v_pk_max_f16 v2, v3, v3
	v_pk_max_f16 v3, v21, v21
	;; [unrolled: 1-line block ×3, first 2 shown]
	v_pk_min_f16 v6, v2, v3
	v_pk_min_f16 v23, v2, v21
	v_pk_add_f16 v6, v6, v66
	v_pk_add_f16 v61, v23, v61
	v_pk_min_f16 v23, v2, v5
	v_pk_add_f16 v0, v0, v70
	v_pk_add_f16 v55, v23, v55
	;; [unrolled: 3-line block ×3, first 2 shown]
	v_pk_min_f16 v16, v17, v21
	s_barrier
	v_pk_add_f16 v63, v16, v63
	v_pk_min_f16 v16, v17, v5
	s_nop 0
	v_pk_add_f16 v56, v16, v56
	v_pk_min_f16 v16, v17, v7
	flat_load_ushort v80, v[32:33] offset:24
	flat_load_ushort v81, v[34:35] offset:24
	;; [unrolled: 1-line block ×3, first 2 shown]
	v_pk_add_f16 v51, v16, v51
	v_pk_max_f16 v16, v19, v19
	v_pk_add_f16 v20, v20, v83
	v_pk_min_f16 v17, v16, v3
	v_pk_add_f16 v22, v22, v79
	v_pk_add_f16 v70, v17, v18
	v_pk_min_f16 v17, v16, v21
	v_pk_add_f16 v53, v53, v75
	v_pk_add_f16 v68, v17, v68
	v_pk_min_f16 v17, v16, v5
	v_pk_min_f16 v16, v16, v7
	v_pk_add_f16 v4, v4, v78
	v_pk_add_f16 v52, v16, v52
	v_pk_min_f16 v16, v13, v3
	v_pk_add_f16 v60, v17, v60
	v_pk_add_f16 v71, v16, v12
	v_pk_min_f16 v12, v13, v21
	s_nop 0
	v_pk_add_f16 v64, v12, v64
	v_pk_min_f16 v12, v13, v5
	s_nop 0
	;; [unrolled: 3-line block ×3, first 2 shown]
	v_pk_add_f16 v49, v12, v49
	v_pk_max_f16 v12, v15, v15
	s_nop 0
	v_pk_min_f16 v13, v12, v3
	s_nop 0
	v_pk_add_f16 v73, v13, v14
	v_pk_min_f16 v13, v12, v21
	s_nop 0
	v_pk_add_f16 v67, v13, v67
	v_pk_min_f16 v13, v12, v5
	v_pk_min_f16 v12, v12, v7
	v_pk_add_f16 v59, v13, v59
	v_pk_add_f16 v50, v12, v50
	v_pk_min_f16 v12, v9, v3
	s_nop 0
	v_pk_add_f16 v72, v12, v72
	v_pk_min_f16 v12, v9, v21
	s_nop 0
	v_pk_add_f16 v65, v12, v65
	v_pk_min_f16 v12, v9, v5
	v_pk_min_f16 v9, v9, v7
	v_pk_add_f16 v58, v12, v58
	v_pk_add_f16 v74, v9, v8
	v_pk_max_f16 v8, v11, v11
	s_nop 0
	v_pk_min_f16 v9, v8, v3
	v_pk_min_f16 v3, v1, v3
	v_pk_add_f16 v53, v9, v53
	v_pk_add_f16 v76, v3, v20
	v_pk_min_f16 v3, v1, v21
	v_pk_min_f16 v9, v8, v21
	v_pk_add_f16 v77, v3, v22
	v_pk_min_f16 v3, v1, v5
	v_pk_min_f16 v1, v1, v7
	v_pk_add_f16 v78, v3, v4
	v_pk_add_f16 v54, v1, v54
	v_pk_min_f16 v1, v2, v7
	v_pk_add_f16 v69, v9, v69
	v_pk_add_f16 v79, v1, v0
	ds_read2_b64 v[0:3], v42 offset0:48 offset1:56
	ds_read2_b64 v[12:15], v38 offset0:64 offset1:96
	ds_read2_b64 v[20:23], v38 offset1:32
	ds_read2_b64 v[16:19], v42 offset1:8
	v_pk_min_f16 v9, v8, v5
	s_waitcnt lgkmcnt(0)
	v_pk_max_f16 v32, v2, v2
	v_pk_max_f16 v12, v12, v12
	v_pk_max_f16 v20, v20, v20
	v_pk_min_f16 v8, v8, v7
	v_pk_min_f16 v2, v32, v20
	v_pk_max_f16 v14, v14, v14
	v_pk_add_f16 v33, v2, v6
	v_pk_max_f16 v2, v22, v22
	v_pk_add_f16 v62, v9, v62
	v_pk_min_f16 v4, v32, v2
	v_pk_add_f16 v75, v8, v10
	v_pk_add_f16 v22, v4, v61
	v_pk_min_f16 v4, v32, v12
	ds_read2_b64 v[8:11], v42 offset0:16 offset1:24
	v_pk_add_f16 v34, v4, v55
	v_pk_max_f16 v4, v16, v16
	v_pk_max_f16 v0, v0, v0
	v_pk_min_f16 v5, v4, v20
	v_pk_max_f16 v3, v3, v3
	v_pk_add_f16 v16, v5, v66
	v_pk_min_f16 v5, v4, v2
	v_pk_max_f16 v13, v13, v13
	v_pk_add_f16 v35, v5, v63
	v_pk_min_f16 v5, v4, v12
	v_pk_min_f16 v4, v4, v14
	v_pk_add_f16 v36, v5, v56
	v_pk_add_f16 v37, v4, v51
	v_pk_max_f16 v4, v18, v18
	v_pk_max_f16 v17, v17, v17
	v_pk_min_f16 v5, v4, v20
	s_waitcnt lgkmcnt(0)
	v_pk_max_f16 v9, v9, v9
	v_pk_add_f16 v18, v5, v70
	v_pk_min_f16 v5, v4, v2
	v_pk_max_f16 v1, v1, v1
	v_pk_add_f16 v68, v5, v68
	v_pk_min_f16 v5, v4, v12
	v_pk_min_f16 v4, v4, v14
	v_pk_add_f16 v60, v5, v60
	v_pk_add_f16 v52, v4, v52
	v_pk_max_f16 v4, v8, v8
	s_nop 0
	v_pk_min_f16 v5, v4, v20
	s_nop 0
	v_pk_add_f16 v70, v5, v71
	v_pk_min_f16 v5, v4, v2
	s_nop 0
	v_pk_add_f16 v64, v5, v64
	v_pk_min_f16 v5, v4, v12
	v_pk_min_f16 v4, v4, v14
	v_pk_add_f16 v57, v5, v57
	v_pk_add_f16 v49, v4, v49
	v_pk_max_f16 v4, v10, v10
	v_pk_max_f16 v10, v21, v21
	v_pk_min_f16 v5, v4, v20
	s_nop 0
	v_pk_add_f16 v71, v5, v73
	v_pk_min_f16 v5, v4, v2
	s_nop 0
	v_pk_add_f16 v67, v5, v67
	v_pk_min_f16 v5, v4, v12
	v_pk_min_f16 v4, v4, v14
	v_pk_add_f16 v59, v5, v59
	v_pk_add_f16 v50, v4, v50
	ds_read2_b64 v[4:7], v42 offset0:32 offset1:40
	s_waitcnt vmcnt(0)
	ds_write_b16 v45, v80
	ds_write_b16 v46, v81
	ds_write_b16 v46, v82 offset:512
	s_waitcnt lgkmcnt(0)
	s_barrier
	v_pk_max_f16 v4, v4, v4
	v_pk_max_f16 v5, v5, v5
	v_pk_min_f16 v8, v4, v20
	s_nop 0
	v_pk_add_f16 v72, v8, v72
	v_pk_min_f16 v8, v4, v2
	s_nop 0
	v_pk_add_f16 v65, v8, v65
	v_pk_min_f16 v8, v4, v12
	v_pk_min_f16 v4, v4, v14
	v_pk_add_f16 v58, v8, v58
	v_pk_add_f16 v83, v4, v74
	v_pk_max_f16 v4, v6, v6
	s_nop 0
	v_pk_min_f16 v6, v4, v20
	s_nop 0
	v_pk_add_f16 v84, v6, v53
	v_pk_min_f16 v6, v4, v2
	v_pk_min_f16 v2, v0, v2
	v_pk_add_f16 v69, v6, v69
	v_pk_min_f16 v6, v4, v12
	v_pk_min_f16 v4, v4, v14
	v_pk_add_f16 v62, v6, v62
	v_pk_add_f16 v6, v2, v77
	v_pk_min_f16 v2, v0, v12
	v_pk_min_f16 v12, v3, v10
	v_pk_add_f16 v85, v4, v75
	v_pk_min_f16 v4, v0, v20
	v_pk_min_f16 v0, v0, v14
	v_pk_add_f16 v66, v12, v33
	v_pk_max_f16 v12, v23, v23
	v_pk_add_f16 v8, v4, v76
	v_pk_add_f16 v4, v2, v78
	;; [unrolled: 1-line block ×3, first 2 shown]
	v_pk_min_f16 v0, v32, v14
	v_pk_min_f16 v14, v3, v12
	v_pk_add_f16 v0, v0, v79
	v_pk_add_f16 v61, v14, v22
	v_pk_min_f16 v14, v3, v13
	s_nop 0
	v_pk_add_f16 v55, v14, v34
	v_pk_min_f16 v14, v17, v10
	s_nop 0
	;; [unrolled: 3-line block ×4, first 2 shown]
	v_pk_add_f16 v56, v14, v36
	v_pk_max_f16 v14, v15, v15
	s_nop 0
	v_pk_min_f16 v15, v17, v14
	s_nop 0
	v_pk_add_f16 v51, v15, v37
	v_pk_max_f16 v15, v19, v19
	s_nop 0
	v_pk_min_f16 v16, v15, v10
	s_nop 0
	v_pk_add_f16 v77, v16, v18
	v_pk_min_f16 v16, v15, v12
	s_nop 0
	v_pk_add_f16 v68, v16, v68
	v_pk_min_f16 v16, v15, v13
	v_pk_min_f16 v15, v15, v14
	v_pk_add_f16 v60, v16, v60
	v_pk_add_f16 v52, v15, v52
	v_pk_min_f16 v15, v9, v10
	s_nop 0
	v_pk_add_f16 v73, v15, v70
	v_pk_min_f16 v15, v9, v12
	s_nop 0
	v_pk_add_f16 v64, v15, v64
	v_pk_min_f16 v15, v9, v13
	v_pk_min_f16 v9, v9, v14
	v_pk_add_f16 v57, v15, v57
	v_pk_add_f16 v49, v9, v49
	v_pk_max_f16 v9, v11, v11
	s_nop 0
	v_pk_min_f16 v11, v9, v10
	s_nop 0
	v_pk_add_f16 v76, v11, v71
	v_pk_min_f16 v11, v9, v12
	s_nop 0
	v_pk_add_f16 v67, v11, v67
	v_pk_min_f16 v11, v9, v13
	v_pk_min_f16 v9, v9, v14
	v_pk_add_f16 v59, v11, v59
	v_pk_add_f16 v50, v9, v50
	v_pk_min_f16 v9, v5, v10
	s_nop 0
	v_pk_add_f16 v72, v9, v72
	v_pk_min_f16 v9, v5, v12
	s_nop 0
	v_pk_add_f16 v65, v9, v65
	v_pk_min_f16 v9, v5, v13
	v_pk_min_f16 v5, v5, v14
	v_pk_add_f16 v58, v9, v58
	;; [unrolled: 22-line block ×3, first 2 shown]
	v_pk_add_f16 v71, v1, v2
	v_pk_min_f16 v1, v3, v14
	s_nop 0
	v_pk_add_f16 v70, v1, v0
	s_cbranch_scc0 .LBB289_11
.LBB289_12:
	s_load_dword s14, s[0:1], 0x50
	ds_read_b64 v[20:21], v38 offset:1024
	ds_read_b64 v[26:27], v41 offset:2560
	v_add_u32_e32 v28, s15, v40
	v_cmp_neq_f16_e64 s[8:9], s12, 0
	v_add_u32_e32 v16, s2, v39
	s_waitcnt lgkmcnt(0)
	v_mad_i64_i32 v[0:1], s[16:17], v28, s14, 0
	v_ashrrev_i32_e32 v17, 31, v16
	v_lshl_add_u64 v[22:23], v[0:1], 1, s[6:7]
	s_and_b64 vcc, exec, s[8:9]
	v_mov_b32_e32 v33, 0
	v_mov_b32_e32 v31, 0
	s_cbranch_vccz .LBB289_14
; %bb.13:
	v_lshl_add_u64 v[0:1], v[16:17], 1, v[22:23]
	flat_load_ushort v0, v[0:1]
	s_waitcnt vmcnt(0) lgkmcnt(0)
	v_mul_f16_e32 v31, s12, v0
.LBB289_14:
	ds_read_b64 v[24:25], v41 offset:3008
	ds_read_b64 v[18:19], v38 offset:1792
	ds_read2_b64 v[0:3], v38 offset0:160 offset1:192
	s_load_dword s15, s[0:1], 0x68
	s_load_dwordx2 s[16:17], s[0:1], 0x70
	v_add_u32_e32 v4, 0x800, v41
	v_pk_max_f16 v43, v20, v20
	v_pk_max_f16 v29, v26, v26
	ds_read2_b64 v[12:15], v4 offset0:72 offset1:80
	ds_read2_b64 v[8:11], v4 offset0:88 offset1:96
	;; [unrolled: 1-line block ×3, first 2 shown]
	s_waitcnt lgkmcnt(0)
	s_mul_i32 s0, s3, s17
	s_mul_hi_u32 s1, s3, s16
	s_add_i32 s0, s1, s0
	s_mul_i32 s1, s13, s16
	s_add_i32 s1, s0, s1
	s_mul_i32 s0, s3, s16
	v_pk_min_f16 v20, v29, v43
	v_pk_max_f16 v44, v21, v21
	v_pk_max_f16 v30, v27, v27
	s_lshl_b64 s[0:1], s[0:1], 1
	v_pk_add_f16 v20, v20, v74
	v_pk_min_f16 v21, v30, v44
	s_add_u32 s2, s10, s0
	v_pk_add_f16 v32, v21, v20
	s_addc_u32 s3, s11, s1
	v_mad_i64_i32 v[26:27], s[0:1], v28, s15, 0
	v_add_f16_sdwa v32, v32, v32 dst_sel:DWORD dst_unused:UNUSED_PAD src0_sel:DWORD src1_sel:WORD_1
	v_add_u32_e32 v20, 8, v16
	v_lshl_add_u64 v[26:27], v[26:27], 1, s[2:3]
	v_add_f16_e32 v31, v32, v31
	v_cndmask_b32_e64 v32, 0, 1, s[8:9]
	v_ashrrev_i32_e32 v21, 31, v20
	v_lshl_add_u64 v[34:35], v[16:17], 1, v[26:27]
	v_cmp_ne_u32_e64 s[0:1], 1, v32
	s_andn2_b64 vcc, exec, s[8:9]
	global_store_short v[34:35], v31, off
	s_cbranch_vccnz .LBB289_16
; %bb.15:
	v_lshl_add_u64 v[32:33], v[20:21], 1, v[22:23]
	flat_load_ushort v31, v[32:33]
	s_waitcnt vmcnt(0) lgkmcnt(0)
	v_mul_f16_e32 v33, s12, v31
.LBB289_16:
	v_pk_max_f16 v31, v12, v12
	v_pk_max_f16 v32, v13, v13
	v_pk_min_f16 v12, v31, v43
	v_pk_min_f16 v13, v32, v44
	v_pk_add_f16 v12, v12, v77
	s_and_b64 vcc, exec, s[0:1]
	v_pk_add_f16 v12, v13, v12
	v_mov_b32_e32 v37, 0
	v_add_f16_sdwa v34, v12, v12 dst_sel:DWORD dst_unused:UNUSED_PAD src0_sel:DWORD src1_sel:WORD_1
	v_add_u32_e32 v12, 16, v16
	v_add_f16_e32 v33, v34, v33
	v_lshl_add_u64 v[34:35], v[20:21], 1, v[26:27]
	v_ashrrev_i32_e32 v13, 31, v12
	global_store_short v[34:35], v33, off
	v_mov_b32_e32 v35, 0
	s_cbranch_vccnz .LBB289_18
; %bb.17:
	v_lshl_add_u64 v[34:35], v[12:13], 1, v[22:23]
	flat_load_ushort v33, v[34:35]
	s_waitcnt vmcnt(0) lgkmcnt(0)
	v_mul_f16_e32 v35, s12, v33
.LBB289_18:
	v_pk_max_f16 v33, v14, v14
	v_pk_max_f16 v34, v15, v15
	v_pk_min_f16 v14, v33, v43
	v_pk_min_f16 v15, v34, v44
	v_pk_add_f16 v14, v14, v73
	v_lshl_add_u64 v[38:39], v[12:13], 1, v[26:27]
	v_pk_add_f16 v14, v15, v14
	s_and_b64 vcc, exec, s[0:1]
	v_add_f16_sdwa v36, v14, v14 dst_sel:DWORD dst_unused:UNUSED_PAD src0_sel:DWORD src1_sel:WORD_1
	v_add_u32_e32 v14, 24, v16
	v_ashrrev_i32_e32 v15, 31, v14
	v_add_f16_e32 v35, v36, v35
	global_store_short v[38:39], v35, off
	s_cbranch_vccnz .LBB289_20
; %bb.19:
	v_lshl_add_u64 v[36:37], v[14:15], 1, v[22:23]
	flat_load_ushort v35, v[36:37]
	s_waitcnt vmcnt(0) lgkmcnt(0)
	v_mul_f16_e32 v37, s12, v35
.LBB289_20:
	v_pk_max_f16 v35, v8, v8
	v_pk_max_f16 v36, v9, v9
	v_pk_min_f16 v8, v35, v43
	v_pk_min_f16 v9, v36, v44
	v_pk_add_f16 v8, v8, v76
	s_and_b64 vcc, exec, s[0:1]
	v_pk_add_f16 v8, v9, v8
	v_mov_b32_e32 v41, 0
	v_add_f16_sdwa v38, v8, v8 dst_sel:DWORD dst_unused:UNUSED_PAD src0_sel:DWORD src1_sel:WORD_1
	v_add_u32_e32 v8, 32, v16
	v_add_f16_e32 v37, v38, v37
	v_lshl_add_u64 v[38:39], v[14:15], 1, v[26:27]
	v_ashrrev_i32_e32 v9, 31, v8
	global_store_short v[38:39], v37, off
	v_mov_b32_e32 v39, 0
	s_cbranch_vccnz .LBB289_22
; %bb.21:
	v_lshl_add_u64 v[38:39], v[8:9], 1, v[22:23]
	flat_load_ushort v37, v[38:39]
	s_waitcnt vmcnt(0) lgkmcnt(0)
	v_mul_f16_e32 v39, s12, v37
.LBB289_22:
	v_pk_max_f16 v37, v10, v10
	v_pk_max_f16 v38, v11, v11
	v_pk_min_f16 v10, v37, v43
	v_pk_min_f16 v11, v38, v44
	v_pk_add_f16 v10, v10, v72
	v_lshl_add_u64 v[46:47], v[8:9], 1, v[26:27]
	v_pk_add_f16 v10, v11, v10
	s_and_b64 vcc, exec, s[0:1]
	v_add_f16_sdwa v40, v10, v10 dst_sel:DWORD dst_unused:UNUSED_PAD src0_sel:DWORD src1_sel:WORD_1
	v_add_u32_e32 v10, 40, v16
	v_ashrrev_i32_e32 v11, 31, v10
	v_add_f16_e32 v39, v40, v39
	global_store_short v[46:47], v39, off
	s_cbranch_vccnz .LBB289_24
; %bb.23:
	v_lshl_add_u64 v[40:41], v[10:11], 1, v[22:23]
	flat_load_ushort v39, v[40:41]
	s_waitcnt vmcnt(0) lgkmcnt(0)
	v_mul_f16_e32 v41, s12, v39
.LBB289_24:
	v_pk_max_f16 v39, v4, v4
	v_pk_max_f16 v40, v5, v5
	v_pk_min_f16 v4, v39, v43
	v_pk_min_f16 v5, v40, v44
	v_pk_add_f16 v4, v4, v75
	v_lshl_add_u64 v[46:47], v[10:11], 1, v[26:27]
	v_pk_add_f16 v4, v5, v4
	s_and_b64 vcc, exec, s[0:1]
	v_add_f16_sdwa v42, v4, v4 dst_sel:DWORD dst_unused:UNUSED_PAD src0_sel:DWORD src1_sel:WORD_1
	v_add_u32_e32 v4, 48, v16
	v_add_f16_e32 v41, v42, v41
	v_ashrrev_i32_e32 v5, 31, v4
	global_store_short v[46:47], v41, off
	v_mov_b32_e32 v45, 0
	v_mov_b32_e32 v46, 0
	s_cbranch_vccnz .LBB289_26
; %bb.25:
	v_lshl_add_u64 v[46:47], v[4:5], 1, v[22:23]
	flat_load_ushort v41, v[46:47]
	s_waitcnt vmcnt(0) lgkmcnt(0)
	v_mul_f16_e32 v46, s12, v41
.LBB289_26:
	v_pk_max_f16 v41, v6, v6
	v_pk_max_f16 v42, v7, v7
	v_pk_min_f16 v6, v41, v43
	v_pk_min_f16 v7, v42, v44
	v_pk_add_f16 v6, v6, v83
	s_and_b64 vcc, exec, s[0:1]
	v_pk_add_f16 v6, v7, v6
	s_nop 0
	v_add_f16_sdwa v47, v6, v6 dst_sel:DWORD dst_unused:UNUSED_PAD src0_sel:DWORD src1_sel:WORD_1
	v_add_u32_e32 v6, 56, v16
	v_ashrrev_i32_e32 v7, 31, v6
	v_add_f16_e32 v48, v47, v46
	v_lshl_add_u64 v[46:47], v[4:5], 1, v[26:27]
	global_store_short v[46:47], v48, off
	s_cbranch_vccnz .LBB289_28
; %bb.27:
	v_lshl_add_u64 v[22:23], v[6:7], 1, v[22:23]
	flat_load_ushort v22, v[22:23]
	s_waitcnt vmcnt(0) lgkmcnt(0)
	v_mul_f16_e32 v45, s12, v22
.LBB289_28:
	v_pk_max_f16 v24, v24, v24
	v_pk_max_f16 v25, v25, v25
	v_pk_min_f16 v22, v24, v43
	v_pk_min_f16 v23, v25, v44
	v_pk_add_f16 v22, v22, v66
	v_add_u32_e32 v44, 32, v28
	v_pk_add_f16 v22, v23, v22
	s_and_b64 vcc, exec, s[0:1]
	v_add_f16_sdwa v22, v22, v22 dst_sel:DWORD dst_unused:UNUSED_PAD src0_sel:DWORD src1_sel:WORD_1
	v_add_f16_e32 v43, v22, v45
	v_lshl_add_u64 v[22:23], v[6:7], 1, v[26:27]
	global_store_short v[22:23], v43, off
	v_mad_i64_i32 v[22:23], s[8:9], v44, s14, 0
	v_lshl_add_u64 v[22:23], v[22:23], 1, s[6:7]
	v_mov_b32_e32 v43, 0
	v_mov_b32_e32 v45, 0
	s_cbranch_vccnz .LBB289_30
; %bb.29:
	v_lshl_add_u64 v[26:27], v[16:17], 1, v[22:23]
	flat_load_ushort v26, v[26:27]
	s_waitcnt vmcnt(0) lgkmcnt(0)
	v_mul_f16_e32 v45, s12, v26
.LBB289_30:
	v_pk_max_f16 v26, v0, v0
	v_pk_max_f16 v27, v1, v1
	v_pk_min_f16 v0, v29, v26
	v_pk_min_f16 v1, v30, v27
	v_pk_add_f16 v0, v0, v63
	s_and_b64 vcc, exec, s[0:1]
	v_pk_add_f16 v46, v1, v0
	v_mad_i64_i32 v[0:1], s[8:9], v44, s15, 0
	v_lshl_add_u64 v[0:1], v[0:1], 1, s[2:3]
	v_add_f16_sdwa v44, v46, v46 dst_sel:DWORD dst_unused:UNUSED_PAD src0_sel:DWORD src1_sel:WORD_1
	v_add_f16_e32 v46, v44, v45
	v_lshl_add_u64 v[44:45], v[16:17], 1, v[0:1]
	global_store_short v[44:45], v46, off
	s_cbranch_vccnz .LBB289_32
; %bb.31:
	v_lshl_add_u64 v[44:45], v[20:21], 1, v[22:23]
	flat_load_ushort v43, v[44:45]
	s_waitcnt vmcnt(0) lgkmcnt(0)
	v_mul_f16_e32 v43, s12, v43
.LBB289_32:
	v_pk_min_f16 v44, v31, v26
	v_pk_min_f16 v45, v32, v27
	v_pk_add_f16 v44, v44, v68
	s_and_b64 vcc, exec, s[0:1]
	v_pk_add_f16 v44, v45, v44
	s_nop 0
	v_add_f16_sdwa v44, v44, v44 dst_sel:DWORD dst_unused:UNUSED_PAD src0_sel:DWORD src1_sel:WORD_1
	v_add_f16_e32 v43, v44, v43
	v_lshl_add_u64 v[44:45], v[20:21], 1, v[0:1]
	global_store_short v[44:45], v43, off
	v_mov_b32_e32 v43, 0
	v_mov_b32_e32 v44, 0
	s_cbranch_vccnz .LBB289_34
; %bb.33:
	v_lshl_add_u64 v[44:45], v[12:13], 1, v[22:23]
	flat_load_ushort v44, v[44:45]
	s_waitcnt vmcnt(0) lgkmcnt(0)
	v_mul_f16_e32 v44, s12, v44
.LBB289_34:
	v_pk_min_f16 v45, v33, v26
	v_pk_min_f16 v46, v34, v27
	v_pk_add_f16 v45, v45, v64
	s_and_b64 vcc, exec, s[0:1]
	v_pk_add_f16 v45, v46, v45
	s_nop 0
	v_add_f16_sdwa v45, v45, v45 dst_sel:DWORD dst_unused:UNUSED_PAD src0_sel:DWORD src1_sel:WORD_1
	v_add_f16_e32 v46, v45, v44
	v_lshl_add_u64 v[44:45], v[12:13], 1, v[0:1]
	global_store_short v[44:45], v46, off
	s_cbranch_vccnz .LBB289_36
; %bb.35:
	v_lshl_add_u64 v[44:45], v[14:15], 1, v[22:23]
	flat_load_ushort v43, v[44:45]
	s_waitcnt vmcnt(0) lgkmcnt(0)
	v_mul_f16_e32 v43, s12, v43
.LBB289_36:
	v_pk_min_f16 v44, v35, v26
	v_pk_min_f16 v45, v36, v27
	v_pk_add_f16 v44, v44, v67
	s_and_b64 vcc, exec, s[0:1]
	v_pk_add_f16 v44, v45, v44
	s_nop 0
	v_add_f16_sdwa v44, v44, v44 dst_sel:DWORD dst_unused:UNUSED_PAD src0_sel:DWORD src1_sel:WORD_1
	v_add_f16_e32 v43, v44, v43
	v_lshl_add_u64 v[44:45], v[14:15], 1, v[0:1]
	global_store_short v[44:45], v43, off
	v_mov_b32_e32 v43, 0
	v_mov_b32_e32 v44, 0
	s_cbranch_vccnz .LBB289_38
; %bb.37:
	v_lshl_add_u64 v[44:45], v[8:9], 1, v[22:23]
	flat_load_ushort v44, v[44:45]
	s_waitcnt vmcnt(0) lgkmcnt(0)
	v_mul_f16_e32 v44, s12, v44
.LBB289_38:
	v_pk_min_f16 v45, v37, v26
	v_pk_min_f16 v46, v38, v27
	v_pk_add_f16 v45, v45, v65
	s_and_b64 vcc, exec, s[0:1]
	v_pk_add_f16 v45, v46, v45
	s_nop 0
	;; [unrolled: 36-line block ×3, first 2 shown]
	v_add_f16_sdwa v45, v45, v45 dst_sel:DWORD dst_unused:UNUSED_PAD src0_sel:DWORD src1_sel:WORD_1
	v_add_f16_e32 v46, v45, v44
	v_lshl_add_u64 v[44:45], v[4:5], 1, v[0:1]
	global_store_short v[44:45], v46, off
	s_cbranch_vccnz .LBB289_44
; %bb.43:
	v_lshl_add_u64 v[22:23], v[6:7], 1, v[22:23]
	flat_load_ushort v22, v[22:23]
	s_waitcnt vmcnt(0) lgkmcnt(0)
	v_mul_f16_e32 v43, s12, v22
.LBB289_44:
	v_pk_min_f16 v22, v24, v26
	v_pk_min_f16 v23, v25, v27
	v_pk_add_f16 v22, v22, v61
	v_lshl_add_u64 v[0:1], v[6:7], 1, v[0:1]
	v_pk_add_f16 v22, v23, v22
	v_add_u32_e32 v27, 64, v28
	v_add_f16_sdwa v22, v22, v22 dst_sel:DWORD dst_unused:UNUSED_PAD src0_sel:DWORD src1_sel:WORD_1
	v_add_f16_e32 v22, v22, v43
	global_store_short v[0:1], v22, off
	v_mad_i64_i32 v[0:1], s[8:9], v27, s14, 0
	v_lshl_add_u64 v[0:1], v[0:1], 1, s[6:7]
	s_and_b64 vcc, exec, s[0:1]
	v_mov_b32_e32 v26, 0
	v_mov_b32_e32 v43, 0
	s_cbranch_vccnz .LBB289_46
; %bb.45:
	v_lshl_add_u64 v[22:23], v[16:17], 1, v[0:1]
	flat_load_ushort v22, v[22:23]
	s_waitcnt vmcnt(0) lgkmcnt(0)
	v_mul_f16_e32 v43, s12, v22
.LBB289_46:
	v_pk_max_f16 v22, v2, v2
	v_pk_max_f16 v23, v3, v3
	v_pk_min_f16 v2, v29, v22
	v_pk_min_f16 v3, v30, v23
	v_pk_add_f16 v2, v2, v56
	s_and_b64 vcc, exec, s[0:1]
	v_pk_add_f16 v44, v3, v2
	v_mad_i64_i32 v[2:3], s[8:9], v27, s15, 0
	v_lshl_add_u64 v[2:3], v[2:3], 1, s[2:3]
	v_add_f16_sdwa v27, v44, v44 dst_sel:DWORD dst_unused:UNUSED_PAD src0_sel:DWORD src1_sel:WORD_1
	v_add_f16_e32 v27, v27, v43
	v_lshl_add_u64 v[44:45], v[16:17], 1, v[2:3]
	global_store_short v[44:45], v27, off
	s_cbranch_vccnz .LBB289_48
; %bb.47:
	v_lshl_add_u64 v[26:27], v[20:21], 1, v[0:1]
	flat_load_ushort v26, v[26:27]
	s_waitcnt vmcnt(0) lgkmcnt(0)
	v_mul_f16_e32 v26, s12, v26
.LBB289_48:
	v_pk_min_f16 v27, v31, v22
	v_pk_min_f16 v43, v32, v23
	v_pk_add_f16 v27, v27, v60
	s_and_b64 vcc, exec, s[0:1]
	v_pk_add_f16 v27, v43, v27
	s_nop 0
	v_add_f16_sdwa v27, v27, v27 dst_sel:DWORD dst_unused:UNUSED_PAD src0_sel:DWORD src1_sel:WORD_1
	v_add_f16_e32 v43, v27, v26
	v_lshl_add_u64 v[26:27], v[20:21], 1, v[2:3]
	global_store_short v[26:27], v43, off
	v_mov_b32_e32 v26, 0
	v_mov_b32_e32 v27, 0
	s_cbranch_vccnz .LBB289_50
; %bb.49:
	v_lshl_add_u64 v[44:45], v[12:13], 1, v[0:1]
	flat_load_ushort v27, v[44:45]
	s_waitcnt vmcnt(0) lgkmcnt(0)
	v_mul_f16_e32 v27, s12, v27
.LBB289_50:
	v_pk_min_f16 v43, v33, v22
	v_pk_min_f16 v44, v34, v23
	v_pk_add_f16 v43, v43, v57
	s_and_b64 vcc, exec, s[0:1]
	v_pk_add_f16 v43, v44, v43
	v_lshl_add_u64 v[44:45], v[12:13], 1, v[2:3]
	v_add_f16_sdwa v43, v43, v43 dst_sel:DWORD dst_unused:UNUSED_PAD src0_sel:DWORD src1_sel:WORD_1
	v_add_f16_e32 v27, v43, v27
	global_store_short v[44:45], v27, off
	s_cbranch_vccnz .LBB289_52
; %bb.51:
	v_lshl_add_u64 v[26:27], v[14:15], 1, v[0:1]
	flat_load_ushort v26, v[26:27]
	s_waitcnt vmcnt(0) lgkmcnt(0)
	v_mul_f16_e32 v26, s12, v26
.LBB289_52:
	v_pk_min_f16 v27, v35, v22
	v_pk_min_f16 v43, v36, v23
	v_pk_add_f16 v27, v27, v59
	s_and_b64 vcc, exec, s[0:1]
	v_pk_add_f16 v27, v43, v27
	s_nop 0
	v_add_f16_sdwa v27, v27, v27 dst_sel:DWORD dst_unused:UNUSED_PAD src0_sel:DWORD src1_sel:WORD_1
	v_add_f16_e32 v43, v27, v26
	v_lshl_add_u64 v[26:27], v[14:15], 1, v[2:3]
	global_store_short v[26:27], v43, off
	v_mov_b32_e32 v26, 0
	v_mov_b32_e32 v27, 0
	s_cbranch_vccnz .LBB289_54
; %bb.53:
	v_lshl_add_u64 v[44:45], v[8:9], 1, v[0:1]
	flat_load_ushort v27, v[44:45]
	s_waitcnt vmcnt(0) lgkmcnt(0)
	v_mul_f16_e32 v27, s12, v27
.LBB289_54:
	v_pk_min_f16 v43, v37, v22
	v_pk_min_f16 v44, v38, v23
	v_pk_add_f16 v43, v43, v58
	s_and_b64 vcc, exec, s[0:1]
	v_pk_add_f16 v43, v44, v43
	v_lshl_add_u64 v[44:45], v[8:9], 1, v[2:3]
	v_add_f16_sdwa v43, v43, v43 dst_sel:DWORD dst_unused:UNUSED_PAD src0_sel:DWORD src1_sel:WORD_1
	v_add_f16_e32 v27, v43, v27
	global_store_short v[44:45], v27, off
	s_cbranch_vccnz .LBB289_56
; %bb.55:
	v_lshl_add_u64 v[26:27], v[10:11], 1, v[0:1]
	flat_load_ushort v26, v[26:27]
	s_waitcnt vmcnt(0) lgkmcnt(0)
	v_mul_f16_e32 v26, s12, v26
.LBB289_56:
	v_pk_min_f16 v27, v39, v22
	v_pk_min_f16 v43, v40, v23
	v_pk_add_f16 v27, v27, v62
	s_and_b64 vcc, exec, s[0:1]
	v_pk_add_f16 v27, v43, v27
	s_nop 0
	v_add_f16_sdwa v27, v27, v27 dst_sel:DWORD dst_unused:UNUSED_PAD src0_sel:DWORD src1_sel:WORD_1
	v_add_f16_e32 v43, v27, v26
	v_lshl_add_u64 v[26:27], v[10:11], 1, v[2:3]
	global_store_short v[26:27], v43, off
	v_mov_b32_e32 v26, 0
	v_mov_b32_e32 v27, 0
	s_cbranch_vccnz .LBB289_58
; %bb.57:
	v_lshl_add_u64 v[44:45], v[4:5], 1, v[0:1]
	flat_load_ushort v27, v[44:45]
	s_waitcnt vmcnt(0) lgkmcnt(0)
	v_mul_f16_e32 v27, s12, v27
.LBB289_58:
	v_pk_min_f16 v43, v41, v22
	v_pk_min_f16 v44, v42, v23
	v_pk_add_f16 v43, v43, v78
	s_and_b64 vcc, exec, s[0:1]
	v_pk_add_f16 v43, v44, v43
	v_lshl_add_u64 v[44:45], v[4:5], 1, v[2:3]
	v_add_f16_sdwa v43, v43, v43 dst_sel:DWORD dst_unused:UNUSED_PAD src0_sel:DWORD src1_sel:WORD_1
	v_add_f16_e32 v27, v43, v27
	global_store_short v[44:45], v27, off
	s_cbranch_vccnz .LBB289_60
; %bb.59:
	v_lshl_add_u64 v[0:1], v[6:7], 1, v[0:1]
	flat_load_ushort v0, v[0:1]
	s_waitcnt vmcnt(0) lgkmcnt(0)
	v_mul_f16_e32 v26, s12, v0
.LBB289_60:
	v_pk_min_f16 v0, v24, v22
	v_pk_min_f16 v1, v25, v23
	v_pk_add_f16 v0, v0, v55
	s_and_b64 vcc, exec, s[0:1]
	v_pk_add_f16 v0, v1, v0
	v_mov_b32_e32 v23, 0
	v_add_f16_sdwa v0, v0, v0 dst_sel:DWORD dst_unused:UNUSED_PAD src0_sel:DWORD src1_sel:WORD_1
	v_add_f16_e32 v22, v0, v26
	v_lshl_add_u64 v[0:1], v[6:7], 1, v[2:3]
	v_add_u32_e32 v2, 0x60, v28
	global_store_short v[0:1], v22, off
	v_mad_i64_i32 v[0:1], s[8:9], v2, s14, 0
	v_lshl_add_u64 v[0:1], v[0:1], 1, s[6:7]
	v_mov_b32_e32 v22, 0
	s_cbranch_vccnz .LBB289_62
; %bb.61:
	v_lshl_add_u64 v[26:27], v[16:17], 1, v[0:1]
	flat_load_ushort v3, v[26:27]
	s_waitcnt vmcnt(0) lgkmcnt(0)
	v_mul_f16_e32 v23, s12, v3
.LBB289_62:
	v_pk_max_f16 v18, v18, v18
	v_pk_max_f16 v19, v19, v19
	v_pk_min_f16 v3, v29, v18
	v_pk_min_f16 v26, v30, v19
	v_pk_add_f16 v3, v3, v51
	s_and_b64 vcc, exec, s[0:1]
	v_pk_add_f16 v26, v26, v3
	v_mad_i64_i32 v[2:3], s[6:7], v2, s15, 0
	v_lshl_add_u64 v[2:3], v[2:3], 1, s[2:3]
	v_add_f16_sdwa v26, v26, v26 dst_sel:DWORD dst_unused:UNUSED_PAD src0_sel:DWORD src1_sel:WORD_1
	v_add_f16_e32 v23, v26, v23
	v_lshl_add_u64 v[16:17], v[16:17], 1, v[2:3]
	global_store_short v[16:17], v23, off
	s_cbranch_vccnz .LBB289_64
; %bb.63:
	v_lshl_add_u64 v[16:17], v[20:21], 1, v[0:1]
	flat_load_ushort v16, v[16:17]
	s_waitcnt vmcnt(0) lgkmcnt(0)
	v_mul_f16_e32 v22, s12, v16
.LBB289_64:
	v_pk_min_f16 v16, v31, v18
	v_pk_min_f16 v17, v32, v19
	v_pk_add_f16 v16, v16, v52
	s_and_b64 vcc, exec, s[0:1]
	v_pk_add_f16 v16, v17, v16
	s_nop 0
	v_add_f16_sdwa v16, v16, v16 dst_sel:DWORD dst_unused:UNUSED_PAD src0_sel:DWORD src1_sel:WORD_1
	v_add_f16_e32 v22, v16, v22
	v_lshl_add_u64 v[16:17], v[20:21], 1, v[2:3]
	global_store_short v[16:17], v22, off
	v_mov_b32_e32 v16, 0
	v_mov_b32_e32 v17, 0
	s_cbranch_vccnz .LBB289_66
; %bb.65:
	v_lshl_add_u64 v[20:21], v[12:13], 1, v[0:1]
	flat_load_ushort v17, v[20:21]
	s_waitcnt vmcnt(0) lgkmcnt(0)
	v_mul_f16_e32 v17, s12, v17
.LBB289_66:
	v_pk_min_f16 v20, v33, v18
	v_pk_min_f16 v21, v34, v19
	v_pk_add_f16 v20, v20, v49
	v_lshl_add_u64 v[12:13], v[12:13], 1, v[2:3]
	v_pk_add_f16 v20, v21, v20
	s_and_b64 vcc, exec, s[0:1]
	v_add_f16_sdwa v20, v20, v20 dst_sel:DWORD dst_unused:UNUSED_PAD src0_sel:DWORD src1_sel:WORD_1
	v_add_f16_e32 v17, v20, v17
	global_store_short v[12:13], v17, off
	s_cbranch_vccnz .LBB289_68
; %bb.67:
	v_lshl_add_u64 v[12:13], v[14:15], 1, v[0:1]
	flat_load_ushort v12, v[12:13]
	s_waitcnt vmcnt(0) lgkmcnt(0)
	v_mul_f16_e32 v16, s12, v12
.LBB289_68:
	v_pk_min_f16 v12, v35, v18
	v_pk_min_f16 v13, v36, v19
	v_pk_add_f16 v12, v12, v50
	s_and_b64 vcc, exec, s[0:1]
	v_pk_add_f16 v12, v13, v12
	s_nop 0
	v_add_f16_sdwa v12, v12, v12 dst_sel:DWORD dst_unused:UNUSED_PAD src0_sel:DWORD src1_sel:WORD_1
	v_add_f16_e32 v16, v12, v16
	v_lshl_add_u64 v[12:13], v[14:15], 1, v[2:3]
	global_store_short v[12:13], v16, off
	v_mov_b32_e32 v12, 0
	v_mov_b32_e32 v13, 0
	s_cbranch_vccnz .LBB289_70
; %bb.69:
	v_lshl_add_u64 v[14:15], v[8:9], 1, v[0:1]
	flat_load_ushort v13, v[14:15]
	s_waitcnt vmcnt(0) lgkmcnt(0)
	v_mul_f16_e32 v13, s12, v13
.LBB289_70:
	v_pk_min_f16 v14, v37, v18
	v_pk_min_f16 v15, v38, v19
	v_pk_add_f16 v14, v14, v53
	v_lshl_add_u64 v[8:9], v[8:9], 1, v[2:3]
	v_pk_add_f16 v14, v15, v14
	s_and_b64 vcc, exec, s[0:1]
	v_add_f16_sdwa v14, v14, v14 dst_sel:DWORD dst_unused:UNUSED_PAD src0_sel:DWORD src1_sel:WORD_1
	v_add_f16_e32 v13, v14, v13
	global_store_short v[8:9], v13, off
	s_cbranch_vccnz .LBB289_72
; %bb.71:
	v_lshl_add_u64 v[8:9], v[10:11], 1, v[0:1]
	flat_load_ushort v8, v[8:9]
	s_waitcnt vmcnt(0) lgkmcnt(0)
	v_mul_f16_e32 v12, s12, v8
.LBB289_72:
	v_pk_min_f16 v8, v39, v18
	v_pk_min_f16 v9, v40, v19
	v_pk_add_f16 v8, v8, v54
	v_pk_min_f16 v13, v42, v19
	v_pk_add_f16 v8, v9, v8
	v_pk_min_f16 v9, v41, v18
	v_add_f16_sdwa v8, v8, v8 dst_sel:DWORD dst_unused:UNUSED_PAD src0_sel:DWORD src1_sel:WORD_1
	v_pk_add_f16 v9, v9, v71
	v_add_f16_e32 v12, v8, v12
	v_pk_add_f16 v13, v13, v9
	v_lshl_add_u64 v[8:9], v[10:11], 1, v[2:3]
	global_store_short v[8:9], v12, off
	v_add_f16_sdwa v8, v13, v13 dst_sel:DWORD dst_unused:UNUSED_PAD src0_sel:DWORD src1_sel:WORD_1
	s_mov_b64 vcc, s[4:5]
	s_cbranch_vccz .LBB289_75
; %bb.73:
	v_add_f16_e32 v9, 0, v8
	v_lshl_add_u64 v[10:11], v[4:5], 1, v[2:3]
	s_mov_b32 s2, 0
	global_store_short v[10:11], v9, off
	s_cbranch_execz .LBB289_76
; %bb.74:
	v_mov_b32_e32 v0, s2
	s_branch .LBB289_77
.LBB289_75:
                                        ; implicit-def: $sgpr2
.LBB289_76:
	v_lshlrev_b64 v[4:5], 1, v[4:5]
	v_lshl_add_u64 v[10:11], v[0:1], 0, v[4:5]
	flat_load_ushort v9, v[10:11]
	v_lshl_add_u64 v[4:5], v[2:3], 0, v[4:5]
	v_lshl_add_u64 v[0:1], v[6:7], 1, v[0:1]
	s_waitcnt vmcnt(0) lgkmcnt(0)
	v_fma_f16 v8, v9, s12, v8
	global_store_short v[4:5], v8, off
	flat_load_ushort v0, v[0:1]
	s_waitcnt vmcnt(0) lgkmcnt(0)
	v_mul_f16_e32 v0, s12, v0
.LBB289_77:
	v_pk_min_f16 v4, v24, v18
	v_pk_min_f16 v1, v25, v19
	v_pk_add_f16 v4, v4, v70
	s_nop 0
	v_pk_add_f16 v1, v1, v4
	s_nop 0
	v_add_f16_sdwa v1, v1, v1 dst_sel:DWORD dst_unused:UNUSED_PAD src0_sel:DWORD src1_sel:WORD_1
	v_add_f16_e32 v4, v1, v0
	v_lshl_add_u64 v[0:1], v[6:7], 1, v[2:3]
	global_store_short v[0:1], v4, off
	s_endpgm
	.section	.rodata,"a",@progbits
	.p2align	6, 0x0
	.amdhsa_kernel _ZN12_GLOBAL__N_120geam_min_plus_kernelIDF16_Dv2_DF16_S1_Li8ELi32ELi64ELi128ELi4ELi4ELi64ELi4ELi64ELc84ELc78ELb1ELb0ELb0EDF16_KDF16_DF16_EEviiiT16_PT17_ilS5_ilS3_S5_ilPT18_ili26rocblas_geam_ex_operation_
		.amdhsa_group_segment_fixed_size 3072
		.amdhsa_private_segment_fixed_size 0
		.amdhsa_kernarg_size 128
		.amdhsa_user_sgpr_count 2
		.amdhsa_user_sgpr_dispatch_ptr 0
		.amdhsa_user_sgpr_queue_ptr 0
		.amdhsa_user_sgpr_kernarg_segment_ptr 1
		.amdhsa_user_sgpr_dispatch_id 0
		.amdhsa_user_sgpr_kernarg_preload_length 0
		.amdhsa_user_sgpr_kernarg_preload_offset 0
		.amdhsa_user_sgpr_private_segment_size 0
		.amdhsa_uses_dynamic_stack 0
		.amdhsa_enable_private_segment 0
		.amdhsa_system_sgpr_workgroup_id_x 1
		.amdhsa_system_sgpr_workgroup_id_y 0
		.amdhsa_system_sgpr_workgroup_id_z 1
		.amdhsa_system_sgpr_workgroup_info 0
		.amdhsa_system_vgpr_workitem_id 1
		.amdhsa_next_free_vgpr 86
		.amdhsa_next_free_sgpr 24
		.amdhsa_accum_offset 88
		.amdhsa_reserve_vcc 1
		.amdhsa_float_round_mode_32 0
		.amdhsa_float_round_mode_16_64 0
		.amdhsa_float_denorm_mode_32 3
		.amdhsa_float_denorm_mode_16_64 3
		.amdhsa_dx10_clamp 1
		.amdhsa_ieee_mode 1
		.amdhsa_fp16_overflow 0
		.amdhsa_tg_split 0
		.amdhsa_exception_fp_ieee_invalid_op 0
		.amdhsa_exception_fp_denorm_src 0
		.amdhsa_exception_fp_ieee_div_zero 0
		.amdhsa_exception_fp_ieee_overflow 0
		.amdhsa_exception_fp_ieee_underflow 0
		.amdhsa_exception_fp_ieee_inexact 0
		.amdhsa_exception_int_div_zero 0
	.end_amdhsa_kernel
	.section	.text._ZN12_GLOBAL__N_120geam_min_plus_kernelIDF16_Dv2_DF16_S1_Li8ELi32ELi64ELi128ELi4ELi4ELi64ELi4ELi64ELc84ELc78ELb1ELb0ELb0EDF16_KDF16_DF16_EEviiiT16_PT17_ilS5_ilS3_S5_ilPT18_ili26rocblas_geam_ex_operation_,"axG",@progbits,_ZN12_GLOBAL__N_120geam_min_plus_kernelIDF16_Dv2_DF16_S1_Li8ELi32ELi64ELi128ELi4ELi4ELi64ELi4ELi64ELc84ELc78ELb1ELb0ELb0EDF16_KDF16_DF16_EEviiiT16_PT17_ilS5_ilS3_S5_ilPT18_ili26rocblas_geam_ex_operation_,comdat
.Lfunc_end289:
	.size	_ZN12_GLOBAL__N_120geam_min_plus_kernelIDF16_Dv2_DF16_S1_Li8ELi32ELi64ELi128ELi4ELi4ELi64ELi4ELi64ELc84ELc78ELb1ELb0ELb0EDF16_KDF16_DF16_EEviiiT16_PT17_ilS5_ilS3_S5_ilPT18_ili26rocblas_geam_ex_operation_, .Lfunc_end289-_ZN12_GLOBAL__N_120geam_min_plus_kernelIDF16_Dv2_DF16_S1_Li8ELi32ELi64ELi128ELi4ELi4ELi64ELi4ELi64ELc84ELc78ELb1ELb0ELb0EDF16_KDF16_DF16_EEviiiT16_PT17_ilS5_ilS3_S5_ilPT18_ili26rocblas_geam_ex_operation_
                                        ; -- End function
	.section	.AMDGPU.csdata,"",@progbits
; Kernel info:
; codeLenInByte = 8660
; NumSgprs: 30
; NumVgprs: 86
; NumAgprs: 0
; TotalNumVgprs: 86
; ScratchSize: 0
; MemoryBound: 0
; FloatMode: 240
; IeeeMode: 1
; LDSByteSize: 3072 bytes/workgroup (compile time only)
; SGPRBlocks: 3
; VGPRBlocks: 10
; NumSGPRsForWavesPerEU: 30
; NumVGPRsForWavesPerEU: 86
; AccumOffset: 88
; Occupancy: 5
; WaveLimiterHint : 0
; COMPUTE_PGM_RSRC2:SCRATCH_EN: 0
; COMPUTE_PGM_RSRC2:USER_SGPR: 2
; COMPUTE_PGM_RSRC2:TRAP_HANDLER: 0
; COMPUTE_PGM_RSRC2:TGID_X_EN: 1
; COMPUTE_PGM_RSRC2:TGID_Y_EN: 0
; COMPUTE_PGM_RSRC2:TGID_Z_EN: 1
; COMPUTE_PGM_RSRC2:TIDIG_COMP_CNT: 1
; COMPUTE_PGM_RSRC3_GFX90A:ACCUM_OFFSET: 21
; COMPUTE_PGM_RSRC3_GFX90A:TG_SPLIT: 0
	.section	.text._ZN12_GLOBAL__N_120geam_min_plus_kernelIDF16_Dv2_DF16_S1_Li8ELi32ELi64ELi128ELi4ELi4ELi64ELi4ELi64ELc84ELc78ELb0ELb0ELb0EDF16_KDF16_DF16_EEviiiT16_PT17_ilS5_ilS3_S5_ilPT18_ili26rocblas_geam_ex_operation_,"axG",@progbits,_ZN12_GLOBAL__N_120geam_min_plus_kernelIDF16_Dv2_DF16_S1_Li8ELi32ELi64ELi128ELi4ELi4ELi64ELi4ELi64ELc84ELc78ELb0ELb0ELb0EDF16_KDF16_DF16_EEviiiT16_PT17_ilS5_ilS3_S5_ilPT18_ili26rocblas_geam_ex_operation_,comdat
	.globl	_ZN12_GLOBAL__N_120geam_min_plus_kernelIDF16_Dv2_DF16_S1_Li8ELi32ELi64ELi128ELi4ELi4ELi64ELi4ELi64ELc84ELc78ELb0ELb0ELb0EDF16_KDF16_DF16_EEviiiT16_PT17_ilS5_ilS3_S5_ilPT18_ili26rocblas_geam_ex_operation_ ; -- Begin function _ZN12_GLOBAL__N_120geam_min_plus_kernelIDF16_Dv2_DF16_S1_Li8ELi32ELi64ELi128ELi4ELi4ELi64ELi4ELi64ELc84ELc78ELb0ELb0ELb0EDF16_KDF16_DF16_EEviiiT16_PT17_ilS5_ilS3_S5_ilPT18_ili26rocblas_geam_ex_operation_
	.p2align	8
	.type	_ZN12_GLOBAL__N_120geam_min_plus_kernelIDF16_Dv2_DF16_S1_Li8ELi32ELi64ELi128ELi4ELi4ELi64ELi4ELi64ELc84ELc78ELb0ELb0ELb0EDF16_KDF16_DF16_EEviiiT16_PT17_ilS5_ilS3_S5_ilPT18_ili26rocblas_geam_ex_operation_,@function
_ZN12_GLOBAL__N_120geam_min_plus_kernelIDF16_Dv2_DF16_S1_Li8ELi32ELi64ELi128ELi4ELi4ELi64ELi4ELi64ELc84ELc78ELb0ELb0ELb0EDF16_KDF16_DF16_EEviiiT16_PT17_ilS5_ilS3_S5_ilPT18_ili26rocblas_geam_ex_operation_: ; @_ZN12_GLOBAL__N_120geam_min_plus_kernelIDF16_Dv2_DF16_S1_Li8ELi32ELi64ELi128ELi4ELi4ELi64ELi4ELi64ELc84ELc78ELb0ELb0ELb0EDF16_KDF16_DF16_EEviiiT16_PT17_ilS5_ilS3_S5_ilPT18_ili26rocblas_geam_ex_operation_
; %bb.0:
	s_load_dwordx2 s[14:15], s[0:1], 0x8
	s_load_dwordx4 s[4:7], s[0:1], 0x20
	s_waitcnt lgkmcnt(0)
	v_cmp_eq_f16_e64 s[8:9], s15, 0
	s_and_b64 vcc, exec, s[8:9]
	s_cbranch_vccnz .LBB290_3
; %bb.1:
	s_load_dwordx2 s[10:11], s[0:1], 0x10
	s_mul_i32 s5, s3, s5
	s_mul_hi_u32 s12, s3, s4
	s_add_i32 s5, s12, s5
	s_mul_i32 s4, s3, s4
	s_lshl_b64 s[4:5], s[4:5], 1
	s_waitcnt lgkmcnt(0)
	s_add_u32 s16, s10, s4
	s_addc_u32 s17, s11, s5
	s_andn2_b64 vcc, exec, s[8:9]
	s_cbranch_vccnz .LBB290_4
.LBB290_2:
	s_mov_b32 s13, 0
	s_mov_b64 s[18:19], 0
	s_cbranch_execz .LBB290_5
	s_branch .LBB290_6
.LBB290_3:
	s_mov_b64 s[16:17], 0
	s_andn2_b64 vcc, exec, s[8:9]
	s_cbranch_vccz .LBB290_2
.LBB290_4:
                                        ; implicit-def: $sgpr18_sgpr19
                                        ; implicit-def: $sgpr12_sgpr13
.LBB290_5:
	s_load_dwordx2 s[4:5], s[0:1], 0x38
	s_mov_b32 s13, 0
	s_waitcnt lgkmcnt(0)
	s_mul_i32 s5, s3, s5
	s_mul_hi_u32 s8, s3, s4
	s_add_i32 s5, s8, s5
	s_mul_i32 s4, s3, s4
	s_lshl_b64 s[4:5], s[4:5], 1
	s_add_u32 s18, s6, s4
	s_addc_u32 s19, s7, s5
.LBB290_6:
	s_load_dword s12, s[0:1], 0x40
	s_load_dwordx4 s[8:11], s[0:1], 0x58
	v_cmp_neq_f16_e64 s[20:21], s15, 0
	s_waitcnt lgkmcnt(0)
	v_cmp_eq_f16_e64 s[4:5], s12, 0
	s_and_b64 s[6:7], exec, s[4:5]
	s_mov_b64 vcc, s[6:7]
	s_cbranch_vccnz .LBB290_8
; %bb.7:
	s_load_dwordx2 s[4:5], s[0:1], 0x48
	s_mul_i32 s9, s3, s9
	s_mul_hi_u32 s22, s3, s8
	s_add_i32 s9, s22, s9
	s_mul_i32 s22, s13, s8
	s_add_i32 s9, s9, s22
	s_mul_i32 s8, s3, s8
	s_lshl_b64 s[8:9], s[8:9], 1
	s_waitcnt lgkmcnt(0)
	s_add_u32 s8, s4, s8
	s_addc_u32 s9, s5, s9
	s_branch .LBB290_9
.LBB290_8:
	s_mov_b64 s[8:9], 0
.LBB290_9:
	s_load_dword s4, s[0:1], 0x0
	s_load_dword s22, s[0:1], 0x18
	v_and_b32_e32 v47, 0x3ff, v0
	v_bfe_u32 v48, v0, 10, 10
	v_lshl_add_u32 v2, v48, 3, v47
	s_waitcnt lgkmcnt(0)
	s_add_i32 s4, s4, -1
	s_ashr_i32 s5, s4, 31
	s_lshr_b32 s5, s5, 26
	s_add_i32 s4, s4, s5
	s_ashr_i32 s23, s4, 6
	s_add_i32 s24, s23, 1
	v_cvt_f32_u32_e32 v1, s24
	s_not_b32 s23, s23
	v_and_b32_e32 v3, 3, v47
	v_lshrrev_b32_e32 v6, 2, v2
	v_rcp_iflag_f32_e32 v0, v1
	v_cndmask_b32_e64 v1, 0, 1, s[20:21]
	v_cmp_ne_u32_e64 s[4:5], 1, v1
	v_lshlrev_b32_e32 v24, 1, v3
	v_mul_f32_e32 v0, 0x4f7ffffe, v0
	v_cvt_u32_f32_e32 v0, v0
	s_nop 0
	v_readfirstlane_b32 s25, v0
	s_mul_i32 s23, s23, s25
	s_mul_hi_u32 s23, s25, s23
	s_add_i32 s25, s25, s23
	s_mul_hi_u32 s23, s2, s25
	s_mul_i32 s25, s23, s24
	s_sub_i32 s25, s2, s25
	s_add_i32 s26, s23, 1
	s_sub_i32 s27, s25, s24
	s_cmp_ge_u32 s25, s24
	s_cselect_b32 s23, s26, s23
	s_cselect_b32 s25, s27, s25
	s_add_i32 s26, s23, 1
	s_cmp_ge_u32 s25, s24
	s_cselect_b32 s23, s26, s23
	s_andn2_b64 vcc, exec, s[20:21]
	s_mul_i32 s20, s23, s24
	s_sub_i32 s2, s2, s20
	s_lshl_b32 s2, s2, 6
	v_add_u32_e32 v0, s2, v6
	s_cbranch_vccnz .LBB290_11
; %bb.10:
	v_mad_i64_i32 v[2:3], s[20:21], v0, s22, 0
	v_lshl_add_u64 v[2:3], v[2:3], 1, s[16:17]
	v_mov_b32_e32 v25, 0
	v_lshl_add_u64 v[2:3], v[2:3], 0, v[24:25]
	flat_load_ushort v1, v[2:3]
	s_waitcnt vmcnt(0) lgkmcnt(0)
	v_mul_f16_e32 v7, s15, v1
	s_branch .LBB290_12
.LBB290_11:
	v_mov_b32_e32 v7, 0
.LBB290_12:
	s_load_dword s21, s[0:1], 0x30
	s_lshl_b32 s20, s23, 7
	v_add_u32_e32 v1, s20, v6
	s_and_b64 vcc, exec, s[4:5]
	v_add_u32_e32 v2, 64, v1
	s_cbranch_vccnz .LBB290_16
; %bb.13:
	v_mov_b32_e32 v25, 0
	v_lshl_add_u64 v[4:5], s[18:19], 0, v[24:25]
	s_waitcnt lgkmcnt(0)
	v_mad_i64_i32 v[8:9], s[24:25], v1, s21, 0
	v_lshl_add_u64 v[8:9], v[8:9], 1, v[4:5]
	v_mad_i64_i32 v[10:11], s[24:25], v2, s21, 0
	v_lshl_add_u64 v[4:5], v[10:11], 1, v[4:5]
	flat_load_ushort v3, v[8:9]
	flat_load_ushort v10, v[4:5]
	s_waitcnt vmcnt(0) lgkmcnt(0)
	v_mul_f16_e32 v8, s15, v3
	v_mul_f16_e32 v9, s15, v10
	s_and_b64 vcc, exec, s[4:5]
	s_cbranch_vccnz .LBB290_17
.LBB290_14:
	v_mad_i64_i32 v[4:5], s[24:25], v0, s22, 0
	v_lshl_add_u64 v[4:5], v[4:5], 1, s[16:17]
	v_mov_b32_e32 v25, 0
	v_lshl_add_u64 v[4:5], v[4:5], 0, v[24:25]
	flat_load_ushort v3, v[4:5] offset:8
	s_waitcnt vmcnt(0) lgkmcnt(0)
	v_mul_f16_e32 v3, s15, v3
	s_and_b64 vcc, exec, s[4:5]
	s_cbranch_vccnz .LBB290_18
.LBB290_15:
	v_mov_b32_e32 v25, 0
	v_lshl_add_u64 v[4:5], s[18:19], 0, v[24:25]
	s_waitcnt lgkmcnt(0)
	v_mad_i64_i32 v[10:11], s[24:25], v1, s21, 0
	v_lshl_add_u64 v[10:11], v[10:11], 1, v[4:5]
	v_mad_i64_i32 v[12:13], s[24:25], v2, s21, 0
	v_lshl_add_u64 v[4:5], v[12:13], 1, v[4:5]
	flat_load_ushort v12, v[10:11] offset:8
	flat_load_ushort v13, v[4:5] offset:8
	s_waitcnt vmcnt(0) lgkmcnt(0)
	v_mul_f16_e32 v4, s15, v12
	v_mul_f16_e32 v5, s15, v13
	s_branch .LBB290_19
.LBB290_16:
	v_mov_b32_e32 v8, 0
	v_mov_b32_e32 v9, 0
	s_and_b64 vcc, exec, s[4:5]
	s_cbranch_vccz .LBB290_14
.LBB290_17:
	v_mov_b32_e32 v3, 0
	s_and_b64 vcc, exec, s[4:5]
	s_cbranch_vccz .LBB290_15
.LBB290_18:
	v_mov_b32_e32 v4, 0
	v_mov_b32_e32 v5, 0
.LBB290_19:
	v_lshl_or_b32 v67, v6, 3, v24
	v_lshlrev_b32_e32 v57, 3, v47
	v_lshlrev_b32_e32 v58, 3, v48
	ds_write_b16 v67, v7 offset:2048
	ds_write_b16 v67, v8
	ds_write_b16 v67, v9 offset:512
	s_waitcnt lgkmcnt(0)
	s_barrier
	ds_read2_b64 v[6:9], v58 offset1:32
	v_add_u32_e32 v68, 0x800, v57
	ds_read2_b64 v[10:13], v68 offset0:48 offset1:56
	ds_read2_b64 v[14:17], v58 offset0:64 offset1:96
	ds_read2_b64 v[18:21], v68 offset1:8
	ds_read2_b64 v[26:29], v68 offset0:16 offset1:24
	ds_read2_b64 v[30:33], v68 offset0:32 offset1:40
	s_waitcnt lgkmcnt(5)
	v_pk_max_f16 v6, v6, v6
	s_waitcnt lgkmcnt(4)
	v_pk_max_f16 v12, v12, v12
	v_pk_max_f16 v8, v8, v8
	v_pk_min_f16 v22, v12, v6
	s_waitcnt lgkmcnt(3)
	v_pk_max_f16 v14, v14, v14
	s_waitcnt lgkmcnt(2)
	v_pk_max_f16 v18, v18, v18
	v_pk_max_f16 v16, v16, v16
	;; [unrolled: 1-line block ×3, first 2 shown]
	s_waitcnt lgkmcnt(1)
	v_pk_max_f16 v26, v26, v26
	v_pk_max_f16 v28, v28, v28
	s_waitcnt lgkmcnt(0)
	v_pk_max_f16 v30, v30, v30
	v_pk_max_f16 v7, v7, v7
	v_pk_max_f16 v32, v32, v32
	v_pk_max_f16 v10, v10, v10
	v_pk_max_f16 v13, v13, v13
	v_pk_min_f16 v23, v18, v6
	v_pk_min_f16 v25, v18, v8
	;; [unrolled: 1-line block ×17, first 2 shown]
	v_pk_max_f16 v9, v9, v9
	v_pk_min_f16 v50, v30, v8
	v_pk_min_f16 v53, v30, v14
	;; [unrolled: 1-line block ×14, first 2 shown]
	v_pk_add_f16 v16, v22, 0
	v_pk_min_f16 v22, v13, v7
	v_pk_max_f16 v15, v15, v15
	v_pk_add_f16 v66, v22, v16
	v_pk_add_f16 v16, v41, 0
	v_pk_min_f16 v22, v13, v9
	v_pk_max_f16 v19, v19, v19
	v_pk_add_f16 v56, v22, v16
	;; [unrolled: 4-line block ×5, first 2 shown]
	v_pk_add_f16 v16, v34, 0
	v_pk_min_f16 v22, v19, v15
	v_pk_add_f16 v25, v30, 0
	v_pk_add_f16 v54, v22, v16
	v_pk_add_f16 v16, v18, 0
	v_pk_min_f16 v18, v19, v17
	v_pk_add_f16 v30, v32, 0
	v_pk_add_f16 v44, v18, v16
	;; [unrolled: 1-line block ×3, first 2 shown]
	v_pk_min_f16 v18, v21, v7
	v_pk_min_f16 v32, v29, v7
	v_pk_add_f16 v74, v18, v16
	v_pk_add_f16 v16, v36, 0
	v_pk_min_f16 v18, v21, v9
	v_pk_add_f16 v22, v50, 0
	v_pk_add_f16 v62, v18, v16
	v_pk_add_f16 v16, v37, 0
	v_pk_min_f16 v18, v21, v15
	v_pk_add_f16 v23, v53, 0
	;; [unrolled: 4-line block ×3, first 2 shown]
	v_pk_add_f16 v41, v18, v16
	v_pk_max_f16 v18, v27, v27
	v_pk_add_f16 v16, v38, 0
	v_pk_min_f16 v19, v18, v7
	v_pk_add_f16 v21, v49, 0
	v_pk_add_f16 v72, v19, v16
	v_pk_add_f16 v16, v39, 0
	v_pk_min_f16 v19, v18, v9
	v_pk_max_f16 v11, v11, v11
	v_pk_add_f16 v60, v19, v16
	v_pk_add_f16 v16, v40, 0
	v_pk_min_f16 v19, v18, v15
	v_pk_min_f16 v18, v18, v17
	v_pk_add_f16 v51, v19, v16
	v_pk_add_f16 v16, v26, 0
	;; [unrolled: 1-line block ×7, first 2 shown]
	v_pk_min_f16 v16, v29, v9
	v_pk_add_f16 v26, v55, 0
	v_pk_add_f16 v65, v16, v18
	v_pk_min_f16 v16, v29, v15
	v_pk_add_f16 v6, v6, 0
	v_pk_add_f16 v55, v16, v19
	v_pk_min_f16 v16, v29, v17
	v_pk_add_f16 v8, v8, 0
	v_pk_add_f16 v45, v16, v20
	v_pk_max_f16 v16, v31, v31
	v_pk_add_f16 v27, v59, 0
	v_pk_min_f16 v18, v16, v7
	v_pk_add_f16 v14, v14, 0
	v_pk_add_f16 v71, v18, v21
	v_pk_min_f16 v18, v16, v9
	v_pk_add_f16 v10, v10, 0
	v_pk_add_f16 v63, v18, v22
	v_pk_min_f16 v18, v16, v15
	v_pk_min_f16 v16, v16, v17
	v_pk_add_f16 v53, v18, v23
	v_pk_add_f16 v42, v16, v25
	v_pk_max_f16 v16, v33, v33
	v_pk_add_f16 v28, v61, 0
	v_pk_min_f16 v18, v16, v7
	v_pk_min_f16 v7, v11, v7
	v_pk_add_f16 v70, v18, v26
	v_pk_add_f16 v69, v7, v6
	v_pk_min_f16 v6, v11, v9
	v_pk_min_f16 v18, v16, v9
	v_pk_add_f16 v59, v6, v8
	v_pk_min_f16 v6, v11, v15
	v_pk_add_f16 v12, v12, 0
	v_pk_add_f16 v49, v6, v14
	v_pk_min_f16 v6, v11, v17
	v_pk_add_f16 v61, v18, v27
	v_pk_min_f16 v18, v16, v15
	v_pk_min_f16 v16, v16, v17
	v_pk_add_f16 v43, v6, v10
	v_pk_min_f16 v6, v13, v17
	v_pk_add_f16 v50, v18, v28
	v_pk_add_f16 v39, v16, v30
	;; [unrolled: 1-line block ×3, first 2 shown]
	s_cmp_lt_i32 s14, 9
	ds_write_b16 v67, v3 offset:2560
	ds_write_b16 v67, v4 offset:1024
	;; [unrolled: 1-line block ×3, first 2 shown]
	s_waitcnt lgkmcnt(0)
	s_barrier
	s_cbranch_scc1 .LBB290_33
; %bb.20:
	v_mad_i64_i32 v[4:5], s[22:23], v0, s22, 0
	v_mov_b32_e32 v0, 0xa00
	v_lshl_add_u32 v79, v47, 3, v0
	v_mov_b32_e32 v0, 0x400
	v_lshl_add_u64 v[26:27], v[4:5], 1, s[16:17]
	v_lshl_add_u32 v80, v48, 3, v0
	v_mad_i64_i32 v[2:3], s[16:17], s21, v2, 0
	v_mad_i64_i32 v[0:1], s[16:17], s21, v1, 0
	v_add_u32_e32 v76, 0x800, v67
	v_add_u32_e32 v77, 0xa00, v67
	;; [unrolled: 1-line block ×3, first 2 shown]
	s_add_i32 s14, s14, -8
	v_mov_b32_e32 v25, 0
	v_lshl_add_u64 v[28:29], v[2:3], 1, s[18:19]
	v_lshl_add_u64 v[30:31], v[0:1], 1, s[18:19]
	s_mov_b32 s16, 0
	s_branch .LBB290_23
.LBB290_21:                             ;   in Loop: Header=BB290_23 Depth=1
	flat_load_ushort v0, v[32:33] offset:24
	flat_load_ushort v1, v[34:35] offset:24
	s_waitcnt vmcnt(0) lgkmcnt(0)
	v_mul_f16_e32 v0, s15, v0
	v_mul_f16_e32 v1, s15, v1
.LBB290_22:                             ;   in Loop: Header=BB290_23 Depth=1
	v_pk_add_f16 v20, v20, v56
	v_pk_add_f16 v12, v12, v46
	;; [unrolled: 1-line block ×18, first 2 shown]
	ds_read2_b64 v[8:11], v68 offset0:48 offset1:56
	ds_read2_b64 v[12:15], v58 offset1:32
	v_pk_add_f16 v2, v2, v66
	v_pk_add_f16 v16, v16, v75
	;; [unrolled: 1-line block ×4, first 2 shown]
	s_waitcnt lgkmcnt(1)
	v_pk_max_f16 v10, v10, v10
	s_waitcnt lgkmcnt(0)
	v_pk_max_f16 v12, v12, v12
	v_pk_add_f16 v18, v18, v74
	v_pk_add_f16 v35, v83, v41
	v_pk_add_f16 v41, v85, v51
	v_pk_add_f16 v46, v88, v55
	v_pk_add_f16 v51, v90, v63
	v_pk_add_f16 v55, v97, v59
	v_pk_add_f16 v38, v100, v38
	v_pk_add_f16 v56, v3, v2
	v_pk_add_f16 v59, v17, v16
	v_pk_add_f16 v63, v111, v4
	v_pk_add_f16 v43, v5, v43
	ds_read2_b64 v[2:5], v58 offset0:64 offset1:96
	v_pk_min_f16 v16, v10, v12
	v_pk_add_f16 v37, v84, v60
	v_pk_add_f16 v60, v19, v18
	;; [unrolled: 1-line block ×4, first 2 shown]
	ds_read2_b64 v[16:19], v68 offset1:8
	v_pk_max_f16 v14, v14, v14
	s_waitcnt lgkmcnt(1)
	v_pk_max_f16 v2, v2, v2
	v_pk_min_f16 v56, v10, v14
	v_pk_add_f16 v44, v87, v65
	v_pk_add_f16 v56, v56, v20
	v_pk_min_f16 v20, v10, v2
	s_waitcnt lgkmcnt(0)
	v_pk_max_f16 v16, v16, v16
	v_pk_add_f16 v64, v20, v21
	v_pk_min_f16 v20, v16, v12
	v_pk_max_f16 v18, v18, v18
	v_pk_add_f16 v59, v20, v59
	v_pk_min_f16 v20, v16, v14
	v_pk_add_f16 v54, v96, v69
	v_pk_add_f16 v65, v20, v22
	v_pk_min_f16 v20, v16, v2
	v_pk_add_f16 v33, v102, v33
	;; [unrolled: 3-line block ×3, first 2 shown]
	v_pk_add_f16 v60, v20, v60
	v_pk_min_f16 v20, v18, v14
	v_pk_max_f16 v4, v4, v4
	v_pk_add_f16 v70, v20, v33
	ds_read2_b64 v[20:23], v68 offset0:16 offset1:24
	v_pk_min_f16 v16, v16, v4
	v_pk_add_f16 v34, v103, v34
	v_pk_add_f16 v16, v16, v32
	v_pk_min_f16 v32, v18, v2
	s_waitcnt lgkmcnt(0)
	v_pk_max_f16 v20, v20, v20
	v_pk_add_f16 v71, v32, v34
	v_pk_min_f16 v32, v20, v12
	v_pk_add_f16 v37, v105, v37
	v_pk_add_f16 v61, v32, v61
	v_pk_min_f16 v32, v20, v14
	v_pk_add_f16 v41, v106, v41
	v_pk_add_f16 v37, v32, v37
	v_pk_min_f16 v32, v20, v2
	v_pk_max_f16 v22, v22, v22
	v_pk_add_f16 v73, v32, v41
	v_pk_min_f16 v32, v22, v12
	v_pk_add_f16 v35, v104, v35
	v_pk_add_f16 v44, v108, v44
	v_pk_min_f16 v18, v18, v4
	v_pk_add_f16 v81, v32, v62
	v_pk_min_f16 v32, v22, v14
	v_pk_add_f16 v18, v18, v35
	v_pk_add_f16 v82, v32, v44
	ds_read2_b64 v[32:35], v68 offset0:32 offset1:40
	v_pk_add_f16 v40, v86, v40
	v_pk_min_f16 v20, v20, v4
	v_pk_add_f16 v40, v107, v40
	v_pk_add_f16 v46, v109, v46
	;; [unrolled: 1-line block ×3, first 2 shown]
	v_pk_min_f16 v40, v22, v2
	s_waitcnt lgkmcnt(0)
	v_pk_max_f16 v32, v32, v32
	v_pk_add_f16 v83, v40, v46
	v_pk_min_f16 v40, v32, v12
	v_pk_add_f16 v51, v112, v51
	v_pk_add_f16 v63, v40, v63
	v_pk_min_f16 v40, v32, v14
	v_pk_add_f16 v52, v113, v52
	v_pk_add_f16 v84, v40, v51
	v_pk_min_f16 v40, v32, v2
	v_pk_max_f16 v34, v34, v34
	v_pk_add_f16 v6, v115, v6
	v_pk_add_f16 v85, v40, v52
	v_pk_min_f16 v40, v34, v12
	v_pk_add_f16 v53, v116, v53
	v_pk_add_f16 v6, v40, v6
	v_pk_min_f16 v40, v34, v14
	v_pk_max_f16 v8, v8, v8
	v_pk_min_f16 v22, v22, v4
	v_pk_min_f16 v32, v32, v4
	v_pk_add_f16 v86, v40, v53
	v_pk_min_f16 v40, v34, v2
	v_pk_min_f16 v34, v34, v4
	;; [unrolled: 1-line block ×7, first 2 shown]
	v_pk_max_f16 v10, v13, v13
	v_pk_add_f16 v4, v4, v7
	v_pk_max_f16 v7, v11, v11
	v_pk_max_f16 v3, v3, v3
	v_pk_min_f16 v11, v7, v10
	v_pk_max_f16 v5, v5, v5
	v_pk_add_f16 v66, v11, v38
	v_pk_max_f16 v11, v15, v15
	v_pk_add_f16 v54, v119, v54
	v_pk_min_f16 v13, v7, v11
	v_pk_add_f16 v12, v12, v54
	v_pk_add_f16 v56, v13, v56
	v_pk_min_f16 v13, v7, v3
	v_pk_add_f16 v50, v94, v50
	v_pk_add_f16 v46, v13, v64
	v_pk_max_f16 v13, v17, v17
	v_pk_add_f16 v50, v117, v50
	v_pk_min_f16 v15, v13, v10
	v_pk_add_f16 v50, v40, v50
	v_pk_add_f16 v75, v15, v59
	v_pk_min_f16 v15, v13, v11
	v_pk_add_f16 v45, v89, v45
	v_pk_add_f16 v64, v15, v65
	v_pk_min_f16 v15, v13, v3
	v_pk_min_f16 v13, v13, v5
	v_pk_add_f16 v54, v15, v69
	v_pk_add_f16 v44, v13, v16
	v_pk_max_f16 v13, v19, v19
	v_pk_add_f16 v45, v110, v45
	v_pk_min_f16 v15, v13, v10
	v_pk_add_f16 v22, v22, v45
	v_pk_add_f16 v74, v15, v60
	v_pk_min_f16 v15, v13, v11
	v_pk_add_f16 v55, v120, v55
	v_pk_add_f16 v62, v15, v70
	v_pk_min_f16 v15, v13, v3
	;; [unrolled: 12-line block ×5, first 2 shown]
	v_pk_min_f16 v13, v13, v5
	v_pk_add_f16 v53, v15, v85
	v_pk_add_f16 v42, v13, v32
	v_pk_max_f16 v13, v35, v35
	v_pk_add_f16 v2, v2, v49
	v_pk_min_f16 v15, v13, v10
	v_pk_add_f16 v8, v8, v43
	v_pk_add_f16 v70, v15, v6
	v_pk_min_f16 v6, v13, v11
	s_add_i32 s16, s16, 8
	v_pk_add_f16 v61, v6, v86
	v_pk_min_f16 v6, v13, v3
	v_lshl_add_u64 v[28:29], v[28:29], 0, 16
	v_pk_add_f16 v50, v6, v50
	v_pk_min_f16 v6, v13, v5
	v_lshl_add_u64 v[30:31], v[30:31], 0, 16
	v_pk_add_f16 v39, v6, v34
	v_pk_max_f16 v6, v9, v9
	s_cmp_ge_i32 s16, s14
	v_pk_min_f16 v3, v6, v3
	v_pk_min_f16 v9, v6, v10
	v_pk_add_f16 v49, v3, v2
	v_pk_min_f16 v2, v6, v5
	v_pk_add_f16 v69, v9, v12
	;; [unrolled: 2-line block ×4, first 2 shown]
	v_pk_add_f16 v38, v2, v4
	v_lshl_add_u64 v[26:27], v[26:27], 0, 16
	ds_write_b16 v77, v36
	ds_write_b16 v78, v0
	ds_write_b16 v78, v1 offset:512
	s_waitcnt lgkmcnt(0)
	s_barrier
	s_cbranch_scc1 .LBB290_33
.LBB290_23:                             ; =>This Inner Loop Header: Depth=1
	s_and_b64 vcc, exec, s[4:5]
	v_lshl_add_u64 v[36:37], v[26:27], 0, v[24:25]
	v_mov_b32_e32 v81, 0
	s_cbranch_vccnz .LBB290_25
; %bb.24:                               ;   in Loop: Header=BB290_23 Depth=1
	flat_load_ushort v0, v[36:37] offset:16
	s_waitcnt vmcnt(0) lgkmcnt(0)
	v_mul_f16_e32 v81, s15, v0
.LBB290_25:                             ;   in Loop: Header=BB290_23 Depth=1
	s_and_b64 vcc, exec, s[4:5]
	v_lshl_add_u64 v[32:33], v[30:31], 0, v[24:25]
	v_lshl_add_u64 v[34:35], v[28:29], 0, v[24:25]
	s_cbranch_vccnz .LBB290_27
; %bb.26:                               ;   in Loop: Header=BB290_23 Depth=1
	flat_load_ushort v0, v[32:33] offset:16
	flat_load_ushort v1, v[34:35] offset:16
	s_waitcnt vmcnt(0) lgkmcnt(0)
	v_mul_f16_e32 v82, s15, v0
	v_mul_f16_e32 v83, s15, v1
	s_branch .LBB290_28
.LBB290_27:                             ;   in Loop: Header=BB290_23 Depth=1
	v_mov_b32_e32 v82, 0
	v_mov_b32_e32 v83, 0
.LBB290_28:                             ;   in Loop: Header=BB290_23 Depth=1
	ds_read2_b64 v[0:3], v79 offset0:48 offset1:56
	ds_read2_b64 v[12:15], v80 offset0:64 offset1:96
	ds_read2_b64 v[20:23], v80 offset1:32
	ds_read2_b64 v[16:19], v79 offset1:8
	ds_read2_b64 v[8:11], v79 offset0:16 offset1:24
	ds_read2_b64 v[4:7], v79 offset0:32 offset1:40
	s_and_b64 vcc, exec, s[4:5]
	ds_write_b16 v76, v81
	ds_write_b16 v67, v82
	ds_write_b16 v67, v83 offset:512
	s_waitcnt lgkmcnt(0)
	s_barrier
	s_cbranch_vccnz .LBB290_30
; %bb.29:                               ;   in Loop: Header=BB290_23 Depth=1
	flat_load_ushort v36, v[36:37] offset:24
	s_waitcnt vmcnt(0) lgkmcnt(0)
	v_mul_f16_e32 v36, s15, v36
	s_branch .LBB290_31
.LBB290_30:                             ;   in Loop: Header=BB290_23 Depth=1
	v_mov_b32_e32 v36, 0
.LBB290_31:                             ;   in Loop: Header=BB290_23 Depth=1
	v_pk_max_f16 v100, v2, v2
	v_pk_max_f16 v96, v20, v20
	;; [unrolled: 1-line block ×17, first 2 shown]
	v_pk_min_f16 v2, v100, v96
	v_pk_min_f16 v20, v100, v97
	v_pk_min_f16 v12, v100, v98
	v_pk_min_f16 v16, v81, v96
	v_pk_min_f16 v22, v81, v97
	v_pk_min_f16 v37, v81, v98
	v_pk_min_f16 v14, v81, v101
	v_pk_min_f16 v18, v83, v96
	v_pk_min_f16 v81, v83, v97
	v_pk_min_f16 v82, v83, v98
	v_pk_min_f16 v8, v86, v96
	v_pk_min_f16 v84, v86, v97
	v_pk_min_f16 v85, v86, v98
	v_pk_min_f16 v10, v89, v96
	v_pk_min_f16 v87, v89, v97
	v_pk_min_f16 v88, v89, v98
	v_pk_min_f16 v4, v92, v96
	v_pk_min_f16 v90, v92, v97
	v_pk_min_f16 v91, v92, v98
	v_pk_min_f16 v6, v95, v96
	v_pk_min_f16 v93, v95, v97
	v_pk_min_f16 v94, v95, v98
	v_pk_min_f16 v96, v0, v96
	v_pk_min_f16 v97, v0, v97
	v_pk_min_f16 v98, v0, v98
	v_pk_min_f16 v99, v0, v101
	v_pk_max_f16 v0, v3, v3
	v_pk_max_f16 v102, v17, v17
	;; [unrolled: 1-line block ×5, first 2 shown]
	v_pk_min_f16 v111, v5, v119
	v_pk_min_f16 v112, v5, v120
	;; [unrolled: 1-line block ×4, first 2 shown]
	v_pk_max_f16 v5, v7, v7
	v_pk_max_f16 v1, v1, v1
	v_pk_min_f16 v83, v83, v101
	v_pk_min_f16 v86, v86, v101
	;; [unrolled: 1-line block ×33, first 2 shown]
	s_and_b64 vcc, exec, s[4:5]
	v_pk_min_f16 v7, v0, v122
	s_cbranch_vccz .LBB290_21
; %bb.32:                               ;   in Loop: Header=BB290_23 Depth=1
	v_mov_b32_e32 v0, 0
	v_mov_b32_e32 v1, 0
	s_branch .LBB290_22
.LBB290_33:
	s_load_dword s14, s[0:1], 0x50
	ds_read_b64 v[20:21], v58 offset:1024
	ds_read_b64 v[26:27], v57 offset:2560
	v_add_u32_e32 v28, s20, v48
	v_cmp_neq_f16_e64 s[4:5], s12, 0
	v_add_u32_e32 v16, s2, v47
	s_waitcnt lgkmcnt(0)
	v_mad_i64_i32 v[0:1], s[16:17], v28, s14, 0
	v_ashrrev_i32_e32 v17, 31, v16
	v_lshl_add_u64 v[22:23], v[0:1], 1, s[8:9]
	s_and_b64 vcc, exec, s[4:5]
	v_mov_b32_e32 v33, 0
	v_mov_b32_e32 v31, 0
	s_cbranch_vccz .LBB290_35
; %bb.34:
	v_lshl_add_u64 v[0:1], v[16:17], 1, v[22:23]
	flat_load_ushort v0, v[0:1]
	s_waitcnt vmcnt(0) lgkmcnt(0)
	v_mul_f16_e32 v31, s12, v0
.LBB290_35:
	ds_read_b64 v[24:25], v57 offset:3008
	ds_read_b64 v[18:19], v58 offset:1792
	ds_read2_b64 v[0:3], v58 offset0:160 offset1:192
	s_load_dword s15, s[0:1], 0x68
	s_load_dwordx2 s[16:17], s[0:1], 0x70
	v_pk_max_f16 v68, v20, v20
	v_pk_max_f16 v29, v26, v26
	v_add_u32_e32 v4, 0x800, v57
	v_pk_min_f16 v20, v29, v68
	s_waitcnt lgkmcnt(0)
	s_mul_i32 s0, s3, s17
	s_mul_hi_u32 s1, s3, s16
	s_add_i32 s0, s1, s0
	s_mul_i32 s1, s13, s16
	ds_read2_b64 v[12:15], v4 offset0:72 offset1:80
	ds_read2_b64 v[8:11], v4 offset0:88 offset1:96
	;; [unrolled: 1-line block ×3, first 2 shown]
	s_add_i32 s1, s0, s1
	s_mul_i32 s0, s3, s16
	v_pk_add_f16 v20, v20, v75
	v_pk_max_f16 v75, v21, v21
	v_pk_max_f16 v30, v27, v27
	s_lshl_b64 s[0:1], s[0:1], 1
	v_pk_min_f16 v21, v30, v75
	s_add_u32 s2, s10, s0
	v_pk_add_f16 v32, v21, v20
	s_addc_u32 s3, s11, s1
	v_mad_i64_i32 v[26:27], s[0:1], v28, s15, 0
	v_add_f16_sdwa v32, v32, v32 dst_sel:DWORD dst_unused:UNUSED_PAD src0_sel:DWORD src1_sel:WORD_1
	v_add_u32_e32 v20, 8, v16
	v_lshl_add_u64 v[26:27], v[26:27], 1, s[2:3]
	v_add_f16_e32 v31, v32, v31
	v_cndmask_b32_e64 v32, 0, 1, s[4:5]
	v_ashrrev_i32_e32 v21, 31, v20
	v_lshl_add_u64 v[34:35], v[16:17], 1, v[26:27]
	v_cmp_ne_u32_e64 s[0:1], 1, v32
	s_andn2_b64 vcc, exec, s[4:5]
	global_store_short v[34:35], v31, off
	s_cbranch_vccnz .LBB290_37
; %bb.36:
	v_lshl_add_u64 v[32:33], v[20:21], 1, v[22:23]
	flat_load_ushort v31, v[32:33]
	s_waitcnt vmcnt(0) lgkmcnt(0)
	v_mul_f16_e32 v33, s12, v31
.LBB290_37:
	s_waitcnt lgkmcnt(2)
	v_pk_max_f16 v31, v12, v12
	v_pk_max_f16 v32, v13, v13
	v_pk_min_f16 v12, v31, v68
	v_pk_min_f16 v13, v32, v75
	v_pk_add_f16 v12, v12, v74
	s_and_b64 vcc, exec, s[0:1]
	v_pk_add_f16 v12, v13, v12
	v_mov_b32_e32 v37, 0
	v_add_f16_sdwa v34, v12, v12 dst_sel:DWORD dst_unused:UNUSED_PAD src0_sel:DWORD src1_sel:WORD_1
	v_add_u32_e32 v12, 16, v16
	v_add_f16_e32 v33, v34, v33
	v_lshl_add_u64 v[34:35], v[20:21], 1, v[26:27]
	v_ashrrev_i32_e32 v13, 31, v12
	global_store_short v[34:35], v33, off
	v_mov_b32_e32 v35, 0
	s_cbranch_vccnz .LBB290_39
; %bb.38:
	v_lshl_add_u64 v[34:35], v[12:13], 1, v[22:23]
	flat_load_ushort v33, v[34:35]
	s_waitcnt vmcnt(0) lgkmcnt(0)
	v_mul_f16_e32 v35, s12, v33
.LBB290_39:
	v_pk_max_f16 v33, v14, v14
	v_pk_max_f16 v34, v15, v15
	v_pk_min_f16 v14, v33, v68
	v_pk_min_f16 v15, v34, v75
	v_pk_add_f16 v14, v14, v72
	v_lshl_add_u64 v[76:77], v[12:13], 1, v[26:27]
	v_pk_add_f16 v14, v15, v14
	s_and_b64 vcc, exec, s[0:1]
	v_add_f16_sdwa v36, v14, v14 dst_sel:DWORD dst_unused:UNUSED_PAD src0_sel:DWORD src1_sel:WORD_1
	v_add_u32_e32 v14, 24, v16
	v_ashrrev_i32_e32 v15, 31, v14
	v_add_f16_e32 v35, v36, v35
	global_store_short v[76:77], v35, off
	s_cbranch_vccnz .LBB290_41
; %bb.40:
	v_lshl_add_u64 v[36:37], v[14:15], 1, v[22:23]
	flat_load_ushort v35, v[36:37]
	s_waitcnt vmcnt(0) lgkmcnt(0)
	v_mul_f16_e32 v37, s12, v35
.LBB290_41:
	s_waitcnt lgkmcnt(1)
	v_pk_max_f16 v35, v8, v8
	v_pk_max_f16 v36, v9, v9
	v_pk_min_f16 v8, v35, v68
	v_pk_min_f16 v9, v36, v75
	v_pk_add_f16 v8, v8, v73
	v_lshl_add_u64 v[72:73], v[14:15], 1, v[26:27]
	v_pk_add_f16 v8, v9, v8
	s_and_b64 vcc, exec, s[0:1]
	v_add_f16_sdwa v47, v8, v8 dst_sel:DWORD dst_unused:UNUSED_PAD src0_sel:DWORD src1_sel:WORD_1
	v_add_u32_e32 v8, 32, v16
	v_ashrrev_i32_e32 v9, 31, v8
	v_add_f16_e32 v37, v47, v37
	v_mov_b32_e32 v58, 0
	v_mov_b32_e32 v48, 0
	global_store_short v[72:73], v37, off
	s_cbranch_vccnz .LBB290_43
; %bb.42:
	v_lshl_add_u64 v[72:73], v[8:9], 1, v[22:23]
	flat_load_ushort v37, v[72:73]
	s_waitcnt vmcnt(0) lgkmcnt(0)
	v_mul_f16_e32 v48, s12, v37
.LBB290_43:
	v_pk_max_f16 v37, v10, v10
	v_pk_max_f16 v47, v11, v11
	v_pk_min_f16 v10, v37, v68
	v_pk_min_f16 v11, v47, v75
	v_pk_add_f16 v10, v10, v71
	v_lshl_add_u64 v[72:73], v[8:9], 1, v[26:27]
	v_pk_add_f16 v10, v11, v10
	s_and_b64 vcc, exec, s[0:1]
	v_add_f16_sdwa v57, v10, v10 dst_sel:DWORD dst_unused:UNUSED_PAD src0_sel:DWORD src1_sel:WORD_1
	v_add_u32_e32 v10, 40, v16
	v_ashrrev_i32_e32 v11, 31, v10
	v_add_f16_e32 v48, v57, v48
	global_store_short v[72:73], v48, off
	s_cbranch_vccnz .LBB290_45
; %bb.44:
	v_lshl_add_u64 v[72:73], v[10:11], 1, v[22:23]
	flat_load_ushort v48, v[72:73]
	s_waitcnt vmcnt(0) lgkmcnt(0)
	v_mul_f16_e32 v58, s12, v48
.LBB290_45:
	s_waitcnt lgkmcnt(0)
	v_pk_max_f16 v48, v4, v4
	v_pk_max_f16 v57, v5, v5
	v_pk_min_f16 v4, v48, v68
	v_pk_min_f16 v5, v57, v75
	v_pk_add_f16 v4, v4, v70
	v_lshl_add_u64 v[70:71], v[10:11], 1, v[26:27]
	v_pk_add_f16 v4, v5, v4
	s_and_b64 vcc, exec, s[0:1]
	v_add_f16_sdwa v67, v4, v4 dst_sel:DWORD dst_unused:UNUSED_PAD src0_sel:DWORD src1_sel:WORD_1
	v_add_u32_e32 v4, 48, v16
	v_add_f16_e32 v58, v67, v58
	v_ashrrev_i32_e32 v5, 31, v4
	global_store_short v[70:71], v58, off
	v_mov_b32_e32 v70, 0
	v_mov_b32_e32 v71, 0
	s_cbranch_vccnz .LBB290_47
; %bb.46:
	v_lshl_add_u64 v[72:73], v[4:5], 1, v[22:23]
	flat_load_ushort v58, v[72:73]
	s_waitcnt vmcnt(0) lgkmcnt(0)
	v_mul_f16_e32 v71, s12, v58
.LBB290_47:
	v_pk_max_f16 v58, v6, v6
	v_pk_max_f16 v67, v7, v7
	v_pk_min_f16 v6, v58, v68
	v_pk_min_f16 v7, v67, v75
	v_pk_add_f16 v6, v6, v69
	v_lshl_add_u64 v[72:73], v[4:5], 1, v[26:27]
	v_pk_add_f16 v6, v7, v6
	s_and_b64 vcc, exec, s[0:1]
	v_add_f16_sdwa v69, v6, v6 dst_sel:DWORD dst_unused:UNUSED_PAD src0_sel:DWORD src1_sel:WORD_1
	v_add_u32_e32 v6, 56, v16
	v_ashrrev_i32_e32 v7, 31, v6
	v_add_f16_e32 v69, v69, v71
	global_store_short v[72:73], v69, off
	s_cbranch_vccnz .LBB290_49
; %bb.48:
	v_lshl_add_u64 v[22:23], v[6:7], 1, v[22:23]
	flat_load_ushort v22, v[22:23]
	s_waitcnt vmcnt(0) lgkmcnt(0)
	v_mul_f16_e32 v70, s12, v22
.LBB290_49:
	v_pk_max_f16 v24, v24, v24
	v_pk_max_f16 v25, v25, v25
	v_pk_min_f16 v22, v24, v68
	v_pk_min_f16 v23, v25, v75
	v_pk_add_f16 v22, v22, v66
	v_add_u32_e32 v68, 32, v28
	v_pk_add_f16 v22, v23, v22
	s_and_b64 vcc, exec, s[0:1]
	v_add_f16_sdwa v22, v22, v22 dst_sel:DWORD dst_unused:UNUSED_PAD src0_sel:DWORD src1_sel:WORD_1
	v_add_f16_e32 v66, v22, v70
	v_lshl_add_u64 v[22:23], v[6:7], 1, v[26:27]
	global_store_short v[22:23], v66, off
	v_mad_i64_i32 v[22:23], s[4:5], v68, s14, 0
	v_lshl_add_u64 v[22:23], v[22:23], 1, s[8:9]
	v_mov_b32_e32 v66, 0
	v_mov_b32_e32 v69, 0
	s_cbranch_vccnz .LBB290_51
; %bb.50:
	v_lshl_add_u64 v[26:27], v[16:17], 1, v[22:23]
	flat_load_ushort v26, v[26:27]
	s_waitcnt vmcnt(0) lgkmcnt(0)
	v_mul_f16_e32 v69, s12, v26
.LBB290_51:
	v_pk_max_f16 v26, v0, v0
	v_pk_max_f16 v27, v1, v1
	v_pk_min_f16 v0, v29, v26
	v_pk_min_f16 v1, v30, v27
	v_pk_add_f16 v0, v0, v64
	s_and_b64 vcc, exec, s[0:1]
	v_pk_add_f16 v64, v1, v0
	v_mad_i64_i32 v[0:1], s[4:5], v68, s15, 0
	v_lshl_add_u64 v[0:1], v[0:1], 1, s[2:3]
	v_add_f16_sdwa v64, v64, v64 dst_sel:DWORD dst_unused:UNUSED_PAD src0_sel:DWORD src1_sel:WORD_1
	v_add_f16_e32 v64, v64, v69
	v_lshl_add_u64 v[68:69], v[16:17], 1, v[0:1]
	global_store_short v[68:69], v64, off
	s_cbranch_vccnz .LBB290_53
; %bb.52:
	v_lshl_add_u64 v[68:69], v[20:21], 1, v[22:23]
	flat_load_ushort v64, v[68:69]
	s_waitcnt vmcnt(0) lgkmcnt(0)
	v_mul_f16_e32 v66, s12, v64
.LBB290_53:
	v_pk_min_f16 v64, v31, v26
	v_lshl_add_u64 v[68:69], v[20:21], 1, v[0:1]
	v_pk_add_f16 v62, v64, v62
	v_pk_min_f16 v64, v32, v27
	s_and_b64 vcc, exec, s[0:1]
	v_pk_add_f16 v62, v64, v62
	v_mov_b32_e32 v64, 0
	v_add_f16_sdwa v62, v62, v62 dst_sel:DWORD dst_unused:UNUSED_PAD src0_sel:DWORD src1_sel:WORD_1
	v_add_f16_e32 v62, v62, v66
	global_store_short v[68:69], v62, off
	v_mov_b32_e32 v62, 0
	s_cbranch_vccnz .LBB290_55
; %bb.54:
	v_lshl_add_u64 v[68:69], v[12:13], 1, v[22:23]
	flat_load_ushort v64, v[68:69]
	s_waitcnt vmcnt(0) lgkmcnt(0)
	v_mul_f16_e32 v64, s12, v64
.LBB290_55:
	v_pk_min_f16 v66, v33, v26
	v_lshl_add_u64 v[68:69], v[12:13], 1, v[0:1]
	v_pk_add_f16 v60, v66, v60
	v_pk_min_f16 v66, v34, v27
	s_and_b64 vcc, exec, s[0:1]
	v_pk_add_f16 v60, v66, v60
	s_nop 0
	v_add_f16_sdwa v60, v60, v60 dst_sel:DWORD dst_unused:UNUSED_PAD src0_sel:DWORD src1_sel:WORD_1
	v_add_f16_e32 v60, v60, v64
	global_store_short v[68:69], v60, off
	s_cbranch_vccnz .LBB290_57
; %bb.56:
	v_lshl_add_u64 v[68:69], v[14:15], 1, v[22:23]
	flat_load_ushort v60, v[68:69]
	s_waitcnt vmcnt(0) lgkmcnt(0)
	v_mul_f16_e32 v62, s12, v60
.LBB290_57:
	v_pk_min_f16 v60, v35, v26
	v_pk_min_f16 v64, v36, v27
	v_pk_add_f16 v60, v60, v65
	s_and_b64 vcc, exec, s[0:1]
	v_pk_add_f16 v60, v64, v60
	v_lshl_add_u64 v[64:65], v[14:15], 1, v[0:1]
	v_add_f16_sdwa v60, v60, v60 dst_sel:DWORD dst_unused:UNUSED_PAD src0_sel:DWORD src1_sel:WORD_1
	v_add_f16_e32 v60, v60, v62
	global_store_short v[64:65], v60, off
	v_mov_b32_e32 v60, 0
	v_mov_b32_e32 v62, 0
	s_cbranch_vccnz .LBB290_59
; %bb.58:
	v_lshl_add_u64 v[64:65], v[8:9], 1, v[22:23]
	flat_load_ushort v62, v[64:65]
	s_waitcnt vmcnt(0) lgkmcnt(0)
	v_mul_f16_e32 v62, s12, v62
.LBB290_59:
	v_pk_min_f16 v64, v37, v26
	s_and_b64 vcc, exec, s[0:1]
	v_pk_add_f16 v63, v64, v63
	v_pk_min_f16 v64, v47, v27
	s_nop 0
	v_pk_add_f16 v63, v64, v63
	s_nop 0
	v_add_f16_sdwa v63, v63, v63 dst_sel:DWORD dst_unused:UNUSED_PAD src0_sel:DWORD src1_sel:WORD_1
	v_add_f16_e32 v64, v63, v62
	v_lshl_add_u64 v[62:63], v[8:9], 1, v[0:1]
	global_store_short v[62:63], v64, off
	s_cbranch_vccnz .LBB290_61
; %bb.60:
	v_lshl_add_u64 v[62:63], v[10:11], 1, v[22:23]
	flat_load_ushort v60, v[62:63]
	s_waitcnt vmcnt(0) lgkmcnt(0)
	v_mul_f16_e32 v60, s12, v60
.LBB290_61:
	v_pk_min_f16 v62, v48, v26
	s_and_b64 vcc, exec, s[0:1]
	v_pk_add_f16 v61, v62, v61
	v_pk_min_f16 v62, v57, v27
	s_nop 0
	v_pk_add_f16 v61, v62, v61
	s_nop 0
	v_add_f16_sdwa v61, v61, v61 dst_sel:DWORD dst_unused:UNUSED_PAD src0_sel:DWORD src1_sel:WORD_1
	v_add_f16_e32 v62, v61, v60
	v_lshl_add_u64 v[60:61], v[10:11], 1, v[0:1]
	global_store_short v[60:61], v62, off
	v_mov_b32_e32 v60, 0
	v_mov_b32_e32 v61, 0
	s_cbranch_vccnz .LBB290_63
; %bb.62:
	v_lshl_add_u64 v[62:63], v[4:5], 1, v[22:23]
	flat_load_ushort v61, v[62:63]
	s_waitcnt vmcnt(0) lgkmcnt(0)
	v_mul_f16_e32 v61, s12, v61
.LBB290_63:
	v_pk_min_f16 v62, v58, v26
	s_and_b64 vcc, exec, s[0:1]
	v_pk_add_f16 v59, v62, v59
	v_pk_min_f16 v62, v67, v27
	s_nop 0
	v_pk_add_f16 v59, v62, v59
	v_lshl_add_u64 v[62:63], v[4:5], 1, v[0:1]
	v_add_f16_sdwa v59, v59, v59 dst_sel:DWORD dst_unused:UNUSED_PAD src0_sel:DWORD src1_sel:WORD_1
	v_add_f16_e32 v59, v59, v61
	global_store_short v[62:63], v59, off
	s_cbranch_vccnz .LBB290_65
; %bb.64:
	v_lshl_add_u64 v[22:23], v[6:7], 1, v[22:23]
	flat_load_ushort v22, v[22:23]
	s_waitcnt vmcnt(0) lgkmcnt(0)
	v_mul_f16_e32 v60, s12, v22
.LBB290_65:
	v_pk_min_f16 v22, v24, v26
	v_pk_min_f16 v23, v25, v27
	v_pk_add_f16 v22, v22, v56
	v_lshl_add_u64 v[0:1], v[6:7], 1, v[0:1]
	v_pk_add_f16 v22, v23, v22
	v_add_u32_e32 v27, 64, v28
	v_add_f16_sdwa v22, v22, v22 dst_sel:DWORD dst_unused:UNUSED_PAD src0_sel:DWORD src1_sel:WORD_1
	v_add_f16_e32 v22, v22, v60
	global_store_short v[0:1], v22, off
	v_mad_i64_i32 v[0:1], s[4:5], v27, s14, 0
	v_lshl_add_u64 v[0:1], v[0:1], 1, s[8:9]
	s_and_b64 vcc, exec, s[0:1]
	v_mov_b32_e32 v26, 0
	v_mov_b32_e32 v56, 0
	s_cbranch_vccnz .LBB290_67
; %bb.66:
	v_lshl_add_u64 v[22:23], v[16:17], 1, v[0:1]
	flat_load_ushort v22, v[22:23]
	s_waitcnt vmcnt(0) lgkmcnt(0)
	v_mul_f16_e32 v56, s12, v22
.LBB290_67:
	v_pk_max_f16 v22, v2, v2
	v_pk_max_f16 v23, v3, v3
	v_pk_min_f16 v2, v29, v22
	v_pk_min_f16 v3, v30, v23
	v_pk_add_f16 v2, v2, v54
	s_and_b64 vcc, exec, s[0:1]
	v_pk_add_f16 v54, v3, v2
	v_mad_i64_i32 v[2:3], s[4:5], v27, s15, 0
	v_lshl_add_u64 v[2:3], v[2:3], 1, s[2:3]
	v_add_f16_sdwa v27, v54, v54 dst_sel:DWORD dst_unused:UNUSED_PAD src0_sel:DWORD src1_sel:WORD_1
	v_add_f16_e32 v27, v27, v56
	v_lshl_add_u64 v[60:61], v[16:17], 1, v[2:3]
	global_store_short v[60:61], v27, off
	s_cbranch_vccnz .LBB290_69
; %bb.68:
	v_lshl_add_u64 v[26:27], v[20:21], 1, v[0:1]
	flat_load_ushort v26, v[26:27]
	s_waitcnt vmcnt(0) lgkmcnt(0)
	v_mul_f16_e32 v26, s12, v26
.LBB290_69:
	v_pk_min_f16 v27, v31, v22
	s_and_b64 vcc, exec, s[0:1]
	v_pk_add_f16 v27, v27, v52
	v_pk_min_f16 v52, v32, v23
	s_nop 0
	v_pk_add_f16 v27, v52, v27
	s_nop 0
	v_add_f16_sdwa v27, v27, v27 dst_sel:DWORD dst_unused:UNUSED_PAD src0_sel:DWORD src1_sel:WORD_1
	v_add_f16_e32 v52, v27, v26
	v_lshl_add_u64 v[26:27], v[20:21], 1, v[2:3]
	global_store_short v[26:27], v52, off
	v_mov_b32_e32 v26, 0
	v_mov_b32_e32 v27, 0
	s_cbranch_vccnz .LBB290_71
; %bb.70:
	v_lshl_add_u64 v[60:61], v[12:13], 1, v[0:1]
	flat_load_ushort v27, v[60:61]
	s_waitcnt vmcnt(0) lgkmcnt(0)
	v_mul_f16_e32 v27, s12, v27
.LBB290_71:
	v_pk_min_f16 v52, v33, v22
	v_lshl_add_u64 v[60:61], v[12:13], 1, v[2:3]
	v_pk_add_f16 v51, v52, v51
	v_pk_min_f16 v52, v34, v23
	s_and_b64 vcc, exec, s[0:1]
	v_pk_add_f16 v51, v52, v51
	s_nop 0
	v_add_f16_sdwa v51, v51, v51 dst_sel:DWORD dst_unused:UNUSED_PAD src0_sel:DWORD src1_sel:WORD_1
	v_add_f16_e32 v27, v51, v27
	global_store_short v[60:61], v27, off
	s_cbranch_vccnz .LBB290_73
; %bb.72:
	v_lshl_add_u64 v[26:27], v[14:15], 1, v[0:1]
	flat_load_ushort v26, v[26:27]
	s_waitcnt vmcnt(0) lgkmcnt(0)
	v_mul_f16_e32 v26, s12, v26
.LBB290_73:
	v_pk_min_f16 v27, v35, v22
	v_pk_min_f16 v51, v36, v23
	v_pk_add_f16 v27, v27, v55
	s_and_b64 vcc, exec, s[0:1]
	v_pk_add_f16 v27, v51, v27
	s_nop 0
	v_add_f16_sdwa v27, v27, v27 dst_sel:DWORD dst_unused:UNUSED_PAD src0_sel:DWORD src1_sel:WORD_1
	v_add_f16_e32 v51, v27, v26
	v_lshl_add_u64 v[26:27], v[14:15], 1, v[2:3]
	global_store_short v[26:27], v51, off
	v_mov_b32_e32 v26, 0
	v_mov_b32_e32 v27, 0
	s_cbranch_vccnz .LBB290_75
; %bb.74:
	v_lshl_add_u64 v[54:55], v[8:9], 1, v[0:1]
	flat_load_ushort v27, v[54:55]
	s_waitcnt vmcnt(0) lgkmcnt(0)
	v_mul_f16_e32 v27, s12, v27
.LBB290_75:
	v_pk_min_f16 v51, v37, v22
	v_pk_min_f16 v52, v47, v23
	v_pk_add_f16 v51, v51, v53
	s_and_b64 vcc, exec, s[0:1]
	v_pk_add_f16 v51, v52, v51
	v_lshl_add_u64 v[52:53], v[8:9], 1, v[2:3]
	v_add_f16_sdwa v51, v51, v51 dst_sel:DWORD dst_unused:UNUSED_PAD src0_sel:DWORD src1_sel:WORD_1
	v_add_f16_e32 v27, v51, v27
	global_store_short v[52:53], v27, off
	s_cbranch_vccnz .LBB290_77
; %bb.76:
	v_lshl_add_u64 v[26:27], v[10:11], 1, v[0:1]
	flat_load_ushort v26, v[26:27]
	s_waitcnt vmcnt(0) lgkmcnt(0)
	v_mul_f16_e32 v26, s12, v26
.LBB290_77:
	v_pk_min_f16 v27, v48, v22
	s_and_b64 vcc, exec, s[0:1]
	v_pk_add_f16 v27, v27, v50
	v_pk_min_f16 v50, v57, v23
	s_nop 0
	v_pk_add_f16 v27, v50, v27
	s_nop 0
	v_add_f16_sdwa v27, v27, v27 dst_sel:DWORD dst_unused:UNUSED_PAD src0_sel:DWORD src1_sel:WORD_1
	v_add_f16_e32 v50, v27, v26
	v_lshl_add_u64 v[26:27], v[10:11], 1, v[2:3]
	global_store_short v[26:27], v50, off
	v_mov_b32_e32 v26, 0
	v_mov_b32_e32 v27, 0
	s_cbranch_vccnz .LBB290_79
; %bb.78:
	v_lshl_add_u64 v[50:51], v[4:5], 1, v[0:1]
	flat_load_ushort v27, v[50:51]
	s_waitcnt vmcnt(0) lgkmcnt(0)
	v_mul_f16_e32 v27, s12, v27
.LBB290_79:
	v_pk_min_f16 v50, v58, v22
	s_and_b64 vcc, exec, s[0:1]
	v_pk_add_f16 v49, v50, v49
	v_pk_min_f16 v50, v67, v23
	s_nop 0
	v_pk_add_f16 v49, v50, v49
	v_lshl_add_u64 v[50:51], v[4:5], 1, v[2:3]
	v_add_f16_sdwa v49, v49, v49 dst_sel:DWORD dst_unused:UNUSED_PAD src0_sel:DWORD src1_sel:WORD_1
	v_add_f16_e32 v27, v49, v27
	global_store_short v[50:51], v27, off
	s_cbranch_vccnz .LBB290_81
; %bb.80:
	v_lshl_add_u64 v[0:1], v[6:7], 1, v[0:1]
	flat_load_ushort v0, v[0:1]
	s_waitcnt vmcnt(0) lgkmcnt(0)
	v_mul_f16_e32 v26, s12, v0
.LBB290_81:
	v_pk_min_f16 v0, v24, v22
	v_pk_min_f16 v1, v25, v23
	v_pk_add_f16 v0, v0, v46
	s_and_b64 vcc, exec, s[0:1]
	v_pk_add_f16 v0, v1, v0
	v_mov_b32_e32 v23, 0
	v_add_f16_sdwa v0, v0, v0 dst_sel:DWORD dst_unused:UNUSED_PAD src0_sel:DWORD src1_sel:WORD_1
	v_add_f16_e32 v22, v0, v26
	v_lshl_add_u64 v[0:1], v[6:7], 1, v[2:3]
	v_add_u32_e32 v2, 0x60, v28
	global_store_short v[0:1], v22, off
	v_mad_i64_i32 v[0:1], s[4:5], v2, s14, 0
	v_lshl_add_u64 v[0:1], v[0:1], 1, s[8:9]
	v_mov_b32_e32 v22, 0
	s_cbranch_vccnz .LBB290_83
; %bb.82:
	v_lshl_add_u64 v[26:27], v[16:17], 1, v[0:1]
	flat_load_ushort v3, v[26:27]
	s_waitcnt vmcnt(0) lgkmcnt(0)
	v_mul_f16_e32 v23, s12, v3
.LBB290_83:
	v_pk_max_f16 v18, v18, v18
	v_pk_max_f16 v19, v19, v19
	v_pk_min_f16 v3, v29, v18
	v_pk_min_f16 v26, v30, v19
	v_pk_add_f16 v3, v3, v44
	s_and_b64 vcc, exec, s[0:1]
	v_pk_add_f16 v26, v26, v3
	v_mad_i64_i32 v[2:3], s[4:5], v2, s15, 0
	v_lshl_add_u64 v[2:3], v[2:3], 1, s[2:3]
	v_add_f16_sdwa v26, v26, v26 dst_sel:DWORD dst_unused:UNUSED_PAD src0_sel:DWORD src1_sel:WORD_1
	v_add_f16_e32 v23, v26, v23
	v_lshl_add_u64 v[16:17], v[16:17], 1, v[2:3]
	global_store_short v[16:17], v23, off
	s_cbranch_vccnz .LBB290_85
; %bb.84:
	v_lshl_add_u64 v[16:17], v[20:21], 1, v[0:1]
	flat_load_ushort v16, v[16:17]
	s_waitcnt vmcnt(0) lgkmcnt(0)
	v_mul_f16_e32 v22, s12, v16
.LBB290_85:
	v_pk_min_f16 v16, v31, v18
	v_pk_min_f16 v17, v32, v19
	v_pk_add_f16 v16, v16, v41
	s_and_b64 vcc, exec, s[0:1]
	v_pk_add_f16 v16, v17, v16
	s_nop 0
	v_add_f16_sdwa v16, v16, v16 dst_sel:DWORD dst_unused:UNUSED_PAD src0_sel:DWORD src1_sel:WORD_1
	v_add_f16_e32 v22, v16, v22
	v_lshl_add_u64 v[16:17], v[20:21], 1, v[2:3]
	global_store_short v[16:17], v22, off
	v_mov_b32_e32 v16, 0
	v_mov_b32_e32 v17, 0
	s_cbranch_vccnz .LBB290_87
; %bb.86:
	v_lshl_add_u64 v[20:21], v[12:13], 1, v[0:1]
	flat_load_ushort v17, v[20:21]
	s_waitcnt vmcnt(0) lgkmcnt(0)
	v_mul_f16_e32 v17, s12, v17
.LBB290_87:
	v_pk_min_f16 v20, v33, v18
	v_pk_min_f16 v21, v34, v19
	v_pk_add_f16 v20, v20, v40
	v_lshl_add_u64 v[12:13], v[12:13], 1, v[2:3]
	v_pk_add_f16 v20, v21, v20
	s_and_b64 vcc, exec, s[0:1]
	v_add_f16_sdwa v20, v20, v20 dst_sel:DWORD dst_unused:UNUSED_PAD src0_sel:DWORD src1_sel:WORD_1
	v_add_f16_e32 v17, v20, v17
	global_store_short v[12:13], v17, off
	s_cbranch_vccnz .LBB290_89
; %bb.88:
	v_lshl_add_u64 v[12:13], v[14:15], 1, v[0:1]
	flat_load_ushort v12, v[12:13]
	s_waitcnt vmcnt(0) lgkmcnt(0)
	v_mul_f16_e32 v16, s12, v12
.LBB290_89:
	v_pk_min_f16 v12, v35, v18
	v_pk_min_f16 v13, v36, v19
	v_pk_add_f16 v12, v12, v45
	s_and_b64 vcc, exec, s[0:1]
	v_pk_add_f16 v12, v13, v12
	s_nop 0
	v_add_f16_sdwa v12, v12, v12 dst_sel:DWORD dst_unused:UNUSED_PAD src0_sel:DWORD src1_sel:WORD_1
	v_add_f16_e32 v16, v12, v16
	v_lshl_add_u64 v[12:13], v[14:15], 1, v[2:3]
	global_store_short v[12:13], v16, off
	v_mov_b32_e32 v12, 0
	v_mov_b32_e32 v13, 0
	s_cbranch_vccnz .LBB290_91
; %bb.90:
	v_lshl_add_u64 v[14:15], v[8:9], 1, v[0:1]
	flat_load_ushort v13, v[14:15]
	s_waitcnt vmcnt(0) lgkmcnt(0)
	v_mul_f16_e32 v13, s12, v13
.LBB290_91:
	v_pk_min_f16 v14, v37, v18
	v_pk_min_f16 v15, v47, v19
	v_pk_add_f16 v14, v14, v42
	v_lshl_add_u64 v[8:9], v[8:9], 1, v[2:3]
	v_pk_add_f16 v14, v15, v14
	s_and_b64 vcc, exec, s[0:1]
	v_add_f16_sdwa v14, v14, v14 dst_sel:DWORD dst_unused:UNUSED_PAD src0_sel:DWORD src1_sel:WORD_1
	v_add_f16_e32 v13, v14, v13
	global_store_short v[8:9], v13, off
	s_cbranch_vccnz .LBB290_93
; %bb.92:
	v_lshl_add_u64 v[8:9], v[10:11], 1, v[0:1]
	flat_load_ushort v8, v[8:9]
	s_waitcnt vmcnt(0) lgkmcnt(0)
	v_mul_f16_e32 v12, s12, v8
.LBB290_93:
	v_pk_min_f16 v8, v48, v18
	v_pk_min_f16 v9, v57, v19
	v_pk_add_f16 v8, v8, v39
	v_pk_min_f16 v13, v67, v19
	v_pk_add_f16 v8, v9, v8
	v_pk_min_f16 v9, v58, v18
	v_add_f16_sdwa v8, v8, v8 dst_sel:DWORD dst_unused:UNUSED_PAD src0_sel:DWORD src1_sel:WORD_1
	v_pk_add_f16 v9, v9, v43
	v_add_f16_e32 v12, v8, v12
	v_pk_add_f16 v13, v13, v9
	v_lshl_add_u64 v[8:9], v[10:11], 1, v[2:3]
	global_store_short v[8:9], v12, off
	v_add_f16_sdwa v8, v13, v13 dst_sel:DWORD dst_unused:UNUSED_PAD src0_sel:DWORD src1_sel:WORD_1
	s_mov_b64 vcc, s[6:7]
	s_cbranch_vccz .LBB290_96
; %bb.94:
	v_add_f16_e32 v9, 0, v8
	v_lshl_add_u64 v[10:11], v[4:5], 1, v[2:3]
	s_mov_b32 s2, 0
	global_store_short v[10:11], v9, off
	s_cbranch_execz .LBB290_97
; %bb.95:
	v_mov_b32_e32 v0, s2
	s_branch .LBB290_98
.LBB290_96:
                                        ; implicit-def: $sgpr2
.LBB290_97:
	v_lshlrev_b64 v[4:5], 1, v[4:5]
	v_lshl_add_u64 v[10:11], v[0:1], 0, v[4:5]
	flat_load_ushort v9, v[10:11]
	v_lshl_add_u64 v[4:5], v[2:3], 0, v[4:5]
	v_lshl_add_u64 v[0:1], v[6:7], 1, v[0:1]
	s_waitcnt vmcnt(0) lgkmcnt(0)
	v_fma_f16 v8, v9, s12, v8
	global_store_short v[4:5], v8, off
	flat_load_ushort v0, v[0:1]
	s_waitcnt vmcnt(0) lgkmcnt(0)
	v_mul_f16_e32 v0, s12, v0
.LBB290_98:
	v_pk_min_f16 v4, v24, v18
	v_pk_min_f16 v1, v25, v19
	v_pk_add_f16 v4, v4, v38
	s_nop 0
	v_pk_add_f16 v1, v1, v4
	s_nop 0
	v_add_f16_sdwa v1, v1, v1 dst_sel:DWORD dst_unused:UNUSED_PAD src0_sel:DWORD src1_sel:WORD_1
	v_add_f16_e32 v4, v1, v0
	v_lshl_add_u64 v[0:1], v[6:7], 1, v[2:3]
	global_store_short v[0:1], v4, off
	s_endpgm
	.section	.rodata,"a",@progbits
	.p2align	6, 0x0
	.amdhsa_kernel _ZN12_GLOBAL__N_120geam_min_plus_kernelIDF16_Dv2_DF16_S1_Li8ELi32ELi64ELi128ELi4ELi4ELi64ELi4ELi64ELc84ELc78ELb0ELb0ELb0EDF16_KDF16_DF16_EEviiiT16_PT17_ilS5_ilS3_S5_ilPT18_ili26rocblas_geam_ex_operation_
		.amdhsa_group_segment_fixed_size 3072
		.amdhsa_private_segment_fixed_size 0
		.amdhsa_kernarg_size 128
		.amdhsa_user_sgpr_count 2
		.amdhsa_user_sgpr_dispatch_ptr 0
		.amdhsa_user_sgpr_queue_ptr 0
		.amdhsa_user_sgpr_kernarg_segment_ptr 1
		.amdhsa_user_sgpr_dispatch_id 0
		.amdhsa_user_sgpr_kernarg_preload_length 0
		.amdhsa_user_sgpr_kernarg_preload_offset 0
		.amdhsa_user_sgpr_private_segment_size 0
		.amdhsa_uses_dynamic_stack 0
		.amdhsa_enable_private_segment 0
		.amdhsa_system_sgpr_workgroup_id_x 1
		.amdhsa_system_sgpr_workgroup_id_y 0
		.amdhsa_system_sgpr_workgroup_id_z 1
		.amdhsa_system_sgpr_workgroup_info 0
		.amdhsa_system_vgpr_workitem_id 1
		.amdhsa_next_free_vgpr 123
		.amdhsa_next_free_sgpr 28
		.amdhsa_accum_offset 124
		.amdhsa_reserve_vcc 1
		.amdhsa_float_round_mode_32 0
		.amdhsa_float_round_mode_16_64 0
		.amdhsa_float_denorm_mode_32 3
		.amdhsa_float_denorm_mode_16_64 3
		.amdhsa_dx10_clamp 1
		.amdhsa_ieee_mode 1
		.amdhsa_fp16_overflow 0
		.amdhsa_tg_split 0
		.amdhsa_exception_fp_ieee_invalid_op 0
		.amdhsa_exception_fp_denorm_src 0
		.amdhsa_exception_fp_ieee_div_zero 0
		.amdhsa_exception_fp_ieee_overflow 0
		.amdhsa_exception_fp_ieee_underflow 0
		.amdhsa_exception_fp_ieee_inexact 0
		.amdhsa_exception_int_div_zero 0
	.end_amdhsa_kernel
	.section	.text._ZN12_GLOBAL__N_120geam_min_plus_kernelIDF16_Dv2_DF16_S1_Li8ELi32ELi64ELi128ELi4ELi4ELi64ELi4ELi64ELc84ELc78ELb0ELb0ELb0EDF16_KDF16_DF16_EEviiiT16_PT17_ilS5_ilS3_S5_ilPT18_ili26rocblas_geam_ex_operation_,"axG",@progbits,_ZN12_GLOBAL__N_120geam_min_plus_kernelIDF16_Dv2_DF16_S1_Li8ELi32ELi64ELi128ELi4ELi4ELi64ELi4ELi64ELc84ELc78ELb0ELb0ELb0EDF16_KDF16_DF16_EEviiiT16_PT17_ilS5_ilS3_S5_ilPT18_ili26rocblas_geam_ex_operation_,comdat
.Lfunc_end290:
	.size	_ZN12_GLOBAL__N_120geam_min_plus_kernelIDF16_Dv2_DF16_S1_Li8ELi32ELi64ELi128ELi4ELi4ELi64ELi4ELi64ELc84ELc78ELb0ELb0ELb0EDF16_KDF16_DF16_EEviiiT16_PT17_ilS5_ilS3_S5_ilPT18_ili26rocblas_geam_ex_operation_, .Lfunc_end290-_ZN12_GLOBAL__N_120geam_min_plus_kernelIDF16_Dv2_DF16_S1_Li8ELi32ELi64ELi128ELi4ELi4ELi64ELi4ELi64ELc84ELc78ELb0ELb0ELb0EDF16_KDF16_DF16_EEviiiT16_PT17_ilS5_ilS3_S5_ilPT18_ili26rocblas_geam_ex_operation_
                                        ; -- End function
	.section	.AMDGPU.csdata,"",@progbits
; Kernel info:
; codeLenInByte = 8888
; NumSgprs: 34
; NumVgprs: 123
; NumAgprs: 0
; TotalNumVgprs: 123
; ScratchSize: 0
; MemoryBound: 0
; FloatMode: 240
; IeeeMode: 1
; LDSByteSize: 3072 bytes/workgroup (compile time only)
; SGPRBlocks: 4
; VGPRBlocks: 15
; NumSGPRsForWavesPerEU: 34
; NumVGPRsForWavesPerEU: 123
; AccumOffset: 124
; Occupancy: 4
; WaveLimiterHint : 0
; COMPUTE_PGM_RSRC2:SCRATCH_EN: 0
; COMPUTE_PGM_RSRC2:USER_SGPR: 2
; COMPUTE_PGM_RSRC2:TRAP_HANDLER: 0
; COMPUTE_PGM_RSRC2:TGID_X_EN: 1
; COMPUTE_PGM_RSRC2:TGID_Y_EN: 0
; COMPUTE_PGM_RSRC2:TGID_Z_EN: 1
; COMPUTE_PGM_RSRC2:TIDIG_COMP_CNT: 1
; COMPUTE_PGM_RSRC3_GFX90A:ACCUM_OFFSET: 30
; COMPUTE_PGM_RSRC3_GFX90A:TG_SPLIT: 0
	.section	.text._ZN12_GLOBAL__N_120geam_min_plus_kernelIDF16_Dv2_DF16_S1_Li8ELi32ELi64ELi128ELi4ELi4ELi64ELi4ELi64ELc84ELc78ELb0ELb1ELb0EPKDF16_S2_DF16_EEviiiT16_PT17_ilS6_ilS4_S6_ilPT18_ili26rocblas_geam_ex_operation_,"axG",@progbits,_ZN12_GLOBAL__N_120geam_min_plus_kernelIDF16_Dv2_DF16_S1_Li8ELi32ELi64ELi128ELi4ELi4ELi64ELi4ELi64ELc84ELc78ELb0ELb1ELb0EPKDF16_S2_DF16_EEviiiT16_PT17_ilS6_ilS4_S6_ilPT18_ili26rocblas_geam_ex_operation_,comdat
	.globl	_ZN12_GLOBAL__N_120geam_min_plus_kernelIDF16_Dv2_DF16_S1_Li8ELi32ELi64ELi128ELi4ELi4ELi64ELi4ELi64ELc84ELc78ELb0ELb1ELb0EPKDF16_S2_DF16_EEviiiT16_PT17_ilS6_ilS4_S6_ilPT18_ili26rocblas_geam_ex_operation_ ; -- Begin function _ZN12_GLOBAL__N_120geam_min_plus_kernelIDF16_Dv2_DF16_S1_Li8ELi32ELi64ELi128ELi4ELi4ELi64ELi4ELi64ELc84ELc78ELb0ELb1ELb0EPKDF16_S2_DF16_EEviiiT16_PT17_ilS6_ilS4_S6_ilPT18_ili26rocblas_geam_ex_operation_
	.p2align	8
	.type	_ZN12_GLOBAL__N_120geam_min_plus_kernelIDF16_Dv2_DF16_S1_Li8ELi32ELi64ELi128ELi4ELi4ELi64ELi4ELi64ELc84ELc78ELb0ELb1ELb0EPKDF16_S2_DF16_EEviiiT16_PT17_ilS6_ilS4_S6_ilPT18_ili26rocblas_geam_ex_operation_,@function
_ZN12_GLOBAL__N_120geam_min_plus_kernelIDF16_Dv2_DF16_S1_Li8ELi32ELi64ELi128ELi4ELi4ELi64ELi4ELi64ELc84ELc78ELb0ELb1ELb0EPKDF16_S2_DF16_EEviiiT16_PT17_ilS6_ilS4_S6_ilPT18_ili26rocblas_geam_ex_operation_: ; @_ZN12_GLOBAL__N_120geam_min_plus_kernelIDF16_Dv2_DF16_S1_Li8ELi32ELi64ELi128ELi4ELi4ELi64ELi4ELi64ELc84ELc78ELb0ELb1ELb0EPKDF16_S2_DF16_EEviiiT16_PT17_ilS6_ilS4_S6_ilPT18_ili26rocblas_geam_ex_operation_
; %bb.0:
	s_load_dwordx4 s[4:7], s[0:1], 0x10
	s_load_dwordx4 s[8:11], s[0:1], 0x28
	;; [unrolled: 1-line block ×3, first 2 shown]
	s_load_dwordx2 s[20:21], s[0:1], 0x50
	s_mov_b32 s16, s3
	s_mov_b32 s17, 0
	s_lshl_b64 s[18:19], s[16:17], 1
	s_waitcnt lgkmcnt(0)
	s_add_u32 s4, s4, s18
	s_addc_u32 s5, s5, s19
	v_mov_b32_e32 v1, 0
	global_load_ushort v34, v1, s[4:5]
	s_add_u32 s4, s14, s18
	s_addc_u32 s5, s15, s19
	global_load_ushort v44, v1, s[4:5]
	s_mov_b64 s[18:19], 0
	s_mov_b64 s[26:27], 0
	s_waitcnt vmcnt(1)
	v_cmp_eq_f16_e32 vcc, 0, v34
	v_cmp_neq_f16_e64 s[4:5], 0, v34
	s_cbranch_vccnz .LBB291_2
; %bb.1:
	s_mul_i32 s3, s16, s9
	s_mul_hi_u32 s9, s16, s8
	s_add_i32 s9, s9, s3
	s_mul_i32 s8, s16, s8
	s_lshl_b64 s[8:9], s[8:9], 1
	s_add_u32 s26, s6, s8
	s_addc_u32 s27, s7, s9
.LBB291_2:
	s_andn2_b64 vcc, exec, s[4:5]
	s_cbranch_vccnz .LBB291_4
; %bb.3:
	s_mul_i32 s3, s16, s13
	s_mul_hi_u32 s6, s16, s12
	s_add_i32 s7, s6, s3
	s_mul_i32 s6, s16, s12
	s_lshl_b64 s[6:7], s[6:7], 1
	s_add_u32 s18, s10, s6
	s_addc_u32 s19, s11, s7
.LBB291_4:
	s_load_dwordx4 s[12:15], s[0:1], 0x60
	s_waitcnt vmcnt(0)
	v_cmp_eq_f16_e32 vcc, 0, v44
	v_cmp_neq_f16_e64 s[8:9], 0, v44
	s_cbranch_vccnz .LBB291_6
; %bb.5:
	s_waitcnt lgkmcnt(0)
	s_mul_i32 s3, s16, s13
	s_mul_hi_u32 s6, s16, s12
	s_add_i32 s7, s6, s3
	s_mul_i32 s6, s16, s12
	s_lshl_b64 s[6:7], s[6:7], 1
	s_add_u32 s24, s20, s6
	s_addc_u32 s25, s21, s7
	s_branch .LBB291_7
.LBB291_6:
	s_mov_b64 s[24:25], 0
.LBB291_7:
	s_load_dwordx4 s[20:23], s[0:1], 0x0
	s_load_dword s3, s[0:1], 0x20
	v_and_b32_e32 v32, 0x3ff, v0
	v_bfe_u32 v33, v0, 10, 10
	v_and_b32_e32 v35, 3, v32
	s_waitcnt lgkmcnt(0)
	s_add_i32 s6, s20, -1
	s_ashr_i32 s7, s6, 31
	s_lshr_b32 s7, s7, 26
	s_add_i32 s6, s6, s7
	s_ashr_i32 s10, s6, 6
	s_add_i32 s11, s10, 1
	v_cvt_f32_u32_e32 v1, s11
	s_not_b32 s10, s10
	v_cmp_gt_i32_e64 s[6:7], s22, v35
	v_mov_b32_e32 v9, 0
	v_rcp_iflag_f32_e32 v0, v1
	v_lshl_add_u32 v1, v33, 3, v32
	v_lshrrev_b32_e32 v4, 2, v1
	v_mov_b32_e32 v10, 0
	v_mul_f32_e32 v0, 0x4f7ffffe, v0
	v_cvt_u32_f32_e32 v1, v0
	v_lshlrev_b32_e32 v0, 1, v35
	v_readfirstlane_b32 s12, v1
	s_mul_i32 s10, s10, s12
	s_mul_hi_u32 s10, s12, s10
	s_add_i32 s12, s12, s10
	s_mul_hi_u32 s10, s2, s12
	s_mul_i32 s12, s10, s11
	s_sub_i32 s12, s2, s12
	s_add_i32 s13, s10, 1
	s_sub_i32 s17, s12, s11
	s_cmp_ge_u32 s12, s11
	s_cselect_b32 s10, s13, s10
	s_cselect_b32 s12, s17, s12
	s_add_i32 s13, s10, 1
	s_cmp_ge_u32 s12, s11
	s_cselect_b32 s10, s13, s10
	s_mul_i32 s31, s10, s11
	s_sub_i32 s11, s2, s31
	s_lshl_b32 s17, s11, 6
	v_add_u32_e32 v7, s17, v4
	v_cmp_gt_i32_e32 vcc, s20, v7
	s_and_b64 s[6:7], s[6:7], vcc
	s_and_b64 s[12:13], s[4:5], s[6:7]
	s_and_saveexec_b64 s[6:7], s[12:13]
	s_cbranch_execz .LBB291_9
; %bb.8:
	v_mad_i64_i32 v[2:3], s[12:13], v7, s3, 0
	v_lshl_add_u64 v[2:3], v[2:3], 1, s[26:27]
	v_mov_b32_e32 v1, 0
	v_lshl_add_u64 v[2:3], v[2:3], 0, v[0:1]
	flat_load_ushort v1, v[2:3]
	s_waitcnt vmcnt(0) lgkmcnt(0)
	v_mul_f16_e32 v10, v34, v1
.LBB291_9:
	s_or_b64 exec, exec, s[6:7]
	s_lshl_b32 s30, s10, 7
	s_load_dword s33, s[0:1], 0x38
	v_add_u32_e32 v5, s30, v4
	s_add_i32 s23, s22, -1
	v_cmp_le_i32_e64 s[10:11], s21, v5
	s_xor_b64 s[28:29], s[4:5], -1
	v_cmp_le_i32_e64 s[6:7], s22, v35
	v_min_i32_e32 v2, s23, v35
	s_or_b64 s[12:13], s[10:11], s[28:29]
	v_ashrrev_i32_e32 v3, 31, v2
	s_or_b64 s[10:11], s[6:7], s[12:13]
	v_lshl_add_u64 v[2:3], v[2:3], 1, s[18:19]
	s_xor_b64 s[34:35], s[10:11], -1
	s_and_saveexec_b64 s[10:11], s[34:35]
	s_cbranch_execz .LBB291_11
; %bb.10:
	s_waitcnt lgkmcnt(0)
	v_mad_i64_i32 v[8:9], s[34:35], v5, s33, 0
	v_lshl_add_u64 v[8:9], v[8:9], 1, v[2:3]
	flat_load_ushort v1, v[8:9]
	s_waitcnt vmcnt(0) lgkmcnt(0)
	v_mul_f16_e32 v9, v34, v1
.LBB291_11:
	s_or_b64 exec, exec, s[10:11]
	v_add_u32_e32 v6, 64, v5
	v_cmp_le_i32_e64 s[10:11], s21, v6
	s_or_b64 s[10:11], s[10:11], s[28:29]
	s_or_b64 s[6:7], s[6:7], s[10:11]
	s_xor_b64 s[28:29], s[6:7], -1
	v_mov_b32_e32 v1, 0
	v_mov_b32_e32 v11, 0
	s_and_saveexec_b64 s[6:7], s[28:29]
	s_cbranch_execz .LBB291_13
; %bb.12:
	s_waitcnt lgkmcnt(0)
	v_mad_i64_i32 v[12:13], s[28:29], v6, s33, 0
	v_lshl_add_u64 v[2:3], v[12:13], 1, v[2:3]
	flat_load_ushort v2, v[2:3]
	s_waitcnt vmcnt(0) lgkmcnt(0)
	v_mul_f16_e32 v11, v34, v2
.LBB291_13:
	s_or_b64 exec, exec, s[6:7]
	v_or_b32_e32 v2, 4, v35
	v_cmp_gt_i32_e64 s[6:7], s22, v2
	s_and_b64 s[6:7], s[6:7], vcc
	s_and_b64 s[28:29], s[4:5], s[6:7]
	s_and_saveexec_b64 s[6:7], s[28:29]
	s_cbranch_execz .LBB291_15
; %bb.14:
	v_mad_i64_i32 v[12:13], s[28:29], v7, s3, 0
	v_lshl_add_u64 v[12:13], v[12:13], 1, s[26:27]
	v_mov_b32_e32 v1, 0
	v_lshl_add_u64 v[12:13], v[12:13], 0, v[0:1]
	flat_load_ushort v1, v[12:13] offset:8
	s_waitcnt vmcnt(0) lgkmcnt(0)
	v_mul_f16_e32 v1, v34, v1
.LBB291_15:
	s_or_b64 exec, exec, s[6:7]
	v_cmp_le_i32_e64 s[6:7], s22, v2
	v_min_i32_e32 v2, s23, v2
	v_ashrrev_i32_e32 v3, 31, v2
	s_or_b64 s[28:29], s[6:7], s[12:13]
	v_lshl_add_u64 v[2:3], v[2:3], 1, s[18:19]
	s_xor_b64 s[34:35], s[28:29], -1
	v_mov_b32_e32 v7, 0
	v_mov_b32_e32 v8, 0
	s_and_saveexec_b64 s[28:29], s[34:35]
	s_cbranch_execz .LBB291_17
; %bb.16:
	s_waitcnt lgkmcnt(0)
	v_mad_i64_i32 v[12:13], s[34:35], v5, s33, 0
	v_lshl_add_u64 v[12:13], v[12:13], 1, v[2:3]
	flat_load_ushort v8, v[12:13]
	s_waitcnt vmcnt(0) lgkmcnt(0)
	v_mul_f16_e32 v8, v34, v8
.LBB291_17:
	s_or_b64 exec, exec, s[28:29]
	s_or_b64 s[6:7], s[6:7], s[10:11]
	s_xor_b64 s[28:29], s[6:7], -1
	s_and_saveexec_b64 s[6:7], s[28:29]
	s_cbranch_execz .LBB291_19
; %bb.18:
	s_waitcnt lgkmcnt(0)
	v_mad_i64_i32 v[12:13], s[28:29], v6, s33, 0
	v_lshl_add_u64 v[2:3], v[12:13], 1, v[2:3]
	flat_load_ushort v2, v[2:3]
	s_waitcnt vmcnt(0) lgkmcnt(0)
	v_mul_f16_e32 v7, v34, v2
.LBB291_19:
	s_or_b64 exec, exec, s[6:7]
	v_lshlrev_b32_e32 v37, 3, v32
	v_lshl_or_b32 v38, v4, 3, v0
	v_lshlrev_b32_e32 v36, 3, v33
	v_add_u32_e32 v39, 0x800, v37
	ds_write_b16 v38, v10 offset:2048
	ds_write_b16 v38, v9
	ds_write_b16 v38, v11 offset:512
	s_waitcnt lgkmcnt(0)
	s_barrier
	ds_read2_b64 v[10:13], v36 offset1:32
	ds_read2_b64 v[14:17], v39 offset0:48 offset1:56
	ds_read2_b64 v[18:21], v36 offset0:64 offset1:96
	ds_read2_b64 v[22:25], v39 offset1:8
	ds_read2_b64 v[26:29], v39 offset0:16 offset1:24
	ds_read2_b64 v[40:43], v39 offset0:32 offset1:40
	s_waitcnt lgkmcnt(5)
	v_pk_max_f16 v2, v10, v10
	s_waitcnt lgkmcnt(4)
	v_pk_max_f16 v3, v16, v16
	v_pk_max_f16 v10, v12, v12
	v_pk_min_f16 v9, v3, v2
	s_waitcnt lgkmcnt(3)
	v_pk_max_f16 v16, v18, v18
	s_waitcnt lgkmcnt(2)
	v_pk_max_f16 v18, v22, v22
	v_pk_max_f16 v20, v20, v20
	v_pk_max_f16 v24, v24, v24
	s_waitcnt lgkmcnt(1)
	v_pk_max_f16 v26, v26, v26
	v_pk_max_f16 v28, v28, v28
	;; [unrolled: 4-line block ×3, first 2 shown]
	v_pk_max_f16 v14, v14, v14
	v_pk_max_f16 v17, v17, v17
	v_pk_min_f16 v12, v3, v10
	v_pk_min_f16 v22, v18, v2
	;; [unrolled: 1-line block ×17, first 2 shown]
	v_pk_max_f16 v13, v13, v13
	v_pk_min_f16 v56, v40, v2
	v_pk_min_f16 v57, v40, v10
	;; [unrolled: 1-line block ×14, first 2 shown]
	v_pk_add_f16 v9, v9, 0
	v_pk_min_f16 v20, v17, v11
	v_pk_max_f16 v19, v19, v19
	v_pk_add_f16 v69, v9, v20
	v_pk_add_f16 v9, v12, 0
	v_pk_min_f16 v12, v17, v13
	v_pk_max_f16 v23, v23, v23
	v_pk_add_f16 v61, v9, v12
	;; [unrolled: 4-line block ×5, first 2 shown]
	v_pk_add_f16 v9, v31, 0
	v_pk_min_f16 v12, v23, v19
	v_pk_add_f16 v20, v50, 0
	v_pk_add_f16 v60, v9, v12
	v_pk_add_f16 v9, v18, 0
	v_pk_min_f16 v12, v23, v21
	v_pk_add_f16 v23, v51, 0
	v_pk_add_f16 v52, v9, v12
	;; [unrolled: 4-line block ×3, first 2 shown]
	v_pk_add_f16 v9, v46, 0
	v_pk_min_f16 v12, v25, v13
	v_pk_max_f16 v29, v29, v29
	v_pk_add_f16 v67, v9, v12
	v_pk_add_f16 v9, v47, 0
	v_pk_min_f16 v12, v25, v19
	v_pk_min_f16 v25, v25, v21
	v_pk_add_f16 v59, v9, v12
	v_pk_add_f16 v9, v24, 0
	;; [unrolled: 1-line block ×4, first 2 shown]
	v_pk_min_f16 v9, v27, v11
	v_pk_add_f16 v22, v26, 0
	v_pk_add_f16 v75, v12, v9
	v_pk_min_f16 v9, v27, v13
	v_pk_add_f16 v45, v58, 0
	v_pk_add_f16 v66, v18, v9
	;; [unrolled: 3-line block ×8, first 2 shown]
	v_pk_max_f16 v9, v41, v41
	v_pk_add_f16 v54, v64, 0
	v_pk_min_f16 v12, v9, v11
	v_pk_add_f16 v46, v62, 0
	v_pk_add_f16 v73, v30, v12
	v_pk_min_f16 v12, v9, v13
	v_pk_add_f16 v47, v63, 0
	v_pk_add_f16 v64, v31, v12
	v_pk_min_f16 v12, v9, v19
	v_pk_min_f16 v9, v9, v21
	v_pk_add_f16 v56, v45, v12
	v_pk_add_f16 v48, v40, v9
	v_pk_max_f16 v9, v43, v43
	v_pk_add_f16 v42, v42, 0
	v_pk_min_f16 v12, v9, v11
	v_pk_add_f16 v2, v2, 0
	v_pk_add_f16 v72, v46, v12
	v_pk_min_f16 v12, v9, v13
	v_pk_add_f16 v10, v10, 0
	v_pk_add_f16 v63, v47, v12
	v_pk_min_f16 v12, v9, v19
	v_pk_min_f16 v9, v9, v21
	v_pk_add_f16 v16, v16, 0
	v_pk_add_f16 v47, v42, v9
	v_pk_max_f16 v9, v15, v15
	v_pk_add_f16 v14, v14, 0
	v_pk_min_f16 v11, v9, v11
	v_pk_add_f16 v55, v54, v12
	v_pk_add_f16 v71, v2, v11
	v_pk_min_f16 v2, v9, v13
	v_pk_add_f16 v3, v3, 0
	v_pk_add_f16 v62, v10, v2
	v_pk_min_f16 v2, v9, v19
	s_mov_b32 s28, 0
	v_pk_add_f16 v54, v16, v2
	v_pk_min_f16 v2, v9, v21
	s_cmp_lt_i32 s22, 9
	v_pk_add_f16 v46, v14, v2
	v_pk_min_f16 v2, v17, v21
	ds_write_b16 v38, v1 offset:2560
	ds_write_b16 v38, v8 offset:1024
	;; [unrolled: 1-line block ×3, first 2 shown]
	v_pk_add_f16 v45, v3, v2
	s_waitcnt lgkmcnt(0)
	s_barrier
	s_cbranch_scc1 .LBB291_34
; %bb.20:
	v_mov_b32_e32 v1, 0xa00
	v_lshl_add_u32 v43, v32, 3, v1
	v_mov_b32_e32 v1, 0x400
	v_lshl_add_u32 v70, v33, 3, v1
	v_lshl_add_u32 v1, s2, 6, v4
	s_lshl_b32 s2, s31, 6
	v_subrev_u32_e32 v1, s2, v1
	v_mad_i64_i32 v[2:3], s[2:3], s3, v1, 0
	v_mov_b32_e32 v1, 0
	v_lshl_add_u64 v[0:1], v[2:3], 1, v[0:1]
	v_lshl_add_u64 v[0:1], v[0:1], 0, s[26:27]
	v_add_u32_e32 v40, 0x800, v38
	v_add_u32_e32 v41, 0xa00, v38
	;; [unrolled: 1-line block ×3, first 2 shown]
	s_add_i32 s29, s22, -8
	v_mad_i64_i32 v[24:25], s[6:7], v5, s33, 0
	v_mad_i64_i32 v[26:27], s[6:7], v6, s33, 0
	v_lshl_add_u64 v[28:29], v[0:1], 0, 24
	s_branch .LBB291_22
.LBB291_21:                             ;   in Loop: Header=BB291_22 Depth=1
	s_or_b64 exec, exec, s[2:3]
	v_pk_add_f16 v20, v61, v20
	v_pk_add_f16 v12, v53, v12
	;; [unrolled: 1-line block ×19, first 2 shown]
	ds_read2_b64 v[6:9], v39 offset0:48 offset1:56
	ds_read2_b64 v[10:13], v36 offset1:32
	v_pk_add_f16 v2, v69, v2
	v_pk_add_f16 v30, v60, v80
	;; [unrolled: 1-line block ×4, first 2 shown]
	s_waitcnt lgkmcnt(1)
	v_pk_max_f16 v8, v8, v8
	s_waitcnt lgkmcnt(0)
	v_pk_max_f16 v10, v10, v10
	v_pk_add_f16 v16, v77, v16
	v_pk_add_f16 v60, v64, v90
	;; [unrolled: 1-line block ×9, first 2 shown]
	ds_read2_b64 v[2:5], v36 offset0:64 offset1:96
	v_pk_min_f16 v14, v8, v10
	v_pk_add_f16 v59, v65, v87
	v_pk_add_f16 v65, v16, v17
	;; [unrolled: 1-line block ×4, first 2 shown]
	ds_read2_b64 v[14:17], v39 offset1:8
	v_pk_max_f16 v12, v12, v12
	s_waitcnt lgkmcnt(1)
	v_pk_max_f16 v2, v2, v2
	v_pk_min_f16 v64, v8, v12
	v_pk_add_f16 v61, v63, v93
	v_pk_add_f16 v64, v20, v64
	v_pk_min_f16 v20, v8, v2
	s_waitcnt lgkmcnt(0)
	v_pk_max_f16 v14, v14, v14
	v_pk_add_f16 v63, v71, v96
	v_pk_add_f16 v71, v21, v20
	v_pk_min_f16 v20, v14, v10
	v_pk_max_f16 v4, v4, v4
	v_pk_add_f16 v65, v65, v20
	v_pk_min_f16 v20, v14, v12
	v_pk_max_f16 v16, v16, v16
	v_pk_add_f16 v22, v22, v20
	v_pk_min_f16 v20, v14, v2
	v_pk_min_f16 v14, v14, v4
	v_pk_add_f16 v23, v23, v20
	v_pk_min_f16 v20, v16, v10
	v_pk_add_f16 v14, v30, v14
	v_pk_add_f16 v30, v18, v20
	v_pk_min_f16 v18, v16, v12
	v_pk_add_f16 v51, v51, v83
	v_pk_add_f16 v72, v19, v18
	ds_read2_b64 v[18:21], v39 offset0:16 offset1:24
	v_pk_add_f16 v51, v51, v104
	v_pk_min_f16 v69, v16, v2
	v_pk_min_f16 v16, v16, v4
	v_pk_add_f16 v50, v50, v86
	s_waitcnt lgkmcnt(0)
	v_pk_max_f16 v18, v18, v18
	v_pk_add_f16 v16, v51, v16
	v_pk_min_f16 v51, v18, v10
	v_pk_add_f16 v53, v53, v105
	v_pk_add_f16 v73, v52, v51
	v_pk_min_f16 v51, v18, v12
	ds_read2_b64 v[80:83], v39 offset0:32 offset1:40
	v_pk_add_f16 v50, v50, v107
	v_pk_add_f16 v74, v53, v51
	v_pk_min_f16 v51, v18, v2
	v_pk_min_f16 v18, v18, v4
	v_pk_max_f16 v20, v20, v20
	v_pk_add_f16 v18, v50, v18
	v_pk_min_f16 v50, v20, v10
	v_pk_add_f16 v49, v49, v89
	v_pk_add_f16 v59, v59, v108
	;; [unrolled: 1-line block ×3, first 2 shown]
	v_pk_min_f16 v50, v20, v12
	v_pk_add_f16 v58, v58, v85
	v_pk_add_f16 v57, v57, v88
	;; [unrolled: 1-line block ×4, first 2 shown]
	v_pk_min_f16 v50, v20, v2
	v_pk_min_f16 v20, v20, v4
	v_pk_add_f16 v57, v57, v109
	v_pk_add_f16 v20, v49, v20
	s_waitcnt lgkmcnt(0)
	v_pk_max_f16 v49, v80, v80
	v_pk_add_f16 v57, v57, v50
	v_pk_min_f16 v50, v49, v10
	v_pk_add_f16 v48, v48, v92
	v_pk_add_f16 v60, v60, v112
	;; [unrolled: 1-line block ×3, first 2 shown]
	v_pk_min_f16 v50, v49, v12
	v_pk_add_f16 v56, v56, v91
	v_pk_add_f16 v48, v48, v114
	;; [unrolled: 1-line block ×3, first 2 shown]
	v_pk_min_f16 v50, v49, v2
	v_pk_min_f16 v49, v49, v4
	v_pk_add_f16 v56, v56, v113
	v_pk_add_f16 v48, v48, v49
	v_pk_max_f16 v49, v82, v82
	v_pk_add_f16 v56, v56, v50
	v_pk_min_f16 v50, v49, v10
	v_pk_add_f16 v61, v61, v115
	v_pk_add_f16 v82, v68, v50
	v_pk_min_f16 v50, v49, v12
	v_pk_max_f16 v6, v6, v6
	v_pk_add_f16 v87, v61, v50
	v_pk_min_f16 v50, v49, v2
	v_pk_min_f16 v10, v6, v10
	;; [unrolled: 1-line block ×6, first 2 shown]
	v_pk_add_f16 v1, v1, v6
	v_pk_min_f16 v4, v8, v4
	v_pk_max_f16 v6, v9, v9
	v_pk_max_f16 v8, v11, v11
	v_pk_add_f16 v31, v31, v69
	v_pk_min_f16 v9, v6, v8
	v_pk_max_f16 v3, v3, v3
	v_pk_add_f16 v69, v46, v9
	v_pk_max_f16 v9, v13, v13
	v_pk_max_f16 v5, v5, v5
	v_pk_min_f16 v11, v6, v9
	v_pk_add_f16 v58, v58, v106
	v_pk_add_f16 v61, v64, v11
	v_pk_min_f16 v11, v6, v3
	v_pk_add_f16 v58, v58, v51
	v_pk_add_f16 v53, v71, v11
	v_pk_max_f16 v11, v15, v15
	v_pk_add_f16 v55, v55, v94
	v_pk_min_f16 v13, v11, v8
	v_pk_add_f16 v55, v55, v116
	v_pk_add_f16 v77, v65, v13
	v_pk_min_f16 v13, v11, v9
	v_pk_add_f16 v55, v55, v50
	v_pk_add_f16 v68, v22, v13
	v_pk_min_f16 v13, v11, v3
	v_pk_min_f16 v11, v11, v5
	v_pk_add_f16 v60, v23, v13
	v_pk_add_f16 v52, v14, v11
	v_pk_max_f16 v11, v17, v17
	v_pk_add_f16 v47, v47, v95
	v_pk_min_f16 v13, v11, v8
	v_pk_add_f16 v47, v47, v117
	v_pk_add_f16 v76, v30, v13
	v_pk_min_f16 v13, v11, v9
	v_pk_add_f16 v47, v47, v49
	v_pk_add_f16 v67, v72, v13
	v_pk_min_f16 v13, v11, v3
	;; [unrolled: 12-line block ×3, first 2 shown]
	v_pk_min_f16 v11, v11, v5
	v_pk_add_f16 v58, v58, v13
	v_pk_add_f16 v50, v18, v11
	v_pk_max_f16 v11, v21, v21
	v_pk_max_f16 v7, v7, v7
	v_pk_min_f16 v13, v11, v8
	v_pk_add_f16 v62, v62, v97
	v_pk_add_f16 v74, v84, v13
	v_pk_min_f16 v13, v11, v9
	v_pk_add_f16 v10, v63, v10
	v_pk_add_f16 v65, v85, v13
	v_pk_min_f16 v13, v11, v3
	v_pk_min_f16 v11, v11, v5
	v_pk_add_f16 v57, v57, v13
	v_pk_add_f16 v49, v20, v11
	v_pk_max_f16 v11, v81, v81
	v_pk_add_f16 v2, v54, v2
	v_pk_min_f16 v13, v11, v8
	v_pk_add_f16 v62, v62, v119
	v_pk_add_f16 v73, v80, v13
	v_pk_min_f16 v13, v11, v9
	v_pk_add_f16 v12, v62, v12
	v_pk_add_f16 v64, v86, v13
	v_pk_min_f16 v13, v11, v3
	v_pk_min_f16 v11, v11, v5
	v_pk_add_f16 v56, v56, v13
	v_pk_add_f16 v48, v48, v11
	v_pk_max_f16 v11, v83, v83
	v_pk_add_f16 v4, v45, v4
	v_pk_min_f16 v13, v11, v8
	v_pk_min_f16 v8, v7, v8
	v_pk_add_f16 v72, v82, v13
	v_pk_min_f16 v13, v11, v9
	v_pk_add_f16 v71, v10, v8
	v_pk_add_f16 v63, v87, v13
	v_pk_min_f16 v13, v11, v3
	v_pk_min_f16 v3, v7, v3
	;; [unrolled: 1-line block ×3, first 2 shown]
	v_pk_add_f16 v54, v2, v3
	v_pk_min_f16 v2, v7, v5
	v_pk_min_f16 v8, v7, v9
	v_pk_add_f16 v46, v1, v2
	v_pk_min_f16 v1, v6, v5
	s_add_i32 s28, s28, 8
	v_pk_add_f16 v55, v55, v13
	v_pk_add_f16 v47, v47, v11
	;; [unrolled: 1-line block ×4, first 2 shown]
	s_cmp_ge_i32 s28, s29
	v_lshl_add_u64 v[28:29], v[28:29], 0, 16
	ds_write_b16 v41, v79
	ds_write_b16 v42, v78
	ds_write_b16 v42, v0 offset:512
	s_waitcnt lgkmcnt(0)
	s_barrier
	s_cbranch_scc1 .LBB291_34
.LBB291_22:                             ; =>This Inner Loop Header: Depth=1
	v_add_u32_e32 v30, s28, v35
	v_add_u32_e32 v0, 8, v30
	v_cmp_gt_i32_e64 s[2:3], s22, v0
	s_and_b64 s[2:3], s[2:3], vcc
	s_and_b64 s[2:3], s[4:5], s[2:3]
	v_mov_b32_e32 v31, 0
	s_and_saveexec_b64 s[6:7], s[2:3]
	s_cbranch_execz .LBB291_24
; %bb.23:                               ;   in Loop: Header=BB291_22 Depth=1
	v_add_co_u32_e64 v2, s[2:3], -8, v28
	s_nop 1
	v_addc_co_u32_e64 v3, s[2:3], -1, v29, s[2:3]
	flat_load_ushort v1, v[2:3]
	s_waitcnt vmcnt(0) lgkmcnt(0)
	v_mul_f16_e32 v31, v34, v1
.LBB291_24:                             ;   in Loop: Header=BB291_22 Depth=1
	s_or_b64 exec, exec, s[6:7]
	v_cmp_le_i32_e64 s[6:7], s22, v0
	v_min_i32_e32 v0, s23, v0
	v_ashrrev_i32_e32 v1, 31, v0
	s_or_b64 s[2:3], s[12:13], s[6:7]
	v_lshl_add_u64 v[0:1], v[0:1], 1, s[18:19]
	s_xor_b64 s[26:27], s[2:3], -1
	v_mov_b32_e32 v78, 0
	v_mov_b32_e32 v79, 0
	s_and_saveexec_b64 s[2:3], s[26:27]
	s_cbranch_execz .LBB291_26
; %bb.25:                               ;   in Loop: Header=BB291_22 Depth=1
	v_lshl_add_u64 v[2:3], v[24:25], 1, v[0:1]
	flat_load_ushort v2, v[2:3]
	s_waitcnt vmcnt(0) lgkmcnt(0)
	v_mul_f16_e32 v79, v34, v2
.LBB291_26:                             ;   in Loop: Header=BB291_22 Depth=1
	s_or_b64 exec, exec, s[2:3]
	s_or_b64 s[2:3], s[10:11], s[6:7]
	s_xor_b64 s[6:7], s[2:3], -1
	s_and_saveexec_b64 s[2:3], s[6:7]
	s_cbranch_execz .LBB291_28
; %bb.27:                               ;   in Loop: Header=BB291_22 Depth=1
	v_lshl_add_u64 v[0:1], v[26:27], 1, v[0:1]
	flat_load_ushort v0, v[0:1]
	s_waitcnt vmcnt(0) lgkmcnt(0)
	v_mul_f16_e32 v78, v34, v0
.LBB291_28:                             ;   in Loop: Header=BB291_22 Depth=1
	s_or_b64 exec, exec, s[2:3]
	ds_read2_b64 v[0:3], v43 offset0:48 offset1:56
	ds_read2_b64 v[12:15], v70 offset0:64 offset1:96
	ds_read2_b64 v[20:23], v70 offset1:32
	ds_read2_b64 v[16:19], v43 offset1:8
	ds_read2_b64 v[8:11], v43 offset0:16 offset1:24
	ds_read2_b64 v[4:7], v43 offset0:32 offset1:40
	v_add_u32_e32 v30, 12, v30
	v_cmp_gt_i32_e64 s[2:3], s22, v30
	s_and_b64 s[2:3], s[2:3], vcc
	ds_write_b16 v40, v31
	ds_write_b16 v38, v79
	ds_write_b16 v38, v78 offset:512
	s_and_b64 s[6:7], s[4:5], s[2:3]
	v_mov_b32_e32 v78, 0
	v_mov_b32_e32 v79, 0
	s_waitcnt lgkmcnt(0)
	s_barrier
	s_and_saveexec_b64 s[2:3], s[6:7]
	s_cbranch_execz .LBB291_30
; %bb.29:                               ;   in Loop: Header=BB291_22 Depth=1
	flat_load_ushort v31, v[28:29]
	s_waitcnt vmcnt(0) lgkmcnt(0)
	v_mul_f16_e32 v79, v34, v31
.LBB291_30:                             ;   in Loop: Header=BB291_22 Depth=1
	s_or_b64 exec, exec, s[2:3]
	v_cmp_le_i32_e64 s[6:7], s22, v30
	v_min_i32_e32 v30, s23, v30
	v_ashrrev_i32_e32 v31, 31, v30
	s_or_b64 s[2:3], s[12:13], s[6:7]
	v_lshl_add_u64 v[30:31], v[30:31], 1, s[18:19]
	s_xor_b64 s[26:27], s[2:3], -1
	s_and_saveexec_b64 s[2:3], s[26:27]
	s_cbranch_execz .LBB291_32
; %bb.31:                               ;   in Loop: Header=BB291_22 Depth=1
	v_lshl_add_u64 v[80:81], v[24:25], 1, v[30:31]
	flat_load_ushort v78, v[80:81]
	s_waitcnt vmcnt(0) lgkmcnt(0)
	v_mul_f16_e32 v78, v34, v78
.LBB291_32:                             ;   in Loop: Header=BB291_22 Depth=1
	s_or_b64 exec, exec, s[2:3]
	v_pk_max_f16 v100, v2, v2
	v_pk_max_f16 v96, v20, v20
	;; [unrolled: 1-line block ×17, first 2 shown]
	v_pk_min_f16 v2, v100, v96
	v_pk_min_f16 v20, v100, v97
	;; [unrolled: 1-line block ×26, first 2 shown]
	v_pk_max_f16 v0, v3, v3
	v_pk_max_f16 v102, v17, v17
	;; [unrolled: 1-line block ×5, first 2 shown]
	v_pk_min_f16 v111, v5, v118
	v_pk_min_f16 v112, v5, v119
	;; [unrolled: 1-line block ×4, first 2 shown]
	v_pk_max_f16 v5, v7, v7
	v_pk_max_f16 v1, v1, v1
	s_or_b64 s[2:3], s[10:11], s[6:7]
	v_pk_min_f16 v83, v83, v101
	v_pk_min_f16 v86, v86, v101
	;; [unrolled: 1-line block ×34, first 2 shown]
	s_xor_b64 s[6:7], s[2:3], -1
	v_mov_b32_e32 v0, 0
	s_and_saveexec_b64 s[2:3], s[6:7]
	s_cbranch_execz .LBB291_21
; %bb.33:                               ;   in Loop: Header=BB291_22 Depth=1
	v_lshl_add_u64 v[30:31], v[26:27], 1, v[30:31]
	flat_load_ushort v0, v[30:31]
	s_waitcnt vmcnt(0) lgkmcnt(0)
	v_mul_f16_e32 v0, v34, v0
	s_branch .LBB291_21
.LBB291_34:
	s_load_dwordx2 s[2:3], s[0:1], 0x78
	s_load_dword s29, s[0:1], 0x58
	s_load_dword s28, s[0:1], 0x70
	v_add_u32_e32 v8, 0x800, v37
	ds_read2_b64 v[0:3], v8 offset0:112 offset1:120
	ds_read2_b64 v[4:7], v36 offset0:192 offset1:224
	;; [unrolled: 1-line block ×6, first 2 shown]
	s_waitcnt lgkmcnt(0)
	s_mul_i32 s1, s16, s3
	s_mul_hi_u32 s3, s16, s2
	s_mul_i32 s0, s16, s2
	s_add_i32 s1, s3, s1
	s_lshl_b64 s[0:1], s[0:1], 1
	s_add_u32 s22, s14, s0
	v_add_u32_e32 v70, s30, v33
	s_addc_u32 s23, s15, s1
	v_mad_i64_i32 v[26:27], s[0:1], v70, s29, 0
	v_add_u32_e32 v24, s17, v32
	v_lshl_add_u64 v[42:43], v[26:27], 1, s[24:25]
	v_mad_i64_i32 v[26:27], s[0:1], v70, s28, 0
	v_cmp_gt_i32_e64 s[18:19], s21, v70
	v_lshl_add_u64 v[40:41], v[26:27], 1, s[22:23]
	v_cmp_gt_i32_e64 s[4:5], s20, v24
	v_cndmask_b32_e64 v26, 0, 1, s[8:9]
	s_and_b64 s[6:7], s[4:5], s[18:19]
	v_ashrrev_i32_e32 v25, 31, v24
	v_cmp_ne_u32_e64 s[0:1], 1, v26
	s_and_saveexec_b64 s[2:3], s[6:7]
	s_cbranch_execz .LBB291_39
; %bb.35:
	s_and_b64 vcc, exec, s[0:1]
	s_cbranch_vccnz .LBB291_37
; %bb.36:
	v_lshl_add_u64 v[26:27], v[24:25], 1, v[42:43]
	flat_load_ushort v26, v[26:27]
	s_waitcnt vmcnt(0) lgkmcnt(0)
	v_mul_f16_e32 v26, v44, v26
	s_branch .LBB291_38
.LBB291_37:
	v_mov_b32_e32 v26, 0
.LBB291_38:
	v_pk_max_f16 v27, v20, v20
	v_pk_max_f16 v28, v16, v16
	v_pk_max_f16 v29, v17, v17
	v_pk_min_f16 v27, v28, v27
	v_pk_max_f16 v28, v21, v21
	v_pk_add_f16 v27, v77, v27
	v_pk_min_f16 v28, v29, v28
	s_nop 0
	v_pk_add_f16 v27, v27, v28
	s_nop 0
	v_add_f16_sdwa v27, v27, v27 dst_sel:DWORD dst_unused:UNUSED_PAD src0_sel:DWORD src1_sel:WORD_1
	v_add_f16_e32 v28, v27, v26
	v_lshl_add_u64 v[26:27], v[24:25], 1, v[40:41]
	global_store_short v[26:27], v28, off
.LBB291_39:
	s_or_b64 exec, exec, s[2:3]
	v_add_u32_e32 v26, 8, v24
	v_cmp_gt_i32_e64 s[2:3], s20, v26
	s_and_b64 s[8:9], s[2:3], s[18:19]
	v_ashrrev_i32_e32 v27, 31, v26
	s_and_saveexec_b64 s[6:7], s[8:9]
	s_cbranch_execz .LBB291_44
; %bb.40:
	s_and_b64 vcc, exec, s[0:1]
	s_cbranch_vccnz .LBB291_42
; %bb.41:
	v_lshl_add_u64 v[28:29], v[26:27], 1, v[42:43]
	flat_load_ushort v28, v[28:29]
	s_waitcnt vmcnt(0) lgkmcnt(0)
	v_mul_f16_e32 v28, v44, v28
	s_branch .LBB291_43
.LBB291_42:
	v_mov_b32_e32 v28, 0
.LBB291_43:
	v_pk_max_f16 v29, v20, v20
	v_pk_max_f16 v30, v18, v18
	v_pk_max_f16 v31, v19, v19
	v_pk_min_f16 v29, v30, v29
	v_pk_max_f16 v30, v21, v21
	v_pk_add_f16 v29, v76, v29
	v_pk_min_f16 v30, v31, v30
	s_nop 0
	v_pk_add_f16 v29, v29, v30
	s_nop 0
	v_add_f16_sdwa v29, v29, v29 dst_sel:DWORD dst_unused:UNUSED_PAD src0_sel:DWORD src1_sel:WORD_1
	v_add_f16_e32 v30, v29, v28
	v_lshl_add_u64 v[28:29], v[26:27], 1, v[40:41]
	global_store_short v[28:29], v30, off
.LBB291_44:
	s_or_b64 exec, exec, s[6:7]
	v_add_u32_e32 v28, 16, v24
	v_cmp_gt_i32_e64 s[6:7], s20, v28
	s_and_b64 s[10:11], s[6:7], s[18:19]
	v_ashrrev_i32_e32 v29, 31, v28
	;; [unrolled: 34-line block ×6, first 2 shown]
	s_and_saveexec_b64 s[16:17], s[26:27]
	s_cbranch_execz .LBB291_69
; %bb.65:
	s_and_b64 vcc, exec, s[0:1]
	s_cbranch_vccnz .LBB291_67
; %bb.66:
	v_lshl_add_u64 v[38:39], v[36:37], 1, v[42:43]
	flat_load_ushort v38, v[38:39]
	s_waitcnt vmcnt(0) lgkmcnt(0)
	v_mul_f16_e32 v38, v44, v38
	s_branch .LBB291_68
.LBB291_67:
	v_mov_b32_e32 v38, 0
.LBB291_68:
	v_pk_max_f16 v39, v20, v20
	v_pk_max_f16 v72, v0, v0
	s_nop 0
	v_pk_min_f16 v39, v72, v39
	v_pk_max_f16 v72, v1, v1
	v_pk_add_f16 v39, v71, v39
	v_pk_max_f16 v71, v21, v21
	s_nop 0
	v_pk_min_f16 v71, v72, v71
	s_nop 0
	v_pk_add_f16 v39, v39, v71
	s_nop 0
	v_add_f16_sdwa v39, v39, v39 dst_sel:DWORD dst_unused:UNUSED_PAD src0_sel:DWORD src1_sel:WORD_1
	v_add_f16_e32 v71, v39, v38
	v_lshl_add_u64 v[38:39], v[36:37], 1, v[40:41]
	global_store_short v[38:39], v71, off
.LBB291_69:
	s_or_b64 exec, exec, s[16:17]
	v_add_u32_e32 v38, 56, v24
	v_cmp_gt_i32_e64 s[16:17], s20, v38
	s_and_b64 s[26:27], s[16:17], s[18:19]
	v_ashrrev_i32_e32 v39, 31, v38
	s_and_saveexec_b64 s[18:19], s[26:27]
	s_cbranch_execz .LBB291_74
; %bb.70:
	s_and_b64 vcc, exec, s[0:1]
	s_cbranch_vccnz .LBB291_72
; %bb.71:
	v_lshl_add_u64 v[42:43], v[38:39], 1, v[42:43]
	flat_load_ushort v42, v[42:43]
	s_waitcnt vmcnt(0) lgkmcnt(0)
	v_mul_f16_e32 v42, v44, v42
	s_branch .LBB291_73
.LBB291_72:
	v_mov_b32_e32 v42, 0
.LBB291_73:
	v_pk_max_f16 v20, v20, v20
	v_pk_max_f16 v43, v2, v2
	;; [unrolled: 1-line block ×3, first 2 shown]
	v_pk_min_f16 v20, v43, v20
	v_pk_max_f16 v43, v3, v3
	v_pk_add_f16 v20, v69, v20
	v_pk_min_f16 v21, v43, v21
	s_nop 0
	v_pk_add_f16 v20, v20, v21
	s_nop 0
	v_add_f16_sdwa v20, v20, v20 dst_sel:DWORD dst_unused:UNUSED_PAD src0_sel:DWORD src1_sel:WORD_1
	v_add_f16_e32 v42, v20, v42
	v_lshl_add_u64 v[20:21], v[38:39], 1, v[40:41]
	global_store_short v[20:21], v42, off
.LBB291_74:
	s_or_b64 exec, exec, s[18:19]
	v_add_u32_e32 v42, 32, v70
	v_mad_i64_i32 v[20:21], s[26:27], v42, s29, 0
	v_cmp_gt_i32_e64 s[18:19], s21, v42
	v_lshl_add_u64 v[40:41], v[20:21], 1, s[24:25]
	v_mad_i64_i32 v[20:21], s[26:27], v42, s28, 0
	v_lshl_add_u64 v[20:21], v[20:21], 1, s[22:23]
	s_and_b64 s[30:31], s[4:5], s[18:19]
	s_and_saveexec_b64 s[26:27], s[30:31]
	s_cbranch_execnz .LBB291_82
; %bb.75:
	s_or_b64 exec, exec, s[26:27]
	s_and_b64 s[30:31], s[2:3], s[18:19]
	s_and_saveexec_b64 s[26:27], s[30:31]
	s_cbranch_execnz .LBB291_86
.LBB291_76:
	s_or_b64 exec, exec, s[26:27]
	s_and_b64 s[30:31], s[6:7], s[18:19]
	s_and_saveexec_b64 s[26:27], s[30:31]
	s_cbranch_execnz .LBB291_90
.LBB291_77:
	s_or_b64 exec, exec, s[26:27]
	s_and_b64 s[30:31], s[8:9], s[18:19]
	s_and_saveexec_b64 s[26:27], s[30:31]
	s_cbranch_execnz .LBB291_94
.LBB291_78:
	s_or_b64 exec, exec, s[26:27]
	s_and_b64 s[30:31], s[10:11], s[18:19]
	s_and_saveexec_b64 s[26:27], s[30:31]
	s_cbranch_execnz .LBB291_98
.LBB291_79:
	s_or_b64 exec, exec, s[26:27]
	s_and_b64 s[30:31], s[12:13], s[18:19]
	s_and_saveexec_b64 s[26:27], s[30:31]
	s_cbranch_execnz .LBB291_102
.LBB291_80:
	s_or_b64 exec, exec, s[26:27]
	s_and_b64 s[30:31], s[14:15], s[18:19]
	s_and_saveexec_b64 s[26:27], s[30:31]
	s_cbranch_execnz .LBB291_106
.LBB291_81:
	s_or_b64 exec, exec, s[26:27]
	s_and_b64 s[26:27], s[16:17], s[18:19]
	s_and_saveexec_b64 s[18:19], s[26:27]
	s_cbranch_execnz .LBB291_110
	s_branch .LBB291_114
.LBB291_82:
	s_and_b64 vcc, exec, s[0:1]
	s_cbranch_vccnz .LBB291_84
; %bb.83:
	v_lshl_add_u64 v[42:43], v[24:25], 1, v[40:41]
	flat_load_ushort v42, v[42:43]
	s_waitcnt vmcnt(0) lgkmcnt(0)
	v_mul_f16_e32 v42, v44, v42
	s_branch .LBB291_85
.LBB291_84:
	v_mov_b32_e32 v42, 0
.LBB291_85:
	v_pk_max_f16 v43, v22, v22
	v_pk_max_f16 v69, v16, v16
	s_nop 0
	v_pk_min_f16 v43, v69, v43
	v_pk_max_f16 v69, v17, v17
	v_pk_add_f16 v43, v68, v43
	v_pk_max_f16 v68, v23, v23
	s_nop 0
	v_pk_min_f16 v68, v69, v68
	s_nop 0
	v_pk_add_f16 v43, v43, v68
	s_nop 0
	v_add_f16_sdwa v43, v43, v43 dst_sel:DWORD dst_unused:UNUSED_PAD src0_sel:DWORD src1_sel:WORD_1
	v_add_f16_e32 v68, v43, v42
	v_lshl_add_u64 v[42:43], v[24:25], 1, v[20:21]
	global_store_short v[42:43], v68, off
	s_or_b64 exec, exec, s[26:27]
	s_and_b64 s[30:31], s[2:3], s[18:19]
	s_and_saveexec_b64 s[26:27], s[30:31]
	s_cbranch_execz .LBB291_76
.LBB291_86:
	s_and_b64 vcc, exec, s[0:1]
	s_cbranch_vccnz .LBB291_88
; %bb.87:
	v_lshl_add_u64 v[42:43], v[26:27], 1, v[40:41]
	flat_load_ushort v42, v[42:43]
	s_waitcnt vmcnt(0) lgkmcnt(0)
	v_mul_f16_e32 v42, v44, v42
	s_branch .LBB291_89
.LBB291_88:
	v_mov_b32_e32 v42, 0
.LBB291_89:
	v_pk_max_f16 v43, v22, v22
	v_pk_max_f16 v68, v18, v18
	s_nop 0
	v_pk_min_f16 v43, v68, v43
	v_pk_max_f16 v68, v19, v19
	v_pk_add_f16 v43, v67, v43
	v_pk_max_f16 v67, v23, v23
	s_nop 0
	v_pk_min_f16 v67, v68, v67
	s_nop 0
	v_pk_add_f16 v43, v43, v67
	s_nop 0
	v_add_f16_sdwa v43, v43, v43 dst_sel:DWORD dst_unused:UNUSED_PAD src0_sel:DWORD src1_sel:WORD_1
	v_add_f16_e32 v67, v43, v42
	v_lshl_add_u64 v[42:43], v[26:27], 1, v[20:21]
	global_store_short v[42:43], v67, off
	s_or_b64 exec, exec, s[26:27]
	s_and_b64 s[30:31], s[6:7], s[18:19]
	s_and_saveexec_b64 s[26:27], s[30:31]
	s_cbranch_execz .LBB291_77
.LBB291_90:
	s_and_b64 vcc, exec, s[0:1]
	s_cbranch_vccnz .LBB291_92
; %bb.91:
	v_lshl_add_u64 v[42:43], v[28:29], 1, v[40:41]
	flat_load_ushort v42, v[42:43]
	s_waitcnt vmcnt(0) lgkmcnt(0)
	v_mul_f16_e32 v42, v44, v42
	s_branch .LBB291_93
.LBB291_92:
	v_mov_b32_e32 v42, 0
.LBB291_93:
	v_pk_max_f16 v43, v22, v22
	v_pk_max_f16 v67, v12, v12
	s_nop 0
	v_pk_min_f16 v43, v67, v43
	v_pk_max_f16 v67, v13, v13
	v_pk_add_f16 v43, v66, v43
	v_pk_max_f16 v66, v23, v23
	s_nop 0
	v_pk_min_f16 v66, v67, v66
	s_nop 0
	v_pk_add_f16 v43, v43, v66
	s_nop 0
	v_add_f16_sdwa v43, v43, v43 dst_sel:DWORD dst_unused:UNUSED_PAD src0_sel:DWORD src1_sel:WORD_1
	v_add_f16_e32 v66, v43, v42
	v_lshl_add_u64 v[42:43], v[28:29], 1, v[20:21]
	global_store_short v[42:43], v66, off
	s_or_b64 exec, exec, s[26:27]
	s_and_b64 s[30:31], s[8:9], s[18:19]
	s_and_saveexec_b64 s[26:27], s[30:31]
	s_cbranch_execz .LBB291_78
.LBB291_94:
	s_and_b64 vcc, exec, s[0:1]
	s_cbranch_vccnz .LBB291_96
; %bb.95:
	v_lshl_add_u64 v[42:43], v[30:31], 1, v[40:41]
	flat_load_ushort v42, v[42:43]
	s_waitcnt vmcnt(0) lgkmcnt(0)
	v_mul_f16_e32 v42, v44, v42
	s_branch .LBB291_97
.LBB291_96:
	v_mov_b32_e32 v42, 0
.LBB291_97:
	v_pk_max_f16 v43, v22, v22
	v_pk_max_f16 v66, v14, v14
	s_nop 0
	v_pk_min_f16 v43, v66, v43
	v_pk_max_f16 v66, v15, v15
	v_pk_add_f16 v43, v65, v43
	v_pk_max_f16 v65, v23, v23
	s_nop 0
	v_pk_min_f16 v65, v66, v65
	s_nop 0
	v_pk_add_f16 v43, v43, v65
	s_nop 0
	v_add_f16_sdwa v43, v43, v43 dst_sel:DWORD dst_unused:UNUSED_PAD src0_sel:DWORD src1_sel:WORD_1
	v_add_f16_e32 v65, v43, v42
	v_lshl_add_u64 v[42:43], v[30:31], 1, v[20:21]
	global_store_short v[42:43], v65, off
	s_or_b64 exec, exec, s[26:27]
	s_and_b64 s[30:31], s[10:11], s[18:19]
	s_and_saveexec_b64 s[26:27], s[30:31]
	s_cbranch_execz .LBB291_79
.LBB291_98:
	s_and_b64 vcc, exec, s[0:1]
	s_cbranch_vccnz .LBB291_100
; %bb.99:
	v_lshl_add_u64 v[42:43], v[32:33], 1, v[40:41]
	flat_load_ushort v42, v[42:43]
	s_waitcnt vmcnt(0) lgkmcnt(0)
	v_mul_f16_e32 v42, v44, v42
	s_branch .LBB291_101
.LBB291_100:
	v_mov_b32_e32 v42, 0
.LBB291_101:
	v_pk_max_f16 v43, v22, v22
	v_pk_max_f16 v65, v8, v8
	s_nop 0
	v_pk_min_f16 v43, v65, v43
	v_pk_max_f16 v65, v9, v9
	v_pk_add_f16 v43, v64, v43
	v_pk_max_f16 v64, v23, v23
	s_nop 0
	v_pk_min_f16 v64, v65, v64
	s_nop 0
	v_pk_add_f16 v43, v43, v64
	s_nop 0
	v_add_f16_sdwa v43, v43, v43 dst_sel:DWORD dst_unused:UNUSED_PAD src0_sel:DWORD src1_sel:WORD_1
	v_add_f16_e32 v64, v43, v42
	v_lshl_add_u64 v[42:43], v[32:33], 1, v[20:21]
	global_store_short v[42:43], v64, off
	s_or_b64 exec, exec, s[26:27]
	s_and_b64 s[30:31], s[12:13], s[18:19]
	s_and_saveexec_b64 s[26:27], s[30:31]
	s_cbranch_execz .LBB291_80
.LBB291_102:
	s_and_b64 vcc, exec, s[0:1]
	s_cbranch_vccnz .LBB291_104
; %bb.103:
	v_lshl_add_u64 v[42:43], v[34:35], 1, v[40:41]
	flat_load_ushort v42, v[42:43]
	s_waitcnt vmcnt(0) lgkmcnt(0)
	v_mul_f16_e32 v42, v44, v42
	s_branch .LBB291_105
.LBB291_104:
	v_mov_b32_e32 v42, 0
.LBB291_105:
	v_pk_max_f16 v43, v22, v22
	v_pk_max_f16 v64, v10, v10
	s_nop 0
	v_pk_min_f16 v43, v64, v43
	v_pk_max_f16 v64, v11, v11
	v_pk_add_f16 v43, v63, v43
	v_pk_max_f16 v63, v23, v23
	s_nop 0
	v_pk_min_f16 v63, v64, v63
	s_nop 0
	v_pk_add_f16 v43, v43, v63
	s_nop 0
	v_add_f16_sdwa v43, v43, v43 dst_sel:DWORD dst_unused:UNUSED_PAD src0_sel:DWORD src1_sel:WORD_1
	v_add_f16_e32 v63, v43, v42
	v_lshl_add_u64 v[42:43], v[34:35], 1, v[20:21]
	global_store_short v[42:43], v63, off
	s_or_b64 exec, exec, s[26:27]
	s_and_b64 s[30:31], s[14:15], s[18:19]
	s_and_saveexec_b64 s[26:27], s[30:31]
	s_cbranch_execz .LBB291_81
.LBB291_106:
	s_and_b64 vcc, exec, s[0:1]
	s_cbranch_vccnz .LBB291_108
; %bb.107:
	v_lshl_add_u64 v[42:43], v[36:37], 1, v[40:41]
	flat_load_ushort v42, v[42:43]
	s_waitcnt vmcnt(0) lgkmcnt(0)
	v_mul_f16_e32 v42, v44, v42
	s_branch .LBB291_109
.LBB291_108:
	v_mov_b32_e32 v42, 0
.LBB291_109:
	v_pk_max_f16 v43, v22, v22
	v_pk_max_f16 v63, v0, v0
	s_nop 0
	v_pk_min_f16 v43, v63, v43
	v_pk_max_f16 v63, v1, v1
	v_pk_add_f16 v43, v62, v43
	v_pk_max_f16 v62, v23, v23
	s_nop 0
	v_pk_min_f16 v62, v63, v62
	s_nop 0
	v_pk_add_f16 v43, v43, v62
	s_nop 0
	v_add_f16_sdwa v43, v43, v43 dst_sel:DWORD dst_unused:UNUSED_PAD src0_sel:DWORD src1_sel:WORD_1
	v_add_f16_e32 v62, v43, v42
	v_lshl_add_u64 v[42:43], v[36:37], 1, v[20:21]
	global_store_short v[42:43], v62, off
	s_or_b64 exec, exec, s[26:27]
	s_and_b64 s[26:27], s[16:17], s[18:19]
	s_and_saveexec_b64 s[18:19], s[26:27]
	s_cbranch_execz .LBB291_114
.LBB291_110:
	s_and_b64 vcc, exec, s[0:1]
	s_cbranch_vccnz .LBB291_112
; %bb.111:
	v_lshl_add_u64 v[40:41], v[38:39], 1, v[40:41]
	flat_load_ushort v40, v[40:41]
	s_waitcnt vmcnt(0) lgkmcnt(0)
	v_mul_f16_e32 v40, v44, v40
	s_branch .LBB291_113
.LBB291_112:
	v_mov_b32_e32 v40, 0
.LBB291_113:
	v_pk_max_f16 v22, v22, v22
	v_pk_max_f16 v41, v2, v2
	;; [unrolled: 1-line block ×3, first 2 shown]
	v_pk_min_f16 v22, v41, v22
	v_pk_max_f16 v41, v3, v3
	v_pk_add_f16 v22, v61, v22
	v_pk_min_f16 v23, v41, v23
	v_lshl_add_u64 v[20:21], v[38:39], 1, v[20:21]
	v_pk_add_f16 v22, v22, v23
	s_nop 0
	v_add_f16_sdwa v22, v22, v22 dst_sel:DWORD dst_unused:UNUSED_PAD src0_sel:DWORD src1_sel:WORD_1
	v_add_f16_e32 v22, v22, v40
	global_store_short v[20:21], v22, off
.LBB291_114:
	s_or_b64 exec, exec, s[18:19]
	v_add_u32_e32 v40, 64, v70
	v_mad_i64_i32 v[20:21], s[26:27], v40, s29, 0
	v_cmp_gt_i32_e64 s[18:19], s21, v40
	v_lshl_add_u64 v[22:23], v[20:21], 1, s[24:25]
	v_mad_i64_i32 v[20:21], s[26:27], v40, s28, 0
	v_lshl_add_u64 v[20:21], v[20:21], 1, s[22:23]
	s_and_b64 s[30:31], s[4:5], s[18:19]
	s_and_saveexec_b64 s[26:27], s[30:31]
	s_cbranch_execnz .LBB291_122
; %bb.115:
	s_or_b64 exec, exec, s[26:27]
	s_and_b64 s[30:31], s[2:3], s[18:19]
	s_and_saveexec_b64 s[26:27], s[30:31]
	s_cbranch_execnz .LBB291_126
.LBB291_116:
	s_or_b64 exec, exec, s[26:27]
	s_and_b64 s[30:31], s[6:7], s[18:19]
	s_and_saveexec_b64 s[26:27], s[30:31]
	s_cbranch_execnz .LBB291_130
.LBB291_117:
	s_or_b64 exec, exec, s[26:27]
	s_and_b64 s[30:31], s[8:9], s[18:19]
	s_and_saveexec_b64 s[26:27], s[30:31]
	s_cbranch_execnz .LBB291_134
.LBB291_118:
	s_or_b64 exec, exec, s[26:27]
	s_and_b64 s[30:31], s[10:11], s[18:19]
	s_and_saveexec_b64 s[26:27], s[30:31]
	s_cbranch_execnz .LBB291_138
.LBB291_119:
	s_or_b64 exec, exec, s[26:27]
	s_and_b64 s[30:31], s[12:13], s[18:19]
	s_and_saveexec_b64 s[26:27], s[30:31]
	s_cbranch_execnz .LBB291_142
.LBB291_120:
	s_or_b64 exec, exec, s[26:27]
	s_and_b64 s[30:31], s[14:15], s[18:19]
	s_and_saveexec_b64 s[26:27], s[30:31]
	s_cbranch_execnz .LBB291_146
.LBB291_121:
	s_or_b64 exec, exec, s[26:27]
	s_and_b64 s[26:27], s[16:17], s[18:19]
	s_and_saveexec_b64 s[18:19], s[26:27]
	s_cbranch_execnz .LBB291_150
	s_branch .LBB291_154
.LBB291_122:
	s_and_b64 vcc, exec, s[0:1]
	s_cbranch_vccnz .LBB291_124
; %bb.123:
	v_lshl_add_u64 v[40:41], v[24:25], 1, v[22:23]
	flat_load_ushort v40, v[40:41]
	s_waitcnt vmcnt(0) lgkmcnt(0)
	v_mul_f16_e32 v40, v44, v40
	s_branch .LBB291_125
.LBB291_124:
	v_mov_b32_e32 v40, 0
.LBB291_125:
	v_pk_max_f16 v41, v4, v4
	v_pk_max_f16 v42, v16, v16
	;; [unrolled: 1-line block ×3, first 2 shown]
	v_pk_min_f16 v41, v42, v41
	v_pk_max_f16 v42, v5, v5
	v_pk_add_f16 v41, v60, v41
	v_pk_min_f16 v42, v43, v42
	s_nop 0
	v_pk_add_f16 v41, v41, v42
	s_nop 0
	v_add_f16_sdwa v41, v41, v41 dst_sel:DWORD dst_unused:UNUSED_PAD src0_sel:DWORD src1_sel:WORD_1
	v_add_f16_e32 v42, v41, v40
	v_lshl_add_u64 v[40:41], v[24:25], 1, v[20:21]
	global_store_short v[40:41], v42, off
	s_or_b64 exec, exec, s[26:27]
	s_and_b64 s[30:31], s[2:3], s[18:19]
	s_and_saveexec_b64 s[26:27], s[30:31]
	s_cbranch_execz .LBB291_116
.LBB291_126:
	s_and_b64 vcc, exec, s[0:1]
	s_cbranch_vccnz .LBB291_128
; %bb.127:
	v_lshl_add_u64 v[40:41], v[26:27], 1, v[22:23]
	flat_load_ushort v40, v[40:41]
	s_waitcnt vmcnt(0) lgkmcnt(0)
	v_mul_f16_e32 v40, v44, v40
	s_branch .LBB291_129
.LBB291_128:
	v_mov_b32_e32 v40, 0
.LBB291_129:
	v_pk_max_f16 v41, v4, v4
	v_pk_max_f16 v42, v18, v18
	;; [unrolled: 1-line block ×3, first 2 shown]
	v_pk_min_f16 v41, v42, v41
	v_pk_max_f16 v42, v5, v5
	v_pk_add_f16 v41, v59, v41
	v_pk_min_f16 v42, v43, v42
	s_nop 0
	v_pk_add_f16 v41, v41, v42
	s_nop 0
	v_add_f16_sdwa v41, v41, v41 dst_sel:DWORD dst_unused:UNUSED_PAD src0_sel:DWORD src1_sel:WORD_1
	v_add_f16_e32 v42, v41, v40
	v_lshl_add_u64 v[40:41], v[26:27], 1, v[20:21]
	global_store_short v[40:41], v42, off
	s_or_b64 exec, exec, s[26:27]
	s_and_b64 s[30:31], s[6:7], s[18:19]
	s_and_saveexec_b64 s[26:27], s[30:31]
	s_cbranch_execz .LBB291_117
.LBB291_130:
	s_and_b64 vcc, exec, s[0:1]
	s_cbranch_vccnz .LBB291_132
; %bb.131:
	v_lshl_add_u64 v[40:41], v[28:29], 1, v[22:23]
	flat_load_ushort v40, v[40:41]
	s_waitcnt vmcnt(0) lgkmcnt(0)
	v_mul_f16_e32 v40, v44, v40
	s_branch .LBB291_133
.LBB291_132:
	v_mov_b32_e32 v40, 0
.LBB291_133:
	v_pk_max_f16 v41, v4, v4
	v_pk_max_f16 v42, v12, v12
	;; [unrolled: 1-line block ×3, first 2 shown]
	v_pk_min_f16 v41, v42, v41
	v_pk_max_f16 v42, v5, v5
	v_pk_add_f16 v41, v58, v41
	v_pk_min_f16 v42, v43, v42
	s_nop 0
	v_pk_add_f16 v41, v41, v42
	s_nop 0
	v_add_f16_sdwa v41, v41, v41 dst_sel:DWORD dst_unused:UNUSED_PAD src0_sel:DWORD src1_sel:WORD_1
	v_add_f16_e32 v42, v41, v40
	v_lshl_add_u64 v[40:41], v[28:29], 1, v[20:21]
	global_store_short v[40:41], v42, off
	s_or_b64 exec, exec, s[26:27]
	s_and_b64 s[30:31], s[8:9], s[18:19]
	s_and_saveexec_b64 s[26:27], s[30:31]
	s_cbranch_execz .LBB291_118
.LBB291_134:
	s_and_b64 vcc, exec, s[0:1]
	s_cbranch_vccnz .LBB291_136
; %bb.135:
	v_lshl_add_u64 v[40:41], v[30:31], 1, v[22:23]
	flat_load_ushort v40, v[40:41]
	s_waitcnt vmcnt(0) lgkmcnt(0)
	v_mul_f16_e32 v40, v44, v40
	s_branch .LBB291_137
.LBB291_136:
	v_mov_b32_e32 v40, 0
.LBB291_137:
	v_pk_max_f16 v41, v4, v4
	v_pk_max_f16 v42, v14, v14
	;; [unrolled: 1-line block ×3, first 2 shown]
	v_pk_min_f16 v41, v42, v41
	v_pk_max_f16 v42, v5, v5
	v_pk_add_f16 v41, v57, v41
	v_pk_min_f16 v42, v43, v42
	s_nop 0
	v_pk_add_f16 v41, v41, v42
	s_nop 0
	v_add_f16_sdwa v41, v41, v41 dst_sel:DWORD dst_unused:UNUSED_PAD src0_sel:DWORD src1_sel:WORD_1
	v_add_f16_e32 v42, v41, v40
	v_lshl_add_u64 v[40:41], v[30:31], 1, v[20:21]
	global_store_short v[40:41], v42, off
	s_or_b64 exec, exec, s[26:27]
	s_and_b64 s[30:31], s[10:11], s[18:19]
	s_and_saveexec_b64 s[26:27], s[30:31]
	s_cbranch_execz .LBB291_119
.LBB291_138:
	s_and_b64 vcc, exec, s[0:1]
	s_cbranch_vccnz .LBB291_140
; %bb.139:
	v_lshl_add_u64 v[40:41], v[32:33], 1, v[22:23]
	flat_load_ushort v40, v[40:41]
	s_waitcnt vmcnt(0) lgkmcnt(0)
	v_mul_f16_e32 v40, v44, v40
	s_branch .LBB291_141
.LBB291_140:
	v_mov_b32_e32 v40, 0
.LBB291_141:
	v_pk_max_f16 v41, v4, v4
	v_pk_max_f16 v42, v8, v8
	;; [unrolled: 1-line block ×3, first 2 shown]
	v_pk_min_f16 v41, v42, v41
	v_pk_max_f16 v42, v5, v5
	v_pk_add_f16 v41, v56, v41
	v_pk_min_f16 v42, v43, v42
	s_nop 0
	v_pk_add_f16 v41, v41, v42
	s_nop 0
	v_add_f16_sdwa v41, v41, v41 dst_sel:DWORD dst_unused:UNUSED_PAD src0_sel:DWORD src1_sel:WORD_1
	v_add_f16_e32 v42, v41, v40
	v_lshl_add_u64 v[40:41], v[32:33], 1, v[20:21]
	global_store_short v[40:41], v42, off
	s_or_b64 exec, exec, s[26:27]
	s_and_b64 s[30:31], s[12:13], s[18:19]
	s_and_saveexec_b64 s[26:27], s[30:31]
	s_cbranch_execz .LBB291_120
.LBB291_142:
	s_and_b64 vcc, exec, s[0:1]
	s_cbranch_vccnz .LBB291_144
; %bb.143:
	v_lshl_add_u64 v[40:41], v[34:35], 1, v[22:23]
	flat_load_ushort v40, v[40:41]
	s_waitcnt vmcnt(0) lgkmcnt(0)
	v_mul_f16_e32 v40, v44, v40
	s_branch .LBB291_145
.LBB291_144:
	v_mov_b32_e32 v40, 0
.LBB291_145:
	v_pk_max_f16 v41, v4, v4
	v_pk_max_f16 v42, v10, v10
	;; [unrolled: 1-line block ×3, first 2 shown]
	v_pk_min_f16 v41, v42, v41
	v_pk_max_f16 v42, v5, v5
	v_pk_add_f16 v41, v55, v41
	v_pk_min_f16 v42, v43, v42
	s_nop 0
	v_pk_add_f16 v41, v41, v42
	s_nop 0
	v_add_f16_sdwa v41, v41, v41 dst_sel:DWORD dst_unused:UNUSED_PAD src0_sel:DWORD src1_sel:WORD_1
	v_add_f16_e32 v42, v41, v40
	v_lshl_add_u64 v[40:41], v[34:35], 1, v[20:21]
	global_store_short v[40:41], v42, off
	s_or_b64 exec, exec, s[26:27]
	s_and_b64 s[30:31], s[14:15], s[18:19]
	s_and_saveexec_b64 s[26:27], s[30:31]
	s_cbranch_execz .LBB291_121
.LBB291_146:
	s_and_b64 vcc, exec, s[0:1]
	s_cbranch_vccnz .LBB291_148
; %bb.147:
	v_lshl_add_u64 v[40:41], v[36:37], 1, v[22:23]
	flat_load_ushort v40, v[40:41]
	s_waitcnt vmcnt(0) lgkmcnt(0)
	v_mul_f16_e32 v40, v44, v40
	s_branch .LBB291_149
.LBB291_148:
	v_mov_b32_e32 v40, 0
.LBB291_149:
	v_pk_max_f16 v41, v4, v4
	v_pk_max_f16 v42, v0, v0
	;; [unrolled: 1-line block ×3, first 2 shown]
	v_pk_min_f16 v41, v42, v41
	v_pk_max_f16 v42, v5, v5
	v_pk_add_f16 v41, v54, v41
	v_pk_min_f16 v42, v43, v42
	s_nop 0
	v_pk_add_f16 v41, v41, v42
	s_nop 0
	v_add_f16_sdwa v41, v41, v41 dst_sel:DWORD dst_unused:UNUSED_PAD src0_sel:DWORD src1_sel:WORD_1
	v_add_f16_e32 v42, v41, v40
	v_lshl_add_u64 v[40:41], v[36:37], 1, v[20:21]
	global_store_short v[40:41], v42, off
	s_or_b64 exec, exec, s[26:27]
	s_and_b64 s[26:27], s[16:17], s[18:19]
	s_and_saveexec_b64 s[18:19], s[26:27]
	s_cbranch_execz .LBB291_154
.LBB291_150:
	s_and_b64 vcc, exec, s[0:1]
	s_cbranch_vccnz .LBB291_152
; %bb.151:
	v_lshl_add_u64 v[22:23], v[38:39], 1, v[22:23]
	flat_load_ushort v22, v[22:23]
	s_waitcnt vmcnt(0) lgkmcnt(0)
	v_mul_f16_e32 v22, v44, v22
	s_branch .LBB291_153
.LBB291_152:
	v_mov_b32_e32 v22, 0
.LBB291_153:
	v_pk_max_f16 v4, v4, v4
	v_pk_max_f16 v23, v2, v2
	;; [unrolled: 1-line block ×3, first 2 shown]
	v_pk_min_f16 v4, v23, v4
	v_pk_max_f16 v23, v3, v3
	v_pk_add_f16 v4, v53, v4
	v_pk_min_f16 v5, v23, v5
	s_nop 0
	v_pk_add_f16 v4, v4, v5
	s_nop 0
	v_add_f16_sdwa v4, v4, v4 dst_sel:DWORD dst_unused:UNUSED_PAD src0_sel:DWORD src1_sel:WORD_1
	v_add_f16_e32 v22, v4, v22
	v_lshl_add_u64 v[4:5], v[38:39], 1, v[20:21]
	global_store_short v[4:5], v22, off
.LBB291_154:
	s_or_b64 exec, exec, s[18:19]
	v_add_u32_e32 v22, 0x60, v70
	v_cmp_gt_i32_e64 s[18:19], s21, v22
	v_mad_i64_i32 v[4:5], s[20:21], v22, s29, 0
	v_lshl_add_u64 v[20:21], v[4:5], 1, s[24:25]
	v_mad_i64_i32 v[4:5], s[20:21], v22, s28, 0
	v_lshl_add_u64 v[4:5], v[4:5], 1, s[22:23]
	s_and_b64 s[20:21], s[4:5], s[18:19]
	s_and_saveexec_b64 s[4:5], s[20:21]
	s_cbranch_execnz .LBB291_163
; %bb.155:
	s_or_b64 exec, exec, s[4:5]
	s_and_b64 s[4:5], s[2:3], s[18:19]
	s_and_saveexec_b64 s[2:3], s[4:5]
	s_cbranch_execnz .LBB291_167
.LBB291_156:
	s_or_b64 exec, exec, s[2:3]
	s_and_b64 s[4:5], s[6:7], s[18:19]
	s_and_saveexec_b64 s[2:3], s[4:5]
	s_cbranch_execnz .LBB291_171
.LBB291_157:
	s_or_b64 exec, exec, s[2:3]
	s_and_b64 s[4:5], s[8:9], s[18:19]
	s_and_saveexec_b64 s[2:3], s[4:5]
	s_cbranch_execnz .LBB291_175
.LBB291_158:
	s_or_b64 exec, exec, s[2:3]
	s_and_b64 s[4:5], s[10:11], s[18:19]
	s_and_saveexec_b64 s[2:3], s[4:5]
	s_cbranch_execnz .LBB291_179
.LBB291_159:
	s_or_b64 exec, exec, s[2:3]
	s_and_b64 s[4:5], s[12:13], s[18:19]
	s_and_saveexec_b64 s[2:3], s[4:5]
	s_cbranch_execnz .LBB291_183
.LBB291_160:
	s_or_b64 exec, exec, s[2:3]
	s_and_b64 s[4:5], s[14:15], s[18:19]
	s_and_saveexec_b64 s[2:3], s[4:5]
	s_cbranch_execnz .LBB291_187
.LBB291_161:
	s_or_b64 exec, exec, s[2:3]
	s_and_b64 s[2:3], s[16:17], s[18:19]
	s_and_saveexec_b64 s[4:5], s[2:3]
	s_cbranch_execnz .LBB291_191
.LBB291_162:
	s_endpgm
.LBB291_163:
	s_and_b64 vcc, exec, s[0:1]
	s_cbranch_vccnz .LBB291_165
; %bb.164:
	v_lshl_add_u64 v[22:23], v[24:25], 1, v[20:21]
	flat_load_ushort v22, v[22:23]
	s_waitcnt vmcnt(0) lgkmcnt(0)
	v_mul_f16_e32 v22, v44, v22
	s_branch .LBB291_166
.LBB291_165:
	v_mov_b32_e32 v22, 0
.LBB291_166:
	v_pk_max_f16 v23, v6, v6
	v_pk_max_f16 v16, v16, v16
	;; [unrolled: 1-line block ×3, first 2 shown]
	v_pk_min_f16 v16, v16, v23
	v_pk_max_f16 v23, v7, v7
	v_pk_add_f16 v16, v52, v16
	v_pk_min_f16 v17, v17, v23
	s_nop 0
	v_pk_add_f16 v16, v16, v17
	s_nop 0
	v_add_f16_sdwa v16, v16, v16 dst_sel:DWORD dst_unused:UNUSED_PAD src0_sel:DWORD src1_sel:WORD_1
	v_add_f16_e32 v22, v16, v22
	v_lshl_add_u64 v[16:17], v[24:25], 1, v[4:5]
	global_store_short v[16:17], v22, off
	s_or_b64 exec, exec, s[4:5]
	s_and_b64 s[4:5], s[2:3], s[18:19]
	s_and_saveexec_b64 s[2:3], s[4:5]
	s_cbranch_execz .LBB291_156
.LBB291_167:
	s_and_b64 vcc, exec, s[0:1]
	s_cbranch_vccnz .LBB291_169
; %bb.168:
	v_lshl_add_u64 v[16:17], v[26:27], 1, v[20:21]
	flat_load_ushort v16, v[16:17]
	s_waitcnt vmcnt(0) lgkmcnt(0)
	v_mul_f16_e32 v16, v44, v16
	s_branch .LBB291_170
.LBB291_169:
	v_mov_b32_e32 v16, 0
.LBB291_170:
	v_pk_max_f16 v17, v6, v6
	v_pk_max_f16 v18, v18, v18
	;; [unrolled: 1-line block ×3, first 2 shown]
	v_pk_min_f16 v17, v18, v17
	v_pk_max_f16 v18, v7, v7
	v_pk_add_f16 v17, v51, v17
	v_pk_min_f16 v18, v19, v18
	s_nop 0
	v_pk_add_f16 v17, v17, v18
	s_nop 0
	v_add_f16_sdwa v17, v17, v17 dst_sel:DWORD dst_unused:UNUSED_PAD src0_sel:DWORD src1_sel:WORD_1
	v_add_f16_e32 v18, v17, v16
	v_lshl_add_u64 v[16:17], v[26:27], 1, v[4:5]
	global_store_short v[16:17], v18, off
	s_or_b64 exec, exec, s[2:3]
	s_and_b64 s[4:5], s[6:7], s[18:19]
	s_and_saveexec_b64 s[2:3], s[4:5]
	s_cbranch_execz .LBB291_157
.LBB291_171:
	s_and_b64 vcc, exec, s[0:1]
	s_cbranch_vccnz .LBB291_173
; %bb.172:
	v_lshl_add_u64 v[16:17], v[28:29], 1, v[20:21]
	flat_load_ushort v16, v[16:17]
	s_waitcnt vmcnt(0) lgkmcnt(0)
	v_mul_f16_e32 v16, v44, v16
	s_branch .LBB291_174
.LBB291_173:
	v_mov_b32_e32 v16, 0
.LBB291_174:
	v_pk_max_f16 v17, v6, v6
	v_pk_max_f16 v12, v12, v12
	;; [unrolled: 1-line block ×3, first 2 shown]
	v_pk_min_f16 v12, v12, v17
	v_pk_max_f16 v17, v7, v7
	v_pk_add_f16 v12, v50, v12
	v_pk_min_f16 v13, v13, v17
	s_nop 0
	v_pk_add_f16 v12, v12, v13
	s_nop 0
	v_add_f16_sdwa v12, v12, v12 dst_sel:DWORD dst_unused:UNUSED_PAD src0_sel:DWORD src1_sel:WORD_1
	v_add_f16_e32 v16, v12, v16
	v_lshl_add_u64 v[12:13], v[28:29], 1, v[4:5]
	global_store_short v[12:13], v16, off
	s_or_b64 exec, exec, s[2:3]
	s_and_b64 s[4:5], s[8:9], s[18:19]
	s_and_saveexec_b64 s[2:3], s[4:5]
	s_cbranch_execz .LBB291_158
.LBB291_175:
	s_and_b64 vcc, exec, s[0:1]
	s_cbranch_vccnz .LBB291_177
; %bb.176:
	v_lshl_add_u64 v[12:13], v[30:31], 1, v[20:21]
	flat_load_ushort v12, v[12:13]
	s_waitcnt vmcnt(0) lgkmcnt(0)
	v_mul_f16_e32 v12, v44, v12
	s_branch .LBB291_178
.LBB291_177:
	v_mov_b32_e32 v12, 0
.LBB291_178:
	v_pk_max_f16 v13, v6, v6
	v_pk_max_f16 v14, v14, v14
	;; [unrolled: 1-line block ×3, first 2 shown]
	v_pk_min_f16 v13, v14, v13
	v_pk_max_f16 v14, v7, v7
	v_pk_add_f16 v13, v49, v13
	v_pk_min_f16 v14, v15, v14
	s_nop 0
	v_pk_add_f16 v13, v13, v14
	s_nop 0
	v_add_f16_sdwa v13, v13, v13 dst_sel:DWORD dst_unused:UNUSED_PAD src0_sel:DWORD src1_sel:WORD_1
	v_add_f16_e32 v14, v13, v12
	v_lshl_add_u64 v[12:13], v[30:31], 1, v[4:5]
	global_store_short v[12:13], v14, off
	s_or_b64 exec, exec, s[2:3]
	s_and_b64 s[4:5], s[10:11], s[18:19]
	s_and_saveexec_b64 s[2:3], s[4:5]
	s_cbranch_execz .LBB291_159
.LBB291_179:
	s_and_b64 vcc, exec, s[0:1]
	s_cbranch_vccnz .LBB291_181
; %bb.180:
	v_lshl_add_u64 v[12:13], v[32:33], 1, v[20:21]
	flat_load_ushort v12, v[12:13]
	s_waitcnt vmcnt(0) lgkmcnt(0)
	v_mul_f16_e32 v12, v44, v12
	s_branch .LBB291_182
.LBB291_181:
	v_mov_b32_e32 v12, 0
.LBB291_182:
	v_pk_max_f16 v13, v6, v6
	v_pk_max_f16 v8, v8, v8
	v_pk_max_f16 v9, v9, v9
	v_pk_min_f16 v8, v8, v13
	v_pk_max_f16 v13, v7, v7
	v_pk_add_f16 v8, v48, v8
	v_pk_min_f16 v9, v9, v13
	s_nop 0
	v_pk_add_f16 v8, v8, v9
	s_nop 0
	v_add_f16_sdwa v8, v8, v8 dst_sel:DWORD dst_unused:UNUSED_PAD src0_sel:DWORD src1_sel:WORD_1
	v_add_f16_e32 v12, v8, v12
	v_lshl_add_u64 v[8:9], v[32:33], 1, v[4:5]
	global_store_short v[8:9], v12, off
	s_or_b64 exec, exec, s[2:3]
	s_and_b64 s[4:5], s[12:13], s[18:19]
	s_and_saveexec_b64 s[2:3], s[4:5]
	s_cbranch_execz .LBB291_160
.LBB291_183:
	s_and_b64 vcc, exec, s[0:1]
	s_cbranch_vccnz .LBB291_185
; %bb.184:
	v_lshl_add_u64 v[8:9], v[34:35], 1, v[20:21]
	flat_load_ushort v8, v[8:9]
	s_waitcnt vmcnt(0) lgkmcnt(0)
	v_mul_f16_e32 v8, v44, v8
	s_branch .LBB291_186
.LBB291_185:
	v_mov_b32_e32 v8, 0
.LBB291_186:
	v_pk_max_f16 v9, v6, v6
	v_pk_max_f16 v10, v10, v10
	;; [unrolled: 1-line block ×3, first 2 shown]
	v_pk_min_f16 v9, v10, v9
	v_pk_max_f16 v10, v7, v7
	v_pk_add_f16 v9, v47, v9
	v_pk_min_f16 v10, v11, v10
	s_nop 0
	v_pk_add_f16 v9, v9, v10
	s_nop 0
	v_add_f16_sdwa v9, v9, v9 dst_sel:DWORD dst_unused:UNUSED_PAD src0_sel:DWORD src1_sel:WORD_1
	v_add_f16_e32 v10, v9, v8
	v_lshl_add_u64 v[8:9], v[34:35], 1, v[4:5]
	global_store_short v[8:9], v10, off
	s_or_b64 exec, exec, s[2:3]
	s_and_b64 s[4:5], s[14:15], s[18:19]
	s_and_saveexec_b64 s[2:3], s[4:5]
	s_cbranch_execz .LBB291_161
.LBB291_187:
	s_and_b64 vcc, exec, s[0:1]
	s_cbranch_vccnz .LBB291_189
; %bb.188:
	v_lshl_add_u64 v[8:9], v[36:37], 1, v[20:21]
	flat_load_ushort v8, v[8:9]
	s_waitcnt vmcnt(0) lgkmcnt(0)
	v_mul_f16_e32 v8, v44, v8
	s_branch .LBB291_190
.LBB291_189:
	v_mov_b32_e32 v8, 0
.LBB291_190:
	v_pk_max_f16 v9, v6, v6
	v_pk_max_f16 v0, v0, v0
	;; [unrolled: 1-line block ×3, first 2 shown]
	v_pk_min_f16 v0, v0, v9
	v_pk_max_f16 v9, v7, v7
	v_pk_add_f16 v0, v46, v0
	v_pk_min_f16 v1, v1, v9
	s_nop 0
	v_pk_add_f16 v0, v0, v1
	s_nop 0
	v_add_f16_sdwa v0, v0, v0 dst_sel:DWORD dst_unused:UNUSED_PAD src0_sel:DWORD src1_sel:WORD_1
	v_add_f16_e32 v8, v0, v8
	v_lshl_add_u64 v[0:1], v[36:37], 1, v[4:5]
	global_store_short v[0:1], v8, off
	s_or_b64 exec, exec, s[2:3]
	s_and_b64 s[2:3], s[16:17], s[18:19]
	s_and_saveexec_b64 s[4:5], s[2:3]
	s_cbranch_execz .LBB291_162
.LBB291_191:
	s_and_b64 vcc, exec, s[0:1]
	s_cbranch_vccnz .LBB291_193
; %bb.192:
	v_lshl_add_u64 v[0:1], v[38:39], 1, v[20:21]
	flat_load_ushort v0, v[0:1]
	s_waitcnt vmcnt(0) lgkmcnt(0)
	v_mul_f16_e32 v0, v44, v0
	s_branch .LBB291_194
.LBB291_193:
	v_mov_b32_e32 v0, 0
.LBB291_194:
	v_pk_max_f16 v1, v6, v6
	v_pk_max_f16 v2, v2, v2
	;; [unrolled: 1-line block ×3, first 2 shown]
	v_pk_min_f16 v1, v2, v1
	v_pk_max_f16 v2, v7, v7
	v_pk_add_f16 v1, v45, v1
	v_pk_min_f16 v2, v3, v2
	s_nop 0
	v_pk_add_f16 v1, v1, v2
	s_nop 0
	v_add_f16_sdwa v1, v1, v1 dst_sel:DWORD dst_unused:UNUSED_PAD src0_sel:DWORD src1_sel:WORD_1
	v_add_f16_e32 v2, v1, v0
	v_lshl_add_u64 v[0:1], v[38:39], 1, v[4:5]
	global_store_short v[0:1], v2, off
	s_endpgm
	.section	.rodata,"a",@progbits
	.p2align	6, 0x0
	.amdhsa_kernel _ZN12_GLOBAL__N_120geam_min_plus_kernelIDF16_Dv2_DF16_S1_Li8ELi32ELi64ELi128ELi4ELi4ELi64ELi4ELi64ELc84ELc78ELb0ELb1ELb0EPKDF16_S2_DF16_EEviiiT16_PT17_ilS6_ilS4_S6_ilPT18_ili26rocblas_geam_ex_operation_
		.amdhsa_group_segment_fixed_size 3072
		.amdhsa_private_segment_fixed_size 0
		.amdhsa_kernarg_size 136
		.amdhsa_user_sgpr_count 2
		.amdhsa_user_sgpr_dispatch_ptr 0
		.amdhsa_user_sgpr_queue_ptr 0
		.amdhsa_user_sgpr_kernarg_segment_ptr 1
		.amdhsa_user_sgpr_dispatch_id 0
		.amdhsa_user_sgpr_kernarg_preload_length 0
		.amdhsa_user_sgpr_kernarg_preload_offset 0
		.amdhsa_user_sgpr_private_segment_size 0
		.amdhsa_uses_dynamic_stack 0
		.amdhsa_enable_private_segment 0
		.amdhsa_system_sgpr_workgroup_id_x 1
		.amdhsa_system_sgpr_workgroup_id_y 0
		.amdhsa_system_sgpr_workgroup_id_z 1
		.amdhsa_system_sgpr_workgroup_info 0
		.amdhsa_system_vgpr_workitem_id 1
		.amdhsa_next_free_vgpr 122
		.amdhsa_next_free_sgpr 36
		.amdhsa_accum_offset 124
		.amdhsa_reserve_vcc 1
		.amdhsa_float_round_mode_32 0
		.amdhsa_float_round_mode_16_64 0
		.amdhsa_float_denorm_mode_32 3
		.amdhsa_float_denorm_mode_16_64 3
		.amdhsa_dx10_clamp 1
		.amdhsa_ieee_mode 1
		.amdhsa_fp16_overflow 0
		.amdhsa_tg_split 0
		.amdhsa_exception_fp_ieee_invalid_op 0
		.amdhsa_exception_fp_denorm_src 0
		.amdhsa_exception_fp_ieee_div_zero 0
		.amdhsa_exception_fp_ieee_overflow 0
		.amdhsa_exception_fp_ieee_underflow 0
		.amdhsa_exception_fp_ieee_inexact 0
		.amdhsa_exception_int_div_zero 0
	.end_amdhsa_kernel
	.section	.text._ZN12_GLOBAL__N_120geam_min_plus_kernelIDF16_Dv2_DF16_S1_Li8ELi32ELi64ELi128ELi4ELi4ELi64ELi4ELi64ELc84ELc78ELb0ELb1ELb0EPKDF16_S2_DF16_EEviiiT16_PT17_ilS6_ilS4_S6_ilPT18_ili26rocblas_geam_ex_operation_,"axG",@progbits,_ZN12_GLOBAL__N_120geam_min_plus_kernelIDF16_Dv2_DF16_S1_Li8ELi32ELi64ELi128ELi4ELi4ELi64ELi4ELi64ELc84ELc78ELb0ELb1ELb0EPKDF16_S2_DF16_EEviiiT16_PT17_ilS6_ilS4_S6_ilPT18_ili26rocblas_geam_ex_operation_,comdat
.Lfunc_end291:
	.size	_ZN12_GLOBAL__N_120geam_min_plus_kernelIDF16_Dv2_DF16_S1_Li8ELi32ELi64ELi128ELi4ELi4ELi64ELi4ELi64ELc84ELc78ELb0ELb1ELb0EPKDF16_S2_DF16_EEviiiT16_PT17_ilS6_ilS4_S6_ilPT18_ili26rocblas_geam_ex_operation_, .Lfunc_end291-_ZN12_GLOBAL__N_120geam_min_plus_kernelIDF16_Dv2_DF16_S1_Li8ELi32ELi64ELi128ELi4ELi4ELi64ELi4ELi64ELc84ELc78ELb0ELb1ELb0EPKDF16_S2_DF16_EEviiiT16_PT17_ilS6_ilS4_S6_ilPT18_ili26rocblas_geam_ex_operation_
                                        ; -- End function
	.section	.AMDGPU.csdata,"",@progbits
; Kernel info:
; codeLenInByte = 11288
; NumSgprs: 42
; NumVgprs: 122
; NumAgprs: 0
; TotalNumVgprs: 122
; ScratchSize: 0
; MemoryBound: 0
; FloatMode: 240
; IeeeMode: 1
; LDSByteSize: 3072 bytes/workgroup (compile time only)
; SGPRBlocks: 5
; VGPRBlocks: 15
; NumSGPRsForWavesPerEU: 42
; NumVGPRsForWavesPerEU: 122
; AccumOffset: 124
; Occupancy: 4
; WaveLimiterHint : 0
; COMPUTE_PGM_RSRC2:SCRATCH_EN: 0
; COMPUTE_PGM_RSRC2:USER_SGPR: 2
; COMPUTE_PGM_RSRC2:TRAP_HANDLER: 0
; COMPUTE_PGM_RSRC2:TGID_X_EN: 1
; COMPUTE_PGM_RSRC2:TGID_Y_EN: 0
; COMPUTE_PGM_RSRC2:TGID_Z_EN: 1
; COMPUTE_PGM_RSRC2:TIDIG_COMP_CNT: 1
; COMPUTE_PGM_RSRC3_GFX90A:ACCUM_OFFSET: 30
; COMPUTE_PGM_RSRC3_GFX90A:TG_SPLIT: 0
	.section	.text._ZN12_GLOBAL__N_120geam_min_plus_kernelIDF16_Dv2_DF16_S1_Li8ELi32ELi64ELi128ELi4ELi4ELi64ELi4ELi64ELc84ELc78ELb1ELb1ELb0EDF16_KDF16_DF16_EEviiiT16_PT17_ilS5_ilS3_S5_ilPT18_ili26rocblas_geam_ex_operation_,"axG",@progbits,_ZN12_GLOBAL__N_120geam_min_plus_kernelIDF16_Dv2_DF16_S1_Li8ELi32ELi64ELi128ELi4ELi4ELi64ELi4ELi64ELc84ELc78ELb1ELb1ELb0EDF16_KDF16_DF16_EEviiiT16_PT17_ilS5_ilS3_S5_ilPT18_ili26rocblas_geam_ex_operation_,comdat
	.globl	_ZN12_GLOBAL__N_120geam_min_plus_kernelIDF16_Dv2_DF16_S1_Li8ELi32ELi64ELi128ELi4ELi4ELi64ELi4ELi64ELc84ELc78ELb1ELb1ELb0EDF16_KDF16_DF16_EEviiiT16_PT17_ilS5_ilS3_S5_ilPT18_ili26rocblas_geam_ex_operation_ ; -- Begin function _ZN12_GLOBAL__N_120geam_min_plus_kernelIDF16_Dv2_DF16_S1_Li8ELi32ELi64ELi128ELi4ELi4ELi64ELi4ELi64ELc84ELc78ELb1ELb1ELb0EDF16_KDF16_DF16_EEviiiT16_PT17_ilS5_ilS3_S5_ilPT18_ili26rocblas_geam_ex_operation_
	.p2align	8
	.type	_ZN12_GLOBAL__N_120geam_min_plus_kernelIDF16_Dv2_DF16_S1_Li8ELi32ELi64ELi128ELi4ELi4ELi64ELi4ELi64ELc84ELc78ELb1ELb1ELb0EDF16_KDF16_DF16_EEviiiT16_PT17_ilS5_ilS3_S5_ilPT18_ili26rocblas_geam_ex_operation_,@function
_ZN12_GLOBAL__N_120geam_min_plus_kernelIDF16_Dv2_DF16_S1_Li8ELi32ELi64ELi128ELi4ELi4ELi64ELi4ELi64ELc84ELc78ELb1ELb1ELb0EDF16_KDF16_DF16_EEviiiT16_PT17_ilS5_ilS3_S5_ilPT18_ili26rocblas_geam_ex_operation_: ; @_ZN12_GLOBAL__N_120geam_min_plus_kernelIDF16_Dv2_DF16_S1_Li8ELi32ELi64ELi128ELi4ELi4ELi64ELi4ELi64ELc84ELc78ELb1ELb1ELb0EDF16_KDF16_DF16_EEviiiT16_PT17_ilS5_ilS3_S5_ilPT18_ili26rocblas_geam_ex_operation_
; %bb.0:
	s_load_dwordx4 s[20:23], s[0:1], 0x0
	s_load_dwordx4 s[4:7], s[0:1], 0x20
	s_waitcnt lgkmcnt(0)
	v_cmp_eq_f16_e64 s[8:9], s23, 0
	s_and_b64 vcc, exec, s[8:9]
	s_cbranch_vccnz .LBB292_3
; %bb.1:
	s_load_dwordx2 s[10:11], s[0:1], 0x10
	s_mul_i32 s5, s3, s5
	s_mul_hi_u32 s12, s3, s4
	s_add_i32 s5, s12, s5
	s_mul_i32 s4, s3, s4
	s_lshl_b64 s[4:5], s[4:5], 1
	s_waitcnt lgkmcnt(0)
	s_add_u32 s16, s10, s4
	s_addc_u32 s17, s11, s5
	s_andn2_b64 vcc, exec, s[8:9]
	s_cbranch_vccnz .LBB292_4
.LBB292_2:
	s_mov_b32 s15, 0
	s_mov_b64 s[18:19], 0
	s_cbranch_execz .LBB292_5
	s_branch .LBB292_6
.LBB292_3:
	s_mov_b64 s[16:17], 0
	s_andn2_b64 vcc, exec, s[8:9]
	s_cbranch_vccz .LBB292_2
.LBB292_4:
                                        ; implicit-def: $sgpr18_sgpr19
                                        ; implicit-def: $sgpr14_sgpr15
.LBB292_5:
	s_load_dwordx2 s[4:5], s[0:1], 0x38
	s_mov_b32 s15, 0
	s_waitcnt lgkmcnt(0)
	s_mul_i32 s5, s3, s5
	s_mul_hi_u32 s8, s3, s4
	s_add_i32 s5, s8, s5
	s_mul_i32 s4, s3, s4
	s_lshl_b64 s[4:5], s[4:5], 1
	s_add_u32 s18, s6, s4
	s_addc_u32 s19, s7, s5
.LBB292_6:
	s_load_dword s28, s[0:1], 0x40
	s_load_dwordx4 s[8:11], s[0:1], 0x58
	s_waitcnt lgkmcnt(0)
	v_cmp_eq_f16_e64 s[4:5], s28, 0
	v_cmp_neq_f16_e64 s[12:13], s28, 0
	s_and_b64 vcc, exec, s[4:5]
	s_cbranch_vccnz .LBB292_8
; %bb.7:
	s_load_dwordx2 s[4:5], s[0:1], 0x48
	s_mul_i32 s6, s3, s9
	s_mul_hi_u32 s7, s3, s8
	s_add_i32 s6, s7, s6
	s_mul_i32 s7, s15, s8
	s_add_i32 s7, s6, s7
	s_mul_i32 s6, s3, s8
	s_lshl_b64 s[6:7], s[6:7], 1
	s_waitcnt lgkmcnt(0)
	s_add_u32 s24, s4, s6
	s_addc_u32 s25, s5, s7
	s_branch .LBB292_9
.LBB292_8:
	s_mov_b64 s[24:25], 0
.LBB292_9:
	s_add_i32 s4, s20, -1
	s_ashr_i32 s5, s4, 31
	s_lshr_b32 s5, s5, 26
	s_add_i32 s4, s4, s5
	s_ashr_i32 s4, s4, 6
	s_add_i32 s5, s4, 1
	v_cvt_f32_u32_e32 v1, s5
	s_not_b32 s4, s4
	v_and_b32_e32 v40, 0x3ff, v0
	v_bfe_u32 v41, v0, 10, 10
	v_rcp_iflag_f32_e32 v1, v1
	v_lshl_add_u32 v0, v41, 3, v40
	s_load_dword s30, s[0:1], 0x18
	v_lshrrev_b32_e32 v2, 2, v0
	v_mul_f32_e32 v1, 0x4f7ffffe, v1
	v_cvt_u32_f32_e32 v1, v1
	v_and_b32_e32 v24, 3, v40
	v_lshlrev_b32_e32 v26, 1, v24
	v_readfirstlane_b32 s6, v1
	s_mul_i32 s4, s4, s6
	s_mul_hi_u32 s4, s6, s4
	s_add_i32 s6, s6, s4
	s_mul_hi_u32 s4, s2, s6
	s_mul_i32 s6, s4, s5
	s_sub_i32 s6, s2, s6
	s_add_i32 s7, s4, 1
	s_sub_i32 s8, s6, s5
	s_cmp_ge_u32 s6, s5
	s_cselect_b32 s4, s7, s4
	s_cselect_b32 s6, s8, s6
	s_add_i32 s7, s4, 1
	s_cmp_ge_u32 s6, s5
	s_cselect_b32 s8, s7, s4
	s_mul_i32 s31, s8, s5
	s_sub_i32 s4, s2, s31
	s_lshl_b32 s14, s4, 6
	v_add_u32_e32 v6, s14, v2
	v_cmp_le_i32_e64 s[6:7], s22, v24
	v_cmp_le_i32_e32 vcc, s20, v6
	s_or_b64 s[4:5], s[6:7], vcc
	s_xor_b64 s[4:5], s[4:5], -1
                                        ; implicit-def: $vgpr0_vgpr1
	s_and_saveexec_b64 s[26:27], s[4:5]
	s_xor_b64 s[4:5], exec, s[26:27]
	s_cbranch_execz .LBB292_11
; %bb.10:
	s_waitcnt lgkmcnt(0)
	v_mad_i64_i32 v[4:5], s[26:27], v6, s30, 0
	v_mov_b32_e32 v25, 0
	v_lshl_add_u64 v[4:5], v[4:5], 1, s[16:17]
	v_mov_b32_e32 v27, v25
	v_lshl_add_u64 v[4:5], v[4:5], 0, v[26:27]
	v_mov_b64_e32 v[0:1], v[24:25]
	flat_load_ushort v25, v[4:5]
.LBB292_11:
	s_andn2_saveexec_b64 s[4:5], s[4:5]
	s_cbranch_execz .LBB292_13
; %bb.12:
	s_waitcnt vmcnt(0) lgkmcnt(0)
	v_mov_b32_e32 v25, 0
	v_mov_b64_e32 v[0:1], v[24:25]
.LBB292_13:
	s_or_b64 exec, exec, s[4:5]
	s_load_dword s33, s[0:1], 0x30
	s_lshl_b32 s29, s8, 7
	v_add_u32_e32 v3, s29, v2
	v_cmp_le_i32_e64 s[8:9], s21, v3
	s_or_b64 s[4:5], s[6:7], s[8:9]
	v_lshl_add_u64 v[0:1], v[0:1], 1, s[18:19]
	s_xor_b64 s[26:27], s[4:5], -1
	v_mov_b32_e32 v8, 0
	v_mov_b32_e32 v9, 0
	s_and_saveexec_b64 s[4:5], s[26:27]
	s_cbranch_execz .LBB292_15
; %bb.14:
	s_waitcnt lgkmcnt(0)
	v_mad_i64_i32 v[4:5], s[26:27], v3, s33, 0
	v_lshl_add_u64 v[4:5], v[4:5], 1, v[0:1]
	flat_load_ushort v9, v[4:5]
.LBB292_15:
	s_or_b64 exec, exec, s[4:5]
	v_add_u32_e32 v4, 64, v3
	v_cmp_le_i32_e64 s[4:5], s21, v4
	s_or_b64 s[6:7], s[6:7], s[4:5]
	s_xor_b64 s[26:27], s[6:7], -1
	s_and_saveexec_b64 s[6:7], s[26:27]
	s_cbranch_execz .LBB292_17
; %bb.16:
	s_waitcnt lgkmcnt(0)
	v_mad_i64_i32 v[10:11], s[26:27], v4, s33, 0
	v_lshl_add_u64 v[0:1], v[10:11], 1, v[0:1]
	flat_load_ushort v8, v[0:1]
.LBB292_17:
	s_or_b64 exec, exec, s[6:7]
	v_or_b32_e32 v0, 4, v24
	v_cmp_le_i32_e64 s[6:7], s22, v0
	s_or_b64 s[26:27], s[6:7], vcc
	s_xor_b64 s[26:27], s[26:27], -1
                                        ; implicit-def: $vgpr5
	s_and_saveexec_b64 s[34:35], s[26:27]
	s_xor_b64 s[26:27], exec, s[34:35]
	s_cbranch_execz .LBB292_19
; %bb.18:
	s_waitcnt lgkmcnt(0)
	v_mad_i64_i32 v[6:7], s[34:35], v6, s30, 0
	v_mov_b32_e32 v1, 0
	v_lshl_add_u64 v[6:7], v[6:7], 1, s[16:17]
	v_mov_b32_e32 v27, v1
	v_lshl_add_u64 v[6:7], v[6:7], 0, v[26:27]
	flat_load_ushort v5, v[6:7] offset:8
.LBB292_19:
	s_andn2_saveexec_b64 s[26:27], s[26:27]
	s_cbranch_execz .LBB292_21
; %bb.20:
	v_mov_b32_e32 v1, 0
	s_waitcnt vmcnt(0) lgkmcnt(0)
	v_mov_b32_e32 v5, v1
.LBB292_21:
	s_or_b64 exec, exec, s[26:27]
	s_or_b64 s[26:27], s[6:7], s[8:9]
	v_lshl_add_u64 v[0:1], v[0:1], 1, s[18:19]
	s_xor_b64 s[34:35], s[26:27], -1
	v_mov_b32_e32 v6, 0
	v_mov_b32_e32 v7, 0
	s_and_saveexec_b64 s[26:27], s[34:35]
	s_cbranch_execz .LBB292_23
; %bb.22:
	s_waitcnt lgkmcnt(0)
	v_mad_i64_i32 v[10:11], s[34:35], v3, s33, 0
	v_lshl_add_u64 v[10:11], v[10:11], 1, v[0:1]
	flat_load_ushort v7, v[10:11]
.LBB292_23:
	s_or_b64 exec, exec, s[26:27]
	s_or_b64 s[6:7], s[6:7], s[4:5]
	s_xor_b64 s[26:27], s[6:7], -1
	s_and_saveexec_b64 s[6:7], s[26:27]
	s_cbranch_execz .LBB292_25
; %bb.24:
	s_waitcnt lgkmcnt(0)
	v_mad_i64_i32 v[10:11], s[26:27], v4, s33, 0
	v_lshl_add_u64 v[0:1], v[10:11], 1, v[0:1]
	flat_load_ushort v6, v[0:1]
.LBB292_25:
	s_or_b64 exec, exec, s[6:7]
	v_lshl_or_b32 v43, v2, 3, v26
	s_waitcnt vmcnt(0) lgkmcnt(0)
	ds_write_b16 v43, v25 offset:2048
	ds_write_b16 v43, v9
	ds_write_b16 v43, v8 offset:512
	v_lshlrev_b32_e32 v42, 3, v40
	v_lshlrev_b32_e32 v25, 3, v41
	s_waitcnt lgkmcnt(0)
	s_barrier
	ds_read2_b64 v[8:11], v25 offset1:32
	v_add_u32_e32 v69, 0x800, v42
	ds_read2_b64 v[12:15], v69 offset0:48 offset1:56
	ds_read2_b64 v[16:19], v25 offset0:64 offset1:96
	ds_read2_b64 v[20:23], v69 offset1:8
	ds_read2_b64 v[28:31], v69 offset0:16 offset1:24
	ds_read2_b64 v[32:35], v69 offset0:32 offset1:40
	s_waitcnt lgkmcnt(5)
	v_pk_max_f16 v0, v8, v8
	s_waitcnt lgkmcnt(4)
	v_pk_max_f16 v1, v14, v14
	v_pk_max_f16 v10, v10, v10
	v_pk_min_f16 v8, v1, v0
	s_waitcnt lgkmcnt(3)
	v_pk_max_f16 v14, v16, v16
	s_waitcnt lgkmcnt(2)
	v_pk_max_f16 v16, v20, v20
	v_pk_max_f16 v18, v18, v18
	v_pk_max_f16 v22, v22, v22
	s_waitcnt lgkmcnt(1)
	v_pk_max_f16 v28, v28, v28
	v_pk_max_f16 v30, v30, v30
	;; [unrolled: 4-line block ×3, first 2 shown]
	v_pk_max_f16 v12, v12, v12
	v_pk_max_f16 v15, v15, v15
	v_pk_min_f16 v20, v16, v0
	v_pk_min_f16 v27, v16, v10
	;; [unrolled: 1-line block ×16, first 2 shown]
	v_pk_max_f16 v11, v11, v11
	v_pk_min_f16 v53, v32, v0
	v_pk_min_f16 v54, v32, v10
	;; [unrolled: 1-line block ×15, first 2 shown]
	v_pk_add_f16 v8, v8, 0
	v_pk_min_f16 v18, v15, v9
	v_pk_max_f16 v17, v17, v17
	v_pk_add_f16 v68, v8, v18
	v_pk_add_f16 v8, v50, 0
	v_pk_min_f16 v18, v15, v11
	v_pk_max_f16 v21, v21, v21
	v_pk_add_f16 v60, v8, v18
	;; [unrolled: 4-line block ×6, first 2 shown]
	v_pk_add_f16 v8, v16, 0
	v_pk_min_f16 v16, v21, v19
	v_pk_add_f16 v20, v49, 0
	v_pk_add_f16 v51, v8, v16
	v_pk_add_f16 v8, v37, 0
	v_pk_min_f16 v16, v23, v9
	v_pk_add_f16 v18, v48, 0
	v_pk_add_f16 v75, v8, v16
	;; [unrolled: 4-line block ×7, first 2 shown]
	v_pk_add_f16 v8, v46, 0
	v_pk_min_f16 v16, v29, v17
	v_pk_min_f16 v29, v29, v19
	v_pk_add_f16 v57, v8, v16
	v_pk_add_f16 v8, v28, 0
	;; [unrolled: 1-line block ×4, first 2 shown]
	v_pk_min_f16 v8, v31, v9
	v_pk_add_f16 v28, v32, 0
	v_pk_add_f16 v73, v16, v8
	v_pk_min_f16 v8, v31, v11
	v_pk_add_f16 v32, v61, 0
	v_pk_add_f16 v64, v18, v8
	;; [unrolled: 3-line block ×4, first 2 shown]
	v_pk_max_f16 v8, v33, v33
	v_pk_add_f16 v0, v0, 0
	v_pk_min_f16 v16, v8, v9
	v_pk_add_f16 v10, v10, 0
	v_pk_add_f16 v72, v22, v16
	v_pk_min_f16 v16, v8, v11
	v_pk_add_f16 v14, v14, 0
	v_pk_add_f16 v63, v23, v16
	v_pk_min_f16 v16, v8, v17
	v_pk_min_f16 v8, v8, v19
	v_pk_add_f16 v55, v27, v16
	v_pk_add_f16 v47, v28, v8
	v_pk_max_f16 v8, v35, v35
	v_pk_add_f16 v12, v12, 0
	v_pk_min_f16 v16, v8, v9
	v_pk_add_f16 v1, v1, 0
	v_pk_add_f16 v71, v30, v16
	v_pk_min_f16 v16, v8, v11
	s_mov_b32 s23, 0
	v_pk_add_f16 v62, v32, v16
	v_pk_min_f16 v16, v8, v17
	v_pk_min_f16 v8, v8, v19
	v_pk_add_f16 v54, v36, v16
	v_pk_add_f16 v46, v34, v8
	v_pk_max_f16 v8, v13, v13
	s_cmp_lt_i32 s22, 9
	v_pk_min_f16 v9, v8, v9
	ds_write_b16 v43, v5 offset:2560
	ds_write_b16 v43, v7 offset:1024
	;; [unrolled: 1-line block ×3, first 2 shown]
	v_pk_add_f16 v70, v0, v9
	v_pk_min_f16 v0, v8, v11
	s_waitcnt lgkmcnt(0)
	v_pk_add_f16 v61, v10, v0
	v_pk_min_f16 v0, v8, v17
	s_barrier
	v_pk_add_f16 v53, v14, v0
	v_pk_min_f16 v0, v8, v19
	s_nop 0
	v_pk_add_f16 v45, v12, v0
	v_pk_min_f16 v0, v15, v19
	s_nop 0
	v_pk_add_f16 v44, v1, v0
	s_cbranch_scc1 .LBB292_40
; %bb.26:
	v_mov_b32_e32 v0, 0xa00
	v_lshl_add_u32 v80, v40, 3, v0
	v_mov_b32_e32 v0, 0x400
	v_lshl_add_u32 v81, v41, 3, v0
	v_lshl_add_u32 v0, s2, 6, v2
	s_lshl_b32 s2, s31, 6
	v_subrev_u32_e32 v0, s2, v0
	v_mad_i64_i32 v[0:1], s[6:7], s30, v0, 0
	v_lshl_add_u64 v[28:29], v[0:1], 1, s[16:17]
	v_mad_i64_i32 v[0:1], s[6:7], s33, v3, 0
	v_lshl_add_u64 v[30:31], v[0:1], 1, s[18:19]
	v_mad_i64_i32 v[0:1], s[6:7], s33, v4, 0
	v_add_u32_e32 v77, 0x800, v43
	v_add_u32_e32 v78, 0xa00, v43
	;; [unrolled: 1-line block ×3, first 2 shown]
	s_add_i32 s26, s22, -8
	v_mov_b32_e32 v27, 0
	v_lshl_add_u64 v[32:33], v[0:1], 1, s[18:19]
	s_branch .LBB292_28
.LBB292_27:                             ;   in Loop: Header=BB292_28 Depth=1
	s_or_b64 exec, exec, s[6:7]
	v_pk_add_f16 v20, v60, v20
	v_pk_add_f16 v12, v52, v12
	;; [unrolled: 1-line block ×21, first 2 shown]
	ds_read2_b64 v[6:9], v69 offset0:48 offset1:56
	ds_read2_b64 v[10:13], v25 offset1:32
	v_pk_add_f16 v2, v68, v2
	v_pk_add_f16 v22, v67, v22
	;; [unrolled: 1-line block ×5, first 2 shown]
	s_waitcnt lgkmcnt(0)
	v_pk_max_f16 v8, v8, v8
	v_pk_max_f16 v10, v10, v10
	v_pk_add_f16 v16, v76, v16
	v_pk_add_f16 v51, v56, v88
	;; [unrolled: 1-line block ×10, first 2 shown]
	ds_read2_b64 v[2:5], v25 offset0:64 offset1:96
	v_pk_min_f16 v14, v8, v10
	v_pk_add_f16 v60, v16, v17
	v_pk_add_f16 v1, v45, v1
	;; [unrolled: 1-line block ×3, first 2 shown]
	ds_read2_b64 v[14:17], v69 offset1:8
	v_pk_max_f16 v12, v12, v12
	s_waitcnt lgkmcnt(0)
	v_pk_max_f16 v2, v2, v2
	v_pk_min_f16 v59, v8, v12
	v_pk_add_f16 v50, v64, v87
	v_pk_add_f16 v59, v20, v59
	v_pk_min_f16 v20, v8, v2
	v_pk_max_f16 v14, v14, v14
	v_pk_add_f16 v64, v21, v20
	v_pk_min_f16 v20, v14, v10
	v_pk_add_f16 v38, v65, v84
	v_pk_add_f16 v65, v60, v20
	v_pk_min_f16 v20, v14, v12
	v_pk_max_f16 v16, v16, v16
	v_pk_add_f16 v22, v22, v20
	v_pk_min_f16 v20, v14, v2
	v_pk_add_f16 v39, v57, v85
	v_pk_add_f16 v23, v23, v20
	v_pk_min_f16 v20, v16, v10
	v_pk_add_f16 v57, v70, v96
	v_pk_add_f16 v66, v18, v20
	v_pk_min_f16 v18, v16, v12
	v_pk_max_f16 v4, v4, v4
	v_pk_add_f16 v70, v19, v18
	ds_read2_b64 v[18:21], v69 offset0:16 offset1:24
	v_pk_min_f16 v14, v14, v4
	v_pk_add_f16 v38, v38, v105
	v_pk_add_f16 v14, v34, v14
	v_pk_min_f16 v34, v16, v2
	s_waitcnt lgkmcnt(0)
	v_pk_max_f16 v18, v18, v18
	v_pk_add_f16 v71, v35, v34
	v_pk_min_f16 v34, v18, v10
	v_pk_add_f16 v39, v39, v106
	v_pk_add_f16 v72, v37, v34
	v_pk_min_f16 v34, v18, v12
	v_pk_max_f16 v20, v20, v20
	v_pk_add_f16 v38, v38, v34
	v_pk_min_f16 v34, v18, v2
	v_pk_add_f16 v50, v50, v108
	v_pk_add_f16 v39, v39, v34
	v_pk_min_f16 v34, v20, v10
	v_pk_min_f16 v16, v16, v4
	v_pk_add_f16 v61, v61, v34
	v_pk_min_f16 v34, v20, v12
	v_pk_add_f16 v16, v36, v16
	v_pk_add_f16 v84, v50, v34
	ds_read2_b64 v[34:37], v69 offset0:32 offset1:40
	v_pk_add_f16 v49, v49, v86
	v_pk_add_f16 v48, v48, v89
	;; [unrolled: 1-line block ×3, first 2 shown]
	v_pk_min_f16 v18, v18, v4
	v_pk_add_f16 v48, v48, v110
	v_pk_add_f16 v18, v49, v18
	v_pk_min_f16 v49, v20, v2
	v_pk_min_f16 v20, v20, v4
	s_waitcnt lgkmcnt(0)
	v_pk_max_f16 v34, v34, v34
	v_pk_add_f16 v20, v48, v20
	v_pk_min_f16 v48, v34, v10
	v_pk_add_f16 v47, v47, v92
	v_pk_add_f16 v52, v52, v112
	;; [unrolled: 1-line block ×3, first 2 shown]
	v_pk_min_f16 v48, v34, v12
	v_pk_add_f16 v47, v47, v114
	v_pk_add_f16 v86, v52, v48
	v_pk_min_f16 v48, v34, v2
	v_pk_min_f16 v34, v34, v4
	v_pk_max_f16 v36, v36, v36
	v_pk_add_f16 v34, v47, v34
	v_pk_min_f16 v47, v36, v10
	v_pk_add_f16 v56, v56, v115
	v_pk_add_f16 v87, v63, v47
	v_pk_min_f16 v47, v36, v12
	v_pk_max_f16 v6, v6, v6
	v_pk_add_f16 v88, v56, v47
	v_pk_min_f16 v47, v36, v2
	v_pk_min_f16 v10, v6, v10
	;; [unrolled: 1-line block ×6, first 2 shown]
	v_pk_add_f16 v1, v1, v6
	v_pk_min_f16 v4, v8, v4
	v_pk_max_f16 v6, v9, v9
	v_pk_max_f16 v8, v11, v11
	;; [unrolled: 1-line block ×3, first 2 shown]
	v_pk_min_f16 v9, v6, v8
	v_pk_max_f16 v5, v5, v5
	v_pk_add_f16 v68, v45, v9
	v_pk_max_f16 v9, v13, v13
	v_pk_add_f16 v51, v51, v109
	v_pk_min_f16 v11, v6, v9
	v_pk_add_f16 v85, v51, v49
	v_pk_add_f16 v60, v59, v11
	v_pk_min_f16 v11, v6, v3
	v_pk_add_f16 v58, v58, v119
	v_pk_add_f16 v52, v64, v11
	v_pk_max_f16 v11, v15, v15
	v_pk_add_f16 v12, v58, v12
	v_pk_min_f16 v13, v11, v8
	v_pk_add_f16 v57, v57, v118
	v_pk_add_f16 v76, v65, v13
	v_pk_min_f16 v13, v11, v9
	v_pk_add_f16 v10, v57, v10
	v_pk_add_f16 v67, v22, v13
	v_pk_min_f16 v13, v11, v3
	v_pk_min_f16 v11, v11, v5
	v_pk_add_f16 v59, v23, v13
	v_pk_add_f16 v51, v14, v11
	v_pk_max_f16 v11, v17, v17
	v_pk_add_f16 v55, v55, v91
	v_pk_min_f16 v13, v11, v8
	v_pk_add_f16 v55, v55, v113
	v_pk_add_f16 v75, v66, v13
	v_pk_min_f16 v13, v11, v9
	v_pk_add_f16 v55, v55, v48
	v_pk_add_f16 v66, v70, v13
	v_pk_min_f16 v13, v11, v3
	;; [unrolled: 12-line block ×3, first 2 shown]
	v_pk_min_f16 v11, v11, v5
	v_pk_add_f16 v57, v39, v13
	v_pk_add_f16 v49, v18, v11
	v_pk_max_f16 v11, v21, v21
	v_pk_add_f16 v53, v53, v98
	v_pk_min_f16 v13, v11, v8
	v_pk_add_f16 v53, v53, v120
	v_pk_add_f16 v73, v61, v13
	v_pk_min_f16 v13, v11, v9
	v_pk_max_f16 v7, v7, v7
	v_pk_add_f16 v64, v84, v13
	v_pk_min_f16 v13, v11, v3
	v_pk_min_f16 v11, v11, v5
	v_pk_add_f16 v56, v85, v13
	v_pk_add_f16 v48, v20, v11
	v_pk_max_f16 v11, v35, v35
	v_pk_add_f16 v46, v46, v95
	v_pk_min_f16 v13, v11, v8
	v_pk_add_f16 v2, v53, v2
	v_pk_add_f16 v72, v62, v13
	v_pk_min_f16 v13, v11, v9
	v_pk_add_f16 v46, v46, v117
	v_pk_add_f16 v63, v86, v13
	v_pk_min_f16 v13, v11, v3
	v_pk_min_f16 v11, v11, v5
	v_pk_add_f16 v55, v55, v13
	v_pk_add_f16 v47, v34, v11
	v_pk_max_f16 v11, v37, v37
	v_pk_add_f16 v36, v46, v36
	v_pk_min_f16 v13, v11, v8
	v_pk_min_f16 v8, v7, v8
	v_pk_add_f16 v71, v87, v13
	v_pk_min_f16 v13, v11, v9
	v_pk_add_f16 v4, v44, v4
	v_pk_add_f16 v62, v88, v13
	v_pk_min_f16 v13, v11, v3
	v_pk_min_f16 v3, v7, v3
	;; [unrolled: 1-line block ×3, first 2 shown]
	v_pk_add_f16 v53, v2, v3
	v_pk_min_f16 v2, v7, v5
	v_pk_add_f16 v70, v10, v8
	v_pk_min_f16 v8, v7, v9
	;; [unrolled: 2-line block ×3, first 2 shown]
	s_add_i32 s23, s23, 8
	v_pk_add_f16 v54, v54, v13
	v_pk_add_f16 v46, v36, v11
	;; [unrolled: 1-line block ×4, first 2 shown]
	v_lshl_add_u64 v[28:29], v[28:29], 0, 16
	v_lshl_add_u64 v[30:31], v[30:31], 0, 16
	s_cmp_ge_i32 s23, s26
	v_lshl_add_u64 v[32:33], v[32:33], 0, 16
	s_waitcnt vmcnt(0)
	ds_write_b16 v78, v83
	ds_write_b16 v79, v82
	ds_write_b16 v79, v0 offset:512
	s_waitcnt lgkmcnt(0)
	s_barrier
	s_cbranch_scc1 .LBB292_40
.LBB292_28:                             ; =>This Inner Loop Header: Depth=1
	v_add_u32_e32 v82, s23, v24
	v_add_u32_e32 v0, 8, v82
	v_cmp_le_i32_e64 s[6:7], s22, v0
	s_or_b64 s[16:17], s[6:7], vcc
	s_xor_b64 s[18:19], s[16:17], -1
	v_lshl_add_u64 v[36:37], v[28:29], 0, v[26:27]
	v_mov_b32_e32 v83, 0
	s_and_saveexec_b64 s[16:17], s[18:19]
	s_cbranch_execz .LBB292_30
; %bb.29:                               ;   in Loop: Header=BB292_28 Depth=1
	flat_load_ushort v83, v[36:37] offset:16
.LBB292_30:                             ;   in Loop: Header=BB292_28 Depth=1
	s_or_b64 exec, exec, s[16:17]
	s_or_b64 s[16:17], s[8:9], s[6:7]
	s_xor_b64 s[18:19], s[16:17], -1
	v_mov_b32_e32 v84, 0
	v_lshl_add_u64 v[38:39], v[30:31], 0, v[26:27]
	v_mov_b32_e32 v85, 0
	s_and_saveexec_b64 s[16:17], s[18:19]
	s_cbranch_execz .LBB292_32
; %bb.31:                               ;   in Loop: Header=BB292_28 Depth=1
	flat_load_ushort v85, v[38:39] offset:16
.LBB292_32:                             ;   in Loop: Header=BB292_28 Depth=1
	s_or_b64 exec, exec, s[16:17]
	s_or_b64 s[6:7], s[4:5], s[6:7]
	s_xor_b64 s[16:17], s[6:7], -1
	v_lshl_add_u64 v[34:35], v[32:33], 0, v[26:27]
	s_and_saveexec_b64 s[6:7], s[16:17]
	s_cbranch_execz .LBB292_34
; %bb.33:                               ;   in Loop: Header=BB292_28 Depth=1
	flat_load_ushort v84, v[34:35] offset:16
.LBB292_34:                             ;   in Loop: Header=BB292_28 Depth=1
	s_or_b64 exec, exec, s[6:7]
	ds_read2_b64 v[0:3], v80 offset0:48 offset1:56
	ds_read2_b64 v[12:15], v81 offset0:64 offset1:96
	ds_read2_b64 v[20:23], v81 offset1:32
	ds_read2_b64 v[16:19], v80 offset1:8
	ds_read2_b64 v[8:11], v80 offset0:16 offset1:24
	ds_read2_b64 v[4:7], v80 offset0:32 offset1:40
	v_add_u32_e32 v82, 12, v82
	v_cmp_le_i32_e64 s[6:7], s22, v82
	s_or_b64 s[16:17], s[6:7], vcc
	s_waitcnt vmcnt(0) lgkmcnt(0)
	ds_write_b16 v77, v83
	ds_write_b16 v43, v85
	ds_write_b16 v43, v84 offset:512
	s_xor_b64 s[18:19], s[16:17], -1
	v_mov_b32_e32 v82, 0
	v_mov_b32_e32 v83, 0
	s_waitcnt lgkmcnt(0)
	s_barrier
	s_and_saveexec_b64 s[16:17], s[18:19]
	s_cbranch_execz .LBB292_36
; %bb.35:                               ;   in Loop: Header=BB292_28 Depth=1
	flat_load_ushort v83, v[36:37] offset:24
.LBB292_36:                             ;   in Loop: Header=BB292_28 Depth=1
	s_or_b64 exec, exec, s[16:17]
	s_or_b64 s[16:17], s[8:9], s[6:7]
	s_xor_b64 s[18:19], s[16:17], -1
	s_and_saveexec_b64 s[16:17], s[18:19]
	s_cbranch_execz .LBB292_38
; %bb.37:                               ;   in Loop: Header=BB292_28 Depth=1
	flat_load_ushort v82, v[38:39] offset:24
.LBB292_38:                             ;   in Loop: Header=BB292_28 Depth=1
	s_or_b64 exec, exec, s[16:17]
	v_pk_max_f16 v100, v2, v2
	v_pk_max_f16 v96, v20, v20
	;; [unrolled: 1-line block ×17, first 2 shown]
	v_pk_min_f16 v2, v100, v96
	v_pk_min_f16 v20, v100, v97
	;; [unrolled: 1-line block ×26, first 2 shown]
	v_pk_max_f16 v0, v3, v3
	v_pk_max_f16 v102, v17, v17
	;; [unrolled: 1-line block ×5, first 2 shown]
	v_pk_min_f16 v111, v5, v118
	v_pk_min_f16 v112, v5, v119
	;; [unrolled: 1-line block ×4, first 2 shown]
	v_pk_max_f16 v5, v7, v7
	v_pk_max_f16 v1, v1, v1
	s_or_b64 s[6:7], s[4:5], s[6:7]
	v_pk_min_f16 v39, v39, v101
	v_pk_min_f16 v86, v86, v101
	;; [unrolled: 1-line block ×34, first 2 shown]
	s_xor_b64 s[16:17], s[6:7], -1
	v_mov_b32_e32 v0, 0
	s_and_saveexec_b64 s[6:7], s[16:17]
	s_cbranch_execz .LBB292_27
; %bb.39:                               ;   in Loop: Header=BB292_28 Depth=1
	flat_load_ushort v0, v[34:35] offset:24
	s_branch .LBB292_27
.LBB292_40:
	s_load_dwordx2 s[4:5], s[0:1], 0x70
	s_load_dword s31, s[0:1], 0x50
	s_load_dword s30, s[0:1], 0x68
	v_add_u32_e32 v8, 0x800, v42
	ds_read2_b64 v[0:3], v8 offset0:112 offset1:120
	ds_read2_b64 v[4:7], v25 offset0:192 offset1:224
	;; [unrolled: 1-line block ×6, first 2 shown]
	s_waitcnt lgkmcnt(0)
	s_mul_i32 s0, s3, s5
	s_mul_hi_u32 s1, s3, s4
	s_mul_i32 s2, s15, s4
	s_add_i32 s0, s1, s0
	s_add_i32 s1, s0, s2
	s_mul_i32 s0, s3, s4
	s_lshl_b64 s[0:1], s[0:1], 1
	s_add_u32 s22, s10, s0
	v_add_u32_e32 v69, s29, v41
	s_addc_u32 s23, s11, s1
	v_mad_i64_i32 v[26:27], s[0:1], v69, s31, 0
	v_add_u32_e32 v24, s14, v40
	v_lshl_add_u64 v[42:43], v[26:27], 1, s[24:25]
	v_mad_i64_i32 v[26:27], s[0:1], v69, s30, 0
	v_cmp_gt_i32_e64 s[18:19], s21, v69
	v_lshl_add_u64 v[40:41], v[26:27], 1, s[22:23]
	v_cmp_gt_i32_e64 s[2:3], s20, v24
	v_cndmask_b32_e64 v26, 0, 1, s[12:13]
	s_and_b64 s[6:7], s[2:3], s[18:19]
	v_ashrrev_i32_e32 v25, 31, v24
	v_cmp_ne_u32_e64 s[0:1], 1, v26
	s_and_saveexec_b64 s[4:5], s[6:7]
	s_cbranch_execz .LBB292_45
; %bb.41:
	s_and_b64 vcc, exec, s[0:1]
	s_cbranch_vccnz .LBB292_43
; %bb.42:
	v_lshl_add_u64 v[26:27], v[24:25], 1, v[42:43]
	flat_load_ushort v26, v[26:27]
	s_waitcnt vmcnt(0) lgkmcnt(0)
	v_mul_f16_e32 v26, s28, v26
	s_branch .LBB292_44
.LBB292_43:
	v_mov_b32_e32 v26, 0
.LBB292_44:
	v_pk_max_f16 v27, v20, v20
	v_pk_max_f16 v28, v16, v16
	v_pk_max_f16 v29, v17, v17
	v_pk_min_f16 v27, v28, v27
	v_pk_max_f16 v28, v21, v21
	v_pk_add_f16 v27, v76, v27
	v_pk_min_f16 v28, v29, v28
	s_nop 0
	v_pk_add_f16 v27, v27, v28
	s_nop 0
	v_add_f16_sdwa v27, v27, v27 dst_sel:DWORD dst_unused:UNUSED_PAD src0_sel:DWORD src1_sel:WORD_1
	v_add_f16_e32 v28, v27, v26
	v_lshl_add_u64 v[26:27], v[24:25], 1, v[40:41]
	global_store_short v[26:27], v28, off
.LBB292_45:
	s_or_b64 exec, exec, s[4:5]
	v_add_u32_e32 v26, 8, v24
	v_cmp_gt_i32_e64 s[4:5], s20, v26
	s_and_b64 s[8:9], s[4:5], s[18:19]
	v_ashrrev_i32_e32 v27, 31, v26
	s_and_saveexec_b64 s[6:7], s[8:9]
	s_cbranch_execz .LBB292_50
; %bb.46:
	s_and_b64 vcc, exec, s[0:1]
	s_cbranch_vccnz .LBB292_48
; %bb.47:
	v_lshl_add_u64 v[28:29], v[26:27], 1, v[42:43]
	flat_load_ushort v28, v[28:29]
	s_waitcnt vmcnt(0) lgkmcnt(0)
	v_mul_f16_e32 v28, s28, v28
	s_branch .LBB292_49
.LBB292_48:
	v_mov_b32_e32 v28, 0
.LBB292_49:
	v_pk_max_f16 v29, v20, v20
	v_pk_max_f16 v30, v18, v18
	v_pk_max_f16 v31, v19, v19
	v_pk_min_f16 v29, v30, v29
	v_pk_max_f16 v30, v21, v21
	v_pk_add_f16 v29, v75, v29
	v_pk_min_f16 v30, v31, v30
	s_nop 0
	v_pk_add_f16 v29, v29, v30
	s_nop 0
	v_add_f16_sdwa v29, v29, v29 dst_sel:DWORD dst_unused:UNUSED_PAD src0_sel:DWORD src1_sel:WORD_1
	v_add_f16_e32 v30, v29, v28
	v_lshl_add_u64 v[28:29], v[26:27], 1, v[40:41]
	global_store_short v[28:29], v30, off
.LBB292_50:
	s_or_b64 exec, exec, s[6:7]
	v_add_u32_e32 v28, 16, v24
	v_cmp_gt_i32_e64 s[6:7], s20, v28
	s_and_b64 s[10:11], s[6:7], s[18:19]
	v_ashrrev_i32_e32 v29, 31, v28
	;; [unrolled: 34-line block ×6, first 2 shown]
	s_and_saveexec_b64 s[16:17], s[26:27]
	s_cbranch_execz .LBB292_75
; %bb.71:
	s_and_b64 vcc, exec, s[0:1]
	s_cbranch_vccnz .LBB292_73
; %bb.72:
	v_lshl_add_u64 v[38:39], v[36:37], 1, v[42:43]
	flat_load_ushort v38, v[38:39]
	s_waitcnt vmcnt(0) lgkmcnt(0)
	v_mul_f16_e32 v38, s28, v38
	s_branch .LBB292_74
.LBB292_73:
	v_mov_b32_e32 v38, 0
.LBB292_74:
	v_pk_max_f16 v39, v20, v20
	v_pk_max_f16 v71, v0, v0
	s_nop 0
	v_pk_min_f16 v39, v71, v39
	v_pk_max_f16 v71, v1, v1
	v_pk_add_f16 v39, v70, v39
	v_pk_max_f16 v70, v21, v21
	s_nop 0
	v_pk_min_f16 v70, v71, v70
	s_nop 0
	v_pk_add_f16 v39, v39, v70
	s_nop 0
	v_add_f16_sdwa v39, v39, v39 dst_sel:DWORD dst_unused:UNUSED_PAD src0_sel:DWORD src1_sel:WORD_1
	v_add_f16_e32 v70, v39, v38
	v_lshl_add_u64 v[38:39], v[36:37], 1, v[40:41]
	global_store_short v[38:39], v70, off
.LBB292_75:
	s_or_b64 exec, exec, s[16:17]
	v_add_u32_e32 v38, 56, v24
	v_cmp_gt_i32_e64 s[16:17], s20, v38
	s_and_b64 s[26:27], s[16:17], s[18:19]
	v_ashrrev_i32_e32 v39, 31, v38
	s_and_saveexec_b64 s[18:19], s[26:27]
	s_cbranch_execz .LBB292_80
; %bb.76:
	s_and_b64 vcc, exec, s[0:1]
	s_cbranch_vccnz .LBB292_78
; %bb.77:
	v_lshl_add_u64 v[42:43], v[38:39], 1, v[42:43]
	flat_load_ushort v42, v[42:43]
	s_waitcnt vmcnt(0) lgkmcnt(0)
	v_mul_f16_e32 v42, s28, v42
	s_branch .LBB292_79
.LBB292_78:
	v_mov_b32_e32 v42, 0
.LBB292_79:
	v_pk_max_f16 v20, v20, v20
	v_pk_max_f16 v43, v2, v2
	;; [unrolled: 1-line block ×3, first 2 shown]
	v_pk_min_f16 v20, v43, v20
	v_pk_max_f16 v43, v3, v3
	v_pk_add_f16 v20, v68, v20
	v_pk_min_f16 v21, v43, v21
	s_nop 0
	v_pk_add_f16 v20, v20, v21
	s_nop 0
	v_add_f16_sdwa v20, v20, v20 dst_sel:DWORD dst_unused:UNUSED_PAD src0_sel:DWORD src1_sel:WORD_1
	v_add_f16_e32 v42, v20, v42
	v_lshl_add_u64 v[20:21], v[38:39], 1, v[40:41]
	global_store_short v[20:21], v42, off
.LBB292_80:
	s_or_b64 exec, exec, s[18:19]
	v_add_u32_e32 v42, 32, v69
	v_mad_i64_i32 v[20:21], s[26:27], v42, s31, 0
	v_cmp_gt_i32_e64 s[18:19], s21, v42
	v_lshl_add_u64 v[40:41], v[20:21], 1, s[24:25]
	v_mad_i64_i32 v[20:21], s[26:27], v42, s30, 0
	v_lshl_add_u64 v[20:21], v[20:21], 1, s[22:23]
	s_and_b64 s[34:35], s[2:3], s[18:19]
	s_and_saveexec_b64 s[26:27], s[34:35]
	s_cbranch_execnz .LBB292_88
; %bb.81:
	s_or_b64 exec, exec, s[26:27]
	s_and_b64 s[34:35], s[4:5], s[18:19]
	s_and_saveexec_b64 s[26:27], s[34:35]
	s_cbranch_execnz .LBB292_92
.LBB292_82:
	s_or_b64 exec, exec, s[26:27]
	s_and_b64 s[34:35], s[6:7], s[18:19]
	s_and_saveexec_b64 s[26:27], s[34:35]
	s_cbranch_execnz .LBB292_96
.LBB292_83:
	s_or_b64 exec, exec, s[26:27]
	s_and_b64 s[34:35], s[8:9], s[18:19]
	s_and_saveexec_b64 s[26:27], s[34:35]
	s_cbranch_execnz .LBB292_100
.LBB292_84:
	s_or_b64 exec, exec, s[26:27]
	s_and_b64 s[34:35], s[10:11], s[18:19]
	s_and_saveexec_b64 s[26:27], s[34:35]
	s_cbranch_execnz .LBB292_104
.LBB292_85:
	s_or_b64 exec, exec, s[26:27]
	s_and_b64 s[34:35], s[12:13], s[18:19]
	s_and_saveexec_b64 s[26:27], s[34:35]
	s_cbranch_execnz .LBB292_108
.LBB292_86:
	s_or_b64 exec, exec, s[26:27]
	s_and_b64 s[34:35], s[14:15], s[18:19]
	s_and_saveexec_b64 s[26:27], s[34:35]
	s_cbranch_execnz .LBB292_112
.LBB292_87:
	s_or_b64 exec, exec, s[26:27]
	s_and_b64 s[26:27], s[16:17], s[18:19]
	s_and_saveexec_b64 s[18:19], s[26:27]
	s_cbranch_execnz .LBB292_116
	s_branch .LBB292_120
.LBB292_88:
	s_and_b64 vcc, exec, s[0:1]
	s_cbranch_vccnz .LBB292_90
; %bb.89:
	v_lshl_add_u64 v[42:43], v[24:25], 1, v[40:41]
	flat_load_ushort v42, v[42:43]
	s_waitcnt vmcnt(0) lgkmcnt(0)
	v_mul_f16_e32 v42, s28, v42
	s_branch .LBB292_91
.LBB292_90:
	v_mov_b32_e32 v42, 0
.LBB292_91:
	v_pk_max_f16 v43, v22, v22
	v_pk_max_f16 v68, v16, v16
	s_nop 0
	v_pk_min_f16 v43, v68, v43
	v_pk_max_f16 v68, v17, v17
	v_pk_add_f16 v43, v67, v43
	v_pk_max_f16 v67, v23, v23
	s_nop 0
	v_pk_min_f16 v67, v68, v67
	s_nop 0
	v_pk_add_f16 v43, v43, v67
	s_nop 0
	v_add_f16_sdwa v43, v43, v43 dst_sel:DWORD dst_unused:UNUSED_PAD src0_sel:DWORD src1_sel:WORD_1
	v_add_f16_e32 v67, v43, v42
	v_lshl_add_u64 v[42:43], v[24:25], 1, v[20:21]
	global_store_short v[42:43], v67, off
	s_or_b64 exec, exec, s[26:27]
	s_and_b64 s[34:35], s[4:5], s[18:19]
	s_and_saveexec_b64 s[26:27], s[34:35]
	s_cbranch_execz .LBB292_82
.LBB292_92:
	s_and_b64 vcc, exec, s[0:1]
	s_cbranch_vccnz .LBB292_94
; %bb.93:
	v_lshl_add_u64 v[42:43], v[26:27], 1, v[40:41]
	flat_load_ushort v42, v[42:43]
	s_waitcnt vmcnt(0) lgkmcnt(0)
	v_mul_f16_e32 v42, s28, v42
	s_branch .LBB292_95
.LBB292_94:
	v_mov_b32_e32 v42, 0
.LBB292_95:
	v_pk_max_f16 v43, v22, v22
	v_pk_max_f16 v67, v18, v18
	s_nop 0
	v_pk_min_f16 v43, v67, v43
	v_pk_max_f16 v67, v19, v19
	v_pk_add_f16 v43, v66, v43
	v_pk_max_f16 v66, v23, v23
	s_nop 0
	v_pk_min_f16 v66, v67, v66
	s_nop 0
	v_pk_add_f16 v43, v43, v66
	s_nop 0
	v_add_f16_sdwa v43, v43, v43 dst_sel:DWORD dst_unused:UNUSED_PAD src0_sel:DWORD src1_sel:WORD_1
	v_add_f16_e32 v66, v43, v42
	v_lshl_add_u64 v[42:43], v[26:27], 1, v[20:21]
	global_store_short v[42:43], v66, off
	s_or_b64 exec, exec, s[26:27]
	s_and_b64 s[34:35], s[6:7], s[18:19]
	s_and_saveexec_b64 s[26:27], s[34:35]
	s_cbranch_execz .LBB292_83
.LBB292_96:
	s_and_b64 vcc, exec, s[0:1]
	s_cbranch_vccnz .LBB292_98
; %bb.97:
	v_lshl_add_u64 v[42:43], v[28:29], 1, v[40:41]
	flat_load_ushort v42, v[42:43]
	s_waitcnt vmcnt(0) lgkmcnt(0)
	v_mul_f16_e32 v42, s28, v42
	s_branch .LBB292_99
.LBB292_98:
	v_mov_b32_e32 v42, 0
.LBB292_99:
	v_pk_max_f16 v43, v22, v22
	v_pk_max_f16 v66, v12, v12
	s_nop 0
	v_pk_min_f16 v43, v66, v43
	v_pk_max_f16 v66, v13, v13
	v_pk_add_f16 v43, v65, v43
	v_pk_max_f16 v65, v23, v23
	s_nop 0
	v_pk_min_f16 v65, v66, v65
	s_nop 0
	v_pk_add_f16 v43, v43, v65
	s_nop 0
	v_add_f16_sdwa v43, v43, v43 dst_sel:DWORD dst_unused:UNUSED_PAD src0_sel:DWORD src1_sel:WORD_1
	v_add_f16_e32 v65, v43, v42
	v_lshl_add_u64 v[42:43], v[28:29], 1, v[20:21]
	global_store_short v[42:43], v65, off
	s_or_b64 exec, exec, s[26:27]
	s_and_b64 s[34:35], s[8:9], s[18:19]
	s_and_saveexec_b64 s[26:27], s[34:35]
	s_cbranch_execz .LBB292_84
.LBB292_100:
	s_and_b64 vcc, exec, s[0:1]
	s_cbranch_vccnz .LBB292_102
; %bb.101:
	v_lshl_add_u64 v[42:43], v[30:31], 1, v[40:41]
	flat_load_ushort v42, v[42:43]
	s_waitcnt vmcnt(0) lgkmcnt(0)
	v_mul_f16_e32 v42, s28, v42
	s_branch .LBB292_103
.LBB292_102:
	v_mov_b32_e32 v42, 0
.LBB292_103:
	v_pk_max_f16 v43, v22, v22
	v_pk_max_f16 v65, v14, v14
	s_nop 0
	v_pk_min_f16 v43, v65, v43
	v_pk_max_f16 v65, v15, v15
	v_pk_add_f16 v43, v64, v43
	v_pk_max_f16 v64, v23, v23
	s_nop 0
	v_pk_min_f16 v64, v65, v64
	s_nop 0
	v_pk_add_f16 v43, v43, v64
	s_nop 0
	v_add_f16_sdwa v43, v43, v43 dst_sel:DWORD dst_unused:UNUSED_PAD src0_sel:DWORD src1_sel:WORD_1
	v_add_f16_e32 v64, v43, v42
	v_lshl_add_u64 v[42:43], v[30:31], 1, v[20:21]
	global_store_short v[42:43], v64, off
	s_or_b64 exec, exec, s[26:27]
	s_and_b64 s[34:35], s[10:11], s[18:19]
	s_and_saveexec_b64 s[26:27], s[34:35]
	s_cbranch_execz .LBB292_85
.LBB292_104:
	s_and_b64 vcc, exec, s[0:1]
	s_cbranch_vccnz .LBB292_106
; %bb.105:
	v_lshl_add_u64 v[42:43], v[32:33], 1, v[40:41]
	flat_load_ushort v42, v[42:43]
	s_waitcnt vmcnt(0) lgkmcnt(0)
	v_mul_f16_e32 v42, s28, v42
	s_branch .LBB292_107
.LBB292_106:
	v_mov_b32_e32 v42, 0
.LBB292_107:
	v_pk_max_f16 v43, v22, v22
	v_pk_max_f16 v64, v8, v8
	s_nop 0
	v_pk_min_f16 v43, v64, v43
	v_pk_max_f16 v64, v9, v9
	v_pk_add_f16 v43, v63, v43
	v_pk_max_f16 v63, v23, v23
	s_nop 0
	v_pk_min_f16 v63, v64, v63
	s_nop 0
	v_pk_add_f16 v43, v43, v63
	s_nop 0
	v_add_f16_sdwa v43, v43, v43 dst_sel:DWORD dst_unused:UNUSED_PAD src0_sel:DWORD src1_sel:WORD_1
	v_add_f16_e32 v63, v43, v42
	v_lshl_add_u64 v[42:43], v[32:33], 1, v[20:21]
	global_store_short v[42:43], v63, off
	s_or_b64 exec, exec, s[26:27]
	s_and_b64 s[34:35], s[12:13], s[18:19]
	s_and_saveexec_b64 s[26:27], s[34:35]
	s_cbranch_execz .LBB292_86
.LBB292_108:
	s_and_b64 vcc, exec, s[0:1]
	s_cbranch_vccnz .LBB292_110
; %bb.109:
	v_lshl_add_u64 v[42:43], v[34:35], 1, v[40:41]
	flat_load_ushort v42, v[42:43]
	s_waitcnt vmcnt(0) lgkmcnt(0)
	v_mul_f16_e32 v42, s28, v42
	s_branch .LBB292_111
.LBB292_110:
	v_mov_b32_e32 v42, 0
.LBB292_111:
	v_pk_max_f16 v43, v22, v22
	v_pk_max_f16 v63, v10, v10
	s_nop 0
	v_pk_min_f16 v43, v63, v43
	v_pk_max_f16 v63, v11, v11
	v_pk_add_f16 v43, v62, v43
	v_pk_max_f16 v62, v23, v23
	s_nop 0
	v_pk_min_f16 v62, v63, v62
	s_nop 0
	v_pk_add_f16 v43, v43, v62
	s_nop 0
	v_add_f16_sdwa v43, v43, v43 dst_sel:DWORD dst_unused:UNUSED_PAD src0_sel:DWORD src1_sel:WORD_1
	v_add_f16_e32 v62, v43, v42
	v_lshl_add_u64 v[42:43], v[34:35], 1, v[20:21]
	global_store_short v[42:43], v62, off
	s_or_b64 exec, exec, s[26:27]
	s_and_b64 s[34:35], s[14:15], s[18:19]
	s_and_saveexec_b64 s[26:27], s[34:35]
	s_cbranch_execz .LBB292_87
.LBB292_112:
	s_and_b64 vcc, exec, s[0:1]
	s_cbranch_vccnz .LBB292_114
; %bb.113:
	v_lshl_add_u64 v[42:43], v[36:37], 1, v[40:41]
	flat_load_ushort v42, v[42:43]
	s_waitcnt vmcnt(0) lgkmcnt(0)
	v_mul_f16_e32 v42, s28, v42
	s_branch .LBB292_115
.LBB292_114:
	v_mov_b32_e32 v42, 0
.LBB292_115:
	v_pk_max_f16 v43, v22, v22
	v_pk_max_f16 v62, v0, v0
	s_nop 0
	v_pk_min_f16 v43, v62, v43
	v_pk_max_f16 v62, v1, v1
	v_pk_add_f16 v43, v61, v43
	v_pk_max_f16 v61, v23, v23
	s_nop 0
	v_pk_min_f16 v61, v62, v61
	s_nop 0
	v_pk_add_f16 v43, v43, v61
	s_nop 0
	v_add_f16_sdwa v43, v43, v43 dst_sel:DWORD dst_unused:UNUSED_PAD src0_sel:DWORD src1_sel:WORD_1
	v_add_f16_e32 v61, v43, v42
	v_lshl_add_u64 v[42:43], v[36:37], 1, v[20:21]
	global_store_short v[42:43], v61, off
	s_or_b64 exec, exec, s[26:27]
	s_and_b64 s[26:27], s[16:17], s[18:19]
	s_and_saveexec_b64 s[18:19], s[26:27]
	s_cbranch_execz .LBB292_120
.LBB292_116:
	s_and_b64 vcc, exec, s[0:1]
	s_cbranch_vccnz .LBB292_118
; %bb.117:
	v_lshl_add_u64 v[40:41], v[38:39], 1, v[40:41]
	flat_load_ushort v40, v[40:41]
	s_waitcnt vmcnt(0) lgkmcnt(0)
	v_mul_f16_e32 v40, s28, v40
	s_branch .LBB292_119
.LBB292_118:
	v_mov_b32_e32 v40, 0
.LBB292_119:
	v_pk_max_f16 v22, v22, v22
	v_pk_max_f16 v41, v2, v2
	;; [unrolled: 1-line block ×3, first 2 shown]
	v_pk_min_f16 v22, v41, v22
	v_pk_max_f16 v41, v3, v3
	v_pk_add_f16 v22, v60, v22
	v_pk_min_f16 v23, v41, v23
	v_lshl_add_u64 v[20:21], v[38:39], 1, v[20:21]
	v_pk_add_f16 v22, v22, v23
	s_nop 0
	v_add_f16_sdwa v22, v22, v22 dst_sel:DWORD dst_unused:UNUSED_PAD src0_sel:DWORD src1_sel:WORD_1
	v_add_f16_e32 v22, v22, v40
	global_store_short v[20:21], v22, off
.LBB292_120:
	s_or_b64 exec, exec, s[18:19]
	v_add_u32_e32 v40, 64, v69
	v_mad_i64_i32 v[20:21], s[26:27], v40, s31, 0
	v_cmp_gt_i32_e64 s[18:19], s21, v40
	v_lshl_add_u64 v[22:23], v[20:21], 1, s[24:25]
	v_mad_i64_i32 v[20:21], s[26:27], v40, s30, 0
	v_lshl_add_u64 v[20:21], v[20:21], 1, s[22:23]
	s_and_b64 s[34:35], s[2:3], s[18:19]
	s_and_saveexec_b64 s[26:27], s[34:35]
	s_cbranch_execnz .LBB292_128
; %bb.121:
	s_or_b64 exec, exec, s[26:27]
	s_and_b64 s[34:35], s[4:5], s[18:19]
	s_and_saveexec_b64 s[26:27], s[34:35]
	s_cbranch_execnz .LBB292_132
.LBB292_122:
	s_or_b64 exec, exec, s[26:27]
	s_and_b64 s[34:35], s[6:7], s[18:19]
	s_and_saveexec_b64 s[26:27], s[34:35]
	s_cbranch_execnz .LBB292_136
.LBB292_123:
	s_or_b64 exec, exec, s[26:27]
	s_and_b64 s[34:35], s[8:9], s[18:19]
	s_and_saveexec_b64 s[26:27], s[34:35]
	s_cbranch_execnz .LBB292_140
.LBB292_124:
	s_or_b64 exec, exec, s[26:27]
	s_and_b64 s[34:35], s[10:11], s[18:19]
	s_and_saveexec_b64 s[26:27], s[34:35]
	s_cbranch_execnz .LBB292_144
.LBB292_125:
	s_or_b64 exec, exec, s[26:27]
	s_and_b64 s[34:35], s[12:13], s[18:19]
	s_and_saveexec_b64 s[26:27], s[34:35]
	s_cbranch_execnz .LBB292_148
.LBB292_126:
	s_or_b64 exec, exec, s[26:27]
	s_and_b64 s[34:35], s[14:15], s[18:19]
	s_and_saveexec_b64 s[26:27], s[34:35]
	s_cbranch_execnz .LBB292_152
.LBB292_127:
	s_or_b64 exec, exec, s[26:27]
	s_and_b64 s[26:27], s[16:17], s[18:19]
	s_and_saveexec_b64 s[18:19], s[26:27]
	s_cbranch_execnz .LBB292_156
	s_branch .LBB292_160
.LBB292_128:
	s_and_b64 vcc, exec, s[0:1]
	s_cbranch_vccnz .LBB292_130
; %bb.129:
	v_lshl_add_u64 v[40:41], v[24:25], 1, v[22:23]
	flat_load_ushort v40, v[40:41]
	s_waitcnt vmcnt(0) lgkmcnt(0)
	v_mul_f16_e32 v40, s28, v40
	s_branch .LBB292_131
.LBB292_130:
	v_mov_b32_e32 v40, 0
.LBB292_131:
	v_pk_max_f16 v41, v4, v4
	v_pk_max_f16 v42, v16, v16
	;; [unrolled: 1-line block ×3, first 2 shown]
	v_pk_min_f16 v41, v42, v41
	v_pk_max_f16 v42, v5, v5
	v_pk_add_f16 v41, v59, v41
	v_pk_min_f16 v42, v43, v42
	s_nop 0
	v_pk_add_f16 v41, v41, v42
	s_nop 0
	v_add_f16_sdwa v41, v41, v41 dst_sel:DWORD dst_unused:UNUSED_PAD src0_sel:DWORD src1_sel:WORD_1
	v_add_f16_e32 v42, v41, v40
	v_lshl_add_u64 v[40:41], v[24:25], 1, v[20:21]
	global_store_short v[40:41], v42, off
	s_or_b64 exec, exec, s[26:27]
	s_and_b64 s[34:35], s[4:5], s[18:19]
	s_and_saveexec_b64 s[26:27], s[34:35]
	s_cbranch_execz .LBB292_122
.LBB292_132:
	s_and_b64 vcc, exec, s[0:1]
	s_cbranch_vccnz .LBB292_134
; %bb.133:
	v_lshl_add_u64 v[40:41], v[26:27], 1, v[22:23]
	flat_load_ushort v40, v[40:41]
	s_waitcnt vmcnt(0) lgkmcnt(0)
	v_mul_f16_e32 v40, s28, v40
	s_branch .LBB292_135
.LBB292_134:
	v_mov_b32_e32 v40, 0
.LBB292_135:
	v_pk_max_f16 v41, v4, v4
	v_pk_max_f16 v42, v18, v18
	;; [unrolled: 1-line block ×3, first 2 shown]
	v_pk_min_f16 v41, v42, v41
	v_pk_max_f16 v42, v5, v5
	v_pk_add_f16 v41, v58, v41
	v_pk_min_f16 v42, v43, v42
	s_nop 0
	v_pk_add_f16 v41, v41, v42
	s_nop 0
	v_add_f16_sdwa v41, v41, v41 dst_sel:DWORD dst_unused:UNUSED_PAD src0_sel:DWORD src1_sel:WORD_1
	v_add_f16_e32 v42, v41, v40
	v_lshl_add_u64 v[40:41], v[26:27], 1, v[20:21]
	global_store_short v[40:41], v42, off
	s_or_b64 exec, exec, s[26:27]
	s_and_b64 s[34:35], s[6:7], s[18:19]
	s_and_saveexec_b64 s[26:27], s[34:35]
	s_cbranch_execz .LBB292_123
.LBB292_136:
	s_and_b64 vcc, exec, s[0:1]
	s_cbranch_vccnz .LBB292_138
; %bb.137:
	v_lshl_add_u64 v[40:41], v[28:29], 1, v[22:23]
	flat_load_ushort v40, v[40:41]
	s_waitcnt vmcnt(0) lgkmcnt(0)
	v_mul_f16_e32 v40, s28, v40
	s_branch .LBB292_139
.LBB292_138:
	v_mov_b32_e32 v40, 0
.LBB292_139:
	v_pk_max_f16 v41, v4, v4
	v_pk_max_f16 v42, v12, v12
	;; [unrolled: 1-line block ×3, first 2 shown]
	v_pk_min_f16 v41, v42, v41
	v_pk_max_f16 v42, v5, v5
	v_pk_add_f16 v41, v57, v41
	v_pk_min_f16 v42, v43, v42
	s_nop 0
	v_pk_add_f16 v41, v41, v42
	s_nop 0
	v_add_f16_sdwa v41, v41, v41 dst_sel:DWORD dst_unused:UNUSED_PAD src0_sel:DWORD src1_sel:WORD_1
	v_add_f16_e32 v42, v41, v40
	v_lshl_add_u64 v[40:41], v[28:29], 1, v[20:21]
	global_store_short v[40:41], v42, off
	s_or_b64 exec, exec, s[26:27]
	s_and_b64 s[34:35], s[8:9], s[18:19]
	s_and_saveexec_b64 s[26:27], s[34:35]
	s_cbranch_execz .LBB292_124
.LBB292_140:
	s_and_b64 vcc, exec, s[0:1]
	s_cbranch_vccnz .LBB292_142
; %bb.141:
	v_lshl_add_u64 v[40:41], v[30:31], 1, v[22:23]
	flat_load_ushort v40, v[40:41]
	s_waitcnt vmcnt(0) lgkmcnt(0)
	v_mul_f16_e32 v40, s28, v40
	s_branch .LBB292_143
.LBB292_142:
	v_mov_b32_e32 v40, 0
.LBB292_143:
	v_pk_max_f16 v41, v4, v4
	v_pk_max_f16 v42, v14, v14
	;; [unrolled: 1-line block ×3, first 2 shown]
	v_pk_min_f16 v41, v42, v41
	v_pk_max_f16 v42, v5, v5
	v_pk_add_f16 v41, v56, v41
	v_pk_min_f16 v42, v43, v42
	s_nop 0
	v_pk_add_f16 v41, v41, v42
	s_nop 0
	v_add_f16_sdwa v41, v41, v41 dst_sel:DWORD dst_unused:UNUSED_PAD src0_sel:DWORD src1_sel:WORD_1
	v_add_f16_e32 v42, v41, v40
	v_lshl_add_u64 v[40:41], v[30:31], 1, v[20:21]
	global_store_short v[40:41], v42, off
	s_or_b64 exec, exec, s[26:27]
	s_and_b64 s[34:35], s[10:11], s[18:19]
	s_and_saveexec_b64 s[26:27], s[34:35]
	s_cbranch_execz .LBB292_125
.LBB292_144:
	s_and_b64 vcc, exec, s[0:1]
	s_cbranch_vccnz .LBB292_146
; %bb.145:
	v_lshl_add_u64 v[40:41], v[32:33], 1, v[22:23]
	flat_load_ushort v40, v[40:41]
	s_waitcnt vmcnt(0) lgkmcnt(0)
	v_mul_f16_e32 v40, s28, v40
	s_branch .LBB292_147
.LBB292_146:
	v_mov_b32_e32 v40, 0
.LBB292_147:
	v_pk_max_f16 v41, v4, v4
	v_pk_max_f16 v42, v8, v8
	;; [unrolled: 1-line block ×3, first 2 shown]
	v_pk_min_f16 v41, v42, v41
	v_pk_max_f16 v42, v5, v5
	v_pk_add_f16 v41, v55, v41
	v_pk_min_f16 v42, v43, v42
	s_nop 0
	v_pk_add_f16 v41, v41, v42
	s_nop 0
	v_add_f16_sdwa v41, v41, v41 dst_sel:DWORD dst_unused:UNUSED_PAD src0_sel:DWORD src1_sel:WORD_1
	v_add_f16_e32 v42, v41, v40
	v_lshl_add_u64 v[40:41], v[32:33], 1, v[20:21]
	global_store_short v[40:41], v42, off
	s_or_b64 exec, exec, s[26:27]
	s_and_b64 s[34:35], s[12:13], s[18:19]
	s_and_saveexec_b64 s[26:27], s[34:35]
	s_cbranch_execz .LBB292_126
.LBB292_148:
	s_and_b64 vcc, exec, s[0:1]
	s_cbranch_vccnz .LBB292_150
; %bb.149:
	v_lshl_add_u64 v[40:41], v[34:35], 1, v[22:23]
	flat_load_ushort v40, v[40:41]
	s_waitcnt vmcnt(0) lgkmcnt(0)
	v_mul_f16_e32 v40, s28, v40
	s_branch .LBB292_151
.LBB292_150:
	v_mov_b32_e32 v40, 0
.LBB292_151:
	v_pk_max_f16 v41, v4, v4
	v_pk_max_f16 v42, v10, v10
	v_pk_max_f16 v43, v11, v11
	v_pk_min_f16 v41, v42, v41
	v_pk_max_f16 v42, v5, v5
	v_pk_add_f16 v41, v54, v41
	v_pk_min_f16 v42, v43, v42
	s_nop 0
	v_pk_add_f16 v41, v41, v42
	s_nop 0
	v_add_f16_sdwa v41, v41, v41 dst_sel:DWORD dst_unused:UNUSED_PAD src0_sel:DWORD src1_sel:WORD_1
	v_add_f16_e32 v42, v41, v40
	v_lshl_add_u64 v[40:41], v[34:35], 1, v[20:21]
	global_store_short v[40:41], v42, off
	s_or_b64 exec, exec, s[26:27]
	s_and_b64 s[34:35], s[14:15], s[18:19]
	s_and_saveexec_b64 s[26:27], s[34:35]
	s_cbranch_execz .LBB292_127
.LBB292_152:
	s_and_b64 vcc, exec, s[0:1]
	s_cbranch_vccnz .LBB292_154
; %bb.153:
	v_lshl_add_u64 v[40:41], v[36:37], 1, v[22:23]
	flat_load_ushort v40, v[40:41]
	s_waitcnt vmcnt(0) lgkmcnt(0)
	v_mul_f16_e32 v40, s28, v40
	s_branch .LBB292_155
.LBB292_154:
	v_mov_b32_e32 v40, 0
.LBB292_155:
	v_pk_max_f16 v41, v4, v4
	v_pk_max_f16 v42, v0, v0
	v_pk_max_f16 v43, v1, v1
	v_pk_min_f16 v41, v42, v41
	v_pk_max_f16 v42, v5, v5
	v_pk_add_f16 v41, v53, v41
	v_pk_min_f16 v42, v43, v42
	s_nop 0
	v_pk_add_f16 v41, v41, v42
	s_nop 0
	v_add_f16_sdwa v41, v41, v41 dst_sel:DWORD dst_unused:UNUSED_PAD src0_sel:DWORD src1_sel:WORD_1
	v_add_f16_e32 v42, v41, v40
	v_lshl_add_u64 v[40:41], v[36:37], 1, v[20:21]
	global_store_short v[40:41], v42, off
	s_or_b64 exec, exec, s[26:27]
	s_and_b64 s[26:27], s[16:17], s[18:19]
	s_and_saveexec_b64 s[18:19], s[26:27]
	s_cbranch_execz .LBB292_160
.LBB292_156:
	s_and_b64 vcc, exec, s[0:1]
	s_cbranch_vccnz .LBB292_158
; %bb.157:
	v_lshl_add_u64 v[22:23], v[38:39], 1, v[22:23]
	flat_load_ushort v22, v[22:23]
	s_waitcnt vmcnt(0) lgkmcnt(0)
	v_mul_f16_e32 v22, s28, v22
	s_branch .LBB292_159
.LBB292_158:
	v_mov_b32_e32 v22, 0
.LBB292_159:
	v_pk_max_f16 v4, v4, v4
	v_pk_max_f16 v23, v2, v2
	;; [unrolled: 1-line block ×3, first 2 shown]
	v_pk_min_f16 v4, v23, v4
	v_pk_max_f16 v23, v3, v3
	v_pk_add_f16 v4, v52, v4
	v_pk_min_f16 v5, v23, v5
	s_nop 0
	v_pk_add_f16 v4, v4, v5
	s_nop 0
	v_add_f16_sdwa v4, v4, v4 dst_sel:DWORD dst_unused:UNUSED_PAD src0_sel:DWORD src1_sel:WORD_1
	v_add_f16_e32 v22, v4, v22
	v_lshl_add_u64 v[4:5], v[38:39], 1, v[20:21]
	global_store_short v[4:5], v22, off
.LBB292_160:
	s_or_b64 exec, exec, s[18:19]
	v_add_u32_e32 v22, 0x60, v69
	v_cmp_gt_i32_e64 s[18:19], s21, v22
	v_mad_i64_i32 v[4:5], s[20:21], v22, s31, 0
	v_lshl_add_u64 v[20:21], v[4:5], 1, s[24:25]
	v_mad_i64_i32 v[4:5], s[20:21], v22, s30, 0
	v_lshl_add_u64 v[4:5], v[4:5], 1, s[22:23]
	s_and_b64 s[20:21], s[2:3], s[18:19]
	s_and_saveexec_b64 s[2:3], s[20:21]
	s_cbranch_execnz .LBB292_169
; %bb.161:
	s_or_b64 exec, exec, s[2:3]
	s_and_b64 s[4:5], s[4:5], s[18:19]
	s_and_saveexec_b64 s[2:3], s[4:5]
	s_cbranch_execnz .LBB292_173
.LBB292_162:
	s_or_b64 exec, exec, s[2:3]
	s_and_b64 s[4:5], s[6:7], s[18:19]
	s_and_saveexec_b64 s[2:3], s[4:5]
	s_cbranch_execnz .LBB292_177
.LBB292_163:
	s_or_b64 exec, exec, s[2:3]
	s_and_b64 s[4:5], s[8:9], s[18:19]
	s_and_saveexec_b64 s[2:3], s[4:5]
	s_cbranch_execnz .LBB292_181
.LBB292_164:
	s_or_b64 exec, exec, s[2:3]
	s_and_b64 s[4:5], s[10:11], s[18:19]
	s_and_saveexec_b64 s[2:3], s[4:5]
	s_cbranch_execnz .LBB292_185
.LBB292_165:
	s_or_b64 exec, exec, s[2:3]
	s_and_b64 s[4:5], s[12:13], s[18:19]
	s_and_saveexec_b64 s[2:3], s[4:5]
	s_cbranch_execnz .LBB292_189
.LBB292_166:
	s_or_b64 exec, exec, s[2:3]
	s_and_b64 s[4:5], s[14:15], s[18:19]
	s_and_saveexec_b64 s[2:3], s[4:5]
	s_cbranch_execnz .LBB292_193
.LBB292_167:
	s_or_b64 exec, exec, s[2:3]
	s_and_b64 s[2:3], s[16:17], s[18:19]
	s_and_saveexec_b64 s[4:5], s[2:3]
	s_cbranch_execnz .LBB292_197
.LBB292_168:
	s_endpgm
.LBB292_169:
	s_and_b64 vcc, exec, s[0:1]
	s_cbranch_vccnz .LBB292_171
; %bb.170:
	v_lshl_add_u64 v[22:23], v[24:25], 1, v[20:21]
	flat_load_ushort v22, v[22:23]
	s_waitcnt vmcnt(0) lgkmcnt(0)
	v_mul_f16_e32 v22, s28, v22
	s_branch .LBB292_172
.LBB292_171:
	v_mov_b32_e32 v22, 0
.LBB292_172:
	v_pk_max_f16 v23, v6, v6
	v_pk_max_f16 v16, v16, v16
	;; [unrolled: 1-line block ×3, first 2 shown]
	v_pk_min_f16 v16, v16, v23
	v_pk_max_f16 v23, v7, v7
	v_pk_add_f16 v16, v51, v16
	v_pk_min_f16 v17, v17, v23
	s_nop 0
	v_pk_add_f16 v16, v16, v17
	s_nop 0
	v_add_f16_sdwa v16, v16, v16 dst_sel:DWORD dst_unused:UNUSED_PAD src0_sel:DWORD src1_sel:WORD_1
	v_add_f16_e32 v22, v16, v22
	v_lshl_add_u64 v[16:17], v[24:25], 1, v[4:5]
	global_store_short v[16:17], v22, off
	s_or_b64 exec, exec, s[2:3]
	s_and_b64 s[4:5], s[4:5], s[18:19]
	s_and_saveexec_b64 s[2:3], s[4:5]
	s_cbranch_execz .LBB292_162
.LBB292_173:
	s_and_b64 vcc, exec, s[0:1]
	s_cbranch_vccnz .LBB292_175
; %bb.174:
	v_lshl_add_u64 v[16:17], v[26:27], 1, v[20:21]
	flat_load_ushort v16, v[16:17]
	s_waitcnt vmcnt(0) lgkmcnt(0)
	v_mul_f16_e32 v16, s28, v16
	s_branch .LBB292_176
.LBB292_175:
	v_mov_b32_e32 v16, 0
.LBB292_176:
	v_pk_max_f16 v17, v6, v6
	v_pk_max_f16 v18, v18, v18
	;; [unrolled: 1-line block ×3, first 2 shown]
	v_pk_min_f16 v17, v18, v17
	v_pk_max_f16 v18, v7, v7
	v_pk_add_f16 v17, v50, v17
	v_pk_min_f16 v18, v19, v18
	s_nop 0
	v_pk_add_f16 v17, v17, v18
	s_nop 0
	v_add_f16_sdwa v17, v17, v17 dst_sel:DWORD dst_unused:UNUSED_PAD src0_sel:DWORD src1_sel:WORD_1
	v_add_f16_e32 v18, v17, v16
	v_lshl_add_u64 v[16:17], v[26:27], 1, v[4:5]
	global_store_short v[16:17], v18, off
	s_or_b64 exec, exec, s[2:3]
	s_and_b64 s[4:5], s[6:7], s[18:19]
	s_and_saveexec_b64 s[2:3], s[4:5]
	s_cbranch_execz .LBB292_163
.LBB292_177:
	s_and_b64 vcc, exec, s[0:1]
	s_cbranch_vccnz .LBB292_179
; %bb.178:
	v_lshl_add_u64 v[16:17], v[28:29], 1, v[20:21]
	flat_load_ushort v16, v[16:17]
	s_waitcnt vmcnt(0) lgkmcnt(0)
	v_mul_f16_e32 v16, s28, v16
	s_branch .LBB292_180
.LBB292_179:
	v_mov_b32_e32 v16, 0
.LBB292_180:
	v_pk_max_f16 v17, v6, v6
	v_pk_max_f16 v12, v12, v12
	;; [unrolled: 1-line block ×3, first 2 shown]
	v_pk_min_f16 v12, v12, v17
	v_pk_max_f16 v17, v7, v7
	v_pk_add_f16 v12, v49, v12
	v_pk_min_f16 v13, v13, v17
	s_nop 0
	v_pk_add_f16 v12, v12, v13
	s_nop 0
	v_add_f16_sdwa v12, v12, v12 dst_sel:DWORD dst_unused:UNUSED_PAD src0_sel:DWORD src1_sel:WORD_1
	v_add_f16_e32 v16, v12, v16
	v_lshl_add_u64 v[12:13], v[28:29], 1, v[4:5]
	global_store_short v[12:13], v16, off
	s_or_b64 exec, exec, s[2:3]
	s_and_b64 s[4:5], s[8:9], s[18:19]
	s_and_saveexec_b64 s[2:3], s[4:5]
	s_cbranch_execz .LBB292_164
.LBB292_181:
	s_and_b64 vcc, exec, s[0:1]
	s_cbranch_vccnz .LBB292_183
; %bb.182:
	v_lshl_add_u64 v[12:13], v[30:31], 1, v[20:21]
	flat_load_ushort v12, v[12:13]
	s_waitcnt vmcnt(0) lgkmcnt(0)
	v_mul_f16_e32 v12, s28, v12
	s_branch .LBB292_184
.LBB292_183:
	v_mov_b32_e32 v12, 0
.LBB292_184:
	v_pk_max_f16 v13, v6, v6
	v_pk_max_f16 v14, v14, v14
	;; [unrolled: 1-line block ×3, first 2 shown]
	v_pk_min_f16 v13, v14, v13
	v_pk_max_f16 v14, v7, v7
	v_pk_add_f16 v13, v48, v13
	v_pk_min_f16 v14, v15, v14
	s_nop 0
	v_pk_add_f16 v13, v13, v14
	s_nop 0
	v_add_f16_sdwa v13, v13, v13 dst_sel:DWORD dst_unused:UNUSED_PAD src0_sel:DWORD src1_sel:WORD_1
	v_add_f16_e32 v14, v13, v12
	v_lshl_add_u64 v[12:13], v[30:31], 1, v[4:5]
	global_store_short v[12:13], v14, off
	s_or_b64 exec, exec, s[2:3]
	s_and_b64 s[4:5], s[10:11], s[18:19]
	s_and_saveexec_b64 s[2:3], s[4:5]
	s_cbranch_execz .LBB292_165
.LBB292_185:
	s_and_b64 vcc, exec, s[0:1]
	s_cbranch_vccnz .LBB292_187
; %bb.186:
	v_lshl_add_u64 v[12:13], v[32:33], 1, v[20:21]
	flat_load_ushort v12, v[12:13]
	s_waitcnt vmcnt(0) lgkmcnt(0)
	v_mul_f16_e32 v12, s28, v12
	s_branch .LBB292_188
.LBB292_187:
	v_mov_b32_e32 v12, 0
.LBB292_188:
	v_pk_max_f16 v13, v6, v6
	v_pk_max_f16 v8, v8, v8
	;; [unrolled: 1-line block ×3, first 2 shown]
	v_pk_min_f16 v8, v8, v13
	v_pk_max_f16 v13, v7, v7
	v_pk_add_f16 v8, v47, v8
	v_pk_min_f16 v9, v9, v13
	s_nop 0
	v_pk_add_f16 v8, v8, v9
	s_nop 0
	v_add_f16_sdwa v8, v8, v8 dst_sel:DWORD dst_unused:UNUSED_PAD src0_sel:DWORD src1_sel:WORD_1
	v_add_f16_e32 v12, v8, v12
	v_lshl_add_u64 v[8:9], v[32:33], 1, v[4:5]
	global_store_short v[8:9], v12, off
	s_or_b64 exec, exec, s[2:3]
	s_and_b64 s[4:5], s[12:13], s[18:19]
	s_and_saveexec_b64 s[2:3], s[4:5]
	s_cbranch_execz .LBB292_166
.LBB292_189:
	s_and_b64 vcc, exec, s[0:1]
	s_cbranch_vccnz .LBB292_191
; %bb.190:
	v_lshl_add_u64 v[8:9], v[34:35], 1, v[20:21]
	flat_load_ushort v8, v[8:9]
	s_waitcnt vmcnt(0) lgkmcnt(0)
	v_mul_f16_e32 v8, s28, v8
	s_branch .LBB292_192
.LBB292_191:
	v_mov_b32_e32 v8, 0
.LBB292_192:
	v_pk_max_f16 v9, v6, v6
	v_pk_max_f16 v10, v10, v10
	;; [unrolled: 1-line block ×3, first 2 shown]
	v_pk_min_f16 v9, v10, v9
	v_pk_max_f16 v10, v7, v7
	v_pk_add_f16 v9, v46, v9
	v_pk_min_f16 v10, v11, v10
	s_nop 0
	v_pk_add_f16 v9, v9, v10
	s_nop 0
	v_add_f16_sdwa v9, v9, v9 dst_sel:DWORD dst_unused:UNUSED_PAD src0_sel:DWORD src1_sel:WORD_1
	v_add_f16_e32 v10, v9, v8
	v_lshl_add_u64 v[8:9], v[34:35], 1, v[4:5]
	global_store_short v[8:9], v10, off
	s_or_b64 exec, exec, s[2:3]
	s_and_b64 s[4:5], s[14:15], s[18:19]
	s_and_saveexec_b64 s[2:3], s[4:5]
	s_cbranch_execz .LBB292_167
.LBB292_193:
	s_and_b64 vcc, exec, s[0:1]
	s_cbranch_vccnz .LBB292_195
; %bb.194:
	v_lshl_add_u64 v[8:9], v[36:37], 1, v[20:21]
	flat_load_ushort v8, v[8:9]
	s_waitcnt vmcnt(0) lgkmcnt(0)
	v_mul_f16_e32 v8, s28, v8
	s_branch .LBB292_196
.LBB292_195:
	v_mov_b32_e32 v8, 0
.LBB292_196:
	v_pk_max_f16 v9, v6, v6
	v_pk_max_f16 v0, v0, v0
	;; [unrolled: 1-line block ×3, first 2 shown]
	v_pk_min_f16 v0, v0, v9
	v_pk_max_f16 v9, v7, v7
	v_pk_add_f16 v0, v45, v0
	v_pk_min_f16 v1, v1, v9
	s_nop 0
	v_pk_add_f16 v0, v0, v1
	s_nop 0
	v_add_f16_sdwa v0, v0, v0 dst_sel:DWORD dst_unused:UNUSED_PAD src0_sel:DWORD src1_sel:WORD_1
	v_add_f16_e32 v8, v0, v8
	v_lshl_add_u64 v[0:1], v[36:37], 1, v[4:5]
	global_store_short v[0:1], v8, off
	s_or_b64 exec, exec, s[2:3]
	s_and_b64 s[2:3], s[16:17], s[18:19]
	s_and_saveexec_b64 s[4:5], s[2:3]
	s_cbranch_execz .LBB292_168
.LBB292_197:
	s_and_b64 vcc, exec, s[0:1]
	s_cbranch_vccnz .LBB292_199
; %bb.198:
	v_lshl_add_u64 v[0:1], v[38:39], 1, v[20:21]
	flat_load_ushort v0, v[0:1]
	s_waitcnt vmcnt(0) lgkmcnt(0)
	v_mul_f16_e32 v0, s28, v0
	s_branch .LBB292_200
.LBB292_199:
	v_mov_b32_e32 v0, 0
.LBB292_200:
	v_pk_max_f16 v1, v6, v6
	v_pk_max_f16 v2, v2, v2
	;; [unrolled: 1-line block ×3, first 2 shown]
	v_pk_min_f16 v1, v2, v1
	v_pk_max_f16 v2, v7, v7
	v_pk_add_f16 v1, v44, v1
	v_pk_min_f16 v2, v3, v2
	s_nop 0
	v_pk_add_f16 v1, v1, v2
	s_nop 0
	v_add_f16_sdwa v1, v1, v1 dst_sel:DWORD dst_unused:UNUSED_PAD src0_sel:DWORD src1_sel:WORD_1
	v_add_f16_e32 v2, v1, v0
	v_lshl_add_u64 v[0:1], v[38:39], 1, v[4:5]
	global_store_short v[0:1], v2, off
	s_endpgm
	.section	.rodata,"a",@progbits
	.p2align	6, 0x0
	.amdhsa_kernel _ZN12_GLOBAL__N_120geam_min_plus_kernelIDF16_Dv2_DF16_S1_Li8ELi32ELi64ELi128ELi4ELi4ELi64ELi4ELi64ELc84ELc78ELb1ELb1ELb0EDF16_KDF16_DF16_EEviiiT16_PT17_ilS5_ilS3_S5_ilPT18_ili26rocblas_geam_ex_operation_
		.amdhsa_group_segment_fixed_size 3072
		.amdhsa_private_segment_fixed_size 0
		.amdhsa_kernarg_size 128
		.amdhsa_user_sgpr_count 2
		.amdhsa_user_sgpr_dispatch_ptr 0
		.amdhsa_user_sgpr_queue_ptr 0
		.amdhsa_user_sgpr_kernarg_segment_ptr 1
		.amdhsa_user_sgpr_dispatch_id 0
		.amdhsa_user_sgpr_kernarg_preload_length 0
		.amdhsa_user_sgpr_kernarg_preload_offset 0
		.amdhsa_user_sgpr_private_segment_size 0
		.amdhsa_uses_dynamic_stack 0
		.amdhsa_enable_private_segment 0
		.amdhsa_system_sgpr_workgroup_id_x 1
		.amdhsa_system_sgpr_workgroup_id_y 0
		.amdhsa_system_sgpr_workgroup_id_z 1
		.amdhsa_system_sgpr_workgroup_info 0
		.amdhsa_system_vgpr_workitem_id 1
		.amdhsa_next_free_vgpr 122
		.amdhsa_next_free_sgpr 36
		.amdhsa_accum_offset 124
		.amdhsa_reserve_vcc 1
		.amdhsa_float_round_mode_32 0
		.amdhsa_float_round_mode_16_64 0
		.amdhsa_float_denorm_mode_32 3
		.amdhsa_float_denorm_mode_16_64 3
		.amdhsa_dx10_clamp 1
		.amdhsa_ieee_mode 1
		.amdhsa_fp16_overflow 0
		.amdhsa_tg_split 0
		.amdhsa_exception_fp_ieee_invalid_op 0
		.amdhsa_exception_fp_denorm_src 0
		.amdhsa_exception_fp_ieee_div_zero 0
		.amdhsa_exception_fp_ieee_overflow 0
		.amdhsa_exception_fp_ieee_underflow 0
		.amdhsa_exception_fp_ieee_inexact 0
		.amdhsa_exception_int_div_zero 0
	.end_amdhsa_kernel
	.section	.text._ZN12_GLOBAL__N_120geam_min_plus_kernelIDF16_Dv2_DF16_S1_Li8ELi32ELi64ELi128ELi4ELi4ELi64ELi4ELi64ELc84ELc78ELb1ELb1ELb0EDF16_KDF16_DF16_EEviiiT16_PT17_ilS5_ilS3_S5_ilPT18_ili26rocblas_geam_ex_operation_,"axG",@progbits,_ZN12_GLOBAL__N_120geam_min_plus_kernelIDF16_Dv2_DF16_S1_Li8ELi32ELi64ELi128ELi4ELi4ELi64ELi4ELi64ELc84ELc78ELb1ELb1ELb0EDF16_KDF16_DF16_EEviiiT16_PT17_ilS5_ilS3_S5_ilPT18_ili26rocblas_geam_ex_operation_,comdat
.Lfunc_end292:
	.size	_ZN12_GLOBAL__N_120geam_min_plus_kernelIDF16_Dv2_DF16_S1_Li8ELi32ELi64ELi128ELi4ELi4ELi64ELi4ELi64ELc84ELc78ELb1ELb1ELb0EDF16_KDF16_DF16_EEviiiT16_PT17_ilS5_ilS3_S5_ilPT18_ili26rocblas_geam_ex_operation_, .Lfunc_end292-_ZN12_GLOBAL__N_120geam_min_plus_kernelIDF16_Dv2_DF16_S1_Li8ELi32ELi64ELi128ELi4ELi4ELi64ELi4ELi64ELc84ELc78ELb1ELb1ELb0EDF16_KDF16_DF16_EEviiiT16_PT17_ilS5_ilS3_S5_ilPT18_ili26rocblas_geam_ex_operation_
                                        ; -- End function
	.section	.AMDGPU.csdata,"",@progbits
; Kernel info:
; codeLenInByte = 11164
; NumSgprs: 42
; NumVgprs: 122
; NumAgprs: 0
; TotalNumVgprs: 122
; ScratchSize: 0
; MemoryBound: 0
; FloatMode: 240
; IeeeMode: 1
; LDSByteSize: 3072 bytes/workgroup (compile time only)
; SGPRBlocks: 5
; VGPRBlocks: 15
; NumSGPRsForWavesPerEU: 42
; NumVGPRsForWavesPerEU: 122
; AccumOffset: 124
; Occupancy: 4
; WaveLimiterHint : 0
; COMPUTE_PGM_RSRC2:SCRATCH_EN: 0
; COMPUTE_PGM_RSRC2:USER_SGPR: 2
; COMPUTE_PGM_RSRC2:TRAP_HANDLER: 0
; COMPUTE_PGM_RSRC2:TGID_X_EN: 1
; COMPUTE_PGM_RSRC2:TGID_Y_EN: 0
; COMPUTE_PGM_RSRC2:TGID_Z_EN: 1
; COMPUTE_PGM_RSRC2:TIDIG_COMP_CNT: 1
; COMPUTE_PGM_RSRC3_GFX90A:ACCUM_OFFSET: 30
; COMPUTE_PGM_RSRC3_GFX90A:TG_SPLIT: 0
	.section	.text._ZN12_GLOBAL__N_120geam_min_plus_kernelIDF16_Dv2_DF16_S1_Li8ELi32ELi64ELi128ELi4ELi4ELi64ELi4ELi64ELc84ELc78ELb0ELb1ELb0EDF16_KDF16_DF16_EEviiiT16_PT17_ilS5_ilS3_S5_ilPT18_ili26rocblas_geam_ex_operation_,"axG",@progbits,_ZN12_GLOBAL__N_120geam_min_plus_kernelIDF16_Dv2_DF16_S1_Li8ELi32ELi64ELi128ELi4ELi4ELi64ELi4ELi64ELc84ELc78ELb0ELb1ELb0EDF16_KDF16_DF16_EEviiiT16_PT17_ilS5_ilS3_S5_ilPT18_ili26rocblas_geam_ex_operation_,comdat
	.globl	_ZN12_GLOBAL__N_120geam_min_plus_kernelIDF16_Dv2_DF16_S1_Li8ELi32ELi64ELi128ELi4ELi4ELi64ELi4ELi64ELc84ELc78ELb0ELb1ELb0EDF16_KDF16_DF16_EEviiiT16_PT17_ilS5_ilS3_S5_ilPT18_ili26rocblas_geam_ex_operation_ ; -- Begin function _ZN12_GLOBAL__N_120geam_min_plus_kernelIDF16_Dv2_DF16_S1_Li8ELi32ELi64ELi128ELi4ELi4ELi64ELi4ELi64ELc84ELc78ELb0ELb1ELb0EDF16_KDF16_DF16_EEviiiT16_PT17_ilS5_ilS3_S5_ilPT18_ili26rocblas_geam_ex_operation_
	.p2align	8
	.type	_ZN12_GLOBAL__N_120geam_min_plus_kernelIDF16_Dv2_DF16_S1_Li8ELi32ELi64ELi128ELi4ELi4ELi64ELi4ELi64ELc84ELc78ELb0ELb1ELb0EDF16_KDF16_DF16_EEviiiT16_PT17_ilS5_ilS3_S5_ilPT18_ili26rocblas_geam_ex_operation_,@function
_ZN12_GLOBAL__N_120geam_min_plus_kernelIDF16_Dv2_DF16_S1_Li8ELi32ELi64ELi128ELi4ELi4ELi64ELi4ELi64ELc84ELc78ELb0ELb1ELb0EDF16_KDF16_DF16_EEviiiT16_PT17_ilS5_ilS3_S5_ilPT18_ili26rocblas_geam_ex_operation_: ; @_ZN12_GLOBAL__N_120geam_min_plus_kernelIDF16_Dv2_DF16_S1_Li8ELi32ELi64ELi128ELi4ELi4ELi64ELi4ELi64ELc84ELc78ELb0ELb1ELb0EDF16_KDF16_DF16_EEviiiT16_PT17_ilS5_ilS3_S5_ilPT18_ili26rocblas_geam_ex_operation_
; %bb.0:
	s_load_dwordx4 s[20:23], s[0:1], 0x0
	s_load_dwordx4 s[4:7], s[0:1], 0x20
	s_waitcnt lgkmcnt(0)
	v_cmp_eq_f16_e64 s[8:9], s23, 0
	v_cmp_neq_f16_e64 s[16:17], s23, 0
	s_and_b64 vcc, exec, s[8:9]
	s_cbranch_vccnz .LBB293_3
; %bb.1:
	s_load_dwordx2 s[10:11], s[0:1], 0x10
	s_mul_i32 s5, s3, s5
	s_mul_hi_u32 s12, s3, s4
	s_add_i32 s5, s12, s5
	s_mul_i32 s4, s3, s4
	s_lshl_b64 s[4:5], s[4:5], 1
	s_waitcnt lgkmcnt(0)
	s_add_u32 s26, s10, s4
	s_addc_u32 s27, s11, s5
	s_andn2_b64 vcc, exec, s[8:9]
	s_cbranch_vccnz .LBB293_4
.LBB293_2:
	s_mov_b32 s15, 0
	s_mov_b64 s[18:19], 0
	s_cbranch_execz .LBB293_5
	s_branch .LBB293_6
.LBB293_3:
	s_mov_b64 s[26:27], 0
	s_andn2_b64 vcc, exec, s[8:9]
	s_cbranch_vccz .LBB293_2
.LBB293_4:
                                        ; implicit-def: $sgpr18_sgpr19
                                        ; implicit-def: $sgpr14_sgpr15
.LBB293_5:
	s_load_dwordx2 s[4:5], s[0:1], 0x38
	s_mov_b32 s15, 0
	s_waitcnt lgkmcnt(0)
	s_mul_i32 s5, s3, s5
	s_mul_hi_u32 s8, s3, s4
	s_add_i32 s5, s8, s5
	s_mul_i32 s4, s3, s4
	s_lshl_b64 s[4:5], s[4:5], 1
	s_add_u32 s18, s6, s4
	s_addc_u32 s19, s7, s5
.LBB293_6:
	s_load_dword s30, s[0:1], 0x40
	s_load_dwordx4 s[8:11], s[0:1], 0x58
	s_waitcnt lgkmcnt(0)
	v_cmp_eq_f16_e64 s[4:5], s30, 0
	v_cmp_neq_f16_e64 s[12:13], s30, 0
	s_and_b64 vcc, exec, s[4:5]
	s_cbranch_vccnz .LBB293_8
; %bb.7:
	s_load_dwordx2 s[4:5], s[0:1], 0x48
	s_mul_i32 s6, s3, s9
	s_mul_hi_u32 s7, s3, s8
	s_add_i32 s6, s7, s6
	s_mul_i32 s7, s15, s8
	s_add_i32 s7, s6, s7
	s_mul_i32 s6, s3, s8
	s_lshl_b64 s[6:7], s[6:7], 1
	s_waitcnt lgkmcnt(0)
	s_add_u32 s24, s4, s6
	s_addc_u32 s25, s5, s7
	s_branch .LBB293_9
.LBB293_8:
	s_mov_b64 s[24:25], 0
.LBB293_9:
	s_add_i32 s4, s20, -1
	s_ashr_i32 s5, s4, 31
	s_lshr_b32 s5, s5, 26
	s_add_i32 s4, s4, s5
	s_ashr_i32 s4, s4, 6
	s_add_i32 s5, s4, 1
	v_cvt_f32_u32_e32 v1, s5
	s_not_b32 s4, s4
	v_and_b32_e32 v32, 0x3ff, v0
	v_bfe_u32 v33, v0, 10, 10
	v_rcp_iflag_f32_e32 v1, v1
	v_lshl_add_u32 v0, v33, 3, v32
	s_load_dword s34, s[0:1], 0x18
	v_lshrrev_b32_e32 v4, 2, v0
	v_mul_f32_e32 v1, 0x4f7ffffe, v1
	v_cvt_u32_f32_e32 v1, v1
	v_and_b32_e32 v34, 3, v32
	v_mov_b32_e32 v9, 0
	v_lshlrev_b32_e32 v0, 1, v34
	v_readfirstlane_b32 s6, v1
	s_mul_i32 s4, s4, s6
	s_mul_hi_u32 s4, s6, s4
	s_add_i32 s6, s6, s4
	s_mul_hi_u32 s4, s2, s6
	s_mul_i32 s6, s4, s5
	s_sub_i32 s6, s2, s6
	s_add_i32 s7, s4, 1
	s_sub_i32 s8, s6, s5
	s_cmp_ge_u32 s6, s5
	s_cselect_b32 s4, s7, s4
	s_cselect_b32 s6, s8, s6
	s_add_i32 s7, s4, 1
	s_cmp_ge_u32 s6, s5
	s_cselect_b32 s6, s7, s4
	s_mul_i32 s35, s6, s5
	s_sub_i32 s4, s2, s35
	s_lshl_b32 s14, s4, 6
	v_add_u32_e32 v7, s14, v4
	v_cmp_gt_i32_e64 s[4:5], s22, v34
	v_cmp_gt_i32_e32 vcc, s20, v7
	s_and_b64 s[4:5], s[4:5], vcc
	s_and_b64 s[8:9], s[16:17], s[4:5]
	v_mov_b32_e32 v10, 0
	s_and_saveexec_b64 s[4:5], s[8:9]
	s_cbranch_execz .LBB293_11
; %bb.10:
	s_waitcnt lgkmcnt(0)
	v_mad_i64_i32 v[2:3], s[8:9], v7, s34, 0
	v_lshl_add_u64 v[2:3], v[2:3], 1, s[26:27]
	v_mov_b32_e32 v1, 0
	v_lshl_add_u64 v[2:3], v[2:3], 0, v[0:1]
	flat_load_ushort v1, v[2:3]
	s_waitcnt vmcnt(0) lgkmcnt(0)
	v_mul_f16_e32 v10, s23, v1
.LBB293_11:
	s_or_b64 exec, exec, s[4:5]
	s_lshl_b32 s31, s6, 7
	s_load_dword s36, s[0:1], 0x30
	v_add_u32_e32 v5, s31, v4
	s_add_i32 s33, s22, -1
	v_cmp_le_i32_e64 s[6:7], s21, v5
	s_xor_b64 s[28:29], s[16:17], -1
	v_cmp_le_i32_e64 s[4:5], s22, v34
	v_min_i32_e32 v2, s33, v34
	s_or_b64 s[8:9], s[6:7], s[28:29]
	v_ashrrev_i32_e32 v3, 31, v2
	s_or_b64 s[6:7], s[4:5], s[8:9]
	v_lshl_add_u64 v[2:3], v[2:3], 1, s[18:19]
	s_xor_b64 s[38:39], s[6:7], -1
	s_and_saveexec_b64 s[6:7], s[38:39]
	s_cbranch_execz .LBB293_13
; %bb.12:
	s_waitcnt lgkmcnt(0)
	v_mad_i64_i32 v[8:9], s[38:39], v5, s36, 0
	v_lshl_add_u64 v[8:9], v[8:9], 1, v[2:3]
	flat_load_ushort v1, v[8:9]
	s_waitcnt vmcnt(0) lgkmcnt(0)
	v_mul_f16_e32 v9, s23, v1
.LBB293_13:
	s_or_b64 exec, exec, s[6:7]
	v_add_u32_e32 v6, 64, v5
	v_cmp_le_i32_e64 s[6:7], s21, v6
	s_or_b64 s[6:7], s[6:7], s[28:29]
	s_or_b64 s[4:5], s[4:5], s[6:7]
	s_xor_b64 s[28:29], s[4:5], -1
	v_mov_b32_e32 v1, 0
	v_mov_b32_e32 v11, 0
	s_and_saveexec_b64 s[4:5], s[28:29]
	s_cbranch_execz .LBB293_15
; %bb.14:
	s_waitcnt lgkmcnt(0)
	v_mad_i64_i32 v[12:13], s[28:29], v6, s36, 0
	v_lshl_add_u64 v[2:3], v[12:13], 1, v[2:3]
	flat_load_ushort v2, v[2:3]
	s_waitcnt vmcnt(0) lgkmcnt(0)
	v_mul_f16_e32 v11, s23, v2
.LBB293_15:
	s_or_b64 exec, exec, s[4:5]
	v_or_b32_e32 v2, 4, v34
	v_cmp_gt_i32_e64 s[4:5], s22, v2
	s_and_b64 s[4:5], s[4:5], vcc
	s_and_b64 s[28:29], s[16:17], s[4:5]
	s_and_saveexec_b64 s[4:5], s[28:29]
	s_cbranch_execz .LBB293_17
; %bb.16:
	s_waitcnt lgkmcnt(0)
	v_mad_i64_i32 v[12:13], s[28:29], v7, s34, 0
	v_lshl_add_u64 v[12:13], v[12:13], 1, s[26:27]
	v_mov_b32_e32 v1, 0
	v_lshl_add_u64 v[12:13], v[12:13], 0, v[0:1]
	flat_load_ushort v1, v[12:13] offset:8
	s_waitcnt vmcnt(0) lgkmcnt(0)
	v_mul_f16_e32 v1, s23, v1
.LBB293_17:
	s_or_b64 exec, exec, s[4:5]
	v_cmp_le_i32_e64 s[4:5], s22, v2
	v_min_i32_e32 v2, s33, v2
	v_ashrrev_i32_e32 v3, 31, v2
	s_or_b64 s[28:29], s[4:5], s[8:9]
	v_lshl_add_u64 v[2:3], v[2:3], 1, s[18:19]
	s_xor_b64 s[38:39], s[28:29], -1
	v_mov_b32_e32 v7, 0
	v_mov_b32_e32 v8, 0
	s_and_saveexec_b64 s[28:29], s[38:39]
	s_cbranch_execz .LBB293_19
; %bb.18:
	s_waitcnt lgkmcnt(0)
	v_mad_i64_i32 v[12:13], s[38:39], v5, s36, 0
	v_lshl_add_u64 v[12:13], v[12:13], 1, v[2:3]
	flat_load_ushort v8, v[12:13]
	s_waitcnt vmcnt(0) lgkmcnt(0)
	v_mul_f16_e32 v8, s23, v8
.LBB293_19:
	s_or_b64 exec, exec, s[28:29]
	s_or_b64 s[4:5], s[4:5], s[6:7]
	s_xor_b64 s[28:29], s[4:5], -1
	s_and_saveexec_b64 s[4:5], s[28:29]
	s_cbranch_execz .LBB293_21
; %bb.20:
	s_waitcnt lgkmcnt(0)
	v_mad_i64_i32 v[12:13], s[28:29], v6, s36, 0
	v_lshl_add_u64 v[2:3], v[12:13], 1, v[2:3]
	flat_load_ushort v2, v[2:3]
	s_waitcnt vmcnt(0) lgkmcnt(0)
	v_mul_f16_e32 v7, s23, v2
.LBB293_21:
	s_or_b64 exec, exec, s[4:5]
	v_lshlrev_b32_e32 v36, 3, v32
	v_lshl_or_b32 v37, v4, 3, v0
	v_lshlrev_b32_e32 v35, 3, v33
	v_add_u32_e32 v38, 0x800, v36
	ds_write_b16 v37, v10 offset:2048
	ds_write_b16 v37, v9
	ds_write_b16 v37, v11 offset:512
	s_waitcnt lgkmcnt(0)
	s_barrier
	ds_read2_b64 v[10:13], v35 offset1:32
	ds_read2_b64 v[14:17], v38 offset0:48 offset1:56
	ds_read2_b64 v[18:21], v35 offset0:64 offset1:96
	ds_read2_b64 v[22:25], v38 offset1:8
	ds_read2_b64 v[26:29], v38 offset0:16 offset1:24
	ds_read2_b64 v[40:43], v38 offset0:32 offset1:40
	s_waitcnt lgkmcnt(5)
	v_pk_max_f16 v2, v10, v10
	s_waitcnt lgkmcnt(4)
	v_pk_max_f16 v3, v16, v16
	v_pk_max_f16 v10, v12, v12
	v_pk_min_f16 v9, v3, v2
	s_waitcnt lgkmcnt(3)
	v_pk_max_f16 v16, v18, v18
	s_waitcnt lgkmcnt(2)
	v_pk_max_f16 v18, v22, v22
	v_pk_max_f16 v20, v20, v20
	v_pk_max_f16 v24, v24, v24
	s_waitcnt lgkmcnt(1)
	v_pk_max_f16 v26, v26, v26
	v_pk_max_f16 v28, v28, v28
	;; [unrolled: 4-line block ×3, first 2 shown]
	v_pk_max_f16 v14, v14, v14
	v_pk_max_f16 v17, v17, v17
	v_pk_min_f16 v12, v3, v10
	v_pk_min_f16 v22, v18, v2
	;; [unrolled: 1-line block ×17, first 2 shown]
	v_pk_max_f16 v13, v13, v13
	v_pk_min_f16 v54, v40, v2
	v_pk_min_f16 v55, v40, v10
	;; [unrolled: 1-line block ×14, first 2 shown]
	v_pk_add_f16 v9, v9, 0
	v_pk_min_f16 v20, v17, v11
	v_pk_max_f16 v19, v19, v19
	v_pk_add_f16 v68, v9, v20
	v_pk_add_f16 v9, v12, 0
	v_pk_min_f16 v12, v17, v13
	v_pk_max_f16 v23, v23, v23
	v_pk_add_f16 v60, v9, v12
	;; [unrolled: 4-line block ×5, first 2 shown]
	v_pk_add_f16 v9, v31, 0
	v_pk_min_f16 v12, v23, v19
	v_pk_add_f16 v20, v48, 0
	v_pk_add_f16 v59, v9, v12
	;; [unrolled: 1-line block ×3, first 2 shown]
	v_pk_min_f16 v12, v23, v21
	v_pk_add_f16 v18, v47, 0
	v_pk_add_f16 v51, v9, v12
	;; [unrolled: 1-line block ×3, first 2 shown]
	v_pk_min_f16 v12, v25, v11
	v_pk_max_f16 v29, v29, v29
	v_pk_add_f16 v74, v9, v12
	v_pk_add_f16 v9, v44, 0
	v_pk_min_f16 v12, v25, v13
	v_pk_add_f16 v22, v26, 0
	v_pk_add_f16 v66, v9, v12
	;; [unrolled: 1-line block ×3, first 2 shown]
	v_pk_min_f16 v12, v25, v19
	v_pk_min_f16 v25, v25, v21
	v_pk_add_f16 v58, v9, v12
	v_pk_add_f16 v9, v24, 0
	;; [unrolled: 1-line block ×5, first 2 shown]
	v_pk_min_f16 v9, v27, v11
	v_pk_add_f16 v44, v57, 0
	v_pk_add_f16 v73, v12, v9
	v_pk_min_f16 v9, v27, v13
	v_pk_add_f16 v23, v49, 0
	v_pk_add_f16 v65, v18, v9
	;; [unrolled: 3-line block ×8, first 2 shown]
	v_pk_max_f16 v9, v41, v41
	v_pk_add_f16 v45, v61, 0
	v_pk_min_f16 v12, v9, v11
	v_pk_add_f16 v46, v62, 0
	v_pk_add_f16 v71, v30, v12
	v_pk_min_f16 v12, v9, v13
	v_pk_add_f16 v42, v42, 0
	v_pk_add_f16 v63, v31, v12
	v_pk_min_f16 v12, v9, v19
	v_pk_min_f16 v9, v9, v21
	v_pk_add_f16 v55, v39, v12
	v_pk_add_f16 v47, v40, v9
	v_pk_max_f16 v9, v43, v43
	v_pk_add_f16 v2, v2, 0
	v_pk_min_f16 v12, v9, v11
	v_pk_add_f16 v10, v10, 0
	v_pk_add_f16 v70, v44, v12
	v_pk_min_f16 v12, v9, v13
	v_pk_add_f16 v16, v16, 0
	v_pk_add_f16 v62, v45, v12
	v_pk_min_f16 v12, v9, v19
	v_pk_min_f16 v9, v9, v21
	v_pk_add_f16 v54, v46, v12
	v_pk_add_f16 v46, v42, v9
	v_pk_max_f16 v9, v15, v15
	v_pk_add_f16 v14, v14, 0
	v_pk_min_f16 v11, v9, v11
	v_pk_add_f16 v3, v3, 0
	v_pk_add_f16 v39, v2, v11
	v_pk_min_f16 v2, v9, v13
	s_mov_b32 s28, 0
	v_pk_add_f16 v61, v10, v2
	v_pk_min_f16 v2, v9, v19
	s_cmp_lt_i32 s22, 9
	v_pk_add_f16 v53, v16, v2
	v_pk_min_f16 v2, v9, v21
	ds_write_b16 v37, v1 offset:2560
	ds_write_b16 v37, v8 offset:1024
	;; [unrolled: 1-line block ×3, first 2 shown]
	v_pk_add_f16 v45, v14, v2
	v_pk_min_f16 v2, v17, v21
	s_waitcnt lgkmcnt(0)
	v_pk_add_f16 v44, v3, v2
	s_barrier
	s_cbranch_scc1 .LBB293_36
; %bb.22:
	v_mov_b32_e32 v1, 0xa00
	v_lshl_add_u32 v43, v32, 3, v1
	v_mov_b32_e32 v1, 0x400
	v_lshl_add_u32 v69, v33, 3, v1
	v_lshl_add_u32 v1, s2, 6, v4
	s_lshl_b32 s2, s35, 6
	v_subrev_u32_e32 v1, s2, v1
	v_mad_i64_i32 v[2:3], s[4:5], s34, v1, 0
	v_mov_b32_e32 v1, 0
	v_lshl_add_u64 v[0:1], v[2:3], 1, v[0:1]
	v_lshl_add_u64 v[0:1], v[0:1], 0, s[26:27]
	v_add_u32_e32 v40, 0x800, v37
	v_add_u32_e32 v41, 0xa00, v37
	;; [unrolled: 1-line block ×3, first 2 shown]
	s_add_i32 s29, s22, -8
	v_mad_i64_i32 v[24:25], s[4:5], v5, s36, 0
	v_mad_i64_i32 v[26:27], s[4:5], v6, s36, 0
	v_lshl_add_u64 v[28:29], v[0:1], 0, 24
	s_branch .LBB293_24
.LBB293_23:                             ;   in Loop: Header=BB293_24 Depth=1
	s_or_b64 exec, exec, s[4:5]
	v_pk_add_f16 v20, v60, v20
	v_pk_add_f16 v12, v52, v12
	;; [unrolled: 1-line block ×18, first 2 shown]
	ds_read2_b64 v[6:9], v38 offset0:48 offset1:56
	ds_read2_b64 v[10:13], v35 offset1:32
	v_pk_add_f16 v2, v68, v2
	v_pk_add_f16 v22, v67, v22
	;; [unrolled: 1-line block ×5, first 2 shown]
	s_waitcnt lgkmcnt(1)
	v_pk_max_f16 v8, v8, v8
	s_waitcnt lgkmcnt(0)
	v_pk_max_f16 v10, v10, v10
	v_pk_add_f16 v16, v75, v16
	v_pk_add_f16 v52, v65, v82
	;; [unrolled: 1-line block ×10, first 2 shown]
	ds_read2_b64 v[2:5], v35 offset0:64 offset1:96
	v_pk_min_f16 v14, v8, v10
	v_pk_add_f16 v59, v63, v88
	v_pk_add_f16 v63, v16, v17
	;; [unrolled: 1-line block ×4, first 2 shown]
	ds_read2_b64 v[14:17], v38 offset1:8
	v_pk_max_f16 v12, v12, v12
	s_waitcnt lgkmcnt(1)
	v_pk_max_f16 v2, v2, v2
	v_pk_min_f16 v62, v8, v12
	v_pk_max_f16 v4, v4, v4
	v_pk_add_f16 v62, v20, v62
	v_pk_min_f16 v20, v8, v2
	s_waitcnt lgkmcnt(0)
	v_pk_max_f16 v14, v14, v14
	v_pk_add_f16 v67, v21, v20
	v_pk_min_f16 v20, v14, v10
	v_pk_max_f16 v16, v16, v16
	v_pk_add_f16 v63, v63, v20
	v_pk_min_f16 v20, v14, v12
	v_pk_add_f16 v50, v50, v81
	v_pk_add_f16 v22, v22, v20
	v_pk_min_f16 v20, v14, v2
	v_pk_min_f16 v14, v14, v4
	v_pk_add_f16 v23, v23, v20
	v_pk_min_f16 v20, v16, v10
	v_pk_add_f16 v14, v30, v14
	v_pk_add_f16 v30, v18, v20
	v_pk_min_f16 v18, v16, v12
	v_pk_add_f16 v50, v50, v102
	v_pk_add_f16 v70, v19, v18
	ds_read2_b64 v[18:21], v38 offset0:16 offset1:24
	v_pk_min_f16 v68, v16, v2
	v_pk_min_f16 v16, v16, v4
	v_pk_add_f16 v49, v49, v84
	v_pk_add_f16 v16, v50, v16
	s_waitcnt lgkmcnt(0)
	v_pk_max_f16 v18, v18, v18
	v_pk_add_f16 v52, v52, v103
	v_pk_min_f16 v50, v18, v10
	ds_read2_b64 v[78:81], v38 offset0:32 offset1:40
	v_pk_add_f16 v71, v51, v50
	v_pk_min_f16 v50, v18, v12
	v_pk_add_f16 v49, v49, v105
	v_pk_add_f16 v72, v52, v50
	v_pk_min_f16 v50, v18, v2
	v_pk_min_f16 v18, v18, v4
	v_pk_max_f16 v20, v20, v20
	v_pk_add_f16 v18, v49, v18
	v_pk_min_f16 v49, v20, v10
	v_pk_add_f16 v48, v48, v87
	v_pk_add_f16 v58, v58, v106
	;; [unrolled: 1-line block ×3, first 2 shown]
	v_pk_min_f16 v49, v20, v12
	v_pk_add_f16 v56, v56, v86
	v_pk_add_f16 v48, v48, v108
	;; [unrolled: 1-line block ×3, first 2 shown]
	v_pk_min_f16 v49, v20, v2
	v_pk_min_f16 v20, v20, v4
	v_pk_add_f16 v56, v56, v107
	v_pk_add_f16 v20, v48, v20
	s_waitcnt lgkmcnt(0)
	v_pk_max_f16 v48, v78, v78
	v_pk_add_f16 v56, v56, v49
	v_pk_min_f16 v49, v48, v10
	v_pk_add_f16 v47, v47, v90
	v_pk_add_f16 v59, v59, v110
	;; [unrolled: 1-line block ×3, first 2 shown]
	v_pk_min_f16 v49, v48, v12
	v_pk_add_f16 v57, v57, v83
	v_pk_add_f16 v55, v55, v89
	;; [unrolled: 1-line block ×4, first 2 shown]
	v_pk_min_f16 v49, v48, v2
	v_pk_min_f16 v48, v48, v4
	v_pk_add_f16 v55, v55, v111
	v_pk_add_f16 v47, v47, v48
	v_pk_max_f16 v48, v80, v80
	v_pk_add_f16 v55, v55, v49
	v_pk_min_f16 v49, v48, v10
	v_pk_add_f16 v60, v60, v113
	v_pk_add_f16 v80, v66, v49
	v_pk_min_f16 v49, v48, v12
	v_pk_max_f16 v6, v6, v6
	v_pk_add_f16 v84, v60, v49
	v_pk_min_f16 v49, v48, v2
	v_pk_min_f16 v10, v6, v10
	;; [unrolled: 1-line block ×6, first 2 shown]
	v_pk_add_f16 v1, v1, v6
	v_pk_min_f16 v4, v8, v4
	v_pk_max_f16 v6, v9, v9
	v_pk_max_f16 v8, v11, v11
	v_pk_add_f16 v31, v31, v68
	v_pk_min_f16 v9, v6, v8
	v_pk_max_f16 v3, v3, v3
	v_pk_add_f16 v68, v45, v9
	v_pk_max_f16 v9, v13, v13
	v_pk_max_f16 v5, v5, v5
	v_pk_min_f16 v11, v6, v9
	v_pk_add_f16 v57, v57, v104
	v_pk_add_f16 v60, v62, v11
	v_pk_min_f16 v11, v6, v3
	v_pk_add_f16 v57, v57, v50
	v_pk_add_f16 v52, v67, v11
	v_pk_max_f16 v11, v15, v15
	v_pk_add_f16 v54, v54, v92
	v_pk_min_f16 v13, v11, v8
	v_pk_add_f16 v54, v54, v114
	v_pk_add_f16 v75, v63, v13
	v_pk_min_f16 v13, v11, v9
	v_pk_add_f16 v54, v54, v49
	v_pk_add_f16 v67, v22, v13
	v_pk_min_f16 v13, v11, v3
	v_pk_min_f16 v11, v11, v5
	v_pk_add_f16 v59, v23, v13
	v_pk_add_f16 v51, v14, v11
	v_pk_max_f16 v11, v17, v17
	v_pk_add_f16 v46, v46, v93
	v_pk_min_f16 v13, v11, v8
	v_pk_add_f16 v46, v46, v115
	v_pk_add_f16 v74, v30, v13
	v_pk_min_f16 v13, v11, v9
	v_pk_add_f16 v46, v46, v48
	v_pk_add_f16 v66, v70, v13
	v_pk_min_f16 v13, v11, v3
	;; [unrolled: 12-line block ×3, first 2 shown]
	v_pk_min_f16 v11, v11, v5
	v_pk_add_f16 v57, v57, v13
	v_pk_add_f16 v49, v18, v11
	v_pk_max_f16 v11, v21, v21
	v_pk_max_f16 v7, v7, v7
	v_pk_min_f16 v13, v11, v8
	v_pk_add_f16 v61, v61, v95
	v_pk_add_f16 v72, v64, v13
	v_pk_min_f16 v13, v11, v9
	v_pk_add_f16 v39, v39, v116
	v_pk_add_f16 v64, v82, v13
	v_pk_min_f16 v13, v11, v3
	v_pk_min_f16 v11, v11, v5
	v_pk_add_f16 v56, v56, v13
	v_pk_add_f16 v48, v20, v11
	v_pk_max_f16 v11, v79, v79
	v_pk_add_f16 v2, v53, v2
	v_pk_min_f16 v13, v11, v8
	v_pk_add_f16 v61, v61, v117
	v_pk_add_f16 v71, v78, v13
	v_pk_min_f16 v13, v11, v9
	v_pk_add_f16 v10, v39, v10
	v_pk_add_f16 v63, v83, v13
	v_pk_min_f16 v13, v11, v3
	v_pk_min_f16 v11, v11, v5
	v_pk_add_f16 v55, v55, v13
	v_pk_add_f16 v47, v47, v11
	v_pk_max_f16 v11, v81, v81
	v_pk_add_f16 v12, v61, v12
	v_pk_min_f16 v13, v11, v8
	v_pk_min_f16 v8, v7, v8
	v_pk_add_f16 v70, v80, v13
	v_pk_min_f16 v13, v11, v9
	v_pk_add_f16 v4, v44, v4
	v_pk_add_f16 v62, v84, v13
	v_pk_min_f16 v13, v11, v3
	v_pk_min_f16 v3, v7, v3
	;; [unrolled: 1-line block ×3, first 2 shown]
	v_pk_add_f16 v53, v2, v3
	v_pk_min_f16 v2, v7, v5
	v_pk_add_f16 v39, v10, v8
	v_pk_min_f16 v8, v7, v9
	;; [unrolled: 2-line block ×3, first 2 shown]
	s_add_i32 s28, s28, 8
	v_pk_add_f16 v54, v54, v13
	v_pk_add_f16 v46, v46, v11
	;; [unrolled: 1-line block ×4, first 2 shown]
	s_cmp_ge_i32 s28, s29
	v_lshl_add_u64 v[28:29], v[28:29], 0, 16
	ds_write_b16 v41, v77
	ds_write_b16 v42, v76
	ds_write_b16 v42, v0 offset:512
	s_waitcnt lgkmcnt(0)
	s_barrier
	s_cbranch_scc1 .LBB293_36
.LBB293_24:                             ; =>This Inner Loop Header: Depth=1
	v_add_u32_e32 v30, s28, v34
	v_add_u32_e32 v0, 8, v30
	v_cmp_gt_i32_e64 s[4:5], s22, v0
	s_and_b64 s[4:5], s[4:5], vcc
	s_and_b64 s[4:5], s[16:17], s[4:5]
	v_mov_b32_e32 v31, 0
	s_and_saveexec_b64 s[26:27], s[4:5]
	s_cbranch_execz .LBB293_26
; %bb.25:                               ;   in Loop: Header=BB293_24 Depth=1
	v_add_co_u32_e64 v2, s[4:5], -8, v28
	s_nop 1
	v_addc_co_u32_e64 v3, s[4:5], -1, v29, s[4:5]
	flat_load_ushort v1, v[2:3]
	s_waitcnt vmcnt(0) lgkmcnt(0)
	v_mul_f16_e32 v31, s23, v1
.LBB293_26:                             ;   in Loop: Header=BB293_24 Depth=1
	s_or_b64 exec, exec, s[26:27]
	v_cmp_le_i32_e64 s[4:5], s22, v0
	v_min_i32_e32 v0, s33, v0
	v_ashrrev_i32_e32 v1, 31, v0
	s_or_b64 s[26:27], s[8:9], s[4:5]
	v_lshl_add_u64 v[0:1], v[0:1], 1, s[18:19]
	s_xor_b64 s[34:35], s[26:27], -1
	v_mov_b32_e32 v76, 0
	v_mov_b32_e32 v77, 0
	s_and_saveexec_b64 s[26:27], s[34:35]
	s_cbranch_execz .LBB293_28
; %bb.27:                               ;   in Loop: Header=BB293_24 Depth=1
	v_lshl_add_u64 v[2:3], v[24:25], 1, v[0:1]
	flat_load_ushort v2, v[2:3]
	s_waitcnt vmcnt(0) lgkmcnt(0)
	v_mul_f16_e32 v77, s23, v2
.LBB293_28:                             ;   in Loop: Header=BB293_24 Depth=1
	s_or_b64 exec, exec, s[26:27]
	s_or_b64 s[4:5], s[6:7], s[4:5]
	s_xor_b64 s[26:27], s[4:5], -1
	s_and_saveexec_b64 s[4:5], s[26:27]
	s_cbranch_execz .LBB293_30
; %bb.29:                               ;   in Loop: Header=BB293_24 Depth=1
	v_lshl_add_u64 v[0:1], v[26:27], 1, v[0:1]
	flat_load_ushort v0, v[0:1]
	s_waitcnt vmcnt(0) lgkmcnt(0)
	v_mul_f16_e32 v76, s23, v0
.LBB293_30:                             ;   in Loop: Header=BB293_24 Depth=1
	s_or_b64 exec, exec, s[4:5]
	ds_read2_b64 v[0:3], v43 offset0:48 offset1:56
	ds_read2_b64 v[12:15], v69 offset0:64 offset1:96
	ds_read2_b64 v[20:23], v69 offset1:32
	ds_read2_b64 v[16:19], v43 offset1:8
	ds_read2_b64 v[8:11], v43 offset0:16 offset1:24
	ds_read2_b64 v[4:7], v43 offset0:32 offset1:40
	v_add_u32_e32 v30, 12, v30
	v_cmp_gt_i32_e64 s[4:5], s22, v30
	s_and_b64 s[4:5], s[4:5], vcc
	ds_write_b16 v40, v31
	ds_write_b16 v37, v77
	ds_write_b16 v37, v76 offset:512
	s_and_b64 s[26:27], s[16:17], s[4:5]
	v_mov_b32_e32 v76, 0
	v_mov_b32_e32 v77, 0
	s_waitcnt lgkmcnt(0)
	s_barrier
	s_and_saveexec_b64 s[4:5], s[26:27]
	s_cbranch_execz .LBB293_32
; %bb.31:                               ;   in Loop: Header=BB293_24 Depth=1
	flat_load_ushort v31, v[28:29]
	s_waitcnt vmcnt(0) lgkmcnt(0)
	v_mul_f16_e32 v77, s23, v31
.LBB293_32:                             ;   in Loop: Header=BB293_24 Depth=1
	s_or_b64 exec, exec, s[4:5]
	v_cmp_le_i32_e64 s[4:5], s22, v30
	v_min_i32_e32 v30, s33, v30
	v_ashrrev_i32_e32 v31, 31, v30
	s_or_b64 s[26:27], s[8:9], s[4:5]
	v_lshl_add_u64 v[30:31], v[30:31], 1, s[18:19]
	s_xor_b64 s[34:35], s[26:27], -1
	s_and_saveexec_b64 s[26:27], s[34:35]
	s_cbranch_execz .LBB293_34
; %bb.33:                               ;   in Loop: Header=BB293_24 Depth=1
	v_lshl_add_u64 v[78:79], v[24:25], 1, v[30:31]
	flat_load_ushort v76, v[78:79]
	s_waitcnt vmcnt(0) lgkmcnt(0)
	v_mul_f16_e32 v76, s23, v76
.LBB293_34:                             ;   in Loop: Header=BB293_24 Depth=1
	s_or_b64 exec, exec, s[26:27]
	v_pk_max_f16 v98, v2, v2
	v_pk_max_f16 v94, v20, v20
	;; [unrolled: 1-line block ×17, first 2 shown]
	v_pk_min_f16 v2, v98, v94
	v_pk_min_f16 v20, v98, v95
	;; [unrolled: 1-line block ×26, first 2 shown]
	v_pk_max_f16 v0, v3, v3
	v_pk_max_f16 v100, v17, v17
	v_pk_max_f16 v102, v19, v19
	v_pk_max_f16 v105, v9, v9
	v_pk_max_f16 v108, v11, v11
	v_pk_min_f16 v109, v5, v116
	v_pk_min_f16 v110, v5, v117
	;; [unrolled: 1-line block ×4, first 2 shown]
	v_pk_max_f16 v5, v7, v7
	v_pk_max_f16 v1, v1, v1
	s_or_b64 s[4:5], s[6:7], s[4:5]
	v_pk_min_f16 v81, v81, v99
	v_pk_min_f16 v84, v84, v99
	;; [unrolled: 1-line block ×34, first 2 shown]
	s_xor_b64 s[26:27], s[4:5], -1
	v_mov_b32_e32 v0, 0
	s_and_saveexec_b64 s[4:5], s[26:27]
	s_cbranch_execz .LBB293_23
; %bb.35:                               ;   in Loop: Header=BB293_24 Depth=1
	v_lshl_add_u64 v[30:31], v[26:27], 1, v[30:31]
	flat_load_ushort v0, v[30:31]
	s_waitcnt vmcnt(0) lgkmcnt(0)
	v_mul_f16_e32 v0, s23, v0
	s_branch .LBB293_23
.LBB293_36:
	s_load_dwordx2 s[4:5], s[0:1], 0x70
	s_load_dword s29, s[0:1], 0x50
	s_load_dword s28, s[0:1], 0x68
	v_add_u32_e32 v8, 0x800, v36
	ds_read2_b64 v[0:3], v8 offset0:112 offset1:120
	ds_read2_b64 v[4:7], v35 offset0:192 offset1:224
	;; [unrolled: 1-line block ×6, first 2 shown]
	s_waitcnt lgkmcnt(0)
	s_mul_i32 s0, s3, s5
	s_mul_hi_u32 s1, s3, s4
	s_mul_i32 s2, s15, s4
	s_add_i32 s0, s1, s0
	s_add_i32 s1, s0, s2
	s_mul_i32 s0, s3, s4
	s_lshl_b64 s[0:1], s[0:1], 1
	s_add_u32 s22, s10, s0
	v_add_u32_e32 v69, s31, v33
	s_addc_u32 s23, s11, s1
	v_mad_i64_i32 v[26:27], s[0:1], v69, s29, 0
	v_add_u32_e32 v24, s14, v32
	v_lshl_add_u64 v[42:43], v[26:27], 1, s[24:25]
	v_mad_i64_i32 v[26:27], s[0:1], v69, s28, 0
	v_cmp_gt_i32_e64 s[18:19], s21, v69
	v_lshl_add_u64 v[40:41], v[26:27], 1, s[22:23]
	v_cmp_gt_i32_e64 s[2:3], s20, v24
	v_cndmask_b32_e64 v26, 0, 1, s[12:13]
	s_and_b64 s[6:7], s[2:3], s[18:19]
	v_ashrrev_i32_e32 v25, 31, v24
	v_cmp_ne_u32_e64 s[0:1], 1, v26
	s_and_saveexec_b64 s[4:5], s[6:7]
	s_cbranch_execz .LBB293_41
; %bb.37:
	s_and_b64 vcc, exec, s[0:1]
	s_cbranch_vccnz .LBB293_39
; %bb.38:
	v_lshl_add_u64 v[26:27], v[24:25], 1, v[42:43]
	flat_load_ushort v26, v[26:27]
	s_waitcnt vmcnt(0) lgkmcnt(0)
	v_mul_f16_e32 v26, s30, v26
	s_branch .LBB293_40
.LBB293_39:
	v_mov_b32_e32 v26, 0
.LBB293_40:
	v_pk_max_f16 v27, v20, v20
	v_pk_max_f16 v28, v16, v16
	v_pk_max_f16 v29, v17, v17
	v_pk_min_f16 v27, v28, v27
	v_pk_max_f16 v28, v21, v21
	v_pk_add_f16 v27, v75, v27
	v_pk_min_f16 v28, v29, v28
	s_nop 0
	v_pk_add_f16 v27, v27, v28
	s_nop 0
	v_add_f16_sdwa v27, v27, v27 dst_sel:DWORD dst_unused:UNUSED_PAD src0_sel:DWORD src1_sel:WORD_1
	v_add_f16_e32 v28, v27, v26
	v_lshl_add_u64 v[26:27], v[24:25], 1, v[40:41]
	global_store_short v[26:27], v28, off
.LBB293_41:
	s_or_b64 exec, exec, s[4:5]
	v_add_u32_e32 v26, 8, v24
	v_cmp_gt_i32_e64 s[4:5], s20, v26
	s_and_b64 s[8:9], s[4:5], s[18:19]
	v_ashrrev_i32_e32 v27, 31, v26
	s_and_saveexec_b64 s[6:7], s[8:9]
	s_cbranch_execz .LBB293_46
; %bb.42:
	s_and_b64 vcc, exec, s[0:1]
	s_cbranch_vccnz .LBB293_44
; %bb.43:
	v_lshl_add_u64 v[28:29], v[26:27], 1, v[42:43]
	flat_load_ushort v28, v[28:29]
	s_waitcnt vmcnt(0) lgkmcnt(0)
	v_mul_f16_e32 v28, s30, v28
	s_branch .LBB293_45
.LBB293_44:
	v_mov_b32_e32 v28, 0
.LBB293_45:
	v_pk_max_f16 v29, v20, v20
	v_pk_max_f16 v30, v18, v18
	v_pk_max_f16 v31, v19, v19
	v_pk_min_f16 v29, v30, v29
	v_pk_max_f16 v30, v21, v21
	v_pk_add_f16 v29, v74, v29
	v_pk_min_f16 v30, v31, v30
	s_nop 0
	v_pk_add_f16 v29, v29, v30
	s_nop 0
	v_add_f16_sdwa v29, v29, v29 dst_sel:DWORD dst_unused:UNUSED_PAD src0_sel:DWORD src1_sel:WORD_1
	v_add_f16_e32 v30, v29, v28
	v_lshl_add_u64 v[28:29], v[26:27], 1, v[40:41]
	global_store_short v[28:29], v30, off
.LBB293_46:
	s_or_b64 exec, exec, s[6:7]
	v_add_u32_e32 v28, 16, v24
	v_cmp_gt_i32_e64 s[6:7], s20, v28
	s_and_b64 s[10:11], s[6:7], s[18:19]
	v_ashrrev_i32_e32 v29, 31, v28
	;; [unrolled: 34-line block ×5, first 2 shown]
	s_and_saveexec_b64 s[14:15], s[16:17]
	s_cbranch_execz .LBB293_66
; %bb.62:
	s_and_b64 vcc, exec, s[0:1]
	s_cbranch_vccnz .LBB293_64
; %bb.63:
	v_lshl_add_u64 v[36:37], v[34:35], 1, v[42:43]
	flat_load_ushort v36, v[36:37]
	s_waitcnt vmcnt(0) lgkmcnt(0)
	v_mul_f16_e32 v36, s30, v36
	s_branch .LBB293_65
.LBB293_64:
	v_mov_b32_e32 v36, 0
.LBB293_65:
	v_pk_max_f16 v37, v20, v20
	v_pk_max_f16 v38, v10, v10
	s_nop 0
	v_pk_min_f16 v37, v38, v37
	v_pk_max_f16 v38, v21, v21
	v_pk_add_f16 v37, v70, v37
	v_pk_max_f16 v70, v11, v11
	s_nop 0
	v_pk_min_f16 v38, v70, v38
	s_nop 0
	v_pk_add_f16 v37, v37, v38
	s_nop 0
	v_add_f16_sdwa v37, v37, v37 dst_sel:DWORD dst_unused:UNUSED_PAD src0_sel:DWORD src1_sel:WORD_1
	v_add_f16_e32 v38, v37, v36
	v_lshl_add_u64 v[36:37], v[34:35], 1, v[40:41]
	global_store_short v[36:37], v38, off
.LBB293_66:
	s_or_b64 exec, exec, s[14:15]
	v_add_u32_e32 v36, 48, v24
	v_cmp_gt_i32_e64 s[14:15], s20, v36
	s_and_b64 s[26:27], s[14:15], s[18:19]
	v_ashrrev_i32_e32 v37, 31, v36
	s_and_saveexec_b64 s[16:17], s[26:27]
	s_cbranch_execz .LBB293_71
; %bb.67:
	s_and_b64 vcc, exec, s[0:1]
	s_cbranch_vccnz .LBB293_69
; %bb.68:
	v_lshl_add_u64 v[70:71], v[36:37], 1, v[42:43]
	flat_load_ushort v38, v[70:71]
	s_waitcnt vmcnt(0) lgkmcnt(0)
	v_mul_f16_e32 v38, s30, v38
	s_branch .LBB293_70
.LBB293_69:
	v_mov_b32_e32 v38, 0
.LBB293_70:
	v_pk_max_f16 v70, v20, v20
	v_pk_max_f16 v71, v0, v0
	s_nop 0
	v_pk_min_f16 v70, v71, v70
	v_pk_max_f16 v71, v1, v1
	v_pk_add_f16 v39, v39, v70
	v_pk_max_f16 v70, v21, v21
	s_nop 0
	v_pk_min_f16 v70, v71, v70
	s_nop 0
	v_pk_add_f16 v39, v39, v70
	s_nop 0
	v_add_f16_sdwa v39, v39, v39 dst_sel:DWORD dst_unused:UNUSED_PAD src0_sel:DWORD src1_sel:WORD_1
	v_add_f16_e32 v70, v39, v38
	v_lshl_add_u64 v[38:39], v[36:37], 1, v[40:41]
	global_store_short v[38:39], v70, off
.LBB293_71:
	s_or_b64 exec, exec, s[16:17]
	v_add_u32_e32 v38, 56, v24
	v_cmp_gt_i32_e64 s[16:17], s20, v38
	s_and_b64 s[26:27], s[16:17], s[18:19]
	v_ashrrev_i32_e32 v39, 31, v38
	s_and_saveexec_b64 s[18:19], s[26:27]
	s_cbranch_execz .LBB293_76
; %bb.72:
	s_and_b64 vcc, exec, s[0:1]
	s_cbranch_vccnz .LBB293_74
; %bb.73:
	v_lshl_add_u64 v[42:43], v[38:39], 1, v[42:43]
	flat_load_ushort v42, v[42:43]
	s_waitcnt vmcnt(0) lgkmcnt(0)
	v_mul_f16_e32 v42, s30, v42
	s_branch .LBB293_75
.LBB293_74:
	v_mov_b32_e32 v42, 0
.LBB293_75:
	v_pk_max_f16 v20, v20, v20
	v_pk_max_f16 v43, v2, v2
	;; [unrolled: 1-line block ×3, first 2 shown]
	v_pk_min_f16 v20, v43, v20
	v_pk_max_f16 v43, v3, v3
	v_pk_add_f16 v20, v68, v20
	v_pk_min_f16 v21, v43, v21
	s_nop 0
	v_pk_add_f16 v20, v20, v21
	s_nop 0
	v_add_f16_sdwa v20, v20, v20 dst_sel:DWORD dst_unused:UNUSED_PAD src0_sel:DWORD src1_sel:WORD_1
	v_add_f16_e32 v42, v20, v42
	v_lshl_add_u64 v[20:21], v[38:39], 1, v[40:41]
	global_store_short v[20:21], v42, off
.LBB293_76:
	s_or_b64 exec, exec, s[18:19]
	v_add_u32_e32 v42, 32, v69
	v_mad_i64_i32 v[20:21], s[26:27], v42, s29, 0
	v_cmp_gt_i32_e64 s[18:19], s21, v42
	v_lshl_add_u64 v[40:41], v[20:21], 1, s[24:25]
	v_mad_i64_i32 v[20:21], s[26:27], v42, s28, 0
	v_lshl_add_u64 v[20:21], v[20:21], 1, s[22:23]
	s_and_b64 s[34:35], s[2:3], s[18:19]
	s_and_saveexec_b64 s[26:27], s[34:35]
	s_cbranch_execnz .LBB293_84
; %bb.77:
	s_or_b64 exec, exec, s[26:27]
	s_and_b64 s[34:35], s[4:5], s[18:19]
	s_and_saveexec_b64 s[26:27], s[34:35]
	s_cbranch_execnz .LBB293_88
.LBB293_78:
	s_or_b64 exec, exec, s[26:27]
	s_and_b64 s[34:35], s[6:7], s[18:19]
	s_and_saveexec_b64 s[26:27], s[34:35]
	s_cbranch_execnz .LBB293_92
.LBB293_79:
	s_or_b64 exec, exec, s[26:27]
	s_and_b64 s[34:35], s[8:9], s[18:19]
	s_and_saveexec_b64 s[26:27], s[34:35]
	s_cbranch_execnz .LBB293_96
.LBB293_80:
	s_or_b64 exec, exec, s[26:27]
	s_and_b64 s[34:35], s[10:11], s[18:19]
	s_and_saveexec_b64 s[26:27], s[34:35]
	s_cbranch_execnz .LBB293_100
.LBB293_81:
	s_or_b64 exec, exec, s[26:27]
	s_and_b64 s[34:35], s[12:13], s[18:19]
	s_and_saveexec_b64 s[26:27], s[34:35]
	s_cbranch_execnz .LBB293_104
.LBB293_82:
	s_or_b64 exec, exec, s[26:27]
	s_and_b64 s[34:35], s[14:15], s[18:19]
	s_and_saveexec_b64 s[26:27], s[34:35]
	s_cbranch_execnz .LBB293_108
.LBB293_83:
	s_or_b64 exec, exec, s[26:27]
	s_and_b64 s[26:27], s[16:17], s[18:19]
	s_and_saveexec_b64 s[18:19], s[26:27]
	s_cbranch_execnz .LBB293_112
	s_branch .LBB293_116
.LBB293_84:
	s_and_b64 vcc, exec, s[0:1]
	s_cbranch_vccnz .LBB293_86
; %bb.85:
	v_lshl_add_u64 v[42:43], v[24:25], 1, v[40:41]
	flat_load_ushort v42, v[42:43]
	s_waitcnt vmcnt(0) lgkmcnt(0)
	v_mul_f16_e32 v42, s30, v42
	s_branch .LBB293_87
.LBB293_86:
	v_mov_b32_e32 v42, 0
.LBB293_87:
	v_pk_max_f16 v43, v22, v22
	v_pk_max_f16 v68, v16, v16
	s_nop 0
	v_pk_min_f16 v43, v68, v43
	v_pk_max_f16 v68, v17, v17
	v_pk_add_f16 v43, v67, v43
	v_pk_max_f16 v67, v23, v23
	s_nop 0
	v_pk_min_f16 v67, v68, v67
	s_nop 0
	v_pk_add_f16 v43, v43, v67
	s_nop 0
	v_add_f16_sdwa v43, v43, v43 dst_sel:DWORD dst_unused:UNUSED_PAD src0_sel:DWORD src1_sel:WORD_1
	v_add_f16_e32 v67, v43, v42
	v_lshl_add_u64 v[42:43], v[24:25], 1, v[20:21]
	global_store_short v[42:43], v67, off
	s_or_b64 exec, exec, s[26:27]
	s_and_b64 s[34:35], s[4:5], s[18:19]
	s_and_saveexec_b64 s[26:27], s[34:35]
	s_cbranch_execz .LBB293_78
.LBB293_88:
	s_and_b64 vcc, exec, s[0:1]
	s_cbranch_vccnz .LBB293_90
; %bb.89:
	v_lshl_add_u64 v[42:43], v[26:27], 1, v[40:41]
	flat_load_ushort v42, v[42:43]
	s_waitcnt vmcnt(0) lgkmcnt(0)
	v_mul_f16_e32 v42, s30, v42
	s_branch .LBB293_91
.LBB293_90:
	v_mov_b32_e32 v42, 0
.LBB293_91:
	v_pk_max_f16 v43, v22, v22
	v_pk_max_f16 v67, v18, v18
	s_nop 0
	v_pk_min_f16 v43, v67, v43
	v_pk_max_f16 v67, v19, v19
	v_pk_add_f16 v43, v66, v43
	v_pk_max_f16 v66, v23, v23
	s_nop 0
	v_pk_min_f16 v66, v67, v66
	s_nop 0
	v_pk_add_f16 v43, v43, v66
	s_nop 0
	v_add_f16_sdwa v43, v43, v43 dst_sel:DWORD dst_unused:UNUSED_PAD src0_sel:DWORD src1_sel:WORD_1
	v_add_f16_e32 v66, v43, v42
	v_lshl_add_u64 v[42:43], v[26:27], 1, v[20:21]
	global_store_short v[42:43], v66, off
	s_or_b64 exec, exec, s[26:27]
	s_and_b64 s[34:35], s[6:7], s[18:19]
	s_and_saveexec_b64 s[26:27], s[34:35]
	s_cbranch_execz .LBB293_79
.LBB293_92:
	s_and_b64 vcc, exec, s[0:1]
	s_cbranch_vccnz .LBB293_94
; %bb.93:
	v_lshl_add_u64 v[42:43], v[28:29], 1, v[40:41]
	flat_load_ushort v42, v[42:43]
	s_waitcnt vmcnt(0) lgkmcnt(0)
	v_mul_f16_e32 v42, s30, v42
	s_branch .LBB293_95
.LBB293_94:
	v_mov_b32_e32 v42, 0
.LBB293_95:
	v_pk_max_f16 v43, v22, v22
	v_pk_max_f16 v66, v12, v12
	s_nop 0
	v_pk_min_f16 v43, v66, v43
	v_pk_max_f16 v66, v13, v13
	v_pk_add_f16 v43, v65, v43
	v_pk_max_f16 v65, v23, v23
	s_nop 0
	v_pk_min_f16 v65, v66, v65
	s_nop 0
	v_pk_add_f16 v43, v43, v65
	s_nop 0
	v_add_f16_sdwa v43, v43, v43 dst_sel:DWORD dst_unused:UNUSED_PAD src0_sel:DWORD src1_sel:WORD_1
	v_add_f16_e32 v65, v43, v42
	v_lshl_add_u64 v[42:43], v[28:29], 1, v[20:21]
	global_store_short v[42:43], v65, off
	s_or_b64 exec, exec, s[26:27]
	s_and_b64 s[34:35], s[8:9], s[18:19]
	s_and_saveexec_b64 s[26:27], s[34:35]
	s_cbranch_execz .LBB293_80
.LBB293_96:
	s_and_b64 vcc, exec, s[0:1]
	s_cbranch_vccnz .LBB293_98
; %bb.97:
	v_lshl_add_u64 v[42:43], v[30:31], 1, v[40:41]
	flat_load_ushort v42, v[42:43]
	s_waitcnt vmcnt(0) lgkmcnt(0)
	v_mul_f16_e32 v42, s30, v42
	s_branch .LBB293_99
.LBB293_98:
	v_mov_b32_e32 v42, 0
.LBB293_99:
	v_pk_max_f16 v43, v22, v22
	v_pk_max_f16 v65, v14, v14
	s_nop 0
	v_pk_min_f16 v43, v65, v43
	v_pk_max_f16 v65, v15, v15
	v_pk_add_f16 v43, v64, v43
	v_pk_max_f16 v64, v23, v23
	s_nop 0
	v_pk_min_f16 v64, v65, v64
	s_nop 0
	v_pk_add_f16 v43, v43, v64
	s_nop 0
	v_add_f16_sdwa v43, v43, v43 dst_sel:DWORD dst_unused:UNUSED_PAD src0_sel:DWORD src1_sel:WORD_1
	v_add_f16_e32 v64, v43, v42
	v_lshl_add_u64 v[42:43], v[30:31], 1, v[20:21]
	global_store_short v[42:43], v64, off
	s_or_b64 exec, exec, s[26:27]
	s_and_b64 s[34:35], s[10:11], s[18:19]
	s_and_saveexec_b64 s[26:27], s[34:35]
	s_cbranch_execz .LBB293_81
.LBB293_100:
	s_and_b64 vcc, exec, s[0:1]
	s_cbranch_vccnz .LBB293_102
; %bb.101:
	v_lshl_add_u64 v[42:43], v[32:33], 1, v[40:41]
	flat_load_ushort v42, v[42:43]
	s_waitcnt vmcnt(0) lgkmcnt(0)
	v_mul_f16_e32 v42, s30, v42
	s_branch .LBB293_103
.LBB293_102:
	v_mov_b32_e32 v42, 0
.LBB293_103:
	v_pk_max_f16 v43, v22, v22
	v_pk_max_f16 v64, v8, v8
	s_nop 0
	v_pk_min_f16 v43, v64, v43
	v_pk_max_f16 v64, v9, v9
	v_pk_add_f16 v43, v63, v43
	v_pk_max_f16 v63, v23, v23
	s_nop 0
	v_pk_min_f16 v63, v64, v63
	s_nop 0
	v_pk_add_f16 v43, v43, v63
	s_nop 0
	v_add_f16_sdwa v43, v43, v43 dst_sel:DWORD dst_unused:UNUSED_PAD src0_sel:DWORD src1_sel:WORD_1
	v_add_f16_e32 v63, v43, v42
	v_lshl_add_u64 v[42:43], v[32:33], 1, v[20:21]
	global_store_short v[42:43], v63, off
	s_or_b64 exec, exec, s[26:27]
	s_and_b64 s[34:35], s[12:13], s[18:19]
	s_and_saveexec_b64 s[26:27], s[34:35]
	s_cbranch_execz .LBB293_82
.LBB293_104:
	s_and_b64 vcc, exec, s[0:1]
	s_cbranch_vccnz .LBB293_106
; %bb.105:
	v_lshl_add_u64 v[42:43], v[34:35], 1, v[40:41]
	flat_load_ushort v42, v[42:43]
	s_waitcnt vmcnt(0) lgkmcnt(0)
	v_mul_f16_e32 v42, s30, v42
	s_branch .LBB293_107
.LBB293_106:
	v_mov_b32_e32 v42, 0
.LBB293_107:
	v_pk_max_f16 v43, v22, v22
	v_pk_max_f16 v63, v10, v10
	s_nop 0
	v_pk_min_f16 v43, v63, v43
	v_pk_max_f16 v63, v11, v11
	v_pk_add_f16 v43, v62, v43
	v_pk_max_f16 v62, v23, v23
	s_nop 0
	v_pk_min_f16 v62, v63, v62
	s_nop 0
	v_pk_add_f16 v43, v43, v62
	s_nop 0
	v_add_f16_sdwa v43, v43, v43 dst_sel:DWORD dst_unused:UNUSED_PAD src0_sel:DWORD src1_sel:WORD_1
	v_add_f16_e32 v62, v43, v42
	v_lshl_add_u64 v[42:43], v[34:35], 1, v[20:21]
	global_store_short v[42:43], v62, off
	s_or_b64 exec, exec, s[26:27]
	s_and_b64 s[34:35], s[14:15], s[18:19]
	s_and_saveexec_b64 s[26:27], s[34:35]
	s_cbranch_execz .LBB293_83
.LBB293_108:
	s_and_b64 vcc, exec, s[0:1]
	s_cbranch_vccnz .LBB293_110
; %bb.109:
	v_lshl_add_u64 v[42:43], v[36:37], 1, v[40:41]
	flat_load_ushort v42, v[42:43]
	s_waitcnt vmcnt(0) lgkmcnt(0)
	v_mul_f16_e32 v42, s30, v42
	s_branch .LBB293_111
.LBB293_110:
	v_mov_b32_e32 v42, 0
.LBB293_111:
	v_pk_max_f16 v43, v22, v22
	v_pk_max_f16 v62, v0, v0
	s_nop 0
	v_pk_min_f16 v43, v62, v43
	v_pk_max_f16 v62, v1, v1
	v_pk_add_f16 v43, v61, v43
	v_pk_max_f16 v61, v23, v23
	s_nop 0
	v_pk_min_f16 v61, v62, v61
	s_nop 0
	v_pk_add_f16 v43, v43, v61
	s_nop 0
	v_add_f16_sdwa v43, v43, v43 dst_sel:DWORD dst_unused:UNUSED_PAD src0_sel:DWORD src1_sel:WORD_1
	v_add_f16_e32 v61, v43, v42
	v_lshl_add_u64 v[42:43], v[36:37], 1, v[20:21]
	global_store_short v[42:43], v61, off
	s_or_b64 exec, exec, s[26:27]
	s_and_b64 s[26:27], s[16:17], s[18:19]
	s_and_saveexec_b64 s[18:19], s[26:27]
	s_cbranch_execz .LBB293_116
.LBB293_112:
	s_and_b64 vcc, exec, s[0:1]
	s_cbranch_vccnz .LBB293_114
; %bb.113:
	v_lshl_add_u64 v[40:41], v[38:39], 1, v[40:41]
	flat_load_ushort v40, v[40:41]
	s_waitcnt vmcnt(0) lgkmcnt(0)
	v_mul_f16_e32 v40, s30, v40
	s_branch .LBB293_115
.LBB293_114:
	v_mov_b32_e32 v40, 0
.LBB293_115:
	v_pk_max_f16 v22, v22, v22
	v_pk_max_f16 v41, v2, v2
	;; [unrolled: 1-line block ×3, first 2 shown]
	v_pk_min_f16 v22, v41, v22
	v_pk_max_f16 v41, v3, v3
	v_pk_add_f16 v22, v60, v22
	v_pk_min_f16 v23, v41, v23
	v_lshl_add_u64 v[20:21], v[38:39], 1, v[20:21]
	v_pk_add_f16 v22, v22, v23
	s_nop 0
	v_add_f16_sdwa v22, v22, v22 dst_sel:DWORD dst_unused:UNUSED_PAD src0_sel:DWORD src1_sel:WORD_1
	v_add_f16_e32 v22, v22, v40
	global_store_short v[20:21], v22, off
.LBB293_116:
	s_or_b64 exec, exec, s[18:19]
	v_add_u32_e32 v40, 64, v69
	v_mad_i64_i32 v[20:21], s[26:27], v40, s29, 0
	v_cmp_gt_i32_e64 s[18:19], s21, v40
	v_lshl_add_u64 v[22:23], v[20:21], 1, s[24:25]
	v_mad_i64_i32 v[20:21], s[26:27], v40, s28, 0
	v_lshl_add_u64 v[20:21], v[20:21], 1, s[22:23]
	s_and_b64 s[34:35], s[2:3], s[18:19]
	s_and_saveexec_b64 s[26:27], s[34:35]
	s_cbranch_execnz .LBB293_124
; %bb.117:
	s_or_b64 exec, exec, s[26:27]
	s_and_b64 s[34:35], s[4:5], s[18:19]
	s_and_saveexec_b64 s[26:27], s[34:35]
	s_cbranch_execnz .LBB293_128
.LBB293_118:
	s_or_b64 exec, exec, s[26:27]
	s_and_b64 s[34:35], s[6:7], s[18:19]
	s_and_saveexec_b64 s[26:27], s[34:35]
	s_cbranch_execnz .LBB293_132
.LBB293_119:
	s_or_b64 exec, exec, s[26:27]
	s_and_b64 s[34:35], s[8:9], s[18:19]
	s_and_saveexec_b64 s[26:27], s[34:35]
	s_cbranch_execnz .LBB293_136
.LBB293_120:
	s_or_b64 exec, exec, s[26:27]
	s_and_b64 s[34:35], s[10:11], s[18:19]
	s_and_saveexec_b64 s[26:27], s[34:35]
	s_cbranch_execnz .LBB293_140
.LBB293_121:
	s_or_b64 exec, exec, s[26:27]
	s_and_b64 s[34:35], s[12:13], s[18:19]
	s_and_saveexec_b64 s[26:27], s[34:35]
	s_cbranch_execnz .LBB293_144
.LBB293_122:
	s_or_b64 exec, exec, s[26:27]
	s_and_b64 s[34:35], s[14:15], s[18:19]
	s_and_saveexec_b64 s[26:27], s[34:35]
	s_cbranch_execnz .LBB293_148
.LBB293_123:
	s_or_b64 exec, exec, s[26:27]
	s_and_b64 s[26:27], s[16:17], s[18:19]
	s_and_saveexec_b64 s[18:19], s[26:27]
	s_cbranch_execnz .LBB293_152
	s_branch .LBB293_156
.LBB293_124:
	s_and_b64 vcc, exec, s[0:1]
	s_cbranch_vccnz .LBB293_126
; %bb.125:
	v_lshl_add_u64 v[40:41], v[24:25], 1, v[22:23]
	flat_load_ushort v40, v[40:41]
	s_waitcnt vmcnt(0) lgkmcnt(0)
	v_mul_f16_e32 v40, s30, v40
	s_branch .LBB293_127
.LBB293_126:
	v_mov_b32_e32 v40, 0
.LBB293_127:
	v_pk_max_f16 v41, v4, v4
	v_pk_max_f16 v42, v16, v16
	;; [unrolled: 1-line block ×3, first 2 shown]
	v_pk_min_f16 v41, v42, v41
	v_pk_max_f16 v42, v5, v5
	v_pk_add_f16 v41, v59, v41
	v_pk_min_f16 v42, v43, v42
	s_nop 0
	v_pk_add_f16 v41, v41, v42
	s_nop 0
	v_add_f16_sdwa v41, v41, v41 dst_sel:DWORD dst_unused:UNUSED_PAD src0_sel:DWORD src1_sel:WORD_1
	v_add_f16_e32 v42, v41, v40
	v_lshl_add_u64 v[40:41], v[24:25], 1, v[20:21]
	global_store_short v[40:41], v42, off
	s_or_b64 exec, exec, s[26:27]
	s_and_b64 s[34:35], s[4:5], s[18:19]
	s_and_saveexec_b64 s[26:27], s[34:35]
	s_cbranch_execz .LBB293_118
.LBB293_128:
	s_and_b64 vcc, exec, s[0:1]
	s_cbranch_vccnz .LBB293_130
; %bb.129:
	v_lshl_add_u64 v[40:41], v[26:27], 1, v[22:23]
	flat_load_ushort v40, v[40:41]
	s_waitcnt vmcnt(0) lgkmcnt(0)
	v_mul_f16_e32 v40, s30, v40
	s_branch .LBB293_131
.LBB293_130:
	v_mov_b32_e32 v40, 0
.LBB293_131:
	v_pk_max_f16 v41, v4, v4
	v_pk_max_f16 v42, v18, v18
	;; [unrolled: 1-line block ×3, first 2 shown]
	v_pk_min_f16 v41, v42, v41
	v_pk_max_f16 v42, v5, v5
	v_pk_add_f16 v41, v58, v41
	v_pk_min_f16 v42, v43, v42
	s_nop 0
	v_pk_add_f16 v41, v41, v42
	s_nop 0
	v_add_f16_sdwa v41, v41, v41 dst_sel:DWORD dst_unused:UNUSED_PAD src0_sel:DWORD src1_sel:WORD_1
	v_add_f16_e32 v42, v41, v40
	v_lshl_add_u64 v[40:41], v[26:27], 1, v[20:21]
	global_store_short v[40:41], v42, off
	s_or_b64 exec, exec, s[26:27]
	s_and_b64 s[34:35], s[6:7], s[18:19]
	s_and_saveexec_b64 s[26:27], s[34:35]
	s_cbranch_execz .LBB293_119
.LBB293_132:
	s_and_b64 vcc, exec, s[0:1]
	s_cbranch_vccnz .LBB293_134
; %bb.133:
	v_lshl_add_u64 v[40:41], v[28:29], 1, v[22:23]
	flat_load_ushort v40, v[40:41]
	s_waitcnt vmcnt(0) lgkmcnt(0)
	v_mul_f16_e32 v40, s30, v40
	s_branch .LBB293_135
.LBB293_134:
	v_mov_b32_e32 v40, 0
.LBB293_135:
	v_pk_max_f16 v41, v4, v4
	v_pk_max_f16 v42, v12, v12
	;; [unrolled: 1-line block ×3, first 2 shown]
	v_pk_min_f16 v41, v42, v41
	v_pk_max_f16 v42, v5, v5
	v_pk_add_f16 v41, v57, v41
	v_pk_min_f16 v42, v43, v42
	s_nop 0
	v_pk_add_f16 v41, v41, v42
	s_nop 0
	v_add_f16_sdwa v41, v41, v41 dst_sel:DWORD dst_unused:UNUSED_PAD src0_sel:DWORD src1_sel:WORD_1
	v_add_f16_e32 v42, v41, v40
	v_lshl_add_u64 v[40:41], v[28:29], 1, v[20:21]
	global_store_short v[40:41], v42, off
	s_or_b64 exec, exec, s[26:27]
	s_and_b64 s[34:35], s[8:9], s[18:19]
	s_and_saveexec_b64 s[26:27], s[34:35]
	s_cbranch_execz .LBB293_120
.LBB293_136:
	s_and_b64 vcc, exec, s[0:1]
	s_cbranch_vccnz .LBB293_138
; %bb.137:
	v_lshl_add_u64 v[40:41], v[30:31], 1, v[22:23]
	flat_load_ushort v40, v[40:41]
	s_waitcnt vmcnt(0) lgkmcnt(0)
	v_mul_f16_e32 v40, s30, v40
	s_branch .LBB293_139
.LBB293_138:
	v_mov_b32_e32 v40, 0
.LBB293_139:
	v_pk_max_f16 v41, v4, v4
	v_pk_max_f16 v42, v14, v14
	;; [unrolled: 1-line block ×3, first 2 shown]
	v_pk_min_f16 v41, v42, v41
	v_pk_max_f16 v42, v5, v5
	v_pk_add_f16 v41, v56, v41
	v_pk_min_f16 v42, v43, v42
	s_nop 0
	v_pk_add_f16 v41, v41, v42
	s_nop 0
	v_add_f16_sdwa v41, v41, v41 dst_sel:DWORD dst_unused:UNUSED_PAD src0_sel:DWORD src1_sel:WORD_1
	v_add_f16_e32 v42, v41, v40
	v_lshl_add_u64 v[40:41], v[30:31], 1, v[20:21]
	global_store_short v[40:41], v42, off
	s_or_b64 exec, exec, s[26:27]
	s_and_b64 s[34:35], s[10:11], s[18:19]
	s_and_saveexec_b64 s[26:27], s[34:35]
	s_cbranch_execz .LBB293_121
.LBB293_140:
	s_and_b64 vcc, exec, s[0:1]
	s_cbranch_vccnz .LBB293_142
; %bb.141:
	v_lshl_add_u64 v[40:41], v[32:33], 1, v[22:23]
	flat_load_ushort v40, v[40:41]
	s_waitcnt vmcnt(0) lgkmcnt(0)
	v_mul_f16_e32 v40, s30, v40
	s_branch .LBB293_143
.LBB293_142:
	v_mov_b32_e32 v40, 0
.LBB293_143:
	v_pk_max_f16 v41, v4, v4
	v_pk_max_f16 v42, v8, v8
	v_pk_max_f16 v43, v9, v9
	v_pk_min_f16 v41, v42, v41
	v_pk_max_f16 v42, v5, v5
	v_pk_add_f16 v41, v55, v41
	v_pk_min_f16 v42, v43, v42
	s_nop 0
	v_pk_add_f16 v41, v41, v42
	s_nop 0
	v_add_f16_sdwa v41, v41, v41 dst_sel:DWORD dst_unused:UNUSED_PAD src0_sel:DWORD src1_sel:WORD_1
	v_add_f16_e32 v42, v41, v40
	v_lshl_add_u64 v[40:41], v[32:33], 1, v[20:21]
	global_store_short v[40:41], v42, off
	s_or_b64 exec, exec, s[26:27]
	s_and_b64 s[34:35], s[12:13], s[18:19]
	s_and_saveexec_b64 s[26:27], s[34:35]
	s_cbranch_execz .LBB293_122
.LBB293_144:
	s_and_b64 vcc, exec, s[0:1]
	s_cbranch_vccnz .LBB293_146
; %bb.145:
	v_lshl_add_u64 v[40:41], v[34:35], 1, v[22:23]
	flat_load_ushort v40, v[40:41]
	s_waitcnt vmcnt(0) lgkmcnt(0)
	v_mul_f16_e32 v40, s30, v40
	s_branch .LBB293_147
.LBB293_146:
	v_mov_b32_e32 v40, 0
.LBB293_147:
	v_pk_max_f16 v41, v4, v4
	v_pk_max_f16 v42, v10, v10
	;; [unrolled: 1-line block ×3, first 2 shown]
	v_pk_min_f16 v41, v42, v41
	v_pk_max_f16 v42, v5, v5
	v_pk_add_f16 v41, v54, v41
	v_pk_min_f16 v42, v43, v42
	s_nop 0
	v_pk_add_f16 v41, v41, v42
	s_nop 0
	v_add_f16_sdwa v41, v41, v41 dst_sel:DWORD dst_unused:UNUSED_PAD src0_sel:DWORD src1_sel:WORD_1
	v_add_f16_e32 v42, v41, v40
	v_lshl_add_u64 v[40:41], v[34:35], 1, v[20:21]
	global_store_short v[40:41], v42, off
	s_or_b64 exec, exec, s[26:27]
	s_and_b64 s[34:35], s[14:15], s[18:19]
	s_and_saveexec_b64 s[26:27], s[34:35]
	s_cbranch_execz .LBB293_123
.LBB293_148:
	s_and_b64 vcc, exec, s[0:1]
	s_cbranch_vccnz .LBB293_150
; %bb.149:
	v_lshl_add_u64 v[40:41], v[36:37], 1, v[22:23]
	flat_load_ushort v40, v[40:41]
	s_waitcnt vmcnt(0) lgkmcnt(0)
	v_mul_f16_e32 v40, s30, v40
	s_branch .LBB293_151
.LBB293_150:
	v_mov_b32_e32 v40, 0
.LBB293_151:
	v_pk_max_f16 v41, v4, v4
	v_pk_max_f16 v42, v0, v0
	;; [unrolled: 1-line block ×3, first 2 shown]
	v_pk_min_f16 v41, v42, v41
	v_pk_max_f16 v42, v5, v5
	v_pk_add_f16 v41, v53, v41
	v_pk_min_f16 v42, v43, v42
	s_nop 0
	v_pk_add_f16 v41, v41, v42
	s_nop 0
	v_add_f16_sdwa v41, v41, v41 dst_sel:DWORD dst_unused:UNUSED_PAD src0_sel:DWORD src1_sel:WORD_1
	v_add_f16_e32 v42, v41, v40
	v_lshl_add_u64 v[40:41], v[36:37], 1, v[20:21]
	global_store_short v[40:41], v42, off
	s_or_b64 exec, exec, s[26:27]
	s_and_b64 s[26:27], s[16:17], s[18:19]
	s_and_saveexec_b64 s[18:19], s[26:27]
	s_cbranch_execz .LBB293_156
.LBB293_152:
	s_and_b64 vcc, exec, s[0:1]
	s_cbranch_vccnz .LBB293_154
; %bb.153:
	v_lshl_add_u64 v[22:23], v[38:39], 1, v[22:23]
	flat_load_ushort v22, v[22:23]
	s_waitcnt vmcnt(0) lgkmcnt(0)
	v_mul_f16_e32 v22, s30, v22
	s_branch .LBB293_155
.LBB293_154:
	v_mov_b32_e32 v22, 0
.LBB293_155:
	v_pk_max_f16 v4, v4, v4
	v_pk_max_f16 v23, v2, v2
	;; [unrolled: 1-line block ×3, first 2 shown]
	v_pk_min_f16 v4, v23, v4
	v_pk_max_f16 v23, v3, v3
	v_pk_add_f16 v4, v52, v4
	v_pk_min_f16 v5, v23, v5
	s_nop 0
	v_pk_add_f16 v4, v4, v5
	s_nop 0
	v_add_f16_sdwa v4, v4, v4 dst_sel:DWORD dst_unused:UNUSED_PAD src0_sel:DWORD src1_sel:WORD_1
	v_add_f16_e32 v22, v4, v22
	v_lshl_add_u64 v[4:5], v[38:39], 1, v[20:21]
	global_store_short v[4:5], v22, off
.LBB293_156:
	s_or_b64 exec, exec, s[18:19]
	v_add_u32_e32 v22, 0x60, v69
	v_cmp_gt_i32_e64 s[18:19], s21, v22
	v_mad_i64_i32 v[4:5], s[20:21], v22, s29, 0
	v_lshl_add_u64 v[20:21], v[4:5], 1, s[24:25]
	v_mad_i64_i32 v[4:5], s[20:21], v22, s28, 0
	v_lshl_add_u64 v[4:5], v[4:5], 1, s[22:23]
	s_and_b64 s[20:21], s[2:3], s[18:19]
	s_and_saveexec_b64 s[2:3], s[20:21]
	s_cbranch_execnz .LBB293_165
; %bb.157:
	s_or_b64 exec, exec, s[2:3]
	s_and_b64 s[4:5], s[4:5], s[18:19]
	s_and_saveexec_b64 s[2:3], s[4:5]
	s_cbranch_execnz .LBB293_169
.LBB293_158:
	s_or_b64 exec, exec, s[2:3]
	s_and_b64 s[4:5], s[6:7], s[18:19]
	s_and_saveexec_b64 s[2:3], s[4:5]
	s_cbranch_execnz .LBB293_173
.LBB293_159:
	s_or_b64 exec, exec, s[2:3]
	s_and_b64 s[4:5], s[8:9], s[18:19]
	s_and_saveexec_b64 s[2:3], s[4:5]
	s_cbranch_execnz .LBB293_177
.LBB293_160:
	s_or_b64 exec, exec, s[2:3]
	s_and_b64 s[4:5], s[10:11], s[18:19]
	s_and_saveexec_b64 s[2:3], s[4:5]
	s_cbranch_execnz .LBB293_181
.LBB293_161:
	s_or_b64 exec, exec, s[2:3]
	s_and_b64 s[4:5], s[12:13], s[18:19]
	s_and_saveexec_b64 s[2:3], s[4:5]
	s_cbranch_execnz .LBB293_185
.LBB293_162:
	s_or_b64 exec, exec, s[2:3]
	s_and_b64 s[4:5], s[14:15], s[18:19]
	s_and_saveexec_b64 s[2:3], s[4:5]
	s_cbranch_execnz .LBB293_189
.LBB293_163:
	s_or_b64 exec, exec, s[2:3]
	s_and_b64 s[2:3], s[16:17], s[18:19]
	s_and_saveexec_b64 s[4:5], s[2:3]
	s_cbranch_execnz .LBB293_193
.LBB293_164:
	s_endpgm
.LBB293_165:
	s_and_b64 vcc, exec, s[0:1]
	s_cbranch_vccnz .LBB293_167
; %bb.166:
	v_lshl_add_u64 v[22:23], v[24:25], 1, v[20:21]
	flat_load_ushort v22, v[22:23]
	s_waitcnt vmcnt(0) lgkmcnt(0)
	v_mul_f16_e32 v22, s30, v22
	s_branch .LBB293_168
.LBB293_167:
	v_mov_b32_e32 v22, 0
.LBB293_168:
	v_pk_max_f16 v23, v6, v6
	v_pk_max_f16 v16, v16, v16
	v_pk_max_f16 v17, v17, v17
	v_pk_min_f16 v16, v16, v23
	v_pk_max_f16 v23, v7, v7
	v_pk_add_f16 v16, v51, v16
	v_pk_min_f16 v17, v17, v23
	s_nop 0
	v_pk_add_f16 v16, v16, v17
	s_nop 0
	v_add_f16_sdwa v16, v16, v16 dst_sel:DWORD dst_unused:UNUSED_PAD src0_sel:DWORD src1_sel:WORD_1
	v_add_f16_e32 v22, v16, v22
	v_lshl_add_u64 v[16:17], v[24:25], 1, v[4:5]
	global_store_short v[16:17], v22, off
	s_or_b64 exec, exec, s[2:3]
	s_and_b64 s[4:5], s[4:5], s[18:19]
	s_and_saveexec_b64 s[2:3], s[4:5]
	s_cbranch_execz .LBB293_158
.LBB293_169:
	s_and_b64 vcc, exec, s[0:1]
	s_cbranch_vccnz .LBB293_171
; %bb.170:
	v_lshl_add_u64 v[16:17], v[26:27], 1, v[20:21]
	flat_load_ushort v16, v[16:17]
	s_waitcnt vmcnt(0) lgkmcnt(0)
	v_mul_f16_e32 v16, s30, v16
	s_branch .LBB293_172
.LBB293_171:
	v_mov_b32_e32 v16, 0
.LBB293_172:
	v_pk_max_f16 v17, v6, v6
	v_pk_max_f16 v18, v18, v18
	;; [unrolled: 1-line block ×3, first 2 shown]
	v_pk_min_f16 v17, v18, v17
	v_pk_max_f16 v18, v7, v7
	v_pk_add_f16 v17, v50, v17
	v_pk_min_f16 v18, v19, v18
	s_nop 0
	v_pk_add_f16 v17, v17, v18
	s_nop 0
	v_add_f16_sdwa v17, v17, v17 dst_sel:DWORD dst_unused:UNUSED_PAD src0_sel:DWORD src1_sel:WORD_1
	v_add_f16_e32 v18, v17, v16
	v_lshl_add_u64 v[16:17], v[26:27], 1, v[4:5]
	global_store_short v[16:17], v18, off
	s_or_b64 exec, exec, s[2:3]
	s_and_b64 s[4:5], s[6:7], s[18:19]
	s_and_saveexec_b64 s[2:3], s[4:5]
	s_cbranch_execz .LBB293_159
.LBB293_173:
	s_and_b64 vcc, exec, s[0:1]
	s_cbranch_vccnz .LBB293_175
; %bb.174:
	v_lshl_add_u64 v[16:17], v[28:29], 1, v[20:21]
	flat_load_ushort v16, v[16:17]
	s_waitcnt vmcnt(0) lgkmcnt(0)
	v_mul_f16_e32 v16, s30, v16
	s_branch .LBB293_176
.LBB293_175:
	v_mov_b32_e32 v16, 0
.LBB293_176:
	v_pk_max_f16 v17, v6, v6
	v_pk_max_f16 v12, v12, v12
	;; [unrolled: 1-line block ×3, first 2 shown]
	v_pk_min_f16 v12, v12, v17
	v_pk_max_f16 v17, v7, v7
	v_pk_add_f16 v12, v49, v12
	v_pk_min_f16 v13, v13, v17
	s_nop 0
	v_pk_add_f16 v12, v12, v13
	s_nop 0
	v_add_f16_sdwa v12, v12, v12 dst_sel:DWORD dst_unused:UNUSED_PAD src0_sel:DWORD src1_sel:WORD_1
	v_add_f16_e32 v16, v12, v16
	v_lshl_add_u64 v[12:13], v[28:29], 1, v[4:5]
	global_store_short v[12:13], v16, off
	s_or_b64 exec, exec, s[2:3]
	s_and_b64 s[4:5], s[8:9], s[18:19]
	s_and_saveexec_b64 s[2:3], s[4:5]
	s_cbranch_execz .LBB293_160
.LBB293_177:
	s_and_b64 vcc, exec, s[0:1]
	s_cbranch_vccnz .LBB293_179
; %bb.178:
	v_lshl_add_u64 v[12:13], v[30:31], 1, v[20:21]
	flat_load_ushort v12, v[12:13]
	s_waitcnt vmcnt(0) lgkmcnt(0)
	v_mul_f16_e32 v12, s30, v12
	s_branch .LBB293_180
.LBB293_179:
	v_mov_b32_e32 v12, 0
.LBB293_180:
	v_pk_max_f16 v13, v6, v6
	v_pk_max_f16 v14, v14, v14
	;; [unrolled: 1-line block ×3, first 2 shown]
	v_pk_min_f16 v13, v14, v13
	v_pk_max_f16 v14, v7, v7
	v_pk_add_f16 v13, v48, v13
	v_pk_min_f16 v14, v15, v14
	s_nop 0
	v_pk_add_f16 v13, v13, v14
	s_nop 0
	v_add_f16_sdwa v13, v13, v13 dst_sel:DWORD dst_unused:UNUSED_PAD src0_sel:DWORD src1_sel:WORD_1
	v_add_f16_e32 v14, v13, v12
	v_lshl_add_u64 v[12:13], v[30:31], 1, v[4:5]
	global_store_short v[12:13], v14, off
	s_or_b64 exec, exec, s[2:3]
	s_and_b64 s[4:5], s[10:11], s[18:19]
	s_and_saveexec_b64 s[2:3], s[4:5]
	s_cbranch_execz .LBB293_161
.LBB293_181:
	s_and_b64 vcc, exec, s[0:1]
	s_cbranch_vccnz .LBB293_183
; %bb.182:
	v_lshl_add_u64 v[12:13], v[32:33], 1, v[20:21]
	flat_load_ushort v12, v[12:13]
	s_waitcnt vmcnt(0) lgkmcnt(0)
	v_mul_f16_e32 v12, s30, v12
	s_branch .LBB293_184
.LBB293_183:
	v_mov_b32_e32 v12, 0
.LBB293_184:
	v_pk_max_f16 v13, v6, v6
	v_pk_max_f16 v8, v8, v8
	;; [unrolled: 1-line block ×3, first 2 shown]
	v_pk_min_f16 v8, v8, v13
	v_pk_max_f16 v13, v7, v7
	v_pk_add_f16 v8, v47, v8
	v_pk_min_f16 v9, v9, v13
	s_nop 0
	v_pk_add_f16 v8, v8, v9
	s_nop 0
	v_add_f16_sdwa v8, v8, v8 dst_sel:DWORD dst_unused:UNUSED_PAD src0_sel:DWORD src1_sel:WORD_1
	v_add_f16_e32 v12, v8, v12
	v_lshl_add_u64 v[8:9], v[32:33], 1, v[4:5]
	global_store_short v[8:9], v12, off
	s_or_b64 exec, exec, s[2:3]
	s_and_b64 s[4:5], s[12:13], s[18:19]
	s_and_saveexec_b64 s[2:3], s[4:5]
	s_cbranch_execz .LBB293_162
.LBB293_185:
	s_and_b64 vcc, exec, s[0:1]
	s_cbranch_vccnz .LBB293_187
; %bb.186:
	v_lshl_add_u64 v[8:9], v[34:35], 1, v[20:21]
	flat_load_ushort v8, v[8:9]
	s_waitcnt vmcnt(0) lgkmcnt(0)
	v_mul_f16_e32 v8, s30, v8
	s_branch .LBB293_188
.LBB293_187:
	v_mov_b32_e32 v8, 0
.LBB293_188:
	v_pk_max_f16 v9, v6, v6
	v_pk_max_f16 v10, v10, v10
	;; [unrolled: 1-line block ×3, first 2 shown]
	v_pk_min_f16 v9, v10, v9
	v_pk_max_f16 v10, v7, v7
	v_pk_add_f16 v9, v46, v9
	v_pk_min_f16 v10, v11, v10
	s_nop 0
	v_pk_add_f16 v9, v9, v10
	s_nop 0
	v_add_f16_sdwa v9, v9, v9 dst_sel:DWORD dst_unused:UNUSED_PAD src0_sel:DWORD src1_sel:WORD_1
	v_add_f16_e32 v10, v9, v8
	v_lshl_add_u64 v[8:9], v[34:35], 1, v[4:5]
	global_store_short v[8:9], v10, off
	s_or_b64 exec, exec, s[2:3]
	s_and_b64 s[4:5], s[14:15], s[18:19]
	s_and_saveexec_b64 s[2:3], s[4:5]
	s_cbranch_execz .LBB293_163
.LBB293_189:
	s_and_b64 vcc, exec, s[0:1]
	s_cbranch_vccnz .LBB293_191
; %bb.190:
	v_lshl_add_u64 v[8:9], v[36:37], 1, v[20:21]
	flat_load_ushort v8, v[8:9]
	s_waitcnt vmcnt(0) lgkmcnt(0)
	v_mul_f16_e32 v8, s30, v8
	s_branch .LBB293_192
.LBB293_191:
	v_mov_b32_e32 v8, 0
.LBB293_192:
	v_pk_max_f16 v9, v6, v6
	v_pk_max_f16 v0, v0, v0
	;; [unrolled: 1-line block ×3, first 2 shown]
	v_pk_min_f16 v0, v0, v9
	v_pk_max_f16 v9, v7, v7
	v_pk_add_f16 v0, v45, v0
	v_pk_min_f16 v1, v1, v9
	s_nop 0
	v_pk_add_f16 v0, v0, v1
	s_nop 0
	v_add_f16_sdwa v0, v0, v0 dst_sel:DWORD dst_unused:UNUSED_PAD src0_sel:DWORD src1_sel:WORD_1
	v_add_f16_e32 v8, v0, v8
	v_lshl_add_u64 v[0:1], v[36:37], 1, v[4:5]
	global_store_short v[0:1], v8, off
	s_or_b64 exec, exec, s[2:3]
	s_and_b64 s[2:3], s[16:17], s[18:19]
	s_and_saveexec_b64 s[4:5], s[2:3]
	s_cbranch_execz .LBB293_164
.LBB293_193:
	s_and_b64 vcc, exec, s[0:1]
	s_cbranch_vccnz .LBB293_195
; %bb.194:
	v_lshl_add_u64 v[0:1], v[38:39], 1, v[20:21]
	flat_load_ushort v0, v[0:1]
	s_waitcnt vmcnt(0) lgkmcnt(0)
	v_mul_f16_e32 v0, s30, v0
	s_branch .LBB293_196
.LBB293_195:
	v_mov_b32_e32 v0, 0
.LBB293_196:
	v_pk_max_f16 v1, v6, v6
	v_pk_max_f16 v2, v2, v2
	;; [unrolled: 1-line block ×3, first 2 shown]
	v_pk_min_f16 v1, v2, v1
	v_pk_max_f16 v2, v7, v7
	v_pk_add_f16 v1, v44, v1
	v_pk_min_f16 v2, v3, v2
	s_nop 0
	v_pk_add_f16 v1, v1, v2
	s_nop 0
	v_add_f16_sdwa v1, v1, v1 dst_sel:DWORD dst_unused:UNUSED_PAD src0_sel:DWORD src1_sel:WORD_1
	v_add_f16_e32 v2, v1, v0
	v_lshl_add_u64 v[0:1], v[38:39], 1, v[4:5]
	global_store_short v[0:1], v2, off
	s_endpgm
	.section	.rodata,"a",@progbits
	.p2align	6, 0x0
	.amdhsa_kernel _ZN12_GLOBAL__N_120geam_min_plus_kernelIDF16_Dv2_DF16_S1_Li8ELi32ELi64ELi128ELi4ELi4ELi64ELi4ELi64ELc84ELc78ELb0ELb1ELb0EDF16_KDF16_DF16_EEviiiT16_PT17_ilS5_ilS3_S5_ilPT18_ili26rocblas_geam_ex_operation_
		.amdhsa_group_segment_fixed_size 3072
		.amdhsa_private_segment_fixed_size 0
		.amdhsa_kernarg_size 128
		.amdhsa_user_sgpr_count 2
		.amdhsa_user_sgpr_dispatch_ptr 0
		.amdhsa_user_sgpr_queue_ptr 0
		.amdhsa_user_sgpr_kernarg_segment_ptr 1
		.amdhsa_user_sgpr_dispatch_id 0
		.amdhsa_user_sgpr_kernarg_preload_length 0
		.amdhsa_user_sgpr_kernarg_preload_offset 0
		.amdhsa_user_sgpr_private_segment_size 0
		.amdhsa_uses_dynamic_stack 0
		.amdhsa_enable_private_segment 0
		.amdhsa_system_sgpr_workgroup_id_x 1
		.amdhsa_system_sgpr_workgroup_id_y 0
		.amdhsa_system_sgpr_workgroup_id_z 1
		.amdhsa_system_sgpr_workgroup_info 0
		.amdhsa_system_vgpr_workitem_id 1
		.amdhsa_next_free_vgpr 120
		.amdhsa_next_free_sgpr 40
		.amdhsa_accum_offset 120
		.amdhsa_reserve_vcc 1
		.amdhsa_float_round_mode_32 0
		.amdhsa_float_round_mode_16_64 0
		.amdhsa_float_denorm_mode_32 3
		.amdhsa_float_denorm_mode_16_64 3
		.amdhsa_dx10_clamp 1
		.amdhsa_ieee_mode 1
		.amdhsa_fp16_overflow 0
		.amdhsa_tg_split 0
		.amdhsa_exception_fp_ieee_invalid_op 0
		.amdhsa_exception_fp_denorm_src 0
		.amdhsa_exception_fp_ieee_div_zero 0
		.amdhsa_exception_fp_ieee_overflow 0
		.amdhsa_exception_fp_ieee_underflow 0
		.amdhsa_exception_fp_ieee_inexact 0
		.amdhsa_exception_int_div_zero 0
	.end_amdhsa_kernel
	.section	.text._ZN12_GLOBAL__N_120geam_min_plus_kernelIDF16_Dv2_DF16_S1_Li8ELi32ELi64ELi128ELi4ELi4ELi64ELi4ELi64ELc84ELc78ELb0ELb1ELb0EDF16_KDF16_DF16_EEviiiT16_PT17_ilS5_ilS3_S5_ilPT18_ili26rocblas_geam_ex_operation_,"axG",@progbits,_ZN12_GLOBAL__N_120geam_min_plus_kernelIDF16_Dv2_DF16_S1_Li8ELi32ELi64ELi128ELi4ELi4ELi64ELi4ELi64ELc84ELc78ELb0ELb1ELb0EDF16_KDF16_DF16_EEviiiT16_PT17_ilS5_ilS3_S5_ilPT18_ili26rocblas_geam_ex_operation_,comdat
.Lfunc_end293:
	.size	_ZN12_GLOBAL__N_120geam_min_plus_kernelIDF16_Dv2_DF16_S1_Li8ELi32ELi64ELi128ELi4ELi4ELi64ELi4ELi64ELc84ELc78ELb0ELb1ELb0EDF16_KDF16_DF16_EEviiiT16_PT17_ilS5_ilS3_S5_ilPT18_ili26rocblas_geam_ex_operation_, .Lfunc_end293-_ZN12_GLOBAL__N_120geam_min_plus_kernelIDF16_Dv2_DF16_S1_Li8ELi32ELi64ELi128ELi4ELi4ELi64ELi4ELi64ELc84ELc78ELb0ELb1ELb0EDF16_KDF16_DF16_EEviiiT16_PT17_ilS5_ilS3_S5_ilPT18_ili26rocblas_geam_ex_operation_
                                        ; -- End function
	.section	.AMDGPU.csdata,"",@progbits
; Kernel info:
; codeLenInByte = 11320
; NumSgprs: 46
; NumVgprs: 120
; NumAgprs: 0
; TotalNumVgprs: 120
; ScratchSize: 0
; MemoryBound: 0
; FloatMode: 240
; IeeeMode: 1
; LDSByteSize: 3072 bytes/workgroup (compile time only)
; SGPRBlocks: 5
; VGPRBlocks: 14
; NumSGPRsForWavesPerEU: 46
; NumVGPRsForWavesPerEU: 120
; AccumOffset: 120
; Occupancy: 4
; WaveLimiterHint : 0
; COMPUTE_PGM_RSRC2:SCRATCH_EN: 0
; COMPUTE_PGM_RSRC2:USER_SGPR: 2
; COMPUTE_PGM_RSRC2:TRAP_HANDLER: 0
; COMPUTE_PGM_RSRC2:TGID_X_EN: 1
; COMPUTE_PGM_RSRC2:TGID_Y_EN: 0
; COMPUTE_PGM_RSRC2:TGID_Z_EN: 1
; COMPUTE_PGM_RSRC2:TIDIG_COMP_CNT: 1
; COMPUTE_PGM_RSRC3_GFX90A:ACCUM_OFFSET: 29
; COMPUTE_PGM_RSRC3_GFX90A:TG_SPLIT: 0
	.section	.text._ZN12_GLOBAL__N_120geam_min_plus_kernelIDF16_Dv2_DF16_S1_Li8ELi32ELi64ELi128ELi4ELi64ELi4ELi64ELi4ELc78ELc84ELb0ELb0ELb0EPKDF16_S2_DF16_EEviiiT16_PT17_ilS6_ilS4_S6_ilPT18_ili26rocblas_geam_ex_operation_,"axG",@progbits,_ZN12_GLOBAL__N_120geam_min_plus_kernelIDF16_Dv2_DF16_S1_Li8ELi32ELi64ELi128ELi4ELi64ELi4ELi64ELi4ELc78ELc84ELb0ELb0ELb0EPKDF16_S2_DF16_EEviiiT16_PT17_ilS6_ilS4_S6_ilPT18_ili26rocblas_geam_ex_operation_,comdat
	.globl	_ZN12_GLOBAL__N_120geam_min_plus_kernelIDF16_Dv2_DF16_S1_Li8ELi32ELi64ELi128ELi4ELi64ELi4ELi64ELi4ELc78ELc84ELb0ELb0ELb0EPKDF16_S2_DF16_EEviiiT16_PT17_ilS6_ilS4_S6_ilPT18_ili26rocblas_geam_ex_operation_ ; -- Begin function _ZN12_GLOBAL__N_120geam_min_plus_kernelIDF16_Dv2_DF16_S1_Li8ELi32ELi64ELi128ELi4ELi64ELi4ELi64ELi4ELc78ELc84ELb0ELb0ELb0EPKDF16_S2_DF16_EEviiiT16_PT17_ilS6_ilS4_S6_ilPT18_ili26rocblas_geam_ex_operation_
	.p2align	8
	.type	_ZN12_GLOBAL__N_120geam_min_plus_kernelIDF16_Dv2_DF16_S1_Li8ELi32ELi64ELi128ELi4ELi64ELi4ELi64ELi4ELc78ELc84ELb0ELb0ELb0EPKDF16_S2_DF16_EEviiiT16_PT17_ilS6_ilS4_S6_ilPT18_ili26rocblas_geam_ex_operation_,@function
_ZN12_GLOBAL__N_120geam_min_plus_kernelIDF16_Dv2_DF16_S1_Li8ELi32ELi64ELi128ELi4ELi64ELi4ELi64ELi4ELc78ELc84ELb0ELb0ELb0EPKDF16_S2_DF16_EEviiiT16_PT17_ilS6_ilS4_S6_ilPT18_ili26rocblas_geam_ex_operation_: ; @_ZN12_GLOBAL__N_120geam_min_plus_kernelIDF16_Dv2_DF16_S1_Li8ELi32ELi64ELi128ELi4ELi64ELi4ELi64ELi4ELc78ELc84ELb0ELb0ELb0EPKDF16_S2_DF16_EEviiiT16_PT17_ilS6_ilS4_S6_ilPT18_ili26rocblas_geam_ex_operation_
; %bb.0:
	s_load_dwordx4 s[16:19], s[0:1], 0x10
	s_load_dwordx4 s[8:11], s[0:1], 0x28
	s_mov_b32 s20, s3
	s_mov_b32 s21, 0
	s_lshl_b64 s[4:5], s[20:21], 1
	s_waitcnt lgkmcnt(0)
	s_add_u32 s6, s16, s4
	s_addc_u32 s7, s17, s5
	v_mov_b32_e32 v1, 0
	global_load_ushort v46, v1, s[6:7]
	s_load_dwordx4 s[12:15], s[0:1], 0x40
	s_load_dwordx2 s[22:23], s[0:1], 0x50
	s_mov_b64 s[16:17], 0
	s_waitcnt lgkmcnt(0)
	s_add_u32 s4, s14, s4
	s_addc_u32 s5, s15, s5
	s_mov_b64 s[14:15], 0
	s_waitcnt vmcnt(0)
	v_cmp_eq_f16_e32 vcc, 0, v46
	v_cmp_neq_f16_e64 s[6:7], 0, v46
	s_cbranch_vccnz .LBB294_2
; %bb.1:
	s_mul_i32 s3, s20, s9
	s_mul_hi_u32 s9, s20, s8
	s_add_i32 s9, s9, s3
	s_mul_i32 s8, s20, s8
	s_lshl_b64 s[8:9], s[8:9], 1
	s_add_u32 s14, s18, s8
	s_addc_u32 s15, s19, s9
.LBB294_2:
	global_load_ushort v36, v1, s[4:5]
	v_cndmask_b32_e64 v1, 0, 1, s[6:7]
	v_cmp_ne_u32_e64 s[4:5], 1, v1
	s_andn2_b64 vcc, exec, s[6:7]
	s_cbranch_vccnz .LBB294_4
; %bb.3:
	s_mul_i32 s3, s20, s13
	s_mul_hi_u32 s6, s20, s12
	s_add_i32 s7, s6, s3
	s_mul_i32 s6, s20, s12
	s_lshl_b64 s[6:7], s[6:7], 1
	s_add_u32 s16, s10, s6
	s_addc_u32 s17, s11, s7
.LBB294_4:
	s_load_dwordx4 s[8:11], s[0:1], 0x60
	s_waitcnt vmcnt(0)
	v_cmp_eq_f16_e32 vcc, 0, v36
	s_and_b64 s[6:7], exec, vcc
	s_mov_b64 vcc, s[6:7]
	s_cbranch_vccnz .LBB294_6
; %bb.5:
	s_waitcnt lgkmcnt(0)
	s_mul_i32 s3, s20, s9
	s_mul_hi_u32 s9, s20, s8
	s_add_i32 s9, s9, s3
	s_mul_i32 s8, s20, s8
	s_lshl_b64 s[8:9], s[8:9], 1
	s_add_u32 s8, s22, s8
	s_addc_u32 s9, s23, s9
	s_branch .LBB294_7
.LBB294_6:
	s_waitcnt lgkmcnt(0)
	s_mov_b64 s[8:9], 0
.LBB294_7:
	s_load_dword s3, s[0:1], 0x0
	s_load_dword s18, s[0:1], 0x20
	v_and_b32_e32 v47, 0x3ff, v0
	v_bfe_u32 v48, v0, 10, 10
	v_lshl_add_u32 v0, v48, 3, v47
	s_waitcnt lgkmcnt(0)
	s_add_i32 s3, s3, -1
	s_ashr_i32 s12, s3, 31
	s_lshr_b32 s12, s12, 26
	s_add_i32 s3, s3, s12
	s_ashr_i32 s3, s3, 6
	s_add_i32 s13, s3, 1
	v_cvt_f32_u32_e32 v1, s13
	s_not_b32 s3, s3
	s_ashr_i32 s19, s18, 31
	v_and_b32_e32 v5, 63, v0
	v_rcp_iflag_f32_e32 v1, v1
	v_lshrrev_b32_e32 v4, 6, v0
	v_mul_f32_e32 v1, 0x4f7ffffe, v1
	v_cvt_u32_f32_e32 v1, v1
	s_nop 0
	v_readfirstlane_b32 s12, v1
	s_mul_i32 s3, s3, s12
	s_mul_hi_u32 s3, s12, s3
	s_add_i32 s12, s12, s3
	s_mul_hi_u32 s3, s2, s12
	s_mul_i32 s12, s3, s13
	s_sub_i32 s12, s2, s12
	s_add_i32 s21, s3, 1
	s_sub_i32 s22, s12, s13
	s_cmp_ge_u32 s12, s13
	s_cselect_b32 s3, s21, s3
	s_cselect_b32 s12, s22, s12
	s_add_i32 s21, s3, 1
	s_cmp_ge_u32 s12, s13
	s_cselect_b32 s12, s21, s3
	s_mul_i32 s3, s12, s13
	s_sub_i32 s13, s2, s3
	s_lshl_b32 s21, s13, 6
	v_or_b32_e32 v0, s21, v5
	s_and_b64 vcc, exec, s[4:5]
	v_ashrrev_i32_e32 v1, 31, v0
	s_cbranch_vccnz .LBB294_9
; %bb.8:
	v_mad_i64_i32 v[2:3], s[22:23], s18, v4, 0
	v_lshl_add_u64 v[2:3], v[2:3], 1, s[14:15]
	v_lshl_add_u64 v[2:3], v[0:1], 1, v[2:3]
	flat_load_ushort v2, v[2:3]
	s_waitcnt vmcnt(0) lgkmcnt(0)
	v_mul_f16_e32 v6, v46, v2
	s_branch .LBB294_10
.LBB294_9:
	v_mov_b32_e32 v6, 0
.LBB294_10:
	s_load_dword s22, s[0:1], 0x38
	s_lshl_b32 s24, s12, 7
	v_or_b32_e32 v2, s24, v5
	s_and_b64 vcc, exec, s[4:5]
	v_ashrrev_i32_e32 v3, 31, v2
	s_waitcnt lgkmcnt(0)
	s_ashr_i32 s23, s22, 31
	s_cbranch_vccnz .LBB294_14
; %bb.11:
	v_mad_i64_i32 v[8:9], s[12:13], s22, v4, 0
	v_lshl_add_u64 v[8:9], v[8:9], 1, s[16:17]
	v_lshl_add_u64 v[8:9], v[2:3], 1, v[8:9]
	flat_load_ushort v7, v[8:9]
	flat_load_ushort v10, v[8:9] offset:128
	s_waitcnt vmcnt(0) lgkmcnt(0)
	v_mul_f16_e32 v7, v46, v7
	v_mul_f16_e32 v8, v46, v10
	s_and_b64 vcc, exec, s[4:5]
	v_add_u32_e32 v9, 4, v4
	s_cbranch_vccnz .LBB294_15
.LBB294_12:
	v_mad_i64_i32 v[10:11], s[12:13], s18, v9, 0
	v_lshl_add_u64 v[10:11], v[10:11], 1, s[14:15]
	v_lshl_add_u64 v[0:1], v[0:1], 1, v[10:11]
	flat_load_ushort v0, v[0:1]
	s_waitcnt vmcnt(0) lgkmcnt(0)
	v_mul_f16_e32 v0, v46, v0
	s_and_b64 vcc, exec, s[4:5]
	s_cbranch_vccnz .LBB294_16
.LBB294_13:
	v_mad_i64_i32 v[10:11], s[12:13], s22, v9, 0
	v_lshl_add_u64 v[10:11], v[10:11], 1, s[16:17]
	v_lshl_add_u64 v[2:3], v[2:3], 1, v[10:11]
	flat_load_ushort v1, v[2:3]
	flat_load_ushort v9, v[2:3] offset:128
	s_waitcnt vmcnt(0) lgkmcnt(0)
	v_mul_f16_e32 v1, v46, v1
	v_mul_f16_e32 v2, v46, v9
	s_branch .LBB294_17
.LBB294_14:
	v_mov_b32_e32 v7, 0
	v_mov_b32_e32 v8, 0
	s_and_b64 vcc, exec, s[4:5]
	v_add_u32_e32 v9, 4, v4
	s_cbranch_vccz .LBB294_12
.LBB294_15:
	v_mov_b32_e32 v0, 0
	s_and_b64 vcc, exec, s[4:5]
	s_cbranch_vccz .LBB294_13
.LBB294_16:
	v_mov_b32_e32 v1, 0
	v_mov_b32_e32 v2, 0
.LBB294_17:
	v_lshlrev_b32_e32 v3, 1, v4
	v_lshl_add_u32 v67, v5, 3, v3
	v_lshlrev_b32_e32 v57, 3, v47
	v_lshlrev_b32_e32 v58, 3, v48
	ds_write_b16 v67, v6 offset:2048
	ds_write_b16 v67, v7
	ds_write_b16 v67, v8 offset:512
	s_waitcnt lgkmcnt(0)
	s_barrier
	ds_read2_b64 v[6:9], v58 offset1:32
	v_add_u32_e32 v68, 0x800, v57
	ds_read2_b64 v[10:13], v68 offset0:48 offset1:56
	ds_read2_b64 v[14:17], v58 offset0:64 offset1:96
	ds_read2_b64 v[18:21], v68 offset1:8
	ds_read2_b64 v[22:25], v68 offset0:16 offset1:24
	ds_read2_b64 v[26:29], v68 offset0:32 offset1:40
	s_waitcnt lgkmcnt(5)
	v_pk_max_f16 v3, v6, v6
	s_waitcnt lgkmcnt(4)
	v_pk_max_f16 v6, v12, v12
	v_pk_max_f16 v8, v8, v8
	v_pk_min_f16 v12, v6, v3
	s_waitcnt lgkmcnt(3)
	v_pk_max_f16 v14, v14, v14
	s_waitcnt lgkmcnt(2)
	v_pk_max_f16 v18, v18, v18
	v_pk_max_f16 v16, v16, v16
	;; [unrolled: 1-line block ×3, first 2 shown]
	s_waitcnt lgkmcnt(1)
	v_pk_max_f16 v22, v22, v22
	v_pk_max_f16 v24, v24, v24
	s_waitcnt lgkmcnt(0)
	v_pk_max_f16 v26, v26, v26
	v_pk_max_f16 v7, v7, v7
	;; [unrolled: 1-line block ×5, first 2 shown]
	v_pk_min_f16 v30, v18, v3
	v_pk_min_f16 v31, v18, v8
	v_pk_min_f16 v32, v18, v14
	v_pk_min_f16 v18, v18, v16
	v_pk_min_f16 v33, v20, v3
	v_pk_min_f16 v34, v20, v8
	v_pk_min_f16 v35, v20, v14
	v_pk_min_f16 v20, v20, v16
	v_pk_min_f16 v37, v22, v3
	v_pk_min_f16 v38, v22, v8
	v_pk_min_f16 v39, v22, v14
	v_pk_min_f16 v22, v22, v16
	v_pk_min_f16 v41, v24, v3
	v_pk_min_f16 v42, v24, v8
	v_pk_min_f16 v44, v24, v14
	v_pk_min_f16 v24, v24, v16
	v_pk_min_f16 v49, v26, v3
	v_pk_max_f16 v9, v9, v9
	v_pk_min_f16 v51, v26, v8
	v_pk_min_f16 v53, v26, v14
	;; [unrolled: 1-line block ×14, first 2 shown]
	v_pk_add_f16 v12, v12, 0
	v_pk_min_f16 v16, v13, v7
	v_pk_max_f16 v15, v15, v15
	v_pk_add_f16 v66, v16, v12
	v_pk_add_f16 v12, v40, 0
	v_pk_min_f16 v16, v13, v9
	v_pk_max_f16 v19, v19, v19
	v_pk_add_f16 v56, v16, v12
	;; [unrolled: 4-line block ×5, first 2 shown]
	v_pk_add_f16 v12, v32, 0
	v_pk_min_f16 v16, v19, v15
	v_pk_min_f16 v31, v25, v7
	v_pk_add_f16 v54, v16, v12
	v_pk_add_f16 v12, v18, 0
	v_pk_min_f16 v16, v19, v17
	v_pk_add_f16 v19, v24, 0
	v_pk_add_f16 v43, v16, v12
	;; [unrolled: 1-line block ×3, first 2 shown]
	v_pk_min_f16 v16, v21, v7
	v_pk_add_f16 v24, v55, 0
	v_pk_add_f16 v73, v16, v12
	;; [unrolled: 1-line block ×3, first 2 shown]
	v_pk_min_f16 v16, v21, v9
	v_pk_max_f16 v11, v11, v11
	v_pk_add_f16 v62, v16, v12
	v_pk_add_f16 v12, v35, 0
	v_pk_min_f16 v16, v21, v15
	s_load_dword s25, s[0:1], 0x8
	v_pk_add_f16 v52, v16, v12
	v_pk_add_f16 v12, v20, 0
	v_pk_min_f16 v16, v21, v17
	v_pk_add_f16 v20, v49, 0
	v_pk_add_f16 v40, v16, v12
	v_pk_max_f16 v16, v23, v23
	v_pk_add_f16 v12, v37, 0
	v_pk_min_f16 v18, v16, v7
	v_pk_add_f16 v21, v51, 0
	v_pk_add_f16 v72, v18, v12
	v_pk_add_f16 v12, v38, 0
	v_pk_min_f16 v18, v16, v9
	v_pk_add_f16 v23, v26, 0
	v_pk_add_f16 v60, v18, v12
	;; [unrolled: 1-line block ×3, first 2 shown]
	v_pk_min_f16 v18, v16, v15
	v_pk_min_f16 v16, v16, v17
	v_pk_add_f16 v50, v18, v12
	v_pk_add_f16 v12, v22, 0
	;; [unrolled: 1-line block ×7, first 2 shown]
	v_pk_min_f16 v12, v25, v9
	v_pk_add_f16 v22, v53, 0
	v_pk_add_f16 v65, v12, v16
	v_pk_min_f16 v12, v25, v15
	v_pk_add_f16 v3, v3, 0
	v_pk_add_f16 v55, v12, v18
	v_pk_min_f16 v12, v25, v17
	v_pk_add_f16 v8, v8, 0
	v_pk_add_f16 v44, v12, v19
	v_pk_max_f16 v12, v27, v27
	v_pk_add_f16 v26, v59, 0
	v_pk_min_f16 v16, v12, v7
	v_pk_add_f16 v14, v14, 0
	v_pk_add_f16 v71, v16, v20
	v_pk_min_f16 v16, v12, v9
	v_pk_add_f16 v10, v10, 0
	v_pk_add_f16 v63, v16, v21
	v_pk_min_f16 v16, v12, v15
	v_pk_min_f16 v12, v12, v17
	v_pk_add_f16 v53, v16, v22
	v_pk_add_f16 v41, v12, v23
	v_pk_max_f16 v12, v29, v29
	v_pk_add_f16 v30, v61, 0
	v_pk_min_f16 v16, v12, v7
	v_pk_min_f16 v7, v11, v7
	v_pk_add_f16 v70, v16, v24
	v_pk_add_f16 v69, v7, v3
	v_pk_min_f16 v3, v11, v9
	v_pk_min_f16 v16, v12, v9
	v_pk_add_f16 v59, v3, v8
	v_pk_min_f16 v3, v11, v15
	v_pk_add_f16 v28, v28, 0
	v_pk_add_f16 v49, v3, v14
	v_pk_min_f16 v3, v11, v17
	v_pk_add_f16 v6, v6, 0
	v_pk_add_f16 v61, v16, v26
	v_pk_min_f16 v16, v12, v15
	v_pk_min_f16 v12, v12, v17
	v_pk_add_f16 v42, v3, v10
	v_pk_min_f16 v3, v13, v17
	v_pk_add_f16 v51, v16, v30
	v_pk_add_f16 v38, v12, v28
	;; [unrolled: 1-line block ×3, first 2 shown]
	s_waitcnt lgkmcnt(0)
	s_cmp_lt_i32 s25, 9
	ds_write_b16 v67, v0 offset:2560
	ds_write_b16 v67, v1 offset:1024
	ds_write_b16 v67, v2 offset:1536
	s_waitcnt lgkmcnt(0)
	s_barrier
	s_cbranch_scc1 .LBB294_31
; %bb.18:
	v_mov_b32_e32 v0, 0xa00
	v_lshl_add_u32 v79, v47, 3, v0
	v_mov_b32_e32 v0, 0x400
	v_add_u32_e32 v2, 12, v4
	v_lshl_add_u32 v80, v48, 3, v0
	v_mad_i64_i32 v[0:1], s[12:13], v2, s22, 0
	v_lshlrev_b64 v[24:25], 1, v[0:1]
	v_add_u32_e32 v0, s24, v5
	v_ashrrev_i32_e32 v1, 31, v0
	v_lshl_add_u64 v[26:27], v[0:1], 1, s[16:17]
	v_mad_i64_i32 v[0:1], s[16:17], v2, s18, 0
	v_lshlrev_b64 v[28:29], 1, v[0:1]
	v_lshl_or_b32 v0, s2, 6, v5
	s_lshl_b32 s2, s3, 6
	v_subrev_u32_e32 v0, s2, v0
	v_ashrrev_i32_e32 v1, 31, v0
	v_add_u32_e32 v2, 8, v4
	v_lshl_add_u64 v[30:31], v[0:1], 1, s[14:15]
	v_mad_i64_i32 v[0:1], s[14:15], v2, s22, 0
	v_lshlrev_b64 v[32:33], 1, v[0:1]
	v_mad_i64_i32 v[0:1], s[14:15], v2, s18, 0
	v_or_b32_e32 v76, 0x800, v67
	v_add_u32_e32 v77, 0xa00, v67
	v_or_b32_e32 v78, 0x400, v67
	s_add_i32 s25, s25, -8
	s_lshl_b64 s[12:13], s[22:23], 4
	s_lshl_b64 s[2:3], s[18:19], 4
	v_lshlrev_b64 v[34:35], 1, v[0:1]
	s_mov_b32 s14, 0
	s_branch .LBB294_21
.LBB294_19:                             ;   in Loop: Header=BB294_21 Depth=1
	v_lshl_add_u64 v[0:1], v[26:27], 0, v[24:25]
	flat_load_ushort v124, v[0:1]
	flat_load_ushort v125, v[0:1] offset:128
	s_waitcnt vmcnt(0) lgkmcnt(0)
	v_mul_f16_e32 v0, v46, v124
	v_mul_f16_e32 v1, v46, v125
.LBB294_20:                             ;   in Loop: Header=BB294_21 Depth=1
	v_pk_add_f16 v20, v20, v56
	v_pk_add_f16 v12, v12, v45
	;; [unrolled: 1-line block ×17, first 2 shown]
	ds_read2_b64 v[8:11], v68 offset0:48 offset1:56
	ds_read2_b64 v[12:15], v58 offset1:32
	v_pk_add_f16 v16, v16, v75
	v_pk_add_f16 v4, v4, v71
	;; [unrolled: 1-line block ×3, first 2 shown]
	s_waitcnt lgkmcnt(1)
	v_pk_max_f16 v10, v10, v10
	s_waitcnt lgkmcnt(0)
	v_pk_max_f16 v12, v12, v12
	v_pk_add_f16 v18, v18, v73
	v_pk_add_f16 v54, v86, v60
	;; [unrolled: 1-line block ×9, first 2 shown]
	ds_read2_b64 v[2:5], v58 offset0:64 offset1:96
	v_pk_min_f16 v16, v10, v12
	v_pk_add_f16 v56, v89, v65
	v_pk_add_f16 v65, v19, v18
	;; [unrolled: 1-line block ×4, first 2 shown]
	ds_read2_b64 v[16:19], v68 offset1:8
	v_pk_max_f16 v14, v14, v14
	s_waitcnt lgkmcnt(1)
	v_pk_max_f16 v2, v2, v2
	v_pk_min_f16 v63, v10, v14
	v_pk_add_f16 v43, v104, v43
	v_pk_add_f16 v63, v63, v20
	v_pk_min_f16 v20, v10, v2
	s_waitcnt lgkmcnt(0)
	v_pk_max_f16 v16, v16, v16
	v_pk_add_f16 v71, v20, v21
	v_pk_min_f16 v20, v16, v12
	v_pk_max_f16 v18, v18, v18
	v_pk_add_f16 v64, v20, v64
	v_pk_min_f16 v20, v16, v14
	v_pk_add_f16 v40, v85, v40
	v_pk_add_f16 v72, v20, v22
	v_pk_min_f16 v20, v16, v2
	v_pk_max_f16 v4, v4, v4
	v_pk_add_f16 v73, v20, v23
	v_pk_min_f16 v20, v18, v12
	v_pk_add_f16 v40, v106, v40
	v_pk_add_f16 v65, v20, v65
	v_pk_min_f16 v20, v18, v14
	v_pk_add_f16 v52, v84, v52
	v_pk_add_f16 v74, v20, v43
	ds_read2_b64 v[20:23], v68 offset0:16 offset1:24
	v_pk_min_f16 v43, v18, v2
	v_pk_min_f16 v18, v18, v4
	v_pk_add_f16 v39, v88, v39
	v_pk_add_f16 v18, v18, v40
	s_waitcnt lgkmcnt(0)
	v_pk_max_f16 v20, v20, v20
	v_pk_add_f16 v54, v107, v54
	v_pk_min_f16 v40, v20, v12
	ds_read2_b64 v[82:85], v68 offset0:32 offset1:40
	v_pk_add_f16 v86, v40, v66
	v_pk_min_f16 v40, v20, v14
	v_pk_add_f16 v50, v87, v50
	v_pk_add_f16 v39, v109, v39
	;; [unrolled: 1-line block ×3, first 2 shown]
	v_pk_min_f16 v40, v20, v2
	v_pk_min_f16 v20, v20, v4
	v_pk_max_f16 v22, v22, v22
	v_pk_add_f16 v20, v20, v39
	v_pk_min_f16 v39, v22, v12
	v_pk_add_f16 v55, v90, v55
	v_pk_add_f16 v56, v110, v56
	;; [unrolled: 1-line block ×3, first 2 shown]
	v_pk_min_f16 v39, v22, v14
	v_pk_add_f16 v55, v111, v55
	v_pk_add_f16 v88, v39, v56
	v_pk_min_f16 v39, v22, v2
	v_pk_add_f16 v50, v108, v50
	v_pk_add_f16 v55, v39, v55
	s_waitcnt lgkmcnt(0)
	v_pk_max_f16 v39, v82, v82
	v_pk_add_f16 v50, v40, v50
	v_pk_min_f16 v40, v39, v12
	v_pk_add_f16 v41, v94, v41
	v_pk_add_f16 v60, v114, v60
	;; [unrolled: 1-line block ×3, first 2 shown]
	v_pk_min_f16 v40, v39, v14
	v_pk_add_f16 v53, v93, v53
	v_pk_add_f16 v41, v116, v41
	;; [unrolled: 1-line block ×3, first 2 shown]
	v_pk_min_f16 v40, v39, v2
	v_pk_min_f16 v39, v39, v4
	v_pk_add_f16 v53, v115, v53
	v_pk_add_f16 v41, v39, v41
	v_pk_max_f16 v39, v84, v84
	v_pk_add_f16 v61, v95, v61
	v_pk_add_f16 v6, v117, v6
	;; [unrolled: 1-line block ×3, first 2 shown]
	v_pk_min_f16 v40, v39, v12
	v_pk_add_f16 v61, v118, v61
	v_pk_add_f16 v6, v40, v6
	v_pk_min_f16 v40, v39, v14
	v_pk_max_f16 v8, v8, v8
	v_pk_min_f16 v16, v16, v4
	v_pk_min_f16 v22, v22, v4
	v_pk_add_f16 v61, v40, v61
	v_pk_min_f16 v40, v39, v2
	v_pk_min_f16 v39, v39, v4
	;; [unrolled: 1-line block ×7, first 2 shown]
	v_pk_max_f16 v10, v13, v13
	v_pk_add_f16 v4, v4, v7
	v_pk_max_f16 v7, v11, v11
	v_pk_max_f16 v3, v3, v3
	v_pk_min_f16 v11, v7, v10
	v_pk_add_f16 v16, v16, v45
	v_pk_add_f16 v66, v11, v37
	v_pk_max_f16 v11, v15, v15
	v_pk_max_f16 v5, v5, v5
	v_pk_min_f16 v13, v7, v11
	v_pk_add_f16 v52, v105, v52
	v_pk_add_f16 v56, v13, v63
	v_pk_min_f16 v13, v7, v3
	v_pk_add_f16 v52, v43, v52
	v_pk_add_f16 v45, v13, v71
	v_pk_max_f16 v13, v17, v17
	v_pk_add_f16 v51, v96, v51
	v_pk_min_f16 v15, v13, v10
	v_pk_add_f16 v62, v121, v62
	v_pk_add_f16 v75, v15, v64
	v_pk_min_f16 v15, v13, v11
	v_pk_add_f16 v51, v119, v51
	v_pk_add_f16 v64, v15, v72
	v_pk_min_f16 v15, v13, v3
	v_pk_min_f16 v13, v13, v5
	v_pk_add_f16 v54, v15, v73
	v_pk_add_f16 v43, v13, v16
	v_pk_max_f16 v13, v19, v19
	v_pk_add_f16 v12, v12, v62
	v_pk_min_f16 v15, v13, v10
	v_pk_add_f16 v51, v40, v51
	v_pk_add_f16 v73, v15, v65
	v_pk_min_f16 v15, v13, v11
	v_pk_add_f16 v38, v97, v38
	v_pk_add_f16 v62, v15, v74
	v_pk_min_f16 v15, v13, v3
	;; [unrolled: 12-line block ×6, first 2 shown]
	s_add_i32 s14, s14, 8
	v_pk_add_f16 v51, v6, v51
	v_pk_min_f16 v6, v13, v5
	v_lshl_add_u64 v[26:27], v[26:27], 0, s[12:13]
	v_pk_add_f16 v38, v6, v38
	v_pk_max_f16 v6, v9, v9
	s_cmp_ge_i32 s14, s25
	v_pk_min_f16 v3, v6, v3
	v_pk_min_f16 v9, v6, v10
	v_pk_add_f16 v49, v3, v2
	v_pk_min_f16 v2, v6, v5
	v_pk_add_f16 v69, v9, v12
	v_pk_min_f16 v9, v6, v11
	v_pk_add_f16 v42, v2, v8
	v_pk_min_f16 v2, v7, v5
	v_pk_add_f16 v59, v9, v14
	v_pk_add_f16 v37, v2, v4
	v_lshl_add_u64 v[30:31], v[30:31], 0, s[2:3]
	ds_write_b16 v77, v81
	ds_write_b16 v78, v0
	ds_write_b16 v78, v1 offset:512
	s_waitcnt lgkmcnt(0)
	s_barrier
	s_cbranch_scc1 .LBB294_31
.LBB294_21:                             ; =>This Inner Loop Header: Depth=1
	s_and_b64 vcc, exec, s[4:5]
	s_cbranch_vccnz .LBB294_24
; %bb.22:                               ;   in Loop: Header=BB294_21 Depth=1
	v_lshl_add_u64 v[0:1], v[30:31], 0, v[34:35]
	flat_load_ushort v0, v[0:1]
	s_waitcnt vmcnt(0) lgkmcnt(0)
	v_mul_f16_e32 v81, v46, v0
	s_and_b64 vcc, exec, s[4:5]
	s_cbranch_vccnz .LBB294_25
.LBB294_23:                             ;   in Loop: Header=BB294_21 Depth=1
	v_lshl_add_u64 v[0:1], v[26:27], 0, v[32:33]
	flat_load_ushort v2, v[0:1]
	flat_load_ushort v3, v[0:1] offset:128
	s_waitcnt vmcnt(0) lgkmcnt(0)
	v_mul_f16_e32 v82, v46, v2
	v_mul_f16_e32 v83, v46, v3
	s_branch .LBB294_26
.LBB294_24:                             ;   in Loop: Header=BB294_21 Depth=1
	v_mov_b32_e32 v81, 0
	s_and_b64 vcc, exec, s[4:5]
	s_cbranch_vccz .LBB294_23
.LBB294_25:                             ;   in Loop: Header=BB294_21 Depth=1
	v_mov_b32_e32 v82, 0
	v_mov_b32_e32 v83, 0
.LBB294_26:                             ;   in Loop: Header=BB294_21 Depth=1
	ds_read2_b64 v[0:3], v79 offset0:48 offset1:56
	ds_read2_b64 v[12:15], v80 offset0:64 offset1:96
	ds_read2_b64 v[20:23], v80 offset1:32
	ds_read2_b64 v[16:19], v79 offset1:8
	ds_read2_b64 v[8:11], v79 offset0:16 offset1:24
	ds_read2_b64 v[4:7], v79 offset0:32 offset1:40
	s_and_b64 vcc, exec, s[4:5]
	ds_write_b16 v76, v81
	ds_write_b16 v67, v82
	ds_write_b16 v67, v83 offset:512
	s_waitcnt lgkmcnt(0)
	s_barrier
	s_cbranch_vccnz .LBB294_28
; %bb.27:                               ;   in Loop: Header=BB294_21 Depth=1
	v_lshl_add_u64 v[82:83], v[30:31], 0, v[28:29]
	flat_load_ushort v81, v[82:83]
	s_waitcnt vmcnt(0) lgkmcnt(0)
	v_mul_f16_e32 v81, v46, v81
	s_branch .LBB294_29
.LBB294_28:                             ;   in Loop: Header=BB294_21 Depth=1
	v_mov_b32_e32 v81, 0
.LBB294_29:                             ;   in Loop: Header=BB294_21 Depth=1
	v_pk_max_f16 v102, v2, v2
	v_pk_max_f16 v98, v20, v20
	;; [unrolled: 1-line block ×17, first 2 shown]
	v_pk_min_f16 v2, v102, v98
	v_pk_min_f16 v20, v102, v99
	v_pk_min_f16 v12, v102, v100
	v_pk_min_f16 v16, v83, v98
	v_pk_min_f16 v22, v83, v99
	v_pk_min_f16 v82, v83, v100
	v_pk_min_f16 v14, v83, v103
	v_pk_min_f16 v18, v85, v98
	v_pk_min_f16 v83, v85, v99
	v_pk_min_f16 v84, v85, v100
	v_pk_min_f16 v8, v88, v98
	v_pk_min_f16 v86, v88, v99
	v_pk_min_f16 v87, v88, v100
	v_pk_min_f16 v10, v91, v98
	v_pk_min_f16 v89, v91, v99
	v_pk_min_f16 v90, v91, v100
	v_pk_min_f16 v4, v94, v98
	v_pk_min_f16 v92, v94, v99
	v_pk_min_f16 v93, v94, v100
	v_pk_min_f16 v6, v97, v98
	v_pk_min_f16 v95, v97, v99
	v_pk_min_f16 v96, v97, v100
	v_pk_min_f16 v98, v0, v98
	v_pk_min_f16 v99, v0, v99
	v_pk_min_f16 v100, v0, v100
	v_pk_min_f16 v101, v0, v103
	v_pk_max_f16 v0, v3, v3
	v_pk_max_f16 v104, v17, v17
	;; [unrolled: 1-line block ×5, first 2 shown]
	v_pk_min_f16 v113, v5, v121
	v_pk_min_f16 v114, v5, v122
	;; [unrolled: 1-line block ×4, first 2 shown]
	v_pk_max_f16 v5, v7, v7
	v_pk_max_f16 v1, v1, v1
	v_pk_min_f16 v85, v85, v103
	v_pk_min_f16 v88, v88, v103
	;; [unrolled: 1-line block ×33, first 2 shown]
	s_and_b64 vcc, exec, s[4:5]
	v_pk_min_f16 v7, v0, v124
	s_cbranch_vccz .LBB294_19
; %bb.30:                               ;   in Loop: Header=BB294_21 Depth=1
	v_mov_b32_e32 v0, 0
	v_mov_b32_e32 v1, 0
	s_branch .LBB294_20
.LBB294_31:
	s_load_dword s12, s[0:1], 0x58
	ds_read_b64 v[20:21], v58 offset:1024
	ds_read_b64 v[26:27], v57 offset:2560
	v_add_u32_e32 v28, s24, v48
	v_cmp_neq_f16_e64 s[4:5], 0, v36
	v_add_u32_e32 v16, s21, v47
	s_waitcnt lgkmcnt(0)
	v_mad_i64_i32 v[0:1], s[2:3], v28, s12, 0
	v_ashrrev_i32_e32 v17, 31, v16
	v_lshl_add_u64 v[22:23], v[0:1], 1, s[8:9]
	s_and_b64 vcc, exec, s[4:5]
	v_mov_b32_e32 v33, 0
	v_mov_b32_e32 v31, 0
	s_cbranch_vccz .LBB294_33
; %bb.32:
	v_lshl_add_u64 v[0:1], v[16:17], 1, v[22:23]
	flat_load_ushort v0, v[0:1]
	s_waitcnt vmcnt(0) lgkmcnt(0)
	v_mul_f16_e32 v31, v36, v0
.LBB294_33:
	ds_read_b64 v[24:25], v57 offset:3008
	ds_read_b64 v[18:19], v58 offset:1792
	ds_read2_b64 v[0:3], v58 offset0:160 offset1:192
	s_load_dword s13, s[0:1], 0x70
	s_load_dwordx2 s[2:3], s[0:1], 0x78
	v_pk_max_f16 v76, v20, v20
	v_pk_max_f16 v29, v26, v26
	v_add_u32_e32 v4, 0x800, v57
	v_pk_min_f16 v20, v29, v76
	s_waitcnt lgkmcnt(0)
	s_mul_i32 s0, s20, s3
	s_mul_hi_u32 s1, s20, s2
	ds_read2_b64 v[12:15], v4 offset0:72 offset1:80
	ds_read2_b64 v[8:11], v4 offset0:88 offset1:96
	;; [unrolled: 1-line block ×3, first 2 shown]
	s_add_i32 s1, s1, s0
	s_mul_i32 s0, s20, s2
	v_pk_add_f16 v20, v20, v75
	v_pk_max_f16 v75, v21, v21
	v_pk_max_f16 v30, v27, v27
	s_lshl_b64 s[0:1], s[0:1], 1
	v_pk_min_f16 v21, v30, v75
	s_add_u32 s2, s10, s0
	v_pk_add_f16 v32, v21, v20
	s_addc_u32 s3, s11, s1
	v_mad_i64_i32 v[26:27], s[0:1], v28, s13, 0
	v_add_f16_sdwa v32, v32, v32 dst_sel:DWORD dst_unused:UNUSED_PAD src0_sel:DWORD src1_sel:WORD_1
	v_add_u32_e32 v20, 8, v16
	v_lshl_add_u64 v[26:27], v[26:27], 1, s[2:3]
	v_add_f16_e32 v31, v32, v31
	v_cndmask_b32_e64 v32, 0, 1, s[4:5]
	v_ashrrev_i32_e32 v21, 31, v20
	v_lshl_add_u64 v[34:35], v[16:17], 1, v[26:27]
	v_cmp_ne_u32_e64 s[0:1], 1, v32
	s_andn2_b64 vcc, exec, s[4:5]
	global_store_short v[34:35], v31, off
	s_cbranch_vccnz .LBB294_35
; %bb.34:
	v_lshl_add_u64 v[32:33], v[20:21], 1, v[22:23]
	flat_load_ushort v31, v[32:33]
	s_waitcnt vmcnt(0) lgkmcnt(0)
	v_mul_f16_e32 v33, v36, v31
.LBB294_35:
	s_waitcnt lgkmcnt(2)
	v_pk_max_f16 v31, v12, v12
	v_pk_max_f16 v32, v13, v13
	v_pk_min_f16 v12, v31, v76
	v_pk_min_f16 v13, v32, v75
	v_pk_add_f16 v12, v12, v73
	s_and_b64 vcc, exec, s[0:1]
	v_pk_add_f16 v12, v13, v12
	v_mov_b32_e32 v47, 0
	v_add_f16_sdwa v34, v12, v12 dst_sel:DWORD dst_unused:UNUSED_PAD src0_sel:DWORD src1_sel:WORD_1
	v_add_u32_e32 v12, 16, v16
	v_add_f16_e32 v33, v34, v33
	v_lshl_add_u64 v[34:35], v[20:21], 1, v[26:27]
	v_ashrrev_i32_e32 v13, 31, v12
	global_store_short v[34:35], v33, off
	v_mov_b32_e32 v35, 0
	s_cbranch_vccnz .LBB294_37
; %bb.36:
	v_lshl_add_u64 v[34:35], v[12:13], 1, v[22:23]
	flat_load_ushort v33, v[34:35]
	s_waitcnt vmcnt(0) lgkmcnt(0)
	v_mul_f16_e32 v35, v36, v33
.LBB294_37:
	v_pk_max_f16 v33, v14, v14
	v_pk_max_f16 v34, v15, v15
	v_pk_min_f16 v14, v33, v76
	v_pk_min_f16 v15, v34, v75
	v_pk_add_f16 v14, v14, v72
	v_lshl_add_u64 v[72:73], v[12:13], 1, v[26:27]
	v_pk_add_f16 v14, v15, v14
	s_and_b64 vcc, exec, s[0:1]
	v_add_f16_sdwa v46, v14, v14 dst_sel:DWORD dst_unused:UNUSED_PAD src0_sel:DWORD src1_sel:WORD_1
	v_add_u32_e32 v14, 24, v16
	v_ashrrev_i32_e32 v15, 31, v14
	v_add_f16_e32 v35, v46, v35
	global_store_short v[72:73], v35, off
	s_cbranch_vccnz .LBB294_39
; %bb.38:
	v_lshl_add_u64 v[46:47], v[14:15], 1, v[22:23]
	flat_load_ushort v35, v[46:47]
	s_waitcnt vmcnt(0) lgkmcnt(0)
	v_mul_f16_e32 v47, v36, v35
.LBB294_39:
	s_waitcnt lgkmcnt(1)
	v_pk_max_f16 v35, v8, v8
	v_pk_max_f16 v46, v9, v9
	v_pk_min_f16 v8, v35, v76
	v_pk_min_f16 v9, v46, v75
	v_pk_add_f16 v8, v8, v74
	v_lshl_add_u64 v[72:73], v[14:15], 1, v[26:27]
	v_pk_add_f16 v8, v9, v8
	s_and_b64 vcc, exec, s[0:1]
	v_add_f16_sdwa v48, v8, v8 dst_sel:DWORD dst_unused:UNUSED_PAD src0_sel:DWORD src1_sel:WORD_1
	v_add_u32_e32 v8, 32, v16
	v_ashrrev_i32_e32 v9, 31, v8
	v_add_f16_e32 v47, v48, v47
	v_mov_b32_e32 v67, 0
	v_mov_b32_e32 v57, 0
	global_store_short v[72:73], v47, off
	s_cbranch_vccnz .LBB294_41
; %bb.40:
	v_lshl_add_u64 v[72:73], v[8:9], 1, v[22:23]
	flat_load_ushort v47, v[72:73]
	s_waitcnt vmcnt(0) lgkmcnt(0)
	v_mul_f16_e32 v57, v36, v47
.LBB294_41:
	v_pk_max_f16 v47, v10, v10
	v_pk_max_f16 v48, v11, v11
	v_pk_min_f16 v10, v47, v76
	v_pk_min_f16 v11, v48, v75
	v_pk_add_f16 v10, v10, v71
	v_lshl_add_u64 v[72:73], v[8:9], 1, v[26:27]
	v_pk_add_f16 v10, v11, v10
	s_and_b64 vcc, exec, s[0:1]
	v_add_f16_sdwa v58, v10, v10 dst_sel:DWORD dst_unused:UNUSED_PAD src0_sel:DWORD src1_sel:WORD_1
	v_add_u32_e32 v10, 40, v16
	v_ashrrev_i32_e32 v11, 31, v10
	v_add_f16_e32 v57, v58, v57
	global_store_short v[72:73], v57, off
	s_cbranch_vccnz .LBB294_43
; %bb.42:
	v_lshl_add_u64 v[72:73], v[10:11], 1, v[22:23]
	flat_load_ushort v57, v[72:73]
	s_waitcnt vmcnt(0) lgkmcnt(0)
	v_mul_f16_e32 v67, v36, v57
.LBB294_43:
	s_waitcnt lgkmcnt(0)
	v_pk_max_f16 v57, v4, v4
	v_pk_max_f16 v58, v5, v5
	v_pk_min_f16 v4, v57, v76
	v_pk_min_f16 v5, v58, v75
	v_pk_add_f16 v4, v4, v70
	v_lshl_add_u64 v[70:71], v[10:11], 1, v[26:27]
	v_pk_add_f16 v4, v5, v4
	s_and_b64 vcc, exec, s[0:1]
	v_add_f16_sdwa v68, v4, v4 dst_sel:DWORD dst_unused:UNUSED_PAD src0_sel:DWORD src1_sel:WORD_1
	v_add_u32_e32 v4, 48, v16
	v_add_f16_e32 v67, v68, v67
	v_ashrrev_i32_e32 v5, 31, v4
	global_store_short v[70:71], v67, off
	v_mov_b32_e32 v70, 0
	v_mov_b32_e32 v71, 0
	s_cbranch_vccnz .LBB294_45
; %bb.44:
	v_lshl_add_u64 v[72:73], v[4:5], 1, v[22:23]
	flat_load_ushort v67, v[72:73]
	s_waitcnt vmcnt(0) lgkmcnt(0)
	v_mul_f16_e32 v71, v36, v67
.LBB294_45:
	v_pk_max_f16 v67, v6, v6
	v_pk_max_f16 v68, v7, v7
	v_pk_min_f16 v6, v67, v76
	v_pk_min_f16 v7, v68, v75
	v_pk_add_f16 v6, v6, v69
	v_lshl_add_u64 v[72:73], v[4:5], 1, v[26:27]
	v_pk_add_f16 v6, v7, v6
	s_and_b64 vcc, exec, s[0:1]
	v_add_f16_sdwa v69, v6, v6 dst_sel:DWORD dst_unused:UNUSED_PAD src0_sel:DWORD src1_sel:WORD_1
	v_add_u32_e32 v6, 56, v16
	v_ashrrev_i32_e32 v7, 31, v6
	v_add_f16_e32 v69, v69, v71
	global_store_short v[72:73], v69, off
	s_cbranch_vccnz .LBB294_47
; %bb.46:
	v_lshl_add_u64 v[22:23], v[6:7], 1, v[22:23]
	flat_load_ushort v22, v[22:23]
	s_waitcnt vmcnt(0) lgkmcnt(0)
	v_mul_f16_e32 v70, v36, v22
.LBB294_47:
	v_pk_max_f16 v24, v24, v24
	v_pk_max_f16 v25, v25, v25
	v_pk_min_f16 v22, v24, v76
	v_pk_min_f16 v23, v25, v75
	v_pk_add_f16 v22, v22, v66
	v_add_u32_e32 v69, 32, v28
	v_pk_add_f16 v22, v23, v22
	s_and_b64 vcc, exec, s[0:1]
	v_add_f16_sdwa v22, v22, v22 dst_sel:DWORD dst_unused:UNUSED_PAD src0_sel:DWORD src1_sel:WORD_1
	v_add_f16_e32 v66, v22, v70
	v_lshl_add_u64 v[22:23], v[6:7], 1, v[26:27]
	global_store_short v[22:23], v66, off
	v_mad_i64_i32 v[22:23], s[4:5], v69, s12, 0
	v_lshl_add_u64 v[22:23], v[22:23], 1, s[8:9]
	v_mov_b32_e32 v66, 0
	v_mov_b32_e32 v70, 0
	s_cbranch_vccnz .LBB294_49
; %bb.48:
	v_lshl_add_u64 v[26:27], v[16:17], 1, v[22:23]
	flat_load_ushort v26, v[26:27]
	s_waitcnt vmcnt(0) lgkmcnt(0)
	v_mul_f16_e32 v70, v36, v26
.LBB294_49:
	v_pk_max_f16 v26, v0, v0
	v_pk_max_f16 v27, v1, v1
	v_pk_min_f16 v0, v29, v26
	v_pk_min_f16 v1, v30, v27
	v_pk_add_f16 v0, v0, v64
	s_and_b64 vcc, exec, s[0:1]
	v_pk_add_f16 v64, v1, v0
	v_mad_i64_i32 v[0:1], s[4:5], v69, s13, 0
	v_lshl_add_u64 v[0:1], v[0:1], 1, s[2:3]
	v_add_f16_sdwa v64, v64, v64 dst_sel:DWORD dst_unused:UNUSED_PAD src0_sel:DWORD src1_sel:WORD_1
	v_add_f16_e32 v64, v64, v70
	v_lshl_add_u64 v[70:71], v[16:17], 1, v[0:1]
	global_store_short v[70:71], v64, off
	s_cbranch_vccnz .LBB294_51
; %bb.50:
	v_lshl_add_u64 v[70:71], v[20:21], 1, v[22:23]
	flat_load_ushort v64, v[70:71]
	s_waitcnt vmcnt(0) lgkmcnt(0)
	v_mul_f16_e32 v66, v36, v64
.LBB294_51:
	v_pk_min_f16 v64, v31, v26
	v_lshl_add_u64 v[70:71], v[20:21], 1, v[0:1]
	v_pk_add_f16 v62, v64, v62
	v_pk_min_f16 v64, v32, v27
	s_and_b64 vcc, exec, s[0:1]
	v_pk_add_f16 v62, v64, v62
	v_mov_b32_e32 v64, 0
	v_add_f16_sdwa v62, v62, v62 dst_sel:DWORD dst_unused:UNUSED_PAD src0_sel:DWORD src1_sel:WORD_1
	v_add_f16_e32 v62, v62, v66
	global_store_short v[70:71], v62, off
	v_mov_b32_e32 v62, 0
	s_cbranch_vccnz .LBB294_53
; %bb.52:
	v_lshl_add_u64 v[70:71], v[12:13], 1, v[22:23]
	flat_load_ushort v64, v[70:71]
	s_waitcnt vmcnt(0) lgkmcnt(0)
	v_mul_f16_e32 v64, v36, v64
.LBB294_53:
	v_pk_min_f16 v66, v33, v26
	v_lshl_add_u64 v[70:71], v[12:13], 1, v[0:1]
	v_pk_add_f16 v60, v66, v60
	v_pk_min_f16 v66, v34, v27
	s_and_b64 vcc, exec, s[0:1]
	v_pk_add_f16 v60, v66, v60
	s_nop 0
	v_add_f16_sdwa v60, v60, v60 dst_sel:DWORD dst_unused:UNUSED_PAD src0_sel:DWORD src1_sel:WORD_1
	v_add_f16_e32 v60, v60, v64
	global_store_short v[70:71], v60, off
	s_cbranch_vccnz .LBB294_55
; %bb.54:
	v_lshl_add_u64 v[70:71], v[14:15], 1, v[22:23]
	flat_load_ushort v60, v[70:71]
	s_waitcnt vmcnt(0) lgkmcnt(0)
	v_mul_f16_e32 v62, v36, v60
.LBB294_55:
	v_pk_min_f16 v60, v35, v26
	v_pk_min_f16 v64, v46, v27
	v_pk_add_f16 v60, v60, v65
	s_and_b64 vcc, exec, s[0:1]
	v_pk_add_f16 v60, v64, v60
	v_lshl_add_u64 v[64:65], v[14:15], 1, v[0:1]
	v_add_f16_sdwa v60, v60, v60 dst_sel:DWORD dst_unused:UNUSED_PAD src0_sel:DWORD src1_sel:WORD_1
	v_add_f16_e32 v60, v60, v62
	global_store_short v[64:65], v60, off
	v_mov_b32_e32 v60, 0
	v_mov_b32_e32 v62, 0
	s_cbranch_vccnz .LBB294_57
; %bb.56:
	v_lshl_add_u64 v[64:65], v[8:9], 1, v[22:23]
	flat_load_ushort v62, v[64:65]
	s_waitcnt vmcnt(0) lgkmcnt(0)
	v_mul_f16_e32 v62, v36, v62
.LBB294_57:
	v_pk_min_f16 v64, v47, v26
	s_and_b64 vcc, exec, s[0:1]
	v_pk_add_f16 v63, v64, v63
	v_pk_min_f16 v64, v48, v27
	s_nop 0
	v_pk_add_f16 v63, v64, v63
	s_nop 0
	v_add_f16_sdwa v63, v63, v63 dst_sel:DWORD dst_unused:UNUSED_PAD src0_sel:DWORD src1_sel:WORD_1
	v_add_f16_e32 v64, v63, v62
	v_lshl_add_u64 v[62:63], v[8:9], 1, v[0:1]
	global_store_short v[62:63], v64, off
	s_cbranch_vccnz .LBB294_59
; %bb.58:
	v_lshl_add_u64 v[62:63], v[10:11], 1, v[22:23]
	flat_load_ushort v60, v[62:63]
	s_waitcnt vmcnt(0) lgkmcnt(0)
	v_mul_f16_e32 v60, v36, v60
.LBB294_59:
	v_pk_min_f16 v62, v57, v26
	s_and_b64 vcc, exec, s[0:1]
	v_pk_add_f16 v61, v62, v61
	v_pk_min_f16 v62, v58, v27
	s_nop 0
	v_pk_add_f16 v61, v62, v61
	s_nop 0
	v_add_f16_sdwa v61, v61, v61 dst_sel:DWORD dst_unused:UNUSED_PAD src0_sel:DWORD src1_sel:WORD_1
	v_add_f16_e32 v62, v61, v60
	v_lshl_add_u64 v[60:61], v[10:11], 1, v[0:1]
	global_store_short v[60:61], v62, off
	v_mov_b32_e32 v60, 0
	v_mov_b32_e32 v61, 0
	s_cbranch_vccnz .LBB294_61
; %bb.60:
	v_lshl_add_u64 v[62:63], v[4:5], 1, v[22:23]
	flat_load_ushort v61, v[62:63]
	s_waitcnt vmcnt(0) lgkmcnt(0)
	v_mul_f16_e32 v61, v36, v61
.LBB294_61:
	v_pk_min_f16 v62, v67, v26
	s_and_b64 vcc, exec, s[0:1]
	v_pk_add_f16 v59, v62, v59
	v_pk_min_f16 v62, v68, v27
	s_nop 0
	v_pk_add_f16 v59, v62, v59
	v_lshl_add_u64 v[62:63], v[4:5], 1, v[0:1]
	v_add_f16_sdwa v59, v59, v59 dst_sel:DWORD dst_unused:UNUSED_PAD src0_sel:DWORD src1_sel:WORD_1
	v_add_f16_e32 v59, v59, v61
	global_store_short v[62:63], v59, off
	s_cbranch_vccnz .LBB294_63
; %bb.62:
	v_lshl_add_u64 v[22:23], v[6:7], 1, v[22:23]
	flat_load_ushort v22, v[22:23]
	s_waitcnt vmcnt(0) lgkmcnt(0)
	v_mul_f16_e32 v60, v36, v22
.LBB294_63:
	v_pk_min_f16 v22, v24, v26
	v_pk_min_f16 v23, v25, v27
	v_pk_add_f16 v22, v22, v56
	v_lshl_add_u64 v[0:1], v[6:7], 1, v[0:1]
	v_pk_add_f16 v22, v23, v22
	v_add_u32_e32 v27, 64, v28
	v_add_f16_sdwa v22, v22, v22 dst_sel:DWORD dst_unused:UNUSED_PAD src0_sel:DWORD src1_sel:WORD_1
	v_add_f16_e32 v22, v22, v60
	global_store_short v[0:1], v22, off
	v_mad_i64_i32 v[0:1], s[4:5], v27, s12, 0
	v_lshl_add_u64 v[0:1], v[0:1], 1, s[8:9]
	s_and_b64 vcc, exec, s[0:1]
	v_mov_b32_e32 v26, 0
	v_mov_b32_e32 v56, 0
	s_cbranch_vccnz .LBB294_65
; %bb.64:
	v_lshl_add_u64 v[22:23], v[16:17], 1, v[0:1]
	flat_load_ushort v22, v[22:23]
	s_waitcnt vmcnt(0) lgkmcnt(0)
	v_mul_f16_e32 v56, v36, v22
.LBB294_65:
	v_pk_max_f16 v22, v2, v2
	v_pk_max_f16 v23, v3, v3
	v_pk_min_f16 v2, v29, v22
	v_pk_min_f16 v3, v30, v23
	v_pk_add_f16 v2, v2, v54
	s_and_b64 vcc, exec, s[0:1]
	v_pk_add_f16 v54, v3, v2
	v_mad_i64_i32 v[2:3], s[4:5], v27, s13, 0
	v_lshl_add_u64 v[2:3], v[2:3], 1, s[2:3]
	v_add_f16_sdwa v27, v54, v54 dst_sel:DWORD dst_unused:UNUSED_PAD src0_sel:DWORD src1_sel:WORD_1
	v_add_f16_e32 v27, v27, v56
	v_lshl_add_u64 v[60:61], v[16:17], 1, v[2:3]
	global_store_short v[60:61], v27, off
	s_cbranch_vccnz .LBB294_67
; %bb.66:
	v_lshl_add_u64 v[26:27], v[20:21], 1, v[0:1]
	flat_load_ushort v26, v[26:27]
	s_waitcnt vmcnt(0) lgkmcnt(0)
	v_mul_f16_e32 v26, v36, v26
.LBB294_67:
	v_pk_min_f16 v27, v31, v22
	s_and_b64 vcc, exec, s[0:1]
	v_pk_add_f16 v27, v27, v52
	v_pk_min_f16 v52, v32, v23
	s_nop 0
	v_pk_add_f16 v27, v52, v27
	s_nop 0
	v_add_f16_sdwa v27, v27, v27 dst_sel:DWORD dst_unused:UNUSED_PAD src0_sel:DWORD src1_sel:WORD_1
	v_add_f16_e32 v52, v27, v26
	v_lshl_add_u64 v[26:27], v[20:21], 1, v[2:3]
	global_store_short v[26:27], v52, off
	v_mov_b32_e32 v26, 0
	v_mov_b32_e32 v27, 0
	s_cbranch_vccnz .LBB294_69
; %bb.68:
	v_lshl_add_u64 v[60:61], v[12:13], 1, v[0:1]
	flat_load_ushort v27, v[60:61]
	s_waitcnt vmcnt(0) lgkmcnt(0)
	v_mul_f16_e32 v27, v36, v27
.LBB294_69:
	v_pk_min_f16 v52, v33, v22
	v_lshl_add_u64 v[60:61], v[12:13], 1, v[2:3]
	v_pk_add_f16 v50, v52, v50
	v_pk_min_f16 v52, v34, v23
	s_and_b64 vcc, exec, s[0:1]
	v_pk_add_f16 v50, v52, v50
	s_nop 0
	v_add_f16_sdwa v50, v50, v50 dst_sel:DWORD dst_unused:UNUSED_PAD src0_sel:DWORD src1_sel:WORD_1
	v_add_f16_e32 v27, v50, v27
	global_store_short v[60:61], v27, off
	s_cbranch_vccnz .LBB294_71
; %bb.70:
	v_lshl_add_u64 v[26:27], v[14:15], 1, v[0:1]
	flat_load_ushort v26, v[26:27]
	s_waitcnt vmcnt(0) lgkmcnt(0)
	v_mul_f16_e32 v26, v36, v26
.LBB294_71:
	v_pk_min_f16 v27, v35, v22
	v_pk_min_f16 v50, v46, v23
	v_pk_add_f16 v27, v27, v55
	s_and_b64 vcc, exec, s[0:1]
	v_pk_add_f16 v27, v50, v27
	s_nop 0
	v_add_f16_sdwa v27, v27, v27 dst_sel:DWORD dst_unused:UNUSED_PAD src0_sel:DWORD src1_sel:WORD_1
	v_add_f16_e32 v50, v27, v26
	v_lshl_add_u64 v[26:27], v[14:15], 1, v[2:3]
	global_store_short v[26:27], v50, off
	v_mov_b32_e32 v26, 0
	v_mov_b32_e32 v27, 0
	s_cbranch_vccnz .LBB294_73
; %bb.72:
	v_lshl_add_u64 v[54:55], v[8:9], 1, v[0:1]
	flat_load_ushort v27, v[54:55]
	s_waitcnt vmcnt(0) lgkmcnt(0)
	v_mul_f16_e32 v27, v36, v27
.LBB294_73:
	v_pk_min_f16 v50, v47, v22
	v_pk_min_f16 v52, v48, v23
	v_pk_add_f16 v50, v50, v53
	s_and_b64 vcc, exec, s[0:1]
	v_pk_add_f16 v50, v52, v50
	v_lshl_add_u64 v[52:53], v[8:9], 1, v[2:3]
	v_add_f16_sdwa v50, v50, v50 dst_sel:DWORD dst_unused:UNUSED_PAD src0_sel:DWORD src1_sel:WORD_1
	v_add_f16_e32 v27, v50, v27
	global_store_short v[52:53], v27, off
	s_cbranch_vccnz .LBB294_75
; %bb.74:
	v_lshl_add_u64 v[26:27], v[10:11], 1, v[0:1]
	flat_load_ushort v26, v[26:27]
	s_waitcnt vmcnt(0) lgkmcnt(0)
	v_mul_f16_e32 v26, v36, v26
.LBB294_75:
	v_pk_min_f16 v27, v57, v22
	v_pk_min_f16 v50, v58, v23
	v_pk_add_f16 v27, v27, v51
	s_and_b64 vcc, exec, s[0:1]
	v_pk_add_f16 v27, v50, v27
	s_nop 0
	v_add_f16_sdwa v27, v27, v27 dst_sel:DWORD dst_unused:UNUSED_PAD src0_sel:DWORD src1_sel:WORD_1
	v_add_f16_e32 v50, v27, v26
	v_lshl_add_u64 v[26:27], v[10:11], 1, v[2:3]
	global_store_short v[26:27], v50, off
	v_mov_b32_e32 v26, 0
	v_mov_b32_e32 v27, 0
	s_cbranch_vccnz .LBB294_77
; %bb.76:
	v_lshl_add_u64 v[50:51], v[4:5], 1, v[0:1]
	flat_load_ushort v27, v[50:51]
	s_waitcnt vmcnt(0) lgkmcnt(0)
	v_mul_f16_e32 v27, v36, v27
.LBB294_77:
	v_pk_min_f16 v50, v67, v22
	s_and_b64 vcc, exec, s[0:1]
	v_pk_add_f16 v49, v50, v49
	v_pk_min_f16 v50, v68, v23
	s_nop 0
	v_pk_add_f16 v49, v50, v49
	v_lshl_add_u64 v[50:51], v[4:5], 1, v[2:3]
	v_add_f16_sdwa v49, v49, v49 dst_sel:DWORD dst_unused:UNUSED_PAD src0_sel:DWORD src1_sel:WORD_1
	v_add_f16_e32 v27, v49, v27
	global_store_short v[50:51], v27, off
	s_cbranch_vccnz .LBB294_79
; %bb.78:
	v_lshl_add_u64 v[0:1], v[6:7], 1, v[0:1]
	flat_load_ushort v0, v[0:1]
	s_waitcnt vmcnt(0) lgkmcnt(0)
	v_mul_f16_e32 v26, v36, v0
.LBB294_79:
	v_pk_min_f16 v0, v24, v22
	v_pk_min_f16 v1, v25, v23
	v_pk_add_f16 v0, v0, v45
	s_and_b64 vcc, exec, s[0:1]
	v_pk_add_f16 v0, v1, v0
	v_mov_b32_e32 v23, 0
	v_add_f16_sdwa v0, v0, v0 dst_sel:DWORD dst_unused:UNUSED_PAD src0_sel:DWORD src1_sel:WORD_1
	v_add_f16_e32 v22, v0, v26
	v_lshl_add_u64 v[0:1], v[6:7], 1, v[2:3]
	v_add_u32_e32 v2, 0x60, v28
	global_store_short v[0:1], v22, off
	v_mad_i64_i32 v[0:1], s[4:5], v2, s12, 0
	v_lshl_add_u64 v[0:1], v[0:1], 1, s[8:9]
	v_mov_b32_e32 v22, 0
	s_cbranch_vccnz .LBB294_81
; %bb.80:
	v_lshl_add_u64 v[26:27], v[16:17], 1, v[0:1]
	flat_load_ushort v3, v[26:27]
	s_waitcnt vmcnt(0) lgkmcnt(0)
	v_mul_f16_e32 v23, v36, v3
.LBB294_81:
	v_pk_max_f16 v18, v18, v18
	v_pk_max_f16 v19, v19, v19
	v_pk_min_f16 v3, v29, v18
	v_pk_min_f16 v26, v30, v19
	v_pk_add_f16 v3, v3, v43
	s_and_b64 vcc, exec, s[0:1]
	v_pk_add_f16 v26, v26, v3
	v_mad_i64_i32 v[2:3], s[4:5], v2, s13, 0
	v_lshl_add_u64 v[2:3], v[2:3], 1, s[2:3]
	v_add_f16_sdwa v26, v26, v26 dst_sel:DWORD dst_unused:UNUSED_PAD src0_sel:DWORD src1_sel:WORD_1
	v_add_f16_e32 v23, v26, v23
	v_lshl_add_u64 v[16:17], v[16:17], 1, v[2:3]
	global_store_short v[16:17], v23, off
	s_cbranch_vccnz .LBB294_83
; %bb.82:
	v_lshl_add_u64 v[16:17], v[20:21], 1, v[0:1]
	flat_load_ushort v16, v[16:17]
	s_waitcnt vmcnt(0) lgkmcnt(0)
	v_mul_f16_e32 v22, v36, v16
.LBB294_83:
	v_pk_min_f16 v16, v31, v18
	v_pk_min_f16 v17, v32, v19
	v_pk_add_f16 v16, v16, v40
	s_and_b64 vcc, exec, s[0:1]
	v_pk_add_f16 v16, v17, v16
	s_nop 0
	v_add_f16_sdwa v16, v16, v16 dst_sel:DWORD dst_unused:UNUSED_PAD src0_sel:DWORD src1_sel:WORD_1
	v_add_f16_e32 v22, v16, v22
	v_lshl_add_u64 v[16:17], v[20:21], 1, v[2:3]
	global_store_short v[16:17], v22, off
	v_mov_b32_e32 v16, 0
	v_mov_b32_e32 v17, 0
	s_cbranch_vccnz .LBB294_85
; %bb.84:
	v_lshl_add_u64 v[20:21], v[12:13], 1, v[0:1]
	flat_load_ushort v17, v[20:21]
	s_waitcnt vmcnt(0) lgkmcnt(0)
	v_mul_f16_e32 v17, v36, v17
.LBB294_85:
	v_pk_min_f16 v20, v33, v18
	v_pk_min_f16 v21, v34, v19
	v_pk_add_f16 v20, v20, v39
	v_lshl_add_u64 v[12:13], v[12:13], 1, v[2:3]
	v_pk_add_f16 v20, v21, v20
	s_and_b64 vcc, exec, s[0:1]
	v_add_f16_sdwa v20, v20, v20 dst_sel:DWORD dst_unused:UNUSED_PAD src0_sel:DWORD src1_sel:WORD_1
	v_add_f16_e32 v17, v20, v17
	global_store_short v[12:13], v17, off
	s_cbranch_vccnz .LBB294_87
; %bb.86:
	v_lshl_add_u64 v[12:13], v[14:15], 1, v[0:1]
	flat_load_ushort v12, v[12:13]
	s_waitcnt vmcnt(0) lgkmcnt(0)
	v_mul_f16_e32 v16, v36, v12
.LBB294_87:
	v_pk_min_f16 v12, v35, v18
	v_pk_min_f16 v13, v46, v19
	v_pk_add_f16 v12, v12, v44
	s_and_b64 vcc, exec, s[0:1]
	v_pk_add_f16 v12, v13, v12
	s_nop 0
	v_add_f16_sdwa v12, v12, v12 dst_sel:DWORD dst_unused:UNUSED_PAD src0_sel:DWORD src1_sel:WORD_1
	v_add_f16_e32 v16, v12, v16
	v_lshl_add_u64 v[12:13], v[14:15], 1, v[2:3]
	global_store_short v[12:13], v16, off
	v_mov_b32_e32 v12, 0
	v_mov_b32_e32 v13, 0
	s_cbranch_vccnz .LBB294_89
; %bb.88:
	v_lshl_add_u64 v[14:15], v[8:9], 1, v[0:1]
	flat_load_ushort v13, v[14:15]
	s_waitcnt vmcnt(0) lgkmcnt(0)
	v_mul_f16_e32 v13, v36, v13
.LBB294_89:
	v_pk_min_f16 v14, v47, v18
	v_pk_min_f16 v15, v48, v19
	v_pk_add_f16 v14, v14, v41
	v_lshl_add_u64 v[8:9], v[8:9], 1, v[2:3]
	v_pk_add_f16 v14, v15, v14
	s_and_b64 vcc, exec, s[0:1]
	v_add_f16_sdwa v14, v14, v14 dst_sel:DWORD dst_unused:UNUSED_PAD src0_sel:DWORD src1_sel:WORD_1
	v_add_f16_e32 v13, v14, v13
	global_store_short v[8:9], v13, off
	s_cbranch_vccnz .LBB294_91
; %bb.90:
	v_lshl_add_u64 v[8:9], v[10:11], 1, v[0:1]
	flat_load_ushort v8, v[8:9]
	s_waitcnt vmcnt(0) lgkmcnt(0)
	v_mul_f16_e32 v12, v36, v8
.LBB294_91:
	v_pk_min_f16 v8, v57, v18
	v_pk_min_f16 v9, v58, v19
	v_pk_add_f16 v8, v8, v38
	v_pk_min_f16 v13, v68, v19
	v_pk_add_f16 v8, v9, v8
	v_pk_min_f16 v9, v67, v18
	v_add_f16_sdwa v8, v8, v8 dst_sel:DWORD dst_unused:UNUSED_PAD src0_sel:DWORD src1_sel:WORD_1
	v_pk_add_f16 v9, v9, v42
	v_add_f16_e32 v12, v8, v12
	v_pk_add_f16 v13, v13, v9
	v_lshl_add_u64 v[8:9], v[10:11], 1, v[2:3]
	global_store_short v[8:9], v12, off
	v_add_f16_sdwa v8, v13, v13 dst_sel:DWORD dst_unused:UNUSED_PAD src0_sel:DWORD src1_sel:WORD_1
	s_mov_b64 vcc, s[6:7]
	s_cbranch_vccz .LBB294_94
; %bb.92:
	v_add_f16_e32 v9, 0, v8
	v_lshl_add_u64 v[10:11], v[4:5], 1, v[2:3]
	s_mov_b32 s2, 0
	global_store_short v[10:11], v9, off
	s_cbranch_execz .LBB294_95
; %bb.93:
	v_mov_b32_e32 v0, s2
	s_branch .LBB294_96
.LBB294_94:
                                        ; implicit-def: $sgpr2
.LBB294_95:
	v_lshlrev_b64 v[4:5], 1, v[4:5]
	v_lshl_add_u64 v[10:11], v[0:1], 0, v[4:5]
	flat_load_ushort v9, v[10:11]
	v_lshl_add_u64 v[4:5], v[2:3], 0, v[4:5]
	v_lshl_add_u64 v[0:1], v[6:7], 1, v[0:1]
	s_waitcnt vmcnt(0) lgkmcnt(0)
	v_fma_f16 v8, v36, v9, v8
	global_store_short v[4:5], v8, off
	flat_load_ushort v0, v[0:1]
	s_waitcnt vmcnt(0) lgkmcnt(0)
	v_mul_f16_e32 v0, v36, v0
.LBB294_96:
	v_pk_min_f16 v4, v24, v18
	v_pk_min_f16 v1, v25, v19
	v_pk_add_f16 v4, v4, v37
	s_nop 0
	v_pk_add_f16 v1, v1, v4
	s_nop 0
	v_add_f16_sdwa v1, v1, v1 dst_sel:DWORD dst_unused:UNUSED_PAD src0_sel:DWORD src1_sel:WORD_1
	v_add_f16_e32 v4, v1, v0
	v_lshl_add_u64 v[0:1], v[6:7], 1, v[2:3]
	global_store_short v[0:1], v4, off
	s_endpgm
	.section	.rodata,"a",@progbits
	.p2align	6, 0x0
	.amdhsa_kernel _ZN12_GLOBAL__N_120geam_min_plus_kernelIDF16_Dv2_DF16_S1_Li8ELi32ELi64ELi128ELi4ELi64ELi4ELi64ELi4ELc78ELc84ELb0ELb0ELb0EPKDF16_S2_DF16_EEviiiT16_PT17_ilS6_ilS4_S6_ilPT18_ili26rocblas_geam_ex_operation_
		.amdhsa_group_segment_fixed_size 3072
		.amdhsa_private_segment_fixed_size 0
		.amdhsa_kernarg_size 136
		.amdhsa_user_sgpr_count 2
		.amdhsa_user_sgpr_dispatch_ptr 0
		.amdhsa_user_sgpr_queue_ptr 0
		.amdhsa_user_sgpr_kernarg_segment_ptr 1
		.amdhsa_user_sgpr_dispatch_id 0
		.amdhsa_user_sgpr_kernarg_preload_length 0
		.amdhsa_user_sgpr_kernarg_preload_offset 0
		.amdhsa_user_sgpr_private_segment_size 0
		.amdhsa_uses_dynamic_stack 0
		.amdhsa_enable_private_segment 0
		.amdhsa_system_sgpr_workgroup_id_x 1
		.amdhsa_system_sgpr_workgroup_id_y 0
		.amdhsa_system_sgpr_workgroup_id_z 1
		.amdhsa_system_sgpr_workgroup_info 0
		.amdhsa_system_vgpr_workitem_id 1
		.amdhsa_next_free_vgpr 126
		.amdhsa_next_free_sgpr 26
		.amdhsa_accum_offset 128
		.amdhsa_reserve_vcc 1
		.amdhsa_float_round_mode_32 0
		.amdhsa_float_round_mode_16_64 0
		.amdhsa_float_denorm_mode_32 3
		.amdhsa_float_denorm_mode_16_64 3
		.amdhsa_dx10_clamp 1
		.amdhsa_ieee_mode 1
		.amdhsa_fp16_overflow 0
		.amdhsa_tg_split 0
		.amdhsa_exception_fp_ieee_invalid_op 0
		.amdhsa_exception_fp_denorm_src 0
		.amdhsa_exception_fp_ieee_div_zero 0
		.amdhsa_exception_fp_ieee_overflow 0
		.amdhsa_exception_fp_ieee_underflow 0
		.amdhsa_exception_fp_ieee_inexact 0
		.amdhsa_exception_int_div_zero 0
	.end_amdhsa_kernel
	.section	.text._ZN12_GLOBAL__N_120geam_min_plus_kernelIDF16_Dv2_DF16_S1_Li8ELi32ELi64ELi128ELi4ELi64ELi4ELi64ELi4ELc78ELc84ELb0ELb0ELb0EPKDF16_S2_DF16_EEviiiT16_PT17_ilS6_ilS4_S6_ilPT18_ili26rocblas_geam_ex_operation_,"axG",@progbits,_ZN12_GLOBAL__N_120geam_min_plus_kernelIDF16_Dv2_DF16_S1_Li8ELi32ELi64ELi128ELi4ELi64ELi4ELi64ELi4ELc78ELc84ELb0ELb0ELb0EPKDF16_S2_DF16_EEviiiT16_PT17_ilS6_ilS4_S6_ilPT18_ili26rocblas_geam_ex_operation_,comdat
.Lfunc_end294:
	.size	_ZN12_GLOBAL__N_120geam_min_plus_kernelIDF16_Dv2_DF16_S1_Li8ELi32ELi64ELi128ELi4ELi64ELi4ELi64ELi4ELc78ELc84ELb0ELb0ELb0EPKDF16_S2_DF16_EEviiiT16_PT17_ilS6_ilS4_S6_ilPT18_ili26rocblas_geam_ex_operation_, .Lfunc_end294-_ZN12_GLOBAL__N_120geam_min_plus_kernelIDF16_Dv2_DF16_S1_Li8ELi32ELi64ELi128ELi4ELi64ELi4ELi64ELi4ELc78ELc84ELb0ELb0ELb0EPKDF16_S2_DF16_EEviiiT16_PT17_ilS6_ilS4_S6_ilPT18_ili26rocblas_geam_ex_operation_
                                        ; -- End function
	.section	.AMDGPU.csdata,"",@progbits
; Kernel info:
; codeLenInByte = 8928
; NumSgprs: 32
; NumVgprs: 126
; NumAgprs: 0
; TotalNumVgprs: 126
; ScratchSize: 0
; MemoryBound: 0
; FloatMode: 240
; IeeeMode: 1
; LDSByteSize: 3072 bytes/workgroup (compile time only)
; SGPRBlocks: 3
; VGPRBlocks: 15
; NumSGPRsForWavesPerEU: 32
; NumVGPRsForWavesPerEU: 126
; AccumOffset: 128
; Occupancy: 4
; WaveLimiterHint : 1
; COMPUTE_PGM_RSRC2:SCRATCH_EN: 0
; COMPUTE_PGM_RSRC2:USER_SGPR: 2
; COMPUTE_PGM_RSRC2:TRAP_HANDLER: 0
; COMPUTE_PGM_RSRC2:TGID_X_EN: 1
; COMPUTE_PGM_RSRC2:TGID_Y_EN: 0
; COMPUTE_PGM_RSRC2:TGID_Z_EN: 1
; COMPUTE_PGM_RSRC2:TIDIG_COMP_CNT: 1
; COMPUTE_PGM_RSRC3_GFX90A:ACCUM_OFFSET: 31
; COMPUTE_PGM_RSRC3_GFX90A:TG_SPLIT: 0
	.section	.text._ZN12_GLOBAL__N_120geam_min_plus_kernelIDF16_Dv2_DF16_S1_Li8ELi32ELi64ELi128ELi4ELi64ELi4ELi64ELi4ELc78ELc84ELb1ELb0ELb0EDF16_KDF16_DF16_EEviiiT16_PT17_ilS5_ilS3_S5_ilPT18_ili26rocblas_geam_ex_operation_,"axG",@progbits,_ZN12_GLOBAL__N_120geam_min_plus_kernelIDF16_Dv2_DF16_S1_Li8ELi32ELi64ELi128ELi4ELi64ELi4ELi64ELi4ELc78ELc84ELb1ELb0ELb0EDF16_KDF16_DF16_EEviiiT16_PT17_ilS5_ilS3_S5_ilPT18_ili26rocblas_geam_ex_operation_,comdat
	.globl	_ZN12_GLOBAL__N_120geam_min_plus_kernelIDF16_Dv2_DF16_S1_Li8ELi32ELi64ELi128ELi4ELi64ELi4ELi64ELi4ELc78ELc84ELb1ELb0ELb0EDF16_KDF16_DF16_EEviiiT16_PT17_ilS5_ilS3_S5_ilPT18_ili26rocblas_geam_ex_operation_ ; -- Begin function _ZN12_GLOBAL__N_120geam_min_plus_kernelIDF16_Dv2_DF16_S1_Li8ELi32ELi64ELi128ELi4ELi64ELi4ELi64ELi4ELc78ELc84ELb1ELb0ELb0EDF16_KDF16_DF16_EEviiiT16_PT17_ilS5_ilS3_S5_ilPT18_ili26rocblas_geam_ex_operation_
	.p2align	8
	.type	_ZN12_GLOBAL__N_120geam_min_plus_kernelIDF16_Dv2_DF16_S1_Li8ELi32ELi64ELi128ELi4ELi64ELi4ELi64ELi4ELc78ELc84ELb1ELb0ELb0EDF16_KDF16_DF16_EEviiiT16_PT17_ilS5_ilS3_S5_ilPT18_ili26rocblas_geam_ex_operation_,@function
_ZN12_GLOBAL__N_120geam_min_plus_kernelIDF16_Dv2_DF16_S1_Li8ELi32ELi64ELi128ELi4ELi64ELi4ELi64ELi4ELc78ELc84ELb1ELb0ELb0EDF16_KDF16_DF16_EEviiiT16_PT17_ilS5_ilS3_S5_ilPT18_ili26rocblas_geam_ex_operation_: ; @_ZN12_GLOBAL__N_120geam_min_plus_kernelIDF16_Dv2_DF16_S1_Li8ELi32ELi64ELi128ELi4ELi64ELi4ELi64ELi4ELc78ELc84ELb1ELb0ELb0EDF16_KDF16_DF16_EEviiiT16_PT17_ilS5_ilS3_S5_ilPT18_ili26rocblas_geam_ex_operation_
; %bb.0:
	s_load_dwordx2 s[14:15], s[0:1], 0x8
	s_load_dwordx4 s[4:7], s[0:1], 0x20
	s_waitcnt lgkmcnt(0)
	v_cmp_eq_f16_e64 s[8:9], s15, 0
	s_and_b64 vcc, exec, s[8:9]
	s_cbranch_vccnz .LBB295_3
; %bb.1:
	s_load_dwordx2 s[10:11], s[0:1], 0x10
	s_mul_i32 s5, s3, s5
	s_mul_hi_u32 s12, s3, s4
	s_add_i32 s5, s12, s5
	s_mul_i32 s4, s3, s4
	s_lshl_b64 s[4:5], s[4:5], 1
	s_waitcnt lgkmcnt(0)
	s_add_u32 s16, s10, s4
	s_addc_u32 s17, s11, s5
	s_andn2_b64 vcc, exec, s[8:9]
	s_cbranch_vccnz .LBB295_4
.LBB295_2:
	s_mov_b32 s13, 0
	s_mov_b64 s[18:19], 0
	s_cbranch_execz .LBB295_5
	s_branch .LBB295_6
.LBB295_3:
	s_mov_b64 s[16:17], 0
	s_andn2_b64 vcc, exec, s[8:9]
	s_cbranch_vccz .LBB295_2
.LBB295_4:
                                        ; implicit-def: $sgpr18_sgpr19
                                        ; implicit-def: $sgpr12_sgpr13
.LBB295_5:
	s_load_dwordx2 s[4:5], s[0:1], 0x38
	s_mov_b32 s13, 0
	s_waitcnt lgkmcnt(0)
	s_mul_i32 s5, s3, s5
	s_mul_hi_u32 s8, s3, s4
	s_add_i32 s5, s8, s5
	s_mul_i32 s4, s3, s4
	s_lshl_b64 s[4:5], s[4:5], 1
	s_add_u32 s18, s6, s4
	s_addc_u32 s19, s7, s5
.LBB295_6:
	s_load_dword s12, s[0:1], 0x40
	s_load_dwordx4 s[8:11], s[0:1], 0x58
	s_waitcnt lgkmcnt(0)
	v_cmp_eq_f16_e64 s[4:5], s12, 0
	s_and_b64 s[4:5], exec, s[4:5]
	s_mov_b64 vcc, s[4:5]
	s_cbranch_vccnz .LBB295_8
; %bb.7:
	s_load_dwordx2 s[6:7], s[0:1], 0x48
	s_mul_i32 s9, s3, s9
	s_mul_hi_u32 s15, s3, s8
	s_add_i32 s9, s15, s9
	s_mul_i32 s15, s13, s8
	s_add_i32 s9, s9, s15
	s_mul_i32 s8, s3, s8
	s_lshl_b64 s[8:9], s[8:9], 1
	s_waitcnt lgkmcnt(0)
	s_add_u32 s6, s6, s8
	s_addc_u32 s7, s7, s9
	s_branch .LBB295_9
.LBB295_8:
	s_mov_b64 s[6:7], 0
.LBB295_9:
	s_load_dword s8, s[0:1], 0x0
	s_load_dword s22, s[0:1], 0x18
	;; [unrolled: 1-line block ×3, first 2 shown]
	v_bfe_u32 v38, v0, 10, 10
	v_and_b32_e32 v37, 0x3ff, v0
	s_waitcnt lgkmcnt(0)
	s_add_i32 s8, s8, -1
	s_ashr_i32 s9, s8, 31
	s_lshr_b32 s9, s9, 26
	s_add_i32 s8, s8, s9
	s_ashr_i32 s8, s8, 6
	s_add_i32 s9, s8, 1
	v_cvt_f32_u32_e32 v1, s9
	s_not_b32 s8, s8
	v_lshlrev_b32_e32 v36, 3, v38
	v_add_u32_e32 v0, v36, v37
	v_rcp_iflag_f32_e32 v1, v1
	v_and_b32_e32 v9, 63, v0
	v_lshrrev_b32_e32 v8, 6, v0
	v_lshlrev_b32_e32 v17, 1, v8
	v_mul_f32_e32 v1, 0x4f7ffffe, v1
	v_cvt_u32_f32_e32 v1, v1
	v_lshl_add_u32 v41, v9, 3, v17
	v_lshlrev_b32_e32 v39, 3, v37
	v_add_u32_e32 v40, 0x800, v39
	v_readfirstlane_b32 s15, v1
	s_mul_i32 s8, s8, s15
	s_mul_hi_u32 s8, s15, s8
	s_add_i32 s15, s15, s8
	s_mul_hi_u32 s8, s2, s15
	s_mul_i32 s15, s8, s9
	s_sub_i32 s15, s2, s15
	s_add_i32 s21, s8, 1
	s_sub_i32 s23, s15, s9
	s_cmp_ge_u32 s15, s9
	s_cselect_b32 s8, s21, s8
	s_cselect_b32 s15, s23, s15
	s_add_i32 s21, s8, 1
	s_cmp_ge_u32 s15, s9
	s_cselect_b32 s8, s21, s8
	s_mul_i32 s9, s8, s9
	s_lshl_b32 s24, s8, 7
	s_sub_i32 s2, s2, s9
	s_lshl_b32 s2, s2, 6
	v_or_b32_e32 v6, s24, v9
	v_or_b32_e32 v4, s2, v9
	v_mad_i64_i32 v[10:11], s[8:9], s20, v8, 0
	v_ashrrev_i32_e32 v7, 31, v6
	v_mad_i64_i32 v[0:1], s[8:9], s22, v8, 0
	v_ashrrev_i32_e32 v5, 31, v4
	v_lshl_add_u64 v[10:11], v[10:11], 1, s[18:19]
	v_lshlrev_b64 v[12:13], 1, v[6:7]
	v_lshl_add_u64 v[0:1], v[0:1], 1, s[16:17]
	v_lshlrev_b64 v[2:3], 1, v[4:5]
	v_lshl_add_u64 v[10:11], v[10:11], 0, v[12:13]
	v_lshl_add_u64 v[0:1], v[0:1], 0, v[2:3]
	flat_load_ushort v14, v[10:11]
	flat_load_ushort v15, v[10:11] offset:128
	flat_load_ushort v16, v[0:1]
	v_add_u32_e32 v10, 4, v8
	v_mad_i64_i32 v[0:1], s[8:9], s22, v10, 0
	v_mad_i64_i32 v[10:11], s[8:9], s20, v10, 0
	v_lshl_add_u64 v[0:1], v[0:1], 1, s[16:17]
	v_lshl_add_u64 v[10:11], v[10:11], 1, s[18:19]
	;; [unrolled: 1-line block ×4, first 2 shown]
	flat_load_ushort v9, v[10:11]
	flat_load_ushort v30, v[10:11] offset:128
	flat_load_ushort v31, v[0:1]
	s_cmp_lt_i32 s14, 9
	s_waitcnt vmcnt(0) lgkmcnt(0)
	ds_write_b16 v41, v14
	ds_write_b16 v41, v15 offset:512
	ds_write_b16 v41, v16 offset:2048
	s_waitcnt lgkmcnt(0)
	s_barrier
	ds_read2_b64 v[0:3], v40 offset0:48 offset1:56
	ds_read2_b64 v[10:13], v36 offset1:32
	ds_read2_b64 v[14:17], v36 offset0:64 offset1:96
	ds_read2_b64 v[18:21], v40 offset1:8
	ds_read2_b64 v[22:25], v40 offset0:16 offset1:24
	ds_read2_b64 v[26:29], v40 offset0:32 offset1:40
	s_waitcnt lgkmcnt(4)
	v_pk_max_f16 v10, v10, v10
	v_pk_max_f16 v2, v2, v2
	;; [unrolled: 1-line block ×3, first 2 shown]
	s_waitcnt lgkmcnt(3)
	v_pk_max_f16 v14, v14, v14
	s_waitcnt lgkmcnt(2)
	v_pk_max_f16 v18, v18, v18
	v_pk_max_f16 v16, v16, v16
	;; [unrolled: 1-line block ×3, first 2 shown]
	s_waitcnt lgkmcnt(1)
	v_pk_max_f16 v22, v22, v22
	v_pk_max_f16 v24, v24, v24
	s_waitcnt lgkmcnt(0)
	v_pk_max_f16 v26, v26, v26
	v_pk_max_f16 v28, v28, v28
	;; [unrolled: 1-line block ×4, first 2 shown]
	v_pk_min_f16 v47, v2, v10
	v_pk_max_f16 v3, v3, v3
	v_pk_max_f16 v13, v13, v13
	v_pk_min_f16 v32, v18, v10
	v_pk_min_f16 v33, v18, v12
	;; [unrolled: 1-line block ×31, first 2 shown]
	v_pk_add_f16 v16, v47, 0
	v_pk_min_f16 v47, v3, v11
	v_pk_max_f16 v15, v15, v15
	v_pk_add_f16 v62, v47, v16
	v_pk_add_f16 v16, v48, 0
	v_pk_min_f16 v47, v3, v13
	v_pk_max_f16 v19, v19, v19
	v_pk_add_f16 v55, v47, v16
	v_pk_add_f16 v16, v49, 0
	v_pk_min_f16 v47, v3, v15
	v_pk_max_f16 v17, v17, v17
	v_pk_add_f16 v49, v47, v16
	v_pk_add_f16 v16, v32, 0
	v_pk_min_f16 v32, v19, v11
	v_pk_max_f16 v21, v21, v21
	v_pk_add_f16 v68, v32, v16
	v_pk_add_f16 v16, v33, 0
	v_pk_min_f16 v32, v19, v13
	v_pk_max_f16 v23, v23, v23
	v_pk_add_f16 v61, v32, v16
	v_pk_add_f16 v16, v34, 0
	v_pk_min_f16 v32, v19, v15
	v_pk_max_f16 v25, v25, v25
	v_pk_add_f16 v54, v32, v16
	v_pk_add_f16 v16, v18, 0
	v_pk_min_f16 v18, v19, v17
	v_pk_min_f16 v19, v25, v17
	v_pk_add_f16 v47, v18, v16
	v_pk_add_f16 v16, v35, 0
	v_pk_min_f16 v18, v21, v11
	v_pk_max_f16 v1, v1, v1
	v_pk_add_f16 v70, v18, v16
	v_pk_add_f16 v16, v42, 0
	v_pk_min_f16 v18, v21, v13
	v_pk_add_f16 v10, v10, 0
	v_pk_add_f16 v63, v18, v16
	v_pk_add_f16 v16, v43, 0
	v_pk_min_f16 v18, v21, v15
	v_pk_add_f16 v12, v12, 0
	;; [unrolled: 4-line block ×8, first 2 shown]
	v_pk_add_f16 v71, v18, v16
	v_pk_add_f16 v16, v52, 0
	v_pk_min_f16 v18, v25, v13
	ds_write_b16 v41, v31 offset:2560
	ds_write_b16 v41, v9 offset:1024
	;; [unrolled: 1-line block ×3, first 2 shown]
	v_pk_add_f16 v65, v18, v16
	v_pk_add_f16 v16, v53, 0
	v_pk_min_f16 v18, v25, v15
	s_waitcnt lgkmcnt(0)
	v_pk_add_f16 v58, v18, v16
	v_pk_add_f16 v16, v24, 0
	;; [unrolled: 1-line block ×4, first 2 shown]
	v_pk_max_f16 v16, v27, v27
	s_barrier
	v_pk_min_f16 v19, v16, v11
	s_nop 0
	v_pk_add_f16 v72, v19, v18
	v_pk_add_f16 v18, v60, 0
	v_pk_min_f16 v19, v16, v13
	s_nop 0
	v_pk_add_f16 v66, v19, v18
	v_pk_add_f16 v18, v67, 0
	v_pk_min_f16 v19, v16, v15
	v_pk_min_f16 v16, v16, v17
	v_pk_add_f16 v59, v19, v18
	v_pk_add_f16 v18, v26, 0
	;; [unrolled: 1-line block ×4, first 2 shown]
	v_pk_max_f16 v16, v29, v29
	s_nop 0
	v_pk_min_f16 v18, v16, v11
	v_pk_min_f16 v11, v1, v11
	v_pk_add_f16 v73, v18, v19
	v_pk_add_f16 v81, v11, v10
	v_pk_min_f16 v10, v1, v13
	v_pk_min_f16 v18, v16, v13
	v_pk_add_f16 v80, v10, v12
	v_pk_min_f16 v10, v1, v15
	v_pk_min_f16 v1, v1, v17
	;; [unrolled: 3-line block ×3, first 2 shown]
	v_pk_add_f16 v75, v1, v0
	v_pk_min_f16 v0, v3, v17
	v_pk_add_f16 v60, v18, v21
	v_pk_add_f16 v53, v16, v22
	;; [unrolled: 1-line block ×4, first 2 shown]
	s_cbranch_scc1 .LBB295_12
; %bb.10:
	v_mov_b32_e32 v0, 0xa00
	v_add_u32_e32 v2, 8, v8
	v_lshl_add_u32 v45, v37, 3, v0
	v_mad_i64_i32 v[0:1], s[8:9], v2, s20, 0
	v_add_u32_e32 v3, 12, v8
	s_add_i32 s25, s14, -8
	v_lshlrev_b64 v[28:29], 1, v[0:1]
	v_mad_i64_i32 v[0:1], s[14:15], v3, s22, 0
	v_lshl_add_u64 v[24:25], v[4:5], 1, s[16:17]
	v_lshlrev_b64 v[30:31], 1, v[0:1]
	v_mad_i64_i32 v[0:1], s[16:17], v2, s22, 0
	s_ashr_i32 s23, s22, 31
	s_ashr_i32 s21, s20, 31
	v_lshlrev_b64 v[32:33], 1, v[0:1]
	v_mad_i64_i32 v[0:1], s[16:17], v3, s20, 0
	v_or_b32_e32 v42, 0x800, v41
	v_add_u32_e32 v43, 0xa00, v41
	v_or_b32_e32 v44, 0x400, v41
	v_add_u32_e32 v46, 0x400, v36
	v_lshl_add_u64 v[26:27], v[6:7], 1, s[18:19]
	s_lshl_b64 s[8:9], s[20:21], 4
	s_lshl_b64 s[14:15], s[22:23], 4
	v_lshlrev_b64 v[34:35], 1, v[0:1]
	s_mov_b32 s16, 0
.LBB295_11:                             ; =>This Inner Loop Header: Depth=1
	v_lshl_add_u64 v[0:1], v[24:25], 0, v[32:33]
	flat_load_ushort v77, v[0:1]
	v_lshl_add_u64 v[0:1], v[26:27], 0, v[28:29]
	flat_load_ushort v78, v[0:1]
	flat_load_ushort v79, v[0:1] offset:128
	ds_read2_b64 v[0:3], v45 offset0:48 offset1:56
	ds_read2_b64 v[8:11], v46 offset0:64 offset1:96
	ds_read2_b64 v[20:23], v46 offset1:32
	ds_read2_b64 v[16:19], v45 offset1:8
	ds_read2_b64 v[12:15], v45 offset0:16 offset1:24
	s_waitcnt lgkmcnt(0)
	v_pk_max_f16 v2, v2, v2
	v_pk_max_f16 v8, v8, v8
	;; [unrolled: 1-line block ×4, first 2 shown]
	v_pk_min_f16 v4, v2, v20
	v_pk_max_f16 v10, v10, v10
	v_pk_add_f16 v62, v4, v62
	v_pk_min_f16 v4, v2, v22
	v_pk_max_f16 v0, v0, v0
	v_pk_add_f16 v55, v4, v55
	v_pk_min_f16 v4, v2, v8
	v_pk_min_f16 v2, v2, v10
	v_pk_add_f16 v49, v4, v49
	v_pk_max_f16 v4, v16, v16
	v_pk_max_f16 v3, v3, v3
	v_pk_min_f16 v5, v4, v20
	v_pk_max_f16 v9, v9, v9
	v_pk_add_f16 v16, v5, v68
	v_pk_min_f16 v5, v4, v22
	v_pk_max_f16 v17, v17, v17
	v_pk_add_f16 v61, v5, v61
	v_pk_min_f16 v5, v4, v8
	v_pk_min_f16 v4, v4, v10
	v_pk_add_f16 v54, v5, v54
	v_pk_add_f16 v47, v4, v47
	v_pk_max_f16 v4, v18, v18
	v_pk_max_f16 v11, v11, v11
	v_pk_min_f16 v5, v4, v20
	v_pk_max_f16 v13, v13, v13
	v_pk_add_f16 v18, v5, v70
	v_pk_min_f16 v5, v4, v22
	v_pk_max_f16 v1, v1, v1
	v_pk_add_f16 v63, v5, v63
	v_pk_min_f16 v5, v4, v8
	v_pk_min_f16 v4, v4, v10
	v_pk_add_f16 v56, v5, v56
	v_pk_add_f16 v48, v4, v48
	v_pk_max_f16 v4, v12, v12
	v_pk_add_f16 v2, v2, v74
	v_pk_min_f16 v5, v4, v20
	s_add_i32 s16, s16, 8
	v_pk_add_f16 v12, v5, v69
	v_pk_min_f16 v5, v4, v22
	s_cmp_ge_i32 s16, s25
	v_pk_add_f16 v64, v5, v64
	v_pk_min_f16 v5, v4, v8
	v_pk_min_f16 v4, v4, v10
	v_pk_add_f16 v57, v5, v57
	v_pk_add_f16 v50, v4, v50
	v_pk_max_f16 v4, v14, v14
	s_nop 0
	v_pk_min_f16 v5, v4, v20
	s_nop 0
	v_pk_add_f16 v14, v5, v71
	v_pk_min_f16 v5, v4, v22
	s_nop 0
	v_pk_add_f16 v65, v5, v65
	v_pk_min_f16 v5, v4, v8
	v_pk_min_f16 v4, v4, v10
	v_pk_add_f16 v58, v5, v58
	v_pk_add_f16 v51, v4, v51
	ds_read2_b64 v[4:7], v45 offset0:32 offset1:40
	s_waitcnt vmcnt(0)
	ds_write_b16 v42, v77
	ds_write_b16 v41, v78
	ds_write_b16 v41, v79 offset:512
	s_waitcnt lgkmcnt(3)
	v_pk_max_f16 v4, v4, v4
	v_pk_max_f16 v6, v6, v6
	v_pk_min_f16 v69, v4, v22
	v_pk_min_f16 v68, v4, v20
	v_pk_add_f16 v66, v69, v66
	v_pk_min_f16 v69, v4, v8
	v_pk_min_f16 v4, v4, v10
	v_pk_add_f16 v59, v69, v59
	v_pk_min_f16 v69, v6, v22
	v_pk_add_f16 v4, v4, v52
	;; [unrolled: 2-line block ×3, first 2 shown]
	v_pk_min_f16 v69, v6, v8
	v_pk_min_f16 v6, v6, v10
	;; [unrolled: 1-line block ×6, first 2 shown]
	v_pk_max_f16 v10, v21, v21
	v_pk_add_f16 v6, v6, v53
	v_pk_min_f16 v21, v3, v10
	v_pk_add_f16 v60, v69, v60
	v_pk_add_f16 v53, v21, v62
	v_pk_max_f16 v21, v23, v23
	v_pk_max_f16 v5, v5, v5
	v_pk_min_f16 v23, v3, v21
	v_pk_add_f16 v68, v68, v72
	v_pk_add_f16 v55, v23, v55
	v_pk_min_f16 v23, v3, v9
	v_pk_add_f16 v52, v52, v73
	v_pk_add_f16 v49, v23, v49
	;; [unrolled: 3-line block ×5, first 2 shown]
	v_pk_min_f16 v16, v17, v11
	s_waitcnt lgkmcnt(0)
	v_pk_add_f16 v47, v16, v47
	v_pk_max_f16 v16, v19, v19
	s_barrier
	v_pk_min_f16 v17, v16, v10
	s_nop 0
	v_pk_add_f16 v69, v17, v18
	v_pk_min_f16 v17, v16, v21
	v_pk_add_f16 v8, v8, v76
	v_pk_add_f16 v63, v17, v63
	v_pk_min_f16 v17, v16, v9
	v_pk_min_f16 v16, v16, v11
	v_pk_add_f16 v56, v17, v56
	v_pk_add_f16 v48, v16, v48
	v_pk_min_f16 v16, v13, v10
	s_nop 0
	v_pk_add_f16 v70, v16, v12
	v_pk_min_f16 v12, v13, v21
	s_nop 0
	;; [unrolled: 3-line block ×4, first 2 shown]
	v_pk_add_f16 v50, v12, v50
	v_pk_max_f16 v12, v15, v15
	s_nop 0
	v_pk_min_f16 v13, v12, v10
	s_nop 0
	v_pk_add_f16 v71, v13, v14
	v_pk_min_f16 v13, v12, v21
	s_nop 0
	v_pk_add_f16 v65, v13, v65
	v_pk_min_f16 v13, v12, v9
	v_pk_min_f16 v12, v12, v11
	v_pk_add_f16 v58, v13, v58
	v_pk_add_f16 v51, v12, v51
	v_pk_min_f16 v12, v5, v10
	s_nop 0
	v_pk_add_f16 v68, v12, v68
	v_pk_min_f16 v12, v5, v21
	s_nop 0
	v_pk_add_f16 v66, v12, v66
	v_pk_min_f16 v12, v5, v9
	v_pk_min_f16 v5, v5, v11
	v_pk_add_f16 v59, v12, v59
	v_pk_add_f16 v72, v5, v4
	v_pk_max_f16 v4, v7, v7
	s_nop 0
	v_pk_min_f16 v5, v4, v10
	s_nop 0
	v_pk_add_f16 v52, v5, v52
	v_pk_min_f16 v5, v4, v21
	s_nop 0
	v_pk_add_f16 v67, v5, v67
	v_pk_min_f16 v5, v4, v9
	v_pk_min_f16 v4, v4, v11
	v_pk_add_f16 v60, v5, v60
	v_pk_add_f16 v73, v4, v6
	v_pk_min_f16 v4, v1, v10
	s_nop 0
	v_pk_add_f16 v74, v4, v20
	v_pk_min_f16 v4, v1, v21
	s_nop 0
	v_pk_add_f16 v75, v4, v22
	v_pk_min_f16 v4, v1, v9
	v_pk_min_f16 v1, v1, v11
	v_pk_add_f16 v76, v4, v8
	v_pk_add_f16 v80, v1, v0
	v_pk_min_f16 v0, v3, v11
	s_nop 0
	v_pk_add_f16 v81, v0, v2
	v_lshl_add_u64 v[0:1], v[24:25], 0, v[30:31]
	flat_load_ushort v77, v[0:1]
	v_lshl_add_u64 v[0:1], v[26:27], 0, v[34:35]
	flat_load_ushort v78, v[0:1]
	flat_load_ushort v79, v[0:1] offset:128
	ds_read2_b64 v[0:3], v40 offset0:48 offset1:56
	ds_read2_b64 v[12:15], v36 offset0:64 offset1:96
	ds_read2_b64 v[20:23], v36 offset1:32
	ds_read2_b64 v[16:19], v40 offset1:8
	ds_read2_b64 v[8:11], v40 offset0:16 offset1:24
	s_waitcnt lgkmcnt(0)
	v_pk_max_f16 v82, v2, v2
	v_pk_max_f16 v12, v12, v12
	;; [unrolled: 1-line block ×4, first 2 shown]
	v_pk_min_f16 v2, v82, v20
	v_pk_max_f16 v0, v0, v0
	v_pk_add_f16 v53, v2, v53
	v_pk_max_f16 v2, v22, v22
	v_pk_max_f16 v3, v3, v3
	v_pk_min_f16 v4, v82, v2
	v_pk_max_f16 v13, v13, v13
	v_pk_add_f16 v22, v4, v55
	v_pk_min_f16 v4, v82, v12
	v_pk_max_f16 v17, v17, v17
	v_pk_add_f16 v49, v4, v49
	v_pk_max_f16 v4, v16, v16
	v_pk_max_f16 v9, v9, v9
	v_pk_min_f16 v5, v4, v20
	v_pk_max_f16 v1, v1, v1
	v_pk_add_f16 v16, v5, v62
	v_pk_min_f16 v5, v4, v2
	v_lshl_add_u64 v[26:27], v[26:27], 0, s[8:9]
	v_pk_add_f16 v61, v5, v61
	v_pk_min_f16 v5, v4, v12
	v_pk_min_f16 v4, v4, v14
	v_pk_add_f16 v54, v5, v54
	v_pk_add_f16 v47, v4, v47
	v_pk_max_f16 v4, v18, v18
	v_lshl_add_u64 v[24:25], v[24:25], 0, s[14:15]
	v_pk_min_f16 v5, v4, v20
	s_nop 0
	v_pk_add_f16 v18, v5, v69
	v_pk_min_f16 v5, v4, v2
	s_nop 0
	v_pk_add_f16 v63, v5, v63
	v_pk_min_f16 v5, v4, v12
	v_pk_min_f16 v4, v4, v14
	v_pk_add_f16 v56, v5, v56
	v_pk_add_f16 v48, v4, v48
	v_pk_max_f16 v4, v8, v8
	s_nop 0
	v_pk_min_f16 v5, v4, v20
	s_nop 0
	v_pk_add_f16 v69, v5, v70
	v_pk_min_f16 v5, v4, v2
	s_nop 0
	v_pk_add_f16 v64, v5, v64
	v_pk_min_f16 v5, v4, v12
	v_pk_min_f16 v4, v4, v14
	v_pk_add_f16 v57, v5, v57
	v_pk_add_f16 v50, v4, v50
	v_pk_max_f16 v4, v10, v10
	v_pk_max_f16 v10, v21, v21
	v_pk_min_f16 v5, v4, v20
	s_nop 0
	v_pk_add_f16 v71, v5, v71
	v_pk_min_f16 v5, v4, v2
	s_nop 0
	v_pk_add_f16 v65, v5, v65
	v_pk_min_f16 v5, v4, v12
	v_pk_min_f16 v4, v4, v14
	v_pk_add_f16 v58, v5, v58
	v_pk_add_f16 v51, v4, v51
	ds_read2_b64 v[4:7], v40 offset0:32 offset1:40
	s_waitcnt vmcnt(0)
	ds_write_b16 v43, v77
	ds_write_b16 v44, v78
	ds_write_b16 v44, v79 offset:512
	s_waitcnt lgkmcnt(3)
	v_pk_max_f16 v4, v4, v4
	v_pk_max_f16 v5, v5, v5
	v_pk_min_f16 v8, v4, v20
	s_waitcnt lgkmcnt(0)
	v_pk_add_f16 v83, v8, v68
	v_pk_min_f16 v8, v4, v2
	s_barrier
	v_pk_add_f16 v66, v8, v66
	v_pk_min_f16 v8, v4, v12
	v_pk_min_f16 v4, v4, v14
	v_pk_add_f16 v59, v8, v59
	v_pk_add_f16 v84, v4, v72
	v_pk_max_f16 v4, v6, v6
	s_nop 0
	v_pk_min_f16 v6, v4, v20
	s_nop 0
	v_pk_add_f16 v85, v6, v52
	v_pk_min_f16 v6, v4, v2
	v_pk_min_f16 v2, v0, v2
	v_pk_add_f16 v67, v6, v67
	v_pk_min_f16 v6, v4, v12
	v_pk_min_f16 v4, v4, v14
	v_pk_add_f16 v60, v6, v60
	v_pk_add_f16 v6, v2, v75
	v_pk_min_f16 v2, v0, v12
	v_pk_min_f16 v12, v3, v10
	v_pk_add_f16 v86, v4, v73
	v_pk_min_f16 v4, v0, v20
	v_pk_min_f16 v0, v0, v14
	v_pk_add_f16 v62, v12, v53
	v_pk_max_f16 v12, v23, v23
	v_pk_add_f16 v8, v4, v74
	v_pk_add_f16 v4, v2, v76
	;; [unrolled: 1-line block ×3, first 2 shown]
	v_pk_min_f16 v0, v82, v14
	v_pk_min_f16 v14, v3, v12
	v_pk_add_f16 v0, v0, v81
	v_pk_add_f16 v55, v14, v22
	v_pk_min_f16 v14, v3, v13
	s_nop 0
	v_pk_add_f16 v49, v14, v49
	v_pk_min_f16 v14, v17, v10
	s_nop 0
	;; [unrolled: 3-line block ×4, first 2 shown]
	v_pk_add_f16 v54, v14, v54
	v_pk_max_f16 v14, v15, v15
	s_nop 0
	v_pk_min_f16 v15, v17, v14
	s_nop 0
	v_pk_add_f16 v47, v15, v47
	v_pk_max_f16 v15, v19, v19
	s_nop 0
	v_pk_min_f16 v16, v15, v10
	s_nop 0
	v_pk_add_f16 v70, v16, v18
	v_pk_min_f16 v16, v15, v12
	s_nop 0
	v_pk_add_f16 v63, v16, v63
	v_pk_min_f16 v16, v15, v13
	v_pk_min_f16 v15, v15, v14
	v_pk_add_f16 v56, v16, v56
	v_pk_add_f16 v48, v15, v48
	v_pk_min_f16 v15, v9, v10
	s_nop 0
	v_pk_add_f16 v69, v15, v69
	v_pk_min_f16 v15, v9, v12
	s_nop 0
	v_pk_add_f16 v64, v15, v64
	v_pk_min_f16 v15, v9, v13
	v_pk_min_f16 v9, v9, v14
	v_pk_add_f16 v57, v15, v57
	v_pk_add_f16 v50, v9, v50
	v_pk_max_f16 v9, v11, v11
	s_nop 0
	v_pk_min_f16 v11, v9, v10
	s_nop 0
	v_pk_add_f16 v71, v11, v71
	v_pk_min_f16 v11, v9, v12
	s_nop 0
	v_pk_add_f16 v65, v11, v65
	v_pk_min_f16 v11, v9, v13
	v_pk_min_f16 v9, v9, v14
	v_pk_add_f16 v58, v11, v58
	v_pk_add_f16 v51, v9, v51
	v_pk_min_f16 v9, v5, v10
	s_nop 0
	v_pk_add_f16 v72, v9, v83
	v_pk_min_f16 v9, v5, v12
	s_nop 0
	v_pk_add_f16 v66, v9, v66
	v_pk_min_f16 v9, v5, v13
	v_pk_min_f16 v5, v5, v14
	v_pk_add_f16 v59, v9, v59
	;; [unrolled: 22-line block ×3, first 2 shown]
	v_pk_add_f16 v75, v1, v2
	v_pk_min_f16 v1, v3, v14
	s_nop 0
	v_pk_add_f16 v74, v1, v0
	s_cbranch_scc0 .LBB295_11
.LBB295_12:
	s_load_dword s14, s[0:1], 0x50
	ds_read_b64 v[20:21], v36 offset:1024
	ds_read_b64 v[26:27], v39 offset:2560
	v_add_u32_e32 v28, s24, v38
	v_cmp_neq_f16_e64 s[8:9], s12, 0
	v_add_u32_e32 v16, s2, v37
	s_waitcnt lgkmcnt(0)
	v_mad_i64_i32 v[0:1], s[16:17], v28, s14, 0
	v_ashrrev_i32_e32 v17, 31, v16
	v_lshl_add_u64 v[22:23], v[0:1], 1, s[6:7]
	s_and_b64 vcc, exec, s[8:9]
	v_mov_b32_e32 v33, 0
	v_mov_b32_e32 v31, 0
	s_cbranch_vccz .LBB295_14
; %bb.13:
	v_lshl_add_u64 v[0:1], v[16:17], 1, v[22:23]
	flat_load_ushort v0, v[0:1]
	s_waitcnt vmcnt(0) lgkmcnt(0)
	v_mul_f16_e32 v31, s12, v0
.LBB295_14:
	ds_read_b64 v[24:25], v39 offset:3008
	ds_read_b64 v[18:19], v36 offset:1792
	ds_read2_b64 v[0:3], v36 offset0:160 offset1:192
	s_load_dword s15, s[0:1], 0x68
	s_load_dwordx2 s[16:17], s[0:1], 0x70
	v_add_u32_e32 v4, 0x800, v39
	v_pk_max_f16 v43, v20, v20
	v_pk_max_f16 v29, v26, v26
	ds_read2_b64 v[12:15], v4 offset0:72 offset1:80
	ds_read2_b64 v[8:11], v4 offset0:88 offset1:96
	;; [unrolled: 1-line block ×3, first 2 shown]
	s_waitcnt lgkmcnt(0)
	s_mul_i32 s0, s3, s17
	s_mul_hi_u32 s1, s3, s16
	s_add_i32 s0, s1, s0
	s_mul_i32 s1, s13, s16
	s_add_i32 s1, s0, s1
	s_mul_i32 s0, s3, s16
	v_pk_min_f16 v20, v29, v43
	v_pk_max_f16 v44, v21, v21
	v_pk_max_f16 v30, v27, v27
	s_lshl_b64 s[0:1], s[0:1], 1
	v_pk_add_f16 v20, v20, v68
	v_pk_min_f16 v21, v30, v44
	s_add_u32 s2, s10, s0
	v_pk_add_f16 v32, v21, v20
	s_addc_u32 s3, s11, s1
	v_mad_i64_i32 v[26:27], s[0:1], v28, s15, 0
	v_add_f16_sdwa v32, v32, v32 dst_sel:DWORD dst_unused:UNUSED_PAD src0_sel:DWORD src1_sel:WORD_1
	v_add_u32_e32 v20, 8, v16
	v_lshl_add_u64 v[26:27], v[26:27], 1, s[2:3]
	v_add_f16_e32 v31, v32, v31
	v_cndmask_b32_e64 v32, 0, 1, s[8:9]
	v_ashrrev_i32_e32 v21, 31, v20
	v_lshl_add_u64 v[34:35], v[16:17], 1, v[26:27]
	v_cmp_ne_u32_e64 s[0:1], 1, v32
	s_andn2_b64 vcc, exec, s[8:9]
	global_store_short v[34:35], v31, off
	s_cbranch_vccnz .LBB295_16
; %bb.15:
	v_lshl_add_u64 v[32:33], v[20:21], 1, v[22:23]
	flat_load_ushort v31, v[32:33]
	s_waitcnt vmcnt(0) lgkmcnt(0)
	v_mul_f16_e32 v33, s12, v31
.LBB295_16:
	v_pk_max_f16 v31, v12, v12
	v_pk_max_f16 v32, v13, v13
	v_pk_min_f16 v12, v31, v43
	v_pk_min_f16 v13, v32, v44
	v_pk_add_f16 v12, v12, v70
	s_and_b64 vcc, exec, s[0:1]
	v_pk_add_f16 v12, v13, v12
	v_mov_b32_e32 v37, 0
	v_add_f16_sdwa v34, v12, v12 dst_sel:DWORD dst_unused:UNUSED_PAD src0_sel:DWORD src1_sel:WORD_1
	v_add_u32_e32 v12, 16, v16
	v_add_f16_e32 v33, v34, v33
	v_lshl_add_u64 v[34:35], v[20:21], 1, v[26:27]
	v_ashrrev_i32_e32 v13, 31, v12
	global_store_short v[34:35], v33, off
	v_mov_b32_e32 v35, 0
	s_cbranch_vccnz .LBB295_18
; %bb.17:
	v_lshl_add_u64 v[34:35], v[12:13], 1, v[22:23]
	flat_load_ushort v33, v[34:35]
	s_waitcnt vmcnt(0) lgkmcnt(0)
	v_mul_f16_e32 v35, s12, v33
.LBB295_18:
	v_pk_max_f16 v33, v14, v14
	v_pk_max_f16 v34, v15, v15
	v_pk_min_f16 v14, v33, v43
	v_pk_min_f16 v15, v34, v44
	v_pk_add_f16 v14, v14, v69
	v_lshl_add_u64 v[38:39], v[12:13], 1, v[26:27]
	v_pk_add_f16 v14, v15, v14
	s_and_b64 vcc, exec, s[0:1]
	v_add_f16_sdwa v36, v14, v14 dst_sel:DWORD dst_unused:UNUSED_PAD src0_sel:DWORD src1_sel:WORD_1
	v_add_u32_e32 v14, 24, v16
	v_ashrrev_i32_e32 v15, 31, v14
	v_add_f16_e32 v35, v36, v35
	global_store_short v[38:39], v35, off
	s_cbranch_vccnz .LBB295_20
; %bb.19:
	v_lshl_add_u64 v[36:37], v[14:15], 1, v[22:23]
	flat_load_ushort v35, v[36:37]
	s_waitcnt vmcnt(0) lgkmcnt(0)
	v_mul_f16_e32 v37, s12, v35
.LBB295_20:
	v_pk_max_f16 v35, v8, v8
	v_pk_max_f16 v36, v9, v9
	v_pk_min_f16 v8, v35, v43
	v_pk_min_f16 v9, v36, v44
	v_pk_add_f16 v8, v8, v71
	s_and_b64 vcc, exec, s[0:1]
	v_pk_add_f16 v8, v9, v8
	v_mov_b32_e32 v41, 0
	v_add_f16_sdwa v38, v8, v8 dst_sel:DWORD dst_unused:UNUSED_PAD src0_sel:DWORD src1_sel:WORD_1
	v_add_u32_e32 v8, 32, v16
	v_add_f16_e32 v37, v38, v37
	v_lshl_add_u64 v[38:39], v[14:15], 1, v[26:27]
	v_ashrrev_i32_e32 v9, 31, v8
	global_store_short v[38:39], v37, off
	v_mov_b32_e32 v39, 0
	s_cbranch_vccnz .LBB295_22
; %bb.21:
	v_lshl_add_u64 v[38:39], v[8:9], 1, v[22:23]
	flat_load_ushort v37, v[38:39]
	s_waitcnt vmcnt(0) lgkmcnt(0)
	v_mul_f16_e32 v39, s12, v37
.LBB295_22:
	v_pk_max_f16 v37, v10, v10
	v_pk_max_f16 v38, v11, v11
	v_pk_min_f16 v10, v37, v43
	v_pk_min_f16 v11, v38, v44
	v_pk_add_f16 v10, v10, v72
	v_lshl_add_u64 v[68:69], v[8:9], 1, v[26:27]
	v_pk_add_f16 v10, v11, v10
	s_and_b64 vcc, exec, s[0:1]
	v_add_f16_sdwa v40, v10, v10 dst_sel:DWORD dst_unused:UNUSED_PAD src0_sel:DWORD src1_sel:WORD_1
	v_add_u32_e32 v10, 40, v16
	v_ashrrev_i32_e32 v11, 31, v10
	v_add_f16_e32 v39, v40, v39
	global_store_short v[68:69], v39, off
	s_cbranch_vccnz .LBB295_24
; %bb.23:
	v_lshl_add_u64 v[40:41], v[10:11], 1, v[22:23]
	flat_load_ushort v39, v[40:41]
	s_waitcnt vmcnt(0) lgkmcnt(0)
	v_mul_f16_e32 v41, s12, v39
.LBB295_24:
	v_pk_max_f16 v39, v4, v4
	v_pk_max_f16 v40, v5, v5
	v_pk_min_f16 v4, v39, v43
	v_pk_min_f16 v5, v40, v44
	v_pk_add_f16 v4, v4, v73
	v_lshl_add_u64 v[68:69], v[10:11], 1, v[26:27]
	v_pk_add_f16 v4, v5, v4
	s_and_b64 vcc, exec, s[0:1]
	v_add_f16_sdwa v42, v4, v4 dst_sel:DWORD dst_unused:UNUSED_PAD src0_sel:DWORD src1_sel:WORD_1
	v_add_u32_e32 v4, 48, v16
	v_ashrrev_i32_e32 v5, 31, v4
	v_add_f16_e32 v41, v42, v41
	v_mov_b32_e32 v45, 0
	v_mov_b32_e32 v46, 0
	global_store_short v[68:69], v41, off
	s_cbranch_vccnz .LBB295_26
; %bb.25:
	v_lshl_add_u64 v[68:69], v[4:5], 1, v[22:23]
	flat_load_ushort v41, v[68:69]
	s_waitcnt vmcnt(0) lgkmcnt(0)
	v_mul_f16_e32 v46, s12, v41
.LBB295_26:
	v_pk_max_f16 v41, v6, v6
	v_pk_max_f16 v42, v7, v7
	v_pk_min_f16 v6, v41, v43
	v_pk_min_f16 v7, v42, v44
	v_pk_add_f16 v6, v6, v81
	s_and_b64 vcc, exec, s[0:1]
	v_pk_add_f16 v6, v7, v6
	s_nop 0
	v_add_f16_sdwa v68, v6, v6 dst_sel:DWORD dst_unused:UNUSED_PAD src0_sel:DWORD src1_sel:WORD_1
	v_add_u32_e32 v6, 56, v16
	v_ashrrev_i32_e32 v7, 31, v6
	v_add_f16_e32 v46, v68, v46
	v_lshl_add_u64 v[68:69], v[4:5], 1, v[26:27]
	global_store_short v[68:69], v46, off
	s_cbranch_vccnz .LBB295_28
; %bb.27:
	v_lshl_add_u64 v[22:23], v[6:7], 1, v[22:23]
	flat_load_ushort v22, v[22:23]
	s_waitcnt vmcnt(0) lgkmcnt(0)
	v_mul_f16_e32 v45, s12, v22
.LBB295_28:
	v_pk_max_f16 v24, v24, v24
	v_pk_max_f16 v25, v25, v25
	v_pk_min_f16 v22, v24, v43
	v_pk_min_f16 v23, v25, v44
	v_pk_add_f16 v22, v22, v62
	v_add_u32_e32 v44, 32, v28
	v_pk_add_f16 v22, v23, v22
	s_and_b64 vcc, exec, s[0:1]
	v_add_f16_sdwa v22, v22, v22 dst_sel:DWORD dst_unused:UNUSED_PAD src0_sel:DWORD src1_sel:WORD_1
	v_add_f16_e32 v43, v22, v45
	v_lshl_add_u64 v[22:23], v[6:7], 1, v[26:27]
	global_store_short v[22:23], v43, off
	v_mad_i64_i32 v[22:23], s[8:9], v44, s14, 0
	v_lshl_add_u64 v[22:23], v[22:23], 1, s[6:7]
	v_mov_b32_e32 v43, 0
	v_mov_b32_e32 v45, 0
	s_cbranch_vccnz .LBB295_30
; %bb.29:
	v_lshl_add_u64 v[26:27], v[16:17], 1, v[22:23]
	flat_load_ushort v26, v[26:27]
	s_waitcnt vmcnt(0) lgkmcnt(0)
	v_mul_f16_e32 v45, s12, v26
.LBB295_30:
	v_pk_max_f16 v26, v0, v0
	v_pk_max_f16 v27, v1, v1
	v_pk_min_f16 v0, v29, v26
	v_pk_min_f16 v1, v30, v27
	v_pk_add_f16 v0, v0, v61
	s_and_b64 vcc, exec, s[0:1]
	v_pk_add_f16 v46, v1, v0
	v_mad_i64_i32 v[0:1], s[8:9], v44, s15, 0
	v_lshl_add_u64 v[0:1], v[0:1], 1, s[2:3]
	v_add_f16_sdwa v44, v46, v46 dst_sel:DWORD dst_unused:UNUSED_PAD src0_sel:DWORD src1_sel:WORD_1
	v_add_f16_e32 v46, v44, v45
	v_lshl_add_u64 v[44:45], v[16:17], 1, v[0:1]
	global_store_short v[44:45], v46, off
	s_cbranch_vccnz .LBB295_32
; %bb.31:
	v_lshl_add_u64 v[44:45], v[20:21], 1, v[22:23]
	flat_load_ushort v43, v[44:45]
	s_waitcnt vmcnt(0) lgkmcnt(0)
	v_mul_f16_e32 v43, s12, v43
.LBB295_32:
	v_pk_min_f16 v44, v31, v26
	v_pk_min_f16 v45, v32, v27
	v_pk_add_f16 v44, v44, v63
	s_and_b64 vcc, exec, s[0:1]
	v_pk_add_f16 v44, v45, v44
	s_nop 0
	v_add_f16_sdwa v44, v44, v44 dst_sel:DWORD dst_unused:UNUSED_PAD src0_sel:DWORD src1_sel:WORD_1
	v_add_f16_e32 v43, v44, v43
	v_lshl_add_u64 v[44:45], v[20:21], 1, v[0:1]
	global_store_short v[44:45], v43, off
	v_mov_b32_e32 v43, 0
	v_mov_b32_e32 v44, 0
	s_cbranch_vccnz .LBB295_34
; %bb.33:
	v_lshl_add_u64 v[44:45], v[12:13], 1, v[22:23]
	flat_load_ushort v44, v[44:45]
	s_waitcnt vmcnt(0) lgkmcnt(0)
	v_mul_f16_e32 v44, s12, v44
.LBB295_34:
	v_pk_min_f16 v45, v33, v26
	v_pk_min_f16 v46, v34, v27
	v_pk_add_f16 v45, v45, v64
	s_and_b64 vcc, exec, s[0:1]
	v_pk_add_f16 v45, v46, v45
	s_nop 0
	v_add_f16_sdwa v45, v45, v45 dst_sel:DWORD dst_unused:UNUSED_PAD src0_sel:DWORD src1_sel:WORD_1
	v_add_f16_e32 v46, v45, v44
	v_lshl_add_u64 v[44:45], v[12:13], 1, v[0:1]
	global_store_short v[44:45], v46, off
	s_cbranch_vccnz .LBB295_36
; %bb.35:
	v_lshl_add_u64 v[44:45], v[14:15], 1, v[22:23]
	flat_load_ushort v43, v[44:45]
	s_waitcnt vmcnt(0) lgkmcnt(0)
	v_mul_f16_e32 v43, s12, v43
.LBB295_36:
	v_pk_min_f16 v44, v35, v26
	v_pk_min_f16 v45, v36, v27
	v_pk_add_f16 v44, v44, v65
	s_and_b64 vcc, exec, s[0:1]
	v_pk_add_f16 v44, v45, v44
	s_nop 0
	v_add_f16_sdwa v44, v44, v44 dst_sel:DWORD dst_unused:UNUSED_PAD src0_sel:DWORD src1_sel:WORD_1
	v_add_f16_e32 v43, v44, v43
	v_lshl_add_u64 v[44:45], v[14:15], 1, v[0:1]
	global_store_short v[44:45], v43, off
	v_mov_b32_e32 v43, 0
	v_mov_b32_e32 v44, 0
	s_cbranch_vccnz .LBB295_38
; %bb.37:
	v_lshl_add_u64 v[44:45], v[8:9], 1, v[22:23]
	flat_load_ushort v44, v[44:45]
	s_waitcnt vmcnt(0) lgkmcnt(0)
	v_mul_f16_e32 v44, s12, v44
.LBB295_38:
	v_pk_min_f16 v45, v37, v26
	v_pk_min_f16 v46, v38, v27
	v_pk_add_f16 v45, v45, v66
	s_and_b64 vcc, exec, s[0:1]
	v_pk_add_f16 v45, v46, v45
	s_nop 0
	;; [unrolled: 36-line block ×3, first 2 shown]
	v_add_f16_sdwa v45, v45, v45 dst_sel:DWORD dst_unused:UNUSED_PAD src0_sel:DWORD src1_sel:WORD_1
	v_add_f16_e32 v46, v45, v44
	v_lshl_add_u64 v[44:45], v[4:5], 1, v[0:1]
	global_store_short v[44:45], v46, off
	s_cbranch_vccnz .LBB295_44
; %bb.43:
	v_lshl_add_u64 v[22:23], v[6:7], 1, v[22:23]
	flat_load_ushort v22, v[22:23]
	s_waitcnt vmcnt(0) lgkmcnt(0)
	v_mul_f16_e32 v43, s12, v22
.LBB295_44:
	v_pk_min_f16 v22, v24, v26
	v_pk_min_f16 v23, v25, v27
	v_pk_add_f16 v22, v22, v55
	v_lshl_add_u64 v[0:1], v[6:7], 1, v[0:1]
	v_pk_add_f16 v22, v23, v22
	v_add_u32_e32 v27, 64, v28
	v_add_f16_sdwa v22, v22, v22 dst_sel:DWORD dst_unused:UNUSED_PAD src0_sel:DWORD src1_sel:WORD_1
	v_add_f16_e32 v22, v22, v43
	global_store_short v[0:1], v22, off
	v_mad_i64_i32 v[0:1], s[8:9], v27, s14, 0
	v_lshl_add_u64 v[0:1], v[0:1], 1, s[6:7]
	s_and_b64 vcc, exec, s[0:1]
	v_mov_b32_e32 v26, 0
	v_mov_b32_e32 v43, 0
	s_cbranch_vccnz .LBB295_46
; %bb.45:
	v_lshl_add_u64 v[22:23], v[16:17], 1, v[0:1]
	flat_load_ushort v22, v[22:23]
	s_waitcnt vmcnt(0) lgkmcnt(0)
	v_mul_f16_e32 v43, s12, v22
.LBB295_46:
	v_pk_max_f16 v22, v2, v2
	v_pk_max_f16 v23, v3, v3
	v_pk_min_f16 v2, v29, v22
	v_pk_min_f16 v3, v30, v23
	v_pk_add_f16 v2, v2, v54
	s_and_b64 vcc, exec, s[0:1]
	v_pk_add_f16 v44, v3, v2
	v_mad_i64_i32 v[2:3], s[8:9], v27, s15, 0
	v_lshl_add_u64 v[2:3], v[2:3], 1, s[2:3]
	v_add_f16_sdwa v27, v44, v44 dst_sel:DWORD dst_unused:UNUSED_PAD src0_sel:DWORD src1_sel:WORD_1
	v_add_f16_e32 v27, v27, v43
	v_lshl_add_u64 v[44:45], v[16:17], 1, v[2:3]
	global_store_short v[44:45], v27, off
	s_cbranch_vccnz .LBB295_48
; %bb.47:
	v_lshl_add_u64 v[26:27], v[20:21], 1, v[0:1]
	flat_load_ushort v26, v[26:27]
	s_waitcnt vmcnt(0) lgkmcnt(0)
	v_mul_f16_e32 v26, s12, v26
.LBB295_48:
	v_pk_min_f16 v27, v31, v22
	v_pk_min_f16 v43, v32, v23
	v_pk_add_f16 v27, v27, v56
	s_and_b64 vcc, exec, s[0:1]
	v_pk_add_f16 v27, v43, v27
	s_nop 0
	v_add_f16_sdwa v27, v27, v27 dst_sel:DWORD dst_unused:UNUSED_PAD src0_sel:DWORD src1_sel:WORD_1
	v_add_f16_e32 v43, v27, v26
	v_lshl_add_u64 v[26:27], v[20:21], 1, v[2:3]
	global_store_short v[26:27], v43, off
	v_mov_b32_e32 v26, 0
	v_mov_b32_e32 v27, 0
	s_cbranch_vccnz .LBB295_50
; %bb.49:
	v_lshl_add_u64 v[44:45], v[12:13], 1, v[0:1]
	flat_load_ushort v27, v[44:45]
	s_waitcnt vmcnt(0) lgkmcnt(0)
	v_mul_f16_e32 v27, s12, v27
.LBB295_50:
	v_pk_min_f16 v43, v33, v22
	v_pk_min_f16 v44, v34, v23
	v_pk_add_f16 v43, v43, v57
	s_and_b64 vcc, exec, s[0:1]
	v_pk_add_f16 v43, v44, v43
	v_lshl_add_u64 v[44:45], v[12:13], 1, v[2:3]
	v_add_f16_sdwa v43, v43, v43 dst_sel:DWORD dst_unused:UNUSED_PAD src0_sel:DWORD src1_sel:WORD_1
	v_add_f16_e32 v27, v43, v27
	global_store_short v[44:45], v27, off
	s_cbranch_vccnz .LBB295_52
; %bb.51:
	v_lshl_add_u64 v[26:27], v[14:15], 1, v[0:1]
	flat_load_ushort v26, v[26:27]
	s_waitcnt vmcnt(0) lgkmcnt(0)
	v_mul_f16_e32 v26, s12, v26
.LBB295_52:
	v_pk_min_f16 v27, v35, v22
	v_pk_min_f16 v43, v36, v23
	v_pk_add_f16 v27, v27, v58
	s_and_b64 vcc, exec, s[0:1]
	v_pk_add_f16 v27, v43, v27
	s_nop 0
	v_add_f16_sdwa v27, v27, v27 dst_sel:DWORD dst_unused:UNUSED_PAD src0_sel:DWORD src1_sel:WORD_1
	v_add_f16_e32 v43, v27, v26
	v_lshl_add_u64 v[26:27], v[14:15], 1, v[2:3]
	global_store_short v[26:27], v43, off
	v_mov_b32_e32 v26, 0
	v_mov_b32_e32 v27, 0
	s_cbranch_vccnz .LBB295_54
; %bb.53:
	v_lshl_add_u64 v[44:45], v[8:9], 1, v[0:1]
	flat_load_ushort v27, v[44:45]
	s_waitcnt vmcnt(0) lgkmcnt(0)
	v_mul_f16_e32 v27, s12, v27
.LBB295_54:
	v_pk_min_f16 v43, v37, v22
	v_pk_min_f16 v44, v38, v23
	v_pk_add_f16 v43, v43, v59
	s_and_b64 vcc, exec, s[0:1]
	v_pk_add_f16 v43, v44, v43
	v_lshl_add_u64 v[44:45], v[8:9], 1, v[2:3]
	v_add_f16_sdwa v43, v43, v43 dst_sel:DWORD dst_unused:UNUSED_PAD src0_sel:DWORD src1_sel:WORD_1
	v_add_f16_e32 v27, v43, v27
	;; [unrolled: 35-line block ×3, first 2 shown]
	global_store_short v[44:45], v27, off
	s_cbranch_vccnz .LBB295_60
; %bb.59:
	v_lshl_add_u64 v[0:1], v[6:7], 1, v[0:1]
	flat_load_ushort v0, v[0:1]
	s_waitcnt vmcnt(0) lgkmcnt(0)
	v_mul_f16_e32 v26, s12, v0
.LBB295_60:
	v_pk_min_f16 v0, v24, v22
	v_pk_min_f16 v1, v25, v23
	v_pk_add_f16 v0, v0, v49
	s_and_b64 vcc, exec, s[0:1]
	v_pk_add_f16 v0, v1, v0
	v_mov_b32_e32 v23, 0
	v_add_f16_sdwa v0, v0, v0 dst_sel:DWORD dst_unused:UNUSED_PAD src0_sel:DWORD src1_sel:WORD_1
	v_add_f16_e32 v22, v0, v26
	v_lshl_add_u64 v[0:1], v[6:7], 1, v[2:3]
	v_add_u32_e32 v2, 0x60, v28
	global_store_short v[0:1], v22, off
	v_mad_i64_i32 v[0:1], s[8:9], v2, s14, 0
	v_lshl_add_u64 v[0:1], v[0:1], 1, s[6:7]
	v_mov_b32_e32 v22, 0
	s_cbranch_vccnz .LBB295_62
; %bb.61:
	v_lshl_add_u64 v[26:27], v[16:17], 1, v[0:1]
	flat_load_ushort v3, v[26:27]
	s_waitcnt vmcnt(0) lgkmcnt(0)
	v_mul_f16_e32 v23, s12, v3
.LBB295_62:
	v_pk_max_f16 v18, v18, v18
	v_pk_max_f16 v19, v19, v19
	v_pk_min_f16 v3, v29, v18
	v_pk_min_f16 v26, v30, v19
	v_pk_add_f16 v3, v3, v47
	s_and_b64 vcc, exec, s[0:1]
	v_pk_add_f16 v26, v26, v3
	v_mad_i64_i32 v[2:3], s[6:7], v2, s15, 0
	v_lshl_add_u64 v[2:3], v[2:3], 1, s[2:3]
	v_add_f16_sdwa v26, v26, v26 dst_sel:DWORD dst_unused:UNUSED_PAD src0_sel:DWORD src1_sel:WORD_1
	v_add_f16_e32 v23, v26, v23
	v_lshl_add_u64 v[16:17], v[16:17], 1, v[2:3]
	global_store_short v[16:17], v23, off
	s_cbranch_vccnz .LBB295_64
; %bb.63:
	v_lshl_add_u64 v[16:17], v[20:21], 1, v[0:1]
	flat_load_ushort v16, v[16:17]
	s_waitcnt vmcnt(0) lgkmcnt(0)
	v_mul_f16_e32 v22, s12, v16
.LBB295_64:
	v_pk_min_f16 v16, v31, v18
	v_pk_min_f16 v17, v32, v19
	v_pk_add_f16 v16, v16, v48
	s_and_b64 vcc, exec, s[0:1]
	v_pk_add_f16 v16, v17, v16
	s_nop 0
	v_add_f16_sdwa v16, v16, v16 dst_sel:DWORD dst_unused:UNUSED_PAD src0_sel:DWORD src1_sel:WORD_1
	v_add_f16_e32 v22, v16, v22
	v_lshl_add_u64 v[16:17], v[20:21], 1, v[2:3]
	global_store_short v[16:17], v22, off
	v_mov_b32_e32 v16, 0
	v_mov_b32_e32 v17, 0
	s_cbranch_vccnz .LBB295_66
; %bb.65:
	v_lshl_add_u64 v[20:21], v[12:13], 1, v[0:1]
	flat_load_ushort v17, v[20:21]
	s_waitcnt vmcnt(0) lgkmcnt(0)
	v_mul_f16_e32 v17, s12, v17
.LBB295_66:
	v_pk_min_f16 v20, v33, v18
	v_pk_min_f16 v21, v34, v19
	v_pk_add_f16 v20, v20, v50
	v_lshl_add_u64 v[12:13], v[12:13], 1, v[2:3]
	v_pk_add_f16 v20, v21, v20
	s_and_b64 vcc, exec, s[0:1]
	v_add_f16_sdwa v20, v20, v20 dst_sel:DWORD dst_unused:UNUSED_PAD src0_sel:DWORD src1_sel:WORD_1
	v_add_f16_e32 v17, v20, v17
	global_store_short v[12:13], v17, off
	s_cbranch_vccnz .LBB295_68
; %bb.67:
	v_lshl_add_u64 v[12:13], v[14:15], 1, v[0:1]
	flat_load_ushort v12, v[12:13]
	s_waitcnt vmcnt(0) lgkmcnt(0)
	v_mul_f16_e32 v16, s12, v12
.LBB295_68:
	v_pk_min_f16 v12, v35, v18
	v_pk_min_f16 v13, v36, v19
	v_pk_add_f16 v12, v12, v51
	s_and_b64 vcc, exec, s[0:1]
	v_pk_add_f16 v12, v13, v12
	s_nop 0
	v_add_f16_sdwa v12, v12, v12 dst_sel:DWORD dst_unused:UNUSED_PAD src0_sel:DWORD src1_sel:WORD_1
	v_add_f16_e32 v16, v12, v16
	v_lshl_add_u64 v[12:13], v[14:15], 1, v[2:3]
	global_store_short v[12:13], v16, off
	v_mov_b32_e32 v12, 0
	v_mov_b32_e32 v13, 0
	s_cbranch_vccnz .LBB295_70
; %bb.69:
	v_lshl_add_u64 v[14:15], v[8:9], 1, v[0:1]
	flat_load_ushort v13, v[14:15]
	s_waitcnt vmcnt(0) lgkmcnt(0)
	v_mul_f16_e32 v13, s12, v13
.LBB295_70:
	v_pk_min_f16 v14, v37, v18
	v_pk_min_f16 v15, v38, v19
	v_pk_add_f16 v14, v14, v52
	v_lshl_add_u64 v[8:9], v[8:9], 1, v[2:3]
	v_pk_add_f16 v14, v15, v14
	s_and_b64 vcc, exec, s[0:1]
	v_add_f16_sdwa v14, v14, v14 dst_sel:DWORD dst_unused:UNUSED_PAD src0_sel:DWORD src1_sel:WORD_1
	v_add_f16_e32 v13, v14, v13
	global_store_short v[8:9], v13, off
	s_cbranch_vccnz .LBB295_72
; %bb.71:
	v_lshl_add_u64 v[8:9], v[10:11], 1, v[0:1]
	flat_load_ushort v8, v[8:9]
	s_waitcnt vmcnt(0) lgkmcnt(0)
	v_mul_f16_e32 v12, s12, v8
.LBB295_72:
	v_pk_min_f16 v8, v39, v18
	v_pk_min_f16 v9, v40, v19
	v_pk_add_f16 v8, v8, v53
	v_pk_min_f16 v13, v42, v19
	v_pk_add_f16 v8, v9, v8
	v_pk_min_f16 v9, v41, v18
	v_add_f16_sdwa v8, v8, v8 dst_sel:DWORD dst_unused:UNUSED_PAD src0_sel:DWORD src1_sel:WORD_1
	v_pk_add_f16 v9, v9, v75
	v_add_f16_e32 v12, v8, v12
	v_pk_add_f16 v13, v13, v9
	v_lshl_add_u64 v[8:9], v[10:11], 1, v[2:3]
	global_store_short v[8:9], v12, off
	v_add_f16_sdwa v8, v13, v13 dst_sel:DWORD dst_unused:UNUSED_PAD src0_sel:DWORD src1_sel:WORD_1
	s_mov_b64 vcc, s[4:5]
	s_cbranch_vccz .LBB295_75
; %bb.73:
	v_add_f16_e32 v9, 0, v8
	v_lshl_add_u64 v[10:11], v[4:5], 1, v[2:3]
	s_mov_b32 s2, 0
	global_store_short v[10:11], v9, off
	s_cbranch_execz .LBB295_76
; %bb.74:
	v_mov_b32_e32 v0, s2
	s_branch .LBB295_77
.LBB295_75:
                                        ; implicit-def: $sgpr2
.LBB295_76:
	v_lshlrev_b64 v[4:5], 1, v[4:5]
	v_lshl_add_u64 v[10:11], v[0:1], 0, v[4:5]
	flat_load_ushort v9, v[10:11]
	v_lshl_add_u64 v[4:5], v[2:3], 0, v[4:5]
	v_lshl_add_u64 v[0:1], v[6:7], 1, v[0:1]
	s_waitcnt vmcnt(0) lgkmcnt(0)
	v_fma_f16 v8, v9, s12, v8
	global_store_short v[4:5], v8, off
	flat_load_ushort v0, v[0:1]
	s_waitcnt vmcnt(0) lgkmcnt(0)
	v_mul_f16_e32 v0, s12, v0
.LBB295_77:
	v_pk_min_f16 v4, v24, v18
	v_pk_min_f16 v1, v25, v19
	v_pk_add_f16 v4, v4, v74
	s_nop 0
	v_pk_add_f16 v1, v1, v4
	s_nop 0
	v_add_f16_sdwa v1, v1, v1 dst_sel:DWORD dst_unused:UNUSED_PAD src0_sel:DWORD src1_sel:WORD_1
	v_add_f16_e32 v4, v1, v0
	v_lshl_add_u64 v[0:1], v[6:7], 1, v[2:3]
	global_store_short v[0:1], v4, off
	s_endpgm
	.section	.rodata,"a",@progbits
	.p2align	6, 0x0
	.amdhsa_kernel _ZN12_GLOBAL__N_120geam_min_plus_kernelIDF16_Dv2_DF16_S1_Li8ELi32ELi64ELi128ELi4ELi64ELi4ELi64ELi4ELc78ELc84ELb1ELb0ELb0EDF16_KDF16_DF16_EEviiiT16_PT17_ilS5_ilS3_S5_ilPT18_ili26rocblas_geam_ex_operation_
		.amdhsa_group_segment_fixed_size 3072
		.amdhsa_private_segment_fixed_size 0
		.amdhsa_kernarg_size 128
		.amdhsa_user_sgpr_count 2
		.amdhsa_user_sgpr_dispatch_ptr 0
		.amdhsa_user_sgpr_queue_ptr 0
		.amdhsa_user_sgpr_kernarg_segment_ptr 1
		.amdhsa_user_sgpr_dispatch_id 0
		.amdhsa_user_sgpr_kernarg_preload_length 0
		.amdhsa_user_sgpr_kernarg_preload_offset 0
		.amdhsa_user_sgpr_private_segment_size 0
		.amdhsa_uses_dynamic_stack 0
		.amdhsa_enable_private_segment 0
		.amdhsa_system_sgpr_workgroup_id_x 1
		.amdhsa_system_sgpr_workgroup_id_y 0
		.amdhsa_system_sgpr_workgroup_id_z 1
		.amdhsa_system_sgpr_workgroup_info 0
		.amdhsa_system_vgpr_workitem_id 1
		.amdhsa_next_free_vgpr 87
		.amdhsa_next_free_sgpr 26
		.amdhsa_accum_offset 88
		.amdhsa_reserve_vcc 1
		.amdhsa_float_round_mode_32 0
		.amdhsa_float_round_mode_16_64 0
		.amdhsa_float_denorm_mode_32 3
		.amdhsa_float_denorm_mode_16_64 3
		.amdhsa_dx10_clamp 1
		.amdhsa_ieee_mode 1
		.amdhsa_fp16_overflow 0
		.amdhsa_tg_split 0
		.amdhsa_exception_fp_ieee_invalid_op 0
		.amdhsa_exception_fp_denorm_src 0
		.amdhsa_exception_fp_ieee_div_zero 0
		.amdhsa_exception_fp_ieee_overflow 0
		.amdhsa_exception_fp_ieee_underflow 0
		.amdhsa_exception_fp_ieee_inexact 0
		.amdhsa_exception_int_div_zero 0
	.end_amdhsa_kernel
	.section	.text._ZN12_GLOBAL__N_120geam_min_plus_kernelIDF16_Dv2_DF16_S1_Li8ELi32ELi64ELi128ELi4ELi64ELi4ELi64ELi4ELc78ELc84ELb1ELb0ELb0EDF16_KDF16_DF16_EEviiiT16_PT17_ilS5_ilS3_S5_ilPT18_ili26rocblas_geam_ex_operation_,"axG",@progbits,_ZN12_GLOBAL__N_120geam_min_plus_kernelIDF16_Dv2_DF16_S1_Li8ELi32ELi64ELi128ELi4ELi64ELi4ELi64ELi4ELc78ELc84ELb1ELb0ELb0EDF16_KDF16_DF16_EEviiiT16_PT17_ilS5_ilS3_S5_ilPT18_ili26rocblas_geam_ex_operation_,comdat
.Lfunc_end295:
	.size	_ZN12_GLOBAL__N_120geam_min_plus_kernelIDF16_Dv2_DF16_S1_Li8ELi32ELi64ELi128ELi4ELi64ELi4ELi64ELi4ELc78ELc84ELb1ELb0ELb0EDF16_KDF16_DF16_EEviiiT16_PT17_ilS5_ilS3_S5_ilPT18_ili26rocblas_geam_ex_operation_, .Lfunc_end295-_ZN12_GLOBAL__N_120geam_min_plus_kernelIDF16_Dv2_DF16_S1_Li8ELi32ELi64ELi128ELi4ELi64ELi4ELi64ELi4ELc78ELc84ELb1ELb0ELb0EDF16_KDF16_DF16_EEviiiT16_PT17_ilS5_ilS3_S5_ilPT18_ili26rocblas_geam_ex_operation_
                                        ; -- End function
	.section	.AMDGPU.csdata,"",@progbits
; Kernel info:
; codeLenInByte = 8824
; NumSgprs: 32
; NumVgprs: 87
; NumAgprs: 0
; TotalNumVgprs: 87
; ScratchSize: 0
; MemoryBound: 0
; FloatMode: 240
; IeeeMode: 1
; LDSByteSize: 3072 bytes/workgroup (compile time only)
; SGPRBlocks: 3
; VGPRBlocks: 10
; NumSGPRsForWavesPerEU: 32
; NumVGPRsForWavesPerEU: 87
; AccumOffset: 88
; Occupancy: 5
; WaveLimiterHint : 1
; COMPUTE_PGM_RSRC2:SCRATCH_EN: 0
; COMPUTE_PGM_RSRC2:USER_SGPR: 2
; COMPUTE_PGM_RSRC2:TRAP_HANDLER: 0
; COMPUTE_PGM_RSRC2:TGID_X_EN: 1
; COMPUTE_PGM_RSRC2:TGID_Y_EN: 0
; COMPUTE_PGM_RSRC2:TGID_Z_EN: 1
; COMPUTE_PGM_RSRC2:TIDIG_COMP_CNT: 1
; COMPUTE_PGM_RSRC3_GFX90A:ACCUM_OFFSET: 21
; COMPUTE_PGM_RSRC3_GFX90A:TG_SPLIT: 0
	.section	.text._ZN12_GLOBAL__N_120geam_min_plus_kernelIDF16_Dv2_DF16_S1_Li8ELi32ELi64ELi128ELi4ELi64ELi4ELi64ELi4ELc78ELc84ELb0ELb0ELb0EDF16_KDF16_DF16_EEviiiT16_PT17_ilS5_ilS3_S5_ilPT18_ili26rocblas_geam_ex_operation_,"axG",@progbits,_ZN12_GLOBAL__N_120geam_min_plus_kernelIDF16_Dv2_DF16_S1_Li8ELi32ELi64ELi128ELi4ELi64ELi4ELi64ELi4ELc78ELc84ELb0ELb0ELb0EDF16_KDF16_DF16_EEviiiT16_PT17_ilS5_ilS3_S5_ilPT18_ili26rocblas_geam_ex_operation_,comdat
	.globl	_ZN12_GLOBAL__N_120geam_min_plus_kernelIDF16_Dv2_DF16_S1_Li8ELi32ELi64ELi128ELi4ELi64ELi4ELi64ELi4ELc78ELc84ELb0ELb0ELb0EDF16_KDF16_DF16_EEviiiT16_PT17_ilS5_ilS3_S5_ilPT18_ili26rocblas_geam_ex_operation_ ; -- Begin function _ZN12_GLOBAL__N_120geam_min_plus_kernelIDF16_Dv2_DF16_S1_Li8ELi32ELi64ELi128ELi4ELi64ELi4ELi64ELi4ELc78ELc84ELb0ELb0ELb0EDF16_KDF16_DF16_EEviiiT16_PT17_ilS5_ilS3_S5_ilPT18_ili26rocblas_geam_ex_operation_
	.p2align	8
	.type	_ZN12_GLOBAL__N_120geam_min_plus_kernelIDF16_Dv2_DF16_S1_Li8ELi32ELi64ELi128ELi4ELi64ELi4ELi64ELi4ELc78ELc84ELb0ELb0ELb0EDF16_KDF16_DF16_EEviiiT16_PT17_ilS5_ilS3_S5_ilPT18_ili26rocblas_geam_ex_operation_,@function
_ZN12_GLOBAL__N_120geam_min_plus_kernelIDF16_Dv2_DF16_S1_Li8ELi32ELi64ELi128ELi4ELi64ELi4ELi64ELi4ELc78ELc84ELb0ELb0ELb0EDF16_KDF16_DF16_EEviiiT16_PT17_ilS5_ilS3_S5_ilPT18_ili26rocblas_geam_ex_operation_: ; @_ZN12_GLOBAL__N_120geam_min_plus_kernelIDF16_Dv2_DF16_S1_Li8ELi32ELi64ELi128ELi4ELi64ELi4ELi64ELi4ELc78ELc84ELb0ELb0ELb0EDF16_KDF16_DF16_EEviiiT16_PT17_ilS5_ilS3_S5_ilPT18_ili26rocblas_geam_ex_operation_
; %bb.0:
	s_load_dwordx2 s[14:15], s[0:1], 0x8
	s_load_dwordx4 s[4:7], s[0:1], 0x20
	s_waitcnt lgkmcnt(0)
	v_cmp_eq_f16_e64 s[8:9], s15, 0
	s_and_b64 vcc, exec, s[8:9]
	s_cbranch_vccnz .LBB296_3
; %bb.1:
	s_load_dwordx2 s[10:11], s[0:1], 0x10
	s_mul_i32 s5, s3, s5
	s_mul_hi_u32 s12, s3, s4
	s_add_i32 s5, s12, s5
	s_mul_i32 s4, s3, s4
	s_lshl_b64 s[4:5], s[4:5], 1
	s_waitcnt lgkmcnt(0)
	s_add_u32 s18, s10, s4
	s_addc_u32 s19, s11, s5
	s_andn2_b64 vcc, exec, s[8:9]
	s_cbranch_vccnz .LBB296_4
.LBB296_2:
	s_mov_b32 s13, 0
	s_mov_b64 s[16:17], 0
	s_cbranch_execz .LBB296_5
	s_branch .LBB296_6
.LBB296_3:
	s_mov_b64 s[18:19], 0
	s_andn2_b64 vcc, exec, s[8:9]
	s_cbranch_vccz .LBB296_2
.LBB296_4:
                                        ; implicit-def: $sgpr16_sgpr17
                                        ; implicit-def: $sgpr12_sgpr13
.LBB296_5:
	s_load_dwordx2 s[4:5], s[0:1], 0x38
	s_mov_b32 s13, 0
	s_waitcnt lgkmcnt(0)
	s_mul_i32 s5, s3, s5
	s_mul_hi_u32 s8, s3, s4
	s_add_i32 s5, s8, s5
	s_mul_i32 s4, s3, s4
	s_lshl_b64 s[4:5], s[4:5], 1
	s_add_u32 s16, s6, s4
	s_addc_u32 s17, s7, s5
.LBB296_6:
	s_load_dword s12, s[0:1], 0x40
	s_load_dwordx4 s[8:11], s[0:1], 0x58
	v_cmp_neq_f16_e64 s[22:23], s15, 0
	s_waitcnt lgkmcnt(0)
	v_cmp_eq_f16_e64 s[4:5], s12, 0
	s_and_b64 s[6:7], exec, s[4:5]
	s_mov_b64 vcc, s[6:7]
	s_cbranch_vccnz .LBB296_8
; %bb.7:
	s_load_dwordx2 s[4:5], s[0:1], 0x48
	s_mul_i32 s9, s3, s9
	s_mul_hi_u32 s20, s3, s8
	s_add_i32 s9, s20, s9
	s_mul_i32 s20, s13, s8
	s_add_i32 s9, s9, s20
	s_mul_i32 s8, s3, s8
	s_lshl_b64 s[8:9], s[8:9], 1
	s_waitcnt lgkmcnt(0)
	s_add_u32 s8, s4, s8
	s_addc_u32 s9, s5, s9
	s_branch .LBB296_9
.LBB296_8:
	s_mov_b64 s[8:9], 0
.LBB296_9:
	s_load_dword s4, s[0:1], 0x0
	s_load_dword s20, s[0:1], 0x18
	v_and_b32_e32 v45, 0x3ff, v0
	v_bfe_u32 v46, v0, 10, 10
	v_cndmask_b32_e64 v0, 0, 1, s[22:23]
	s_waitcnt lgkmcnt(0)
	s_add_i32 s4, s4, -1
	s_ashr_i32 s5, s4, 31
	s_lshr_b32 s5, s5, 26
	s_add_i32 s4, s4, s5
	s_ashr_i32 s24, s4, 6
	s_add_i32 s26, s24, 1
	v_cvt_f32_u32_e32 v1, s26
	v_cmp_ne_u32_e64 s[4:5], 1, v0
	s_not_b32 s24, s24
	s_ashr_i32 s21, s20, 31
	v_rcp_iflag_f32_e32 v1, v1
	v_lshl_add_u32 v2, v46, 3, v45
	v_and_b32_e32 v5, 63, v2
	v_lshrrev_b32_e32 v4, 6, v2
	v_mul_f32_e32 v0, 0x4f7ffffe, v1
	v_cvt_u32_f32_e32 v0, v0
	s_nop 0
	v_readfirstlane_b32 s25, v0
	s_mul_i32 s24, s24, s25
	s_mul_hi_u32 s24, s25, s24
	s_add_i32 s25, s25, s24
	s_mul_hi_u32 s24, s2, s25
	s_mul_i32 s25, s24, s26
	s_sub_i32 s25, s2, s25
	s_add_i32 s27, s24, 1
	s_sub_i32 s28, s25, s26
	s_cmp_ge_u32 s25, s26
	s_cselect_b32 s24, s27, s24
	s_cselect_b32 s25, s28, s25
	s_add_i32 s27, s24, 1
	s_cmp_ge_u32 s25, s26
	s_cselect_b32 s25, s27, s24
	s_mul_i32 s26, s25, s26
	s_sub_i32 s24, s2, s26
	s_lshl_b32 s24, s24, 6
	v_or_b32_e32 v0, s24, v5
	s_andn2_b64 vcc, exec, s[22:23]
	v_ashrrev_i32_e32 v1, 31, v0
	s_cbranch_vccnz .LBB296_11
; %bb.10:
	v_mad_i64_i32 v[2:3], s[22:23], s20, v4, 0
	v_lshl_add_u64 v[2:3], v[2:3], 1, s[18:19]
	v_lshl_add_u64 v[2:3], v[0:1], 1, v[2:3]
	flat_load_ushort v2, v[2:3]
	s_waitcnt vmcnt(0) lgkmcnt(0)
	v_mul_f16_e32 v6, s15, v2
	s_branch .LBB296_12
.LBB296_11:
	v_mov_b32_e32 v6, 0
.LBB296_12:
	s_load_dword s22, s[0:1], 0x30
	s_lshl_b32 s25, s25, 7
	v_or_b32_e32 v2, s25, v5
	s_and_b64 vcc, exec, s[4:5]
	v_ashrrev_i32_e32 v3, 31, v2
	s_waitcnt lgkmcnt(0)
	s_ashr_i32 s23, s22, 31
	s_cbranch_vccnz .LBB296_16
; %bb.13:
	v_mad_i64_i32 v[8:9], s[28:29], s22, v4, 0
	v_lshl_add_u64 v[8:9], v[8:9], 1, s[16:17]
	v_lshl_add_u64 v[8:9], v[2:3], 1, v[8:9]
	flat_load_ushort v7, v[8:9]
	flat_load_ushort v10, v[8:9] offset:128
	s_waitcnt vmcnt(0) lgkmcnt(0)
	v_mul_f16_e32 v7, s15, v7
	v_mul_f16_e32 v8, s15, v10
	s_and_b64 vcc, exec, s[4:5]
	v_add_u32_e32 v9, 4, v4
	s_cbranch_vccnz .LBB296_17
.LBB296_14:
	v_mad_i64_i32 v[10:11], s[28:29], s20, v9, 0
	v_lshl_add_u64 v[10:11], v[10:11], 1, s[18:19]
	v_lshl_add_u64 v[0:1], v[0:1], 1, v[10:11]
	flat_load_ushort v0, v[0:1]
	s_waitcnt vmcnt(0) lgkmcnt(0)
	v_mul_f16_e32 v0, s15, v0
	s_and_b64 vcc, exec, s[4:5]
	s_cbranch_vccnz .LBB296_18
.LBB296_15:
	v_mad_i64_i32 v[10:11], s[28:29], s22, v9, 0
	v_lshl_add_u64 v[10:11], v[10:11], 1, s[16:17]
	v_lshl_add_u64 v[2:3], v[2:3], 1, v[10:11]
	flat_load_ushort v1, v[2:3]
	flat_load_ushort v9, v[2:3] offset:128
	s_waitcnt vmcnt(0) lgkmcnt(0)
	v_mul_f16_e32 v1, s15, v1
	v_mul_f16_e32 v2, s15, v9
	s_branch .LBB296_19
.LBB296_16:
	v_mov_b32_e32 v7, 0
	v_mov_b32_e32 v8, 0
	s_and_b64 vcc, exec, s[4:5]
	v_add_u32_e32 v9, 4, v4
	s_cbranch_vccz .LBB296_14
.LBB296_17:
	v_mov_b32_e32 v0, 0
	s_and_b64 vcc, exec, s[4:5]
	s_cbranch_vccz .LBB296_15
.LBB296_18:
	v_mov_b32_e32 v1, 0
	v_mov_b32_e32 v2, 0
.LBB296_19:
	v_lshlrev_b32_e32 v3, 1, v4
	v_lshl_add_u32 v65, v5, 3, v3
	v_lshlrev_b32_e32 v55, 3, v45
	v_lshlrev_b32_e32 v56, 3, v46
	ds_write_b16 v65, v6 offset:2048
	ds_write_b16 v65, v7
	ds_write_b16 v65, v8 offset:512
	s_waitcnt lgkmcnt(0)
	s_barrier
	ds_read2_b64 v[6:9], v56 offset1:32
	v_add_u32_e32 v66, 0x800, v55
	ds_read2_b64 v[10:13], v66 offset0:48 offset1:56
	ds_read2_b64 v[14:17], v56 offset0:64 offset1:96
	ds_read2_b64 v[18:21], v66 offset1:8
	ds_read2_b64 v[22:25], v66 offset0:16 offset1:24
	ds_read2_b64 v[26:29], v66 offset0:32 offset1:40
	s_waitcnt lgkmcnt(5)
	v_pk_max_f16 v3, v6, v6
	s_waitcnt lgkmcnt(4)
	v_pk_max_f16 v6, v12, v12
	v_pk_max_f16 v8, v8, v8
	v_pk_min_f16 v12, v6, v3
	s_waitcnt lgkmcnt(3)
	v_pk_max_f16 v14, v14, v14
	s_waitcnt lgkmcnt(2)
	v_pk_max_f16 v18, v18, v18
	v_pk_max_f16 v16, v16, v16
	;; [unrolled: 1-line block ×3, first 2 shown]
	s_waitcnt lgkmcnt(1)
	v_pk_max_f16 v22, v22, v22
	v_pk_max_f16 v24, v24, v24
	s_waitcnt lgkmcnt(0)
	v_pk_max_f16 v26, v26, v26
	v_pk_max_f16 v7, v7, v7
	v_pk_max_f16 v28, v28, v28
	v_pk_max_f16 v10, v10, v10
	v_pk_max_f16 v13, v13, v13
	v_pk_min_f16 v30, v18, v3
	v_pk_min_f16 v31, v18, v8
	;; [unrolled: 1-line block ×17, first 2 shown]
	v_pk_max_f16 v9, v9, v9
	v_pk_min_f16 v48, v26, v8
	v_pk_min_f16 v51, v26, v14
	;; [unrolled: 1-line block ×14, first 2 shown]
	v_pk_add_f16 v12, v12, 0
	v_pk_min_f16 v16, v13, v7
	v_pk_max_f16 v15, v15, v15
	v_pk_add_f16 v64, v16, v12
	v_pk_add_f16 v12, v39, 0
	v_pk_min_f16 v16, v13, v9
	v_pk_max_f16 v19, v19, v19
	v_pk_add_f16 v54, v16, v12
	;; [unrolled: 4-line block ×5, first 2 shown]
	v_pk_add_f16 v12, v32, 0
	v_pk_min_f16 v16, v19, v15
	v_pk_min_f16 v31, v25, v7
	v_pk_add_f16 v52, v16, v12
	v_pk_add_f16 v12, v18, 0
	v_pk_min_f16 v16, v19, v17
	v_pk_add_f16 v19, v24, 0
	v_pk_add_f16 v42, v16, v12
	v_pk_add_f16 v12, v33, 0
	v_pk_min_f16 v16, v21, v7
	v_pk_add_f16 v24, v53, 0
	v_pk_add_f16 v72, v16, v12
	;; [unrolled: 1-line block ×3, first 2 shown]
	v_pk_min_f16 v16, v21, v9
	v_pk_max_f16 v11, v11, v11
	v_pk_add_f16 v60, v16, v12
	v_pk_add_f16 v12, v35, 0
	v_pk_min_f16 v16, v21, v15
	v_pk_add_f16 v3, v3, 0
	v_pk_add_f16 v50, v16, v12
	;; [unrolled: 1-line block ×3, first 2 shown]
	v_pk_min_f16 v16, v21, v17
	v_pk_add_f16 v20, v47, 0
	v_pk_add_f16 v39, v16, v12
	v_pk_max_f16 v16, v23, v23
	v_pk_add_f16 v12, v36, 0
	v_pk_min_f16 v18, v16, v7
	v_pk_add_f16 v21, v48, 0
	v_pk_add_f16 v70, v18, v12
	;; [unrolled: 1-line block ×3, first 2 shown]
	v_pk_min_f16 v18, v16, v9
	v_pk_add_f16 v23, v26, 0
	v_pk_add_f16 v58, v18, v12
	;; [unrolled: 1-line block ×3, first 2 shown]
	v_pk_min_f16 v18, v16, v15
	v_pk_min_f16 v16, v16, v17
	v_pk_add_f16 v49, v18, v12
	v_pk_add_f16 v12, v22, 0
	;; [unrolled: 1-line block ×7, first 2 shown]
	v_pk_min_f16 v12, v25, v9
	v_pk_add_f16 v22, v51, 0
	v_pk_add_f16 v63, v12, v16
	v_pk_min_f16 v12, v25, v15
	v_pk_add_f16 v8, v8, 0
	v_pk_add_f16 v53, v12, v18
	;; [unrolled: 3-line block ×3, first 2 shown]
	v_pk_max_f16 v12, v27, v27
	v_pk_add_f16 v14, v14, 0
	v_pk_min_f16 v16, v12, v7
	v_pk_add_f16 v10, v10, 0
	v_pk_add_f16 v69, v16, v20
	v_pk_min_f16 v16, v12, v9
	v_pk_add_f16 v30, v59, 0
	v_pk_add_f16 v61, v16, v21
	v_pk_min_f16 v16, v12, v15
	v_pk_min_f16 v12, v12, v17
	v_pk_add_f16 v51, v16, v22
	v_pk_add_f16 v40, v12, v23
	v_pk_max_f16 v12, v29, v29
	v_pk_add_f16 v28, v28, 0
	v_pk_min_f16 v16, v12, v7
	v_pk_min_f16 v7, v11, v7
	v_pk_add_f16 v68, v16, v24
	v_pk_add_f16 v67, v7, v3
	v_pk_min_f16 v3, v11, v9
	v_pk_min_f16 v16, v12, v9
	v_pk_add_f16 v57, v3, v8
	v_pk_min_f16 v3, v11, v15
	v_pk_add_f16 v6, v6, 0
	v_pk_add_f16 v47, v3, v14
	v_pk_min_f16 v3, v11, v17
	v_pk_add_f16 v59, v16, v26
	v_pk_min_f16 v16, v12, v15
	v_pk_min_f16 v12, v12, v17
	v_pk_add_f16 v41, v3, v10
	v_pk_min_f16 v3, v13, v17
	v_pk_add_f16 v48, v16, v30
	v_pk_add_f16 v37, v12, v28
	;; [unrolled: 1-line block ×3, first 2 shown]
	s_cmp_lt_i32 s14, 9
	ds_write_b16 v65, v0 offset:2560
	ds_write_b16 v65, v1 offset:1024
	;; [unrolled: 1-line block ×3, first 2 shown]
	s_waitcnt lgkmcnt(0)
	s_barrier
	s_cbranch_scc1 .LBB296_33
; %bb.20:
	v_mov_b32_e32 v0, 0xa00
	v_lshl_add_u32 v77, v45, 3, v0
	v_mov_b32_e32 v0, 0x400
	v_add_u32_e32 v2, 12, v4
	v_lshl_add_u32 v78, v46, 3, v0
	v_mad_i64_i32 v[0:1], s[28:29], v2, s22, 0
	v_lshlrev_b64 v[24:25], 1, v[0:1]
	v_add_u32_e32 v0, s25, v5
	v_ashrrev_i32_e32 v1, 31, v0
	v_lshl_add_u64 v[26:27], v[0:1], 1, s[16:17]
	v_mad_i64_i32 v[0:1], s[28:29], v2, s20, 0
	v_lshlrev_b64 v[28:29], 1, v[0:1]
	v_lshl_or_b32 v0, s2, 6, v5
	s_lshl_b32 s2, s26, 6
	v_subrev_u32_e32 v0, s2, v0
	v_ashrrev_i32_e32 v1, 31, v0
	v_add_u32_e32 v2, 8, v4
	s_lshl_b64 s[16:17], s[22:23], 4
	v_lshl_add_u64 v[30:31], v[0:1], 1, s[18:19]
	v_mad_i64_i32 v[0:1], s[22:23], v2, s22, 0
	s_lshl_b64 s[18:19], s[20:21], 4
	v_lshlrev_b64 v[32:33], 1, v[0:1]
	v_mad_i64_i32 v[0:1], s[20:21], v2, s20, 0
	v_or_b32_e32 v74, 0x800, v65
	v_add_u32_e32 v75, 0xa00, v65
	v_or_b32_e32 v76, 0x400, v65
	s_add_i32 s14, s14, -8
	v_lshlrev_b64 v[34:35], 1, v[0:1]
	s_mov_b32 s2, 0
	s_branch .LBB296_23
.LBB296_21:                             ;   in Loop: Header=BB296_23 Depth=1
	v_lshl_add_u64 v[0:1], v[26:27], 0, v[24:25]
	flat_load_ushort v122, v[0:1]
	flat_load_ushort v123, v[0:1] offset:128
	s_waitcnt vmcnt(0) lgkmcnt(0)
	v_mul_f16_e32 v0, s15, v122
	v_mul_f16_e32 v1, s15, v123
.LBB296_22:                             ;   in Loop: Header=BB296_23 Depth=1
	v_pk_add_f16 v20, v20, v54
	v_pk_add_f16 v12, v12, v44
	;; [unrolled: 1-line block ×17, first 2 shown]
	ds_read2_b64 v[8:11], v66 offset0:48 offset1:56
	ds_read2_b64 v[12:15], v56 offset1:32
	v_pk_add_f16 v16, v16, v73
	v_pk_add_f16 v4, v4, v69
	;; [unrolled: 1-line block ×3, first 2 shown]
	s_waitcnt lgkmcnt(1)
	v_pk_max_f16 v10, v10, v10
	s_waitcnt lgkmcnt(0)
	v_pk_max_f16 v12, v12, v12
	v_pk_add_f16 v18, v18, v72
	v_pk_add_f16 v52, v84, v58
	;; [unrolled: 1-line block ×9, first 2 shown]
	ds_read2_b64 v[2:5], v56 offset0:64 offset1:96
	v_pk_min_f16 v16, v10, v12
	v_pk_add_f16 v54, v87, v63
	v_pk_add_f16 v63, v19, v18
	;; [unrolled: 1-line block ×4, first 2 shown]
	ds_read2_b64 v[16:19], v66 offset1:8
	v_pk_max_f16 v14, v14, v14
	s_waitcnt lgkmcnt(1)
	v_pk_max_f16 v2, v2, v2
	v_pk_min_f16 v61, v10, v14
	v_pk_add_f16 v42, v102, v42
	v_pk_add_f16 v61, v61, v20
	v_pk_min_f16 v20, v10, v2
	s_waitcnt lgkmcnt(0)
	v_pk_max_f16 v16, v16, v16
	v_pk_add_f16 v69, v20, v21
	v_pk_min_f16 v20, v16, v12
	v_pk_max_f16 v18, v18, v18
	v_pk_add_f16 v62, v20, v62
	v_pk_min_f16 v20, v16, v14
	v_pk_add_f16 v39, v83, v39
	v_pk_add_f16 v70, v20, v22
	v_pk_min_f16 v20, v16, v2
	v_pk_max_f16 v4, v4, v4
	v_pk_add_f16 v71, v20, v23
	v_pk_min_f16 v20, v18, v12
	v_pk_add_f16 v39, v104, v39
	v_pk_add_f16 v63, v20, v63
	v_pk_min_f16 v20, v18, v14
	v_pk_add_f16 v50, v82, v50
	v_pk_add_f16 v84, v20, v42
	ds_read2_b64 v[20:23], v66 offset0:16 offset1:24
	v_pk_min_f16 v42, v18, v2
	v_pk_min_f16 v18, v18, v4
	v_pk_add_f16 v49, v85, v49
	v_pk_add_f16 v18, v18, v39
	s_waitcnt lgkmcnt(0)
	v_pk_max_f16 v20, v20, v20
	v_pk_add_f16 v38, v86, v38
	v_pk_min_f16 v39, v20, v12
	v_pk_add_f16 v52, v105, v52
	v_pk_add_f16 v85, v39, v64
	v_pk_min_f16 v39, v20, v14
	ds_read2_b64 v[80:83], v66 offset0:32 offset1:40
	v_pk_add_f16 v38, v107, v38
	v_pk_add_f16 v86, v39, v52
	v_pk_min_f16 v39, v20, v2
	v_pk_min_f16 v20, v20, v4
	v_pk_max_f16 v22, v22, v22
	v_pk_add_f16 v20, v20, v38
	v_pk_min_f16 v38, v22, v12
	v_pk_add_f16 v53, v88, v53
	v_pk_add_f16 v54, v108, v54
	;; [unrolled: 1-line block ×3, first 2 shown]
	v_pk_min_f16 v38, v22, v14
	v_pk_add_f16 v53, v109, v53
	v_pk_add_f16 v87, v38, v54
	v_pk_min_f16 v38, v22, v2
	v_pk_add_f16 v49, v106, v49
	v_pk_add_f16 v53, v38, v53
	s_waitcnt lgkmcnt(0)
	v_pk_max_f16 v38, v80, v80
	v_pk_add_f16 v49, v39, v49
	v_pk_min_f16 v39, v38, v12
	v_pk_add_f16 v40, v92, v40
	v_pk_add_f16 v58, v112, v58
	;; [unrolled: 1-line block ×3, first 2 shown]
	v_pk_min_f16 v39, v38, v14
	v_pk_add_f16 v51, v91, v51
	v_pk_add_f16 v40, v114, v40
	;; [unrolled: 1-line block ×3, first 2 shown]
	v_pk_min_f16 v39, v38, v2
	v_pk_min_f16 v38, v38, v4
	v_pk_add_f16 v51, v113, v51
	v_pk_add_f16 v40, v38, v40
	v_pk_max_f16 v38, v82, v82
	v_pk_add_f16 v59, v93, v59
	v_pk_add_f16 v6, v115, v6
	v_pk_add_f16 v51, v39, v51
	v_pk_min_f16 v39, v38, v12
	v_pk_add_f16 v59, v116, v59
	v_pk_add_f16 v6, v39, v6
	v_pk_min_f16 v39, v38, v14
	v_pk_max_f16 v8, v8, v8
	v_pk_min_f16 v16, v16, v4
	v_pk_min_f16 v22, v22, v4
	v_pk_add_f16 v59, v39, v59
	v_pk_min_f16 v39, v38, v2
	v_pk_min_f16 v38, v38, v4
	v_pk_min_f16 v12, v8, v12
	v_pk_min_f16 v14, v8, v14
	v_pk_min_f16 v2, v8, v2
	v_pk_min_f16 v8, v8, v4
	v_pk_min_f16 v4, v10, v4
	v_pk_max_f16 v10, v13, v13
	v_pk_add_f16 v4, v4, v7
	v_pk_max_f16 v7, v11, v11
	v_pk_max_f16 v3, v3, v3
	v_pk_min_f16 v11, v7, v10
	v_pk_add_f16 v16, v16, v44
	v_pk_add_f16 v64, v11, v36
	v_pk_max_f16 v11, v15, v15
	v_pk_max_f16 v5, v5, v5
	v_pk_min_f16 v13, v7, v11
	v_pk_add_f16 v50, v103, v50
	v_pk_add_f16 v54, v13, v61
	v_pk_min_f16 v13, v7, v3
	v_pk_add_f16 v50, v42, v50
	v_pk_add_f16 v44, v13, v69
	v_pk_max_f16 v13, v17, v17
	v_pk_add_f16 v48, v94, v48
	v_pk_min_f16 v15, v13, v10
	v_pk_add_f16 v60, v119, v60
	v_pk_add_f16 v73, v15, v62
	v_pk_min_f16 v15, v13, v11
	v_pk_add_f16 v48, v117, v48
	v_pk_add_f16 v62, v15, v70
	v_pk_min_f16 v15, v13, v3
	v_pk_min_f16 v13, v13, v5
	v_pk_add_f16 v52, v15, v71
	v_pk_add_f16 v42, v13, v16
	v_pk_max_f16 v13, v19, v19
	v_pk_add_f16 v12, v12, v60
	v_pk_min_f16 v15, v13, v10
	v_pk_add_f16 v48, v39, v48
	v_pk_add_f16 v72, v15, v63
	v_pk_min_f16 v15, v13, v11
	v_pk_add_f16 v37, v95, v37
	v_pk_add_f16 v60, v15, v84
	v_pk_min_f16 v15, v13, v3
	;; [unrolled: 12-line block ×6, first 2 shown]
	s_add_i32 s2, s2, 8
	v_pk_add_f16 v48, v6, v48
	v_pk_min_f16 v6, v13, v5
	v_lshl_add_u64 v[26:27], v[26:27], 0, s[16:17]
	v_pk_add_f16 v37, v6, v37
	v_pk_max_f16 v6, v9, v9
	s_cmp_ge_i32 s2, s14
	v_pk_min_f16 v3, v6, v3
	v_pk_min_f16 v9, v6, v10
	v_pk_add_f16 v47, v3, v2
	v_pk_min_f16 v2, v6, v5
	v_pk_add_f16 v67, v9, v12
	;; [unrolled: 2-line block ×4, first 2 shown]
	v_pk_add_f16 v36, v2, v4
	v_lshl_add_u64 v[30:31], v[30:31], 0, s[18:19]
	ds_write_b16 v75, v79
	ds_write_b16 v76, v0
	ds_write_b16 v76, v1 offset:512
	s_waitcnt lgkmcnt(0)
	s_barrier
	s_cbranch_scc1 .LBB296_33
.LBB296_23:                             ; =>This Inner Loop Header: Depth=1
	s_and_b64 vcc, exec, s[4:5]
	s_cbranch_vccnz .LBB296_26
; %bb.24:                               ;   in Loop: Header=BB296_23 Depth=1
	v_lshl_add_u64 v[0:1], v[30:31], 0, v[34:35]
	flat_load_ushort v0, v[0:1]
	s_waitcnt vmcnt(0) lgkmcnt(0)
	v_mul_f16_e32 v79, s15, v0
	s_and_b64 vcc, exec, s[4:5]
	s_cbranch_vccnz .LBB296_27
.LBB296_25:                             ;   in Loop: Header=BB296_23 Depth=1
	v_lshl_add_u64 v[0:1], v[26:27], 0, v[32:33]
	flat_load_ushort v2, v[0:1]
	flat_load_ushort v3, v[0:1] offset:128
	s_waitcnt vmcnt(0) lgkmcnt(0)
	v_mul_f16_e32 v80, s15, v2
	v_mul_f16_e32 v81, s15, v3
	s_branch .LBB296_28
.LBB296_26:                             ;   in Loop: Header=BB296_23 Depth=1
	v_mov_b32_e32 v79, 0
	s_and_b64 vcc, exec, s[4:5]
	s_cbranch_vccz .LBB296_25
.LBB296_27:                             ;   in Loop: Header=BB296_23 Depth=1
	v_mov_b32_e32 v80, 0
	v_mov_b32_e32 v81, 0
.LBB296_28:                             ;   in Loop: Header=BB296_23 Depth=1
	ds_read2_b64 v[0:3], v77 offset0:48 offset1:56
	ds_read2_b64 v[12:15], v78 offset0:64 offset1:96
	ds_read2_b64 v[20:23], v78 offset1:32
	ds_read2_b64 v[16:19], v77 offset1:8
	ds_read2_b64 v[8:11], v77 offset0:16 offset1:24
	ds_read2_b64 v[4:7], v77 offset0:32 offset1:40
	s_and_b64 vcc, exec, s[4:5]
	ds_write_b16 v74, v79
	ds_write_b16 v65, v80
	ds_write_b16 v65, v81 offset:512
	s_waitcnt lgkmcnt(0)
	s_barrier
	s_cbranch_vccnz .LBB296_30
; %bb.29:                               ;   in Loop: Header=BB296_23 Depth=1
	v_lshl_add_u64 v[80:81], v[30:31], 0, v[28:29]
	flat_load_ushort v79, v[80:81]
	s_waitcnt vmcnt(0) lgkmcnt(0)
	v_mul_f16_e32 v79, s15, v79
	s_branch .LBB296_31
.LBB296_30:                             ;   in Loop: Header=BB296_23 Depth=1
	v_mov_b32_e32 v79, 0
.LBB296_31:                             ;   in Loop: Header=BB296_23 Depth=1
	v_pk_max_f16 v100, v2, v2
	v_pk_max_f16 v96, v20, v20
	;; [unrolled: 1-line block ×17, first 2 shown]
	v_pk_min_f16 v2, v100, v96
	v_pk_min_f16 v20, v100, v97
	;; [unrolled: 1-line block ×26, first 2 shown]
	v_pk_max_f16 v0, v3, v3
	v_pk_max_f16 v102, v17, v17
	;; [unrolled: 1-line block ×5, first 2 shown]
	v_pk_min_f16 v111, v5, v119
	v_pk_min_f16 v112, v5, v120
	;; [unrolled: 1-line block ×4, first 2 shown]
	v_pk_max_f16 v5, v7, v7
	v_pk_max_f16 v1, v1, v1
	v_pk_min_f16 v83, v83, v101
	v_pk_min_f16 v86, v86, v101
	;; [unrolled: 1-line block ×33, first 2 shown]
	s_and_b64 vcc, exec, s[4:5]
	v_pk_min_f16 v7, v0, v122
	s_cbranch_vccz .LBB296_21
; %bb.32:                               ;   in Loop: Header=BB296_23 Depth=1
	v_mov_b32_e32 v0, 0
	v_mov_b32_e32 v1, 0
	s_branch .LBB296_22
.LBB296_33:
	s_load_dword s14, s[0:1], 0x50
	ds_read_b64 v[20:21], v56 offset:1024
	ds_read_b64 v[26:27], v55 offset:2560
	v_add_u32_e32 v28, s25, v46
	v_cmp_neq_f16_e64 s[4:5], s12, 0
	v_add_u32_e32 v16, s24, v45
	s_waitcnt lgkmcnt(0)
	v_mad_i64_i32 v[0:1], s[16:17], v28, s14, 0
	v_ashrrev_i32_e32 v17, 31, v16
	v_lshl_add_u64 v[22:23], v[0:1], 1, s[8:9]
	s_and_b64 vcc, exec, s[4:5]
	v_mov_b32_e32 v33, 0
	v_mov_b32_e32 v31, 0
	s_cbranch_vccz .LBB296_35
; %bb.34:
	v_lshl_add_u64 v[0:1], v[16:17], 1, v[22:23]
	flat_load_ushort v0, v[0:1]
	s_waitcnt vmcnt(0) lgkmcnt(0)
	v_mul_f16_e32 v31, s12, v0
.LBB296_35:
	ds_read_b64 v[24:25], v55 offset:3008
	ds_read_b64 v[18:19], v56 offset:1792
	ds_read2_b64 v[0:3], v56 offset0:160 offset1:192
	s_load_dword s15, s[0:1], 0x68
	s_load_dwordx2 s[16:17], s[0:1], 0x70
	v_pk_max_f16 v74, v20, v20
	v_pk_max_f16 v29, v26, v26
	v_add_u32_e32 v4, 0x800, v55
	v_pk_min_f16 v20, v29, v74
	s_waitcnt lgkmcnt(0)
	s_mul_i32 s0, s3, s17
	s_mul_hi_u32 s1, s3, s16
	s_add_i32 s0, s1, s0
	s_mul_i32 s1, s13, s16
	ds_read2_b64 v[12:15], v4 offset0:72 offset1:80
	ds_read2_b64 v[8:11], v4 offset0:88 offset1:96
	;; [unrolled: 1-line block ×3, first 2 shown]
	s_add_i32 s1, s0, s1
	s_mul_i32 s0, s3, s16
	v_pk_add_f16 v20, v20, v73
	v_pk_max_f16 v73, v21, v21
	v_pk_max_f16 v30, v27, v27
	s_lshl_b64 s[0:1], s[0:1], 1
	v_pk_min_f16 v21, v30, v73
	s_add_u32 s2, s10, s0
	v_pk_add_f16 v32, v21, v20
	s_addc_u32 s3, s11, s1
	v_mad_i64_i32 v[26:27], s[0:1], v28, s15, 0
	v_add_f16_sdwa v32, v32, v32 dst_sel:DWORD dst_unused:UNUSED_PAD src0_sel:DWORD src1_sel:WORD_1
	v_add_u32_e32 v20, 8, v16
	v_lshl_add_u64 v[26:27], v[26:27], 1, s[2:3]
	v_add_f16_e32 v31, v32, v31
	v_cndmask_b32_e64 v32, 0, 1, s[4:5]
	v_ashrrev_i32_e32 v21, 31, v20
	v_lshl_add_u64 v[34:35], v[16:17], 1, v[26:27]
	v_cmp_ne_u32_e64 s[0:1], 1, v32
	s_andn2_b64 vcc, exec, s[4:5]
	global_store_short v[34:35], v31, off
	s_cbranch_vccnz .LBB296_37
; %bb.36:
	v_lshl_add_u64 v[32:33], v[20:21], 1, v[22:23]
	flat_load_ushort v31, v[32:33]
	s_waitcnt vmcnt(0) lgkmcnt(0)
	v_mul_f16_e32 v33, s12, v31
.LBB296_37:
	s_waitcnt lgkmcnt(2)
	v_pk_max_f16 v31, v12, v12
	v_pk_max_f16 v32, v13, v13
	v_pk_min_f16 v12, v31, v74
	v_pk_min_f16 v13, v32, v73
	v_pk_add_f16 v12, v12, v72
	s_and_b64 vcc, exec, s[0:1]
	v_pk_add_f16 v12, v13, v12
	v_mov_b32_e32 v46, 0
	v_add_f16_sdwa v34, v12, v12 dst_sel:DWORD dst_unused:UNUSED_PAD src0_sel:DWORD src1_sel:WORD_1
	v_add_u32_e32 v12, 16, v16
	v_add_f16_e32 v33, v34, v33
	v_lshl_add_u64 v[34:35], v[20:21], 1, v[26:27]
	v_ashrrev_i32_e32 v13, 31, v12
	global_store_short v[34:35], v33, off
	v_mov_b32_e32 v35, 0
	s_cbranch_vccnz .LBB296_39
; %bb.38:
	v_lshl_add_u64 v[34:35], v[12:13], 1, v[22:23]
	flat_load_ushort v33, v[34:35]
	s_waitcnt vmcnt(0) lgkmcnt(0)
	v_mul_f16_e32 v35, s12, v33
.LBB296_39:
	v_pk_max_f16 v33, v14, v14
	v_pk_max_f16 v34, v15, v15
	v_pk_min_f16 v14, v33, v74
	v_pk_min_f16 v15, v34, v73
	v_pk_add_f16 v14, v14, v70
	v_lshl_add_u64 v[76:77], v[12:13], 1, v[26:27]
	v_pk_add_f16 v14, v15, v14
	s_and_b64 vcc, exec, s[0:1]
	v_add_f16_sdwa v45, v14, v14 dst_sel:DWORD dst_unused:UNUSED_PAD src0_sel:DWORD src1_sel:WORD_1
	v_add_u32_e32 v14, 24, v16
	v_ashrrev_i32_e32 v15, 31, v14
	v_add_f16_e32 v35, v45, v35
	global_store_short v[76:77], v35, off
	s_cbranch_vccnz .LBB296_41
; %bb.40:
	v_lshl_add_u64 v[76:77], v[14:15], 1, v[22:23]
	flat_load_ushort v35, v[76:77]
	s_waitcnt vmcnt(0) lgkmcnt(0)
	v_mul_f16_e32 v46, s12, v35
.LBB296_41:
	s_waitcnt lgkmcnt(1)
	v_pk_max_f16 v35, v8, v8
	v_pk_max_f16 v45, v9, v9
	v_pk_min_f16 v8, v35, v74
	v_pk_min_f16 v9, v45, v73
	v_pk_add_f16 v8, v8, v71
	v_lshl_add_u64 v[70:71], v[14:15], 1, v[26:27]
	v_pk_add_f16 v8, v9, v8
	s_and_b64 vcc, exec, s[0:1]
	v_add_f16_sdwa v55, v8, v8 dst_sel:DWORD dst_unused:UNUSED_PAD src0_sel:DWORD src1_sel:WORD_1
	v_add_u32_e32 v8, 32, v16
	v_ashrrev_i32_e32 v9, 31, v8
	v_add_f16_e32 v46, v55, v46
	v_mov_b32_e32 v66, 0
	v_mov_b32_e32 v56, 0
	global_store_short v[70:71], v46, off
	s_cbranch_vccnz .LBB296_43
; %bb.42:
	v_lshl_add_u64 v[70:71], v[8:9], 1, v[22:23]
	flat_load_ushort v46, v[70:71]
	s_waitcnt vmcnt(0) lgkmcnt(0)
	v_mul_f16_e32 v56, s12, v46
.LBB296_43:
	v_pk_max_f16 v46, v10, v10
	v_pk_max_f16 v55, v11, v11
	v_pk_min_f16 v10, v46, v74
	v_pk_min_f16 v11, v55, v73
	v_pk_add_f16 v10, v10, v69
	v_lshl_add_u64 v[70:71], v[8:9], 1, v[26:27]
	v_pk_add_f16 v10, v11, v10
	s_and_b64 vcc, exec, s[0:1]
	v_add_f16_sdwa v65, v10, v10 dst_sel:DWORD dst_unused:UNUSED_PAD src0_sel:DWORD src1_sel:WORD_1
	v_add_u32_e32 v10, 40, v16
	v_ashrrev_i32_e32 v11, 31, v10
	v_add_f16_e32 v56, v65, v56
	global_store_short v[70:71], v56, off
	s_cbranch_vccnz .LBB296_45
; %bb.44:
	v_lshl_add_u64 v[70:71], v[10:11], 1, v[22:23]
	flat_load_ushort v56, v[70:71]
	s_waitcnt vmcnt(0) lgkmcnt(0)
	v_mul_f16_e32 v66, s12, v56
.LBB296_45:
	s_waitcnt lgkmcnt(0)
	v_pk_max_f16 v56, v4, v4
	v_pk_max_f16 v65, v5, v5
	v_pk_min_f16 v4, v56, v74
	v_pk_min_f16 v5, v65, v73
	v_pk_add_f16 v4, v4, v68
	s_and_b64 vcc, exec, s[0:1]
	v_pk_add_f16 v4, v5, v4
	s_nop 0
	v_add_f16_sdwa v68, v4, v4 dst_sel:DWORD dst_unused:UNUSED_PAD src0_sel:DWORD src1_sel:WORD_1
	v_add_u32_e32 v4, 48, v16
	v_add_f16_e32 v66, v68, v66
	v_lshl_add_u64 v[68:69], v[10:11], 1, v[26:27]
	v_ashrrev_i32_e32 v5, 31, v4
	global_store_short v[68:69], v66, off
	v_mov_b32_e32 v68, 0
	v_mov_b32_e32 v69, 0
	s_cbranch_vccnz .LBB296_47
; %bb.46:
	v_lshl_add_u64 v[70:71], v[4:5], 1, v[22:23]
	flat_load_ushort v66, v[70:71]
	s_waitcnt vmcnt(0) lgkmcnt(0)
	v_mul_f16_e32 v69, s12, v66
.LBB296_47:
	v_pk_max_f16 v66, v6, v6
	s_and_b64 vcc, exec, s[0:1]
	v_pk_min_f16 v6, v66, v74
	s_nop 0
	v_pk_add_f16 v6, v6, v67
	v_pk_max_f16 v67, v7, v7
	s_nop 0
	v_pk_min_f16 v7, v67, v73
	s_nop 0
	v_pk_add_f16 v6, v7, v6
	s_nop 0
	v_add_f16_sdwa v70, v6, v6 dst_sel:DWORD dst_unused:UNUSED_PAD src0_sel:DWORD src1_sel:WORD_1
	v_add_u32_e32 v6, 56, v16
	v_ashrrev_i32_e32 v7, 31, v6
	v_add_f16_e32 v69, v70, v69
	v_lshl_add_u64 v[70:71], v[4:5], 1, v[26:27]
	global_store_short v[70:71], v69, off
	s_cbranch_vccnz .LBB296_49
; %bb.48:
	v_lshl_add_u64 v[22:23], v[6:7], 1, v[22:23]
	flat_load_ushort v22, v[22:23]
	s_waitcnt vmcnt(0) lgkmcnt(0)
	v_mul_f16_e32 v68, s12, v22
.LBB296_49:
	v_pk_max_f16 v24, v24, v24
	v_pk_max_f16 v25, v25, v25
	v_pk_min_f16 v22, v24, v74
	v_pk_min_f16 v23, v25, v73
	v_pk_add_f16 v22, v22, v64
	s_and_b64 vcc, exec, s[0:1]
	v_pk_add_f16 v22, v23, v22
	v_mov_b32_e32 v69, 0
	v_add_f16_sdwa v22, v22, v22 dst_sel:DWORD dst_unused:UNUSED_PAD src0_sel:DWORD src1_sel:WORD_1
	v_add_f16_e32 v64, v22, v68
	v_lshl_add_u64 v[22:23], v[6:7], 1, v[26:27]
	v_add_u32_e32 v68, 32, v28
	global_store_short v[22:23], v64, off
	v_mad_i64_i32 v[22:23], s[4:5], v68, s14, 0
	v_lshl_add_u64 v[22:23], v[22:23], 1, s[8:9]
	v_mov_b32_e32 v64, 0
	s_cbranch_vccnz .LBB296_51
; %bb.50:
	v_lshl_add_u64 v[26:27], v[16:17], 1, v[22:23]
	flat_load_ushort v26, v[26:27]
	s_waitcnt vmcnt(0) lgkmcnt(0)
	v_mul_f16_e32 v69, s12, v26
.LBB296_51:
	v_pk_max_f16 v26, v0, v0
	v_pk_max_f16 v27, v1, v1
	v_pk_min_f16 v0, v29, v26
	v_pk_min_f16 v1, v30, v27
	v_pk_add_f16 v0, v0, v62
	s_and_b64 vcc, exec, s[0:1]
	v_pk_add_f16 v62, v1, v0
	v_mad_i64_i32 v[0:1], s[4:5], v68, s15, 0
	v_lshl_add_u64 v[0:1], v[0:1], 1, s[2:3]
	v_add_f16_sdwa v62, v62, v62 dst_sel:DWORD dst_unused:UNUSED_PAD src0_sel:DWORD src1_sel:WORD_1
	v_add_f16_e32 v62, v62, v69
	v_lshl_add_u64 v[68:69], v[16:17], 1, v[0:1]
	global_store_short v[68:69], v62, off
	s_cbranch_vccnz .LBB296_53
; %bb.52:
	v_lshl_add_u64 v[68:69], v[20:21], 1, v[22:23]
	flat_load_ushort v62, v[68:69]
	s_waitcnt vmcnt(0) lgkmcnt(0)
	v_mul_f16_e32 v64, s12, v62
.LBB296_53:
	v_pk_min_f16 v62, v31, v26
	v_lshl_add_u64 v[68:69], v[20:21], 1, v[0:1]
	v_pk_add_f16 v60, v62, v60
	v_pk_min_f16 v62, v32, v27
	s_and_b64 vcc, exec, s[0:1]
	v_pk_add_f16 v60, v62, v60
	v_mov_b32_e32 v62, 0
	v_add_f16_sdwa v60, v60, v60 dst_sel:DWORD dst_unused:UNUSED_PAD src0_sel:DWORD src1_sel:WORD_1
	v_add_f16_e32 v60, v60, v64
	global_store_short v[68:69], v60, off
	v_mov_b32_e32 v60, 0
	s_cbranch_vccnz .LBB296_55
; %bb.54:
	v_lshl_add_u64 v[68:69], v[12:13], 1, v[22:23]
	flat_load_ushort v62, v[68:69]
	s_waitcnt vmcnt(0) lgkmcnt(0)
	v_mul_f16_e32 v62, s12, v62
.LBB296_55:
	v_pk_min_f16 v64, v33, v26
	v_lshl_add_u64 v[68:69], v[12:13], 1, v[0:1]
	v_pk_add_f16 v58, v64, v58
	v_pk_min_f16 v64, v34, v27
	s_and_b64 vcc, exec, s[0:1]
	v_pk_add_f16 v58, v64, v58
	s_nop 0
	v_add_f16_sdwa v58, v58, v58 dst_sel:DWORD dst_unused:UNUSED_PAD src0_sel:DWORD src1_sel:WORD_1
	v_add_f16_e32 v58, v58, v62
	global_store_short v[68:69], v58, off
	s_cbranch_vccnz .LBB296_57
; %bb.56:
	v_lshl_add_u64 v[68:69], v[14:15], 1, v[22:23]
	flat_load_ushort v58, v[68:69]
	s_waitcnt vmcnt(0) lgkmcnt(0)
	v_mul_f16_e32 v60, s12, v58
.LBB296_57:
	v_pk_min_f16 v58, v35, v26
	v_pk_min_f16 v62, v45, v27
	v_pk_add_f16 v58, v58, v63
	s_and_b64 vcc, exec, s[0:1]
	v_pk_add_f16 v58, v62, v58
	v_lshl_add_u64 v[62:63], v[14:15], 1, v[0:1]
	v_add_f16_sdwa v58, v58, v58 dst_sel:DWORD dst_unused:UNUSED_PAD src0_sel:DWORD src1_sel:WORD_1
	v_add_f16_e32 v58, v58, v60
	global_store_short v[62:63], v58, off
	v_mov_b32_e32 v58, 0
	v_mov_b32_e32 v60, 0
	s_cbranch_vccnz .LBB296_59
; %bb.58:
	v_lshl_add_u64 v[62:63], v[8:9], 1, v[22:23]
	flat_load_ushort v60, v[62:63]
	s_waitcnt vmcnt(0) lgkmcnt(0)
	v_mul_f16_e32 v60, s12, v60
.LBB296_59:
	v_pk_min_f16 v62, v46, v26
	s_and_b64 vcc, exec, s[0:1]
	v_pk_add_f16 v61, v62, v61
	v_pk_min_f16 v62, v55, v27
	s_nop 0
	v_pk_add_f16 v61, v62, v61
	s_nop 0
	v_add_f16_sdwa v61, v61, v61 dst_sel:DWORD dst_unused:UNUSED_PAD src0_sel:DWORD src1_sel:WORD_1
	v_add_f16_e32 v62, v61, v60
	v_lshl_add_u64 v[60:61], v[8:9], 1, v[0:1]
	global_store_short v[60:61], v62, off
	s_cbranch_vccnz .LBB296_61
; %bb.60:
	v_lshl_add_u64 v[60:61], v[10:11], 1, v[22:23]
	flat_load_ushort v58, v[60:61]
	s_waitcnt vmcnt(0) lgkmcnt(0)
	v_mul_f16_e32 v58, s12, v58
.LBB296_61:
	v_pk_min_f16 v60, v56, v26
	s_and_b64 vcc, exec, s[0:1]
	v_pk_add_f16 v59, v60, v59
	v_pk_min_f16 v60, v65, v27
	s_nop 0
	v_pk_add_f16 v59, v60, v59
	s_nop 0
	v_add_f16_sdwa v59, v59, v59 dst_sel:DWORD dst_unused:UNUSED_PAD src0_sel:DWORD src1_sel:WORD_1
	v_add_f16_e32 v60, v59, v58
	v_lshl_add_u64 v[58:59], v[10:11], 1, v[0:1]
	global_store_short v[58:59], v60, off
	v_mov_b32_e32 v58, 0
	v_mov_b32_e32 v59, 0
	s_cbranch_vccnz .LBB296_63
; %bb.62:
	v_lshl_add_u64 v[60:61], v[4:5], 1, v[22:23]
	flat_load_ushort v59, v[60:61]
	s_waitcnt vmcnt(0) lgkmcnt(0)
	v_mul_f16_e32 v59, s12, v59
.LBB296_63:
	v_pk_min_f16 v60, v66, v26
	s_and_b64 vcc, exec, s[0:1]
	v_pk_add_f16 v57, v60, v57
	v_pk_min_f16 v60, v67, v27
	s_nop 0
	v_pk_add_f16 v57, v60, v57
	v_lshl_add_u64 v[60:61], v[4:5], 1, v[0:1]
	v_add_f16_sdwa v57, v57, v57 dst_sel:DWORD dst_unused:UNUSED_PAD src0_sel:DWORD src1_sel:WORD_1
	v_add_f16_e32 v57, v57, v59
	global_store_short v[60:61], v57, off
	s_cbranch_vccnz .LBB296_65
; %bb.64:
	v_lshl_add_u64 v[22:23], v[6:7], 1, v[22:23]
	flat_load_ushort v22, v[22:23]
	s_waitcnt vmcnt(0) lgkmcnt(0)
	v_mul_f16_e32 v58, s12, v22
.LBB296_65:
	v_pk_min_f16 v22, v24, v26
	v_pk_min_f16 v23, v25, v27
	v_pk_add_f16 v22, v22, v54
	v_lshl_add_u64 v[0:1], v[6:7], 1, v[0:1]
	v_pk_add_f16 v22, v23, v22
	v_add_u32_e32 v27, 64, v28
	v_add_f16_sdwa v22, v22, v22 dst_sel:DWORD dst_unused:UNUSED_PAD src0_sel:DWORD src1_sel:WORD_1
	v_add_f16_e32 v22, v22, v58
	global_store_short v[0:1], v22, off
	v_mad_i64_i32 v[0:1], s[4:5], v27, s14, 0
	v_lshl_add_u64 v[0:1], v[0:1], 1, s[8:9]
	s_and_b64 vcc, exec, s[0:1]
	v_mov_b32_e32 v26, 0
	v_mov_b32_e32 v54, 0
	s_cbranch_vccnz .LBB296_67
; %bb.66:
	v_lshl_add_u64 v[22:23], v[16:17], 1, v[0:1]
	flat_load_ushort v22, v[22:23]
	s_waitcnt vmcnt(0) lgkmcnt(0)
	v_mul_f16_e32 v54, s12, v22
.LBB296_67:
	v_pk_max_f16 v22, v2, v2
	v_pk_max_f16 v23, v3, v3
	v_pk_min_f16 v2, v29, v22
	v_pk_min_f16 v3, v30, v23
	v_pk_add_f16 v2, v2, v52
	s_and_b64 vcc, exec, s[0:1]
	v_pk_add_f16 v52, v3, v2
	v_mad_i64_i32 v[2:3], s[4:5], v27, s15, 0
	v_lshl_add_u64 v[2:3], v[2:3], 1, s[2:3]
	v_add_f16_sdwa v27, v52, v52 dst_sel:DWORD dst_unused:UNUSED_PAD src0_sel:DWORD src1_sel:WORD_1
	v_add_f16_e32 v27, v27, v54
	v_lshl_add_u64 v[58:59], v[16:17], 1, v[2:3]
	global_store_short v[58:59], v27, off
	s_cbranch_vccnz .LBB296_69
; %bb.68:
	v_lshl_add_u64 v[26:27], v[20:21], 1, v[0:1]
	flat_load_ushort v26, v[26:27]
	s_waitcnt vmcnt(0) lgkmcnt(0)
	v_mul_f16_e32 v26, s12, v26
.LBB296_69:
	v_pk_min_f16 v27, v31, v22
	s_and_b64 vcc, exec, s[0:1]
	v_pk_add_f16 v27, v27, v50
	v_pk_min_f16 v50, v32, v23
	s_nop 0
	v_pk_add_f16 v27, v50, v27
	s_nop 0
	v_add_f16_sdwa v27, v27, v27 dst_sel:DWORD dst_unused:UNUSED_PAD src0_sel:DWORD src1_sel:WORD_1
	v_add_f16_e32 v50, v27, v26
	v_lshl_add_u64 v[26:27], v[20:21], 1, v[2:3]
	global_store_short v[26:27], v50, off
	v_mov_b32_e32 v26, 0
	v_mov_b32_e32 v27, 0
	s_cbranch_vccnz .LBB296_71
; %bb.70:
	v_lshl_add_u64 v[58:59], v[12:13], 1, v[0:1]
	flat_load_ushort v27, v[58:59]
	s_waitcnt vmcnt(0) lgkmcnt(0)
	v_mul_f16_e32 v27, s12, v27
.LBB296_71:
	v_pk_min_f16 v50, v33, v22
	v_lshl_add_u64 v[58:59], v[12:13], 1, v[2:3]
	v_pk_add_f16 v49, v50, v49
	v_pk_min_f16 v50, v34, v23
	s_and_b64 vcc, exec, s[0:1]
	v_pk_add_f16 v49, v50, v49
	s_nop 0
	v_add_f16_sdwa v49, v49, v49 dst_sel:DWORD dst_unused:UNUSED_PAD src0_sel:DWORD src1_sel:WORD_1
	v_add_f16_e32 v27, v49, v27
	global_store_short v[58:59], v27, off
	s_cbranch_vccnz .LBB296_73
; %bb.72:
	v_lshl_add_u64 v[26:27], v[14:15], 1, v[0:1]
	flat_load_ushort v26, v[26:27]
	s_waitcnt vmcnt(0) lgkmcnt(0)
	v_mul_f16_e32 v26, s12, v26
.LBB296_73:
	v_pk_min_f16 v27, v35, v22
	v_pk_min_f16 v49, v45, v23
	v_pk_add_f16 v27, v27, v53
	s_and_b64 vcc, exec, s[0:1]
	v_pk_add_f16 v27, v49, v27
	s_nop 0
	v_add_f16_sdwa v27, v27, v27 dst_sel:DWORD dst_unused:UNUSED_PAD src0_sel:DWORD src1_sel:WORD_1
	v_add_f16_e32 v49, v27, v26
	v_lshl_add_u64 v[26:27], v[14:15], 1, v[2:3]
	global_store_short v[26:27], v49, off
	v_mov_b32_e32 v26, 0
	v_mov_b32_e32 v27, 0
	s_cbranch_vccnz .LBB296_75
; %bb.74:
	v_lshl_add_u64 v[52:53], v[8:9], 1, v[0:1]
	flat_load_ushort v27, v[52:53]
	s_waitcnt vmcnt(0) lgkmcnt(0)
	v_mul_f16_e32 v27, s12, v27
.LBB296_75:
	v_pk_min_f16 v49, v46, v22
	v_pk_min_f16 v50, v55, v23
	v_pk_add_f16 v49, v49, v51
	s_and_b64 vcc, exec, s[0:1]
	v_pk_add_f16 v49, v50, v49
	v_lshl_add_u64 v[50:51], v[8:9], 1, v[2:3]
	v_add_f16_sdwa v49, v49, v49 dst_sel:DWORD dst_unused:UNUSED_PAD src0_sel:DWORD src1_sel:WORD_1
	v_add_f16_e32 v27, v49, v27
	global_store_short v[50:51], v27, off
	s_cbranch_vccnz .LBB296_77
; %bb.76:
	v_lshl_add_u64 v[26:27], v[10:11], 1, v[0:1]
	flat_load_ushort v26, v[26:27]
	s_waitcnt vmcnt(0) lgkmcnt(0)
	v_mul_f16_e32 v26, s12, v26
.LBB296_77:
	v_pk_min_f16 v27, v56, v22
	s_and_b64 vcc, exec, s[0:1]
	v_pk_add_f16 v27, v27, v48
	v_pk_min_f16 v48, v65, v23
	s_nop 0
	v_pk_add_f16 v27, v48, v27
	s_nop 0
	v_add_f16_sdwa v27, v27, v27 dst_sel:DWORD dst_unused:UNUSED_PAD src0_sel:DWORD src1_sel:WORD_1
	v_add_f16_e32 v48, v27, v26
	v_lshl_add_u64 v[26:27], v[10:11], 1, v[2:3]
	global_store_short v[26:27], v48, off
	v_mov_b32_e32 v26, 0
	v_mov_b32_e32 v27, 0
	s_cbranch_vccnz .LBB296_79
; %bb.78:
	v_lshl_add_u64 v[48:49], v[4:5], 1, v[0:1]
	flat_load_ushort v27, v[48:49]
	s_waitcnt vmcnt(0) lgkmcnt(0)
	v_mul_f16_e32 v27, s12, v27
.LBB296_79:
	v_pk_min_f16 v48, v66, v22
	s_and_b64 vcc, exec, s[0:1]
	v_pk_add_f16 v47, v48, v47
	v_pk_min_f16 v48, v67, v23
	s_nop 0
	v_pk_add_f16 v47, v48, v47
	v_lshl_add_u64 v[48:49], v[4:5], 1, v[2:3]
	v_add_f16_sdwa v47, v47, v47 dst_sel:DWORD dst_unused:UNUSED_PAD src0_sel:DWORD src1_sel:WORD_1
	v_add_f16_e32 v27, v47, v27
	global_store_short v[48:49], v27, off
	s_cbranch_vccnz .LBB296_81
; %bb.80:
	v_lshl_add_u64 v[0:1], v[6:7], 1, v[0:1]
	flat_load_ushort v0, v[0:1]
	s_waitcnt vmcnt(0) lgkmcnt(0)
	v_mul_f16_e32 v26, s12, v0
.LBB296_81:
	v_pk_min_f16 v0, v24, v22
	v_pk_min_f16 v1, v25, v23
	v_pk_add_f16 v0, v0, v44
	s_and_b64 vcc, exec, s[0:1]
	v_pk_add_f16 v0, v1, v0
	v_mov_b32_e32 v23, 0
	v_add_f16_sdwa v0, v0, v0 dst_sel:DWORD dst_unused:UNUSED_PAD src0_sel:DWORD src1_sel:WORD_1
	v_add_f16_e32 v22, v0, v26
	v_lshl_add_u64 v[0:1], v[6:7], 1, v[2:3]
	v_add_u32_e32 v2, 0x60, v28
	global_store_short v[0:1], v22, off
	v_mad_i64_i32 v[0:1], s[4:5], v2, s14, 0
	v_lshl_add_u64 v[0:1], v[0:1], 1, s[8:9]
	v_mov_b32_e32 v22, 0
	s_cbranch_vccnz .LBB296_83
; %bb.82:
	v_lshl_add_u64 v[26:27], v[16:17], 1, v[0:1]
	flat_load_ushort v3, v[26:27]
	s_waitcnt vmcnt(0) lgkmcnt(0)
	v_mul_f16_e32 v23, s12, v3
.LBB296_83:
	v_pk_max_f16 v18, v18, v18
	v_pk_max_f16 v19, v19, v19
	v_pk_min_f16 v3, v29, v18
	v_pk_min_f16 v26, v30, v19
	v_pk_add_f16 v3, v3, v42
	s_and_b64 vcc, exec, s[0:1]
	v_pk_add_f16 v26, v26, v3
	v_mad_i64_i32 v[2:3], s[4:5], v2, s15, 0
	v_lshl_add_u64 v[2:3], v[2:3], 1, s[2:3]
	v_add_f16_sdwa v26, v26, v26 dst_sel:DWORD dst_unused:UNUSED_PAD src0_sel:DWORD src1_sel:WORD_1
	v_add_f16_e32 v23, v26, v23
	v_lshl_add_u64 v[16:17], v[16:17], 1, v[2:3]
	global_store_short v[16:17], v23, off
	s_cbranch_vccnz .LBB296_85
; %bb.84:
	v_lshl_add_u64 v[16:17], v[20:21], 1, v[0:1]
	flat_load_ushort v16, v[16:17]
	s_waitcnt vmcnt(0) lgkmcnt(0)
	v_mul_f16_e32 v22, s12, v16
.LBB296_85:
	v_pk_min_f16 v16, v31, v18
	v_pk_min_f16 v17, v32, v19
	v_pk_add_f16 v16, v16, v39
	s_and_b64 vcc, exec, s[0:1]
	v_pk_add_f16 v16, v17, v16
	s_nop 0
	v_add_f16_sdwa v16, v16, v16 dst_sel:DWORD dst_unused:UNUSED_PAD src0_sel:DWORD src1_sel:WORD_1
	v_add_f16_e32 v22, v16, v22
	v_lshl_add_u64 v[16:17], v[20:21], 1, v[2:3]
	global_store_short v[16:17], v22, off
	v_mov_b32_e32 v16, 0
	v_mov_b32_e32 v17, 0
	s_cbranch_vccnz .LBB296_87
; %bb.86:
	v_lshl_add_u64 v[20:21], v[12:13], 1, v[0:1]
	flat_load_ushort v17, v[20:21]
	s_waitcnt vmcnt(0) lgkmcnt(0)
	v_mul_f16_e32 v17, s12, v17
.LBB296_87:
	v_pk_min_f16 v20, v33, v18
	v_pk_min_f16 v21, v34, v19
	v_pk_add_f16 v20, v20, v38
	v_lshl_add_u64 v[12:13], v[12:13], 1, v[2:3]
	v_pk_add_f16 v20, v21, v20
	s_and_b64 vcc, exec, s[0:1]
	v_add_f16_sdwa v20, v20, v20 dst_sel:DWORD dst_unused:UNUSED_PAD src0_sel:DWORD src1_sel:WORD_1
	v_add_f16_e32 v17, v20, v17
	global_store_short v[12:13], v17, off
	s_cbranch_vccnz .LBB296_89
; %bb.88:
	v_lshl_add_u64 v[12:13], v[14:15], 1, v[0:1]
	flat_load_ushort v12, v[12:13]
	s_waitcnt vmcnt(0) lgkmcnt(0)
	v_mul_f16_e32 v16, s12, v12
.LBB296_89:
	v_pk_min_f16 v12, v35, v18
	v_pk_min_f16 v13, v45, v19
	v_pk_add_f16 v12, v12, v43
	s_and_b64 vcc, exec, s[0:1]
	v_pk_add_f16 v12, v13, v12
	s_nop 0
	v_add_f16_sdwa v12, v12, v12 dst_sel:DWORD dst_unused:UNUSED_PAD src0_sel:DWORD src1_sel:WORD_1
	v_add_f16_e32 v16, v12, v16
	v_lshl_add_u64 v[12:13], v[14:15], 1, v[2:3]
	global_store_short v[12:13], v16, off
	v_mov_b32_e32 v12, 0
	v_mov_b32_e32 v13, 0
	s_cbranch_vccnz .LBB296_91
; %bb.90:
	v_lshl_add_u64 v[14:15], v[8:9], 1, v[0:1]
	flat_load_ushort v13, v[14:15]
	s_waitcnt vmcnt(0) lgkmcnt(0)
	v_mul_f16_e32 v13, s12, v13
.LBB296_91:
	v_pk_min_f16 v14, v46, v18
	v_pk_min_f16 v15, v55, v19
	v_pk_add_f16 v14, v14, v40
	v_lshl_add_u64 v[8:9], v[8:9], 1, v[2:3]
	v_pk_add_f16 v14, v15, v14
	s_and_b64 vcc, exec, s[0:1]
	v_add_f16_sdwa v14, v14, v14 dst_sel:DWORD dst_unused:UNUSED_PAD src0_sel:DWORD src1_sel:WORD_1
	v_add_f16_e32 v13, v14, v13
	global_store_short v[8:9], v13, off
	s_cbranch_vccnz .LBB296_93
; %bb.92:
	v_lshl_add_u64 v[8:9], v[10:11], 1, v[0:1]
	flat_load_ushort v8, v[8:9]
	s_waitcnt vmcnt(0) lgkmcnt(0)
	v_mul_f16_e32 v12, s12, v8
.LBB296_93:
	v_pk_min_f16 v8, v56, v18
	v_pk_min_f16 v9, v65, v19
	v_pk_add_f16 v8, v8, v37
	v_pk_min_f16 v13, v67, v19
	v_pk_add_f16 v8, v9, v8
	v_pk_min_f16 v9, v66, v18
	v_add_f16_sdwa v8, v8, v8 dst_sel:DWORD dst_unused:UNUSED_PAD src0_sel:DWORD src1_sel:WORD_1
	v_pk_add_f16 v9, v9, v41
	v_add_f16_e32 v12, v8, v12
	v_pk_add_f16 v13, v13, v9
	v_lshl_add_u64 v[8:9], v[10:11], 1, v[2:3]
	global_store_short v[8:9], v12, off
	v_add_f16_sdwa v8, v13, v13 dst_sel:DWORD dst_unused:UNUSED_PAD src0_sel:DWORD src1_sel:WORD_1
	s_mov_b64 vcc, s[6:7]
	s_cbranch_vccz .LBB296_96
; %bb.94:
	v_add_f16_e32 v9, 0, v8
	v_lshl_add_u64 v[10:11], v[4:5], 1, v[2:3]
	s_mov_b32 s2, 0
	global_store_short v[10:11], v9, off
	s_cbranch_execz .LBB296_97
; %bb.95:
	v_mov_b32_e32 v0, s2
	s_branch .LBB296_98
.LBB296_96:
                                        ; implicit-def: $sgpr2
.LBB296_97:
	v_lshlrev_b64 v[4:5], 1, v[4:5]
	v_lshl_add_u64 v[10:11], v[0:1], 0, v[4:5]
	flat_load_ushort v9, v[10:11]
	v_lshl_add_u64 v[4:5], v[2:3], 0, v[4:5]
	v_lshl_add_u64 v[0:1], v[6:7], 1, v[0:1]
	s_waitcnt vmcnt(0) lgkmcnt(0)
	v_fma_f16 v8, v9, s12, v8
	global_store_short v[4:5], v8, off
	flat_load_ushort v0, v[0:1]
	s_waitcnt vmcnt(0) lgkmcnt(0)
	v_mul_f16_e32 v0, s12, v0
.LBB296_98:
	v_pk_min_f16 v4, v24, v18
	v_pk_min_f16 v1, v25, v19
	v_pk_add_f16 v4, v4, v36
	s_nop 0
	v_pk_add_f16 v1, v1, v4
	s_nop 0
	v_add_f16_sdwa v1, v1, v1 dst_sel:DWORD dst_unused:UNUSED_PAD src0_sel:DWORD src1_sel:WORD_1
	v_add_f16_e32 v4, v1, v0
	v_lshl_add_u64 v[0:1], v[6:7], 1, v[2:3]
	global_store_short v[0:1], v4, off
	s_endpgm
	.section	.rodata,"a",@progbits
	.p2align	6, 0x0
	.amdhsa_kernel _ZN12_GLOBAL__N_120geam_min_plus_kernelIDF16_Dv2_DF16_S1_Li8ELi32ELi64ELi128ELi4ELi64ELi4ELi64ELi4ELc78ELc84ELb0ELb0ELb0EDF16_KDF16_DF16_EEviiiT16_PT17_ilS5_ilS3_S5_ilPT18_ili26rocblas_geam_ex_operation_
		.amdhsa_group_segment_fixed_size 3072
		.amdhsa_private_segment_fixed_size 0
		.amdhsa_kernarg_size 128
		.amdhsa_user_sgpr_count 2
		.amdhsa_user_sgpr_dispatch_ptr 0
		.amdhsa_user_sgpr_queue_ptr 0
		.amdhsa_user_sgpr_kernarg_segment_ptr 1
		.amdhsa_user_sgpr_dispatch_id 0
		.amdhsa_user_sgpr_kernarg_preload_length 0
		.amdhsa_user_sgpr_kernarg_preload_offset 0
		.amdhsa_user_sgpr_private_segment_size 0
		.amdhsa_uses_dynamic_stack 0
		.amdhsa_enable_private_segment 0
		.amdhsa_system_sgpr_workgroup_id_x 1
		.amdhsa_system_sgpr_workgroup_id_y 0
		.amdhsa_system_sgpr_workgroup_id_z 1
		.amdhsa_system_sgpr_workgroup_info 0
		.amdhsa_system_vgpr_workitem_id 1
		.amdhsa_next_free_vgpr 124
		.amdhsa_next_free_sgpr 30
		.amdhsa_accum_offset 124
		.amdhsa_reserve_vcc 1
		.amdhsa_float_round_mode_32 0
		.amdhsa_float_round_mode_16_64 0
		.amdhsa_float_denorm_mode_32 3
		.amdhsa_float_denorm_mode_16_64 3
		.amdhsa_dx10_clamp 1
		.amdhsa_ieee_mode 1
		.amdhsa_fp16_overflow 0
		.amdhsa_tg_split 0
		.amdhsa_exception_fp_ieee_invalid_op 0
		.amdhsa_exception_fp_denorm_src 0
		.amdhsa_exception_fp_ieee_div_zero 0
		.amdhsa_exception_fp_ieee_overflow 0
		.amdhsa_exception_fp_ieee_underflow 0
		.amdhsa_exception_fp_ieee_inexact 0
		.amdhsa_exception_int_div_zero 0
	.end_amdhsa_kernel
	.section	.text._ZN12_GLOBAL__N_120geam_min_plus_kernelIDF16_Dv2_DF16_S1_Li8ELi32ELi64ELi128ELi4ELi64ELi4ELi64ELi4ELc78ELc84ELb0ELb0ELb0EDF16_KDF16_DF16_EEviiiT16_PT17_ilS5_ilS3_S5_ilPT18_ili26rocblas_geam_ex_operation_,"axG",@progbits,_ZN12_GLOBAL__N_120geam_min_plus_kernelIDF16_Dv2_DF16_S1_Li8ELi32ELi64ELi128ELi4ELi64ELi4ELi64ELi4ELc78ELc84ELb0ELb0ELb0EDF16_KDF16_DF16_EEviiiT16_PT17_ilS5_ilS3_S5_ilPT18_ili26rocblas_geam_ex_operation_,comdat
.Lfunc_end296:
	.size	_ZN12_GLOBAL__N_120geam_min_plus_kernelIDF16_Dv2_DF16_S1_Li8ELi32ELi64ELi128ELi4ELi64ELi4ELi64ELi4ELc78ELc84ELb0ELb0ELb0EDF16_KDF16_DF16_EEviiiT16_PT17_ilS5_ilS3_S5_ilPT18_ili26rocblas_geam_ex_operation_, .Lfunc_end296-_ZN12_GLOBAL__N_120geam_min_plus_kernelIDF16_Dv2_DF16_S1_Li8ELi32ELi64ELi128ELi4ELi64ELi4ELi64ELi4ELc78ELc84ELb0ELb0ELb0EDF16_KDF16_DF16_EEviiiT16_PT17_ilS5_ilS3_S5_ilPT18_ili26rocblas_geam_ex_operation_
                                        ; -- End function
	.section	.AMDGPU.csdata,"",@progbits
; Kernel info:
; codeLenInByte = 8956
; NumSgprs: 36
; NumVgprs: 124
; NumAgprs: 0
; TotalNumVgprs: 124
; ScratchSize: 0
; MemoryBound: 0
; FloatMode: 240
; IeeeMode: 1
; LDSByteSize: 3072 bytes/workgroup (compile time only)
; SGPRBlocks: 4
; VGPRBlocks: 15
; NumSGPRsForWavesPerEU: 36
; NumVGPRsForWavesPerEU: 124
; AccumOffset: 124
; Occupancy: 4
; WaveLimiterHint : 1
; COMPUTE_PGM_RSRC2:SCRATCH_EN: 0
; COMPUTE_PGM_RSRC2:USER_SGPR: 2
; COMPUTE_PGM_RSRC2:TRAP_HANDLER: 0
; COMPUTE_PGM_RSRC2:TGID_X_EN: 1
; COMPUTE_PGM_RSRC2:TGID_Y_EN: 0
; COMPUTE_PGM_RSRC2:TGID_Z_EN: 1
; COMPUTE_PGM_RSRC2:TIDIG_COMP_CNT: 1
; COMPUTE_PGM_RSRC3_GFX90A:ACCUM_OFFSET: 30
; COMPUTE_PGM_RSRC3_GFX90A:TG_SPLIT: 0
	.section	.text._ZN12_GLOBAL__N_120geam_min_plus_kernelIDF16_Dv2_DF16_S1_Li8ELi32ELi64ELi128ELi4ELi64ELi4ELi64ELi4ELc78ELc84ELb0ELb1ELb0EPKDF16_S2_DF16_EEviiiT16_PT17_ilS6_ilS4_S6_ilPT18_ili26rocblas_geam_ex_operation_,"axG",@progbits,_ZN12_GLOBAL__N_120geam_min_plus_kernelIDF16_Dv2_DF16_S1_Li8ELi32ELi64ELi128ELi4ELi64ELi4ELi64ELi4ELc78ELc84ELb0ELb1ELb0EPKDF16_S2_DF16_EEviiiT16_PT17_ilS6_ilS4_S6_ilPT18_ili26rocblas_geam_ex_operation_,comdat
	.globl	_ZN12_GLOBAL__N_120geam_min_plus_kernelIDF16_Dv2_DF16_S1_Li8ELi32ELi64ELi128ELi4ELi64ELi4ELi64ELi4ELc78ELc84ELb0ELb1ELb0EPKDF16_S2_DF16_EEviiiT16_PT17_ilS6_ilS4_S6_ilPT18_ili26rocblas_geam_ex_operation_ ; -- Begin function _ZN12_GLOBAL__N_120geam_min_plus_kernelIDF16_Dv2_DF16_S1_Li8ELi32ELi64ELi128ELi4ELi64ELi4ELi64ELi4ELc78ELc84ELb0ELb1ELb0EPKDF16_S2_DF16_EEviiiT16_PT17_ilS6_ilS4_S6_ilPT18_ili26rocblas_geam_ex_operation_
	.p2align	8
	.type	_ZN12_GLOBAL__N_120geam_min_plus_kernelIDF16_Dv2_DF16_S1_Li8ELi32ELi64ELi128ELi4ELi64ELi4ELi64ELi4ELc78ELc84ELb0ELb1ELb0EPKDF16_S2_DF16_EEviiiT16_PT17_ilS6_ilS4_S6_ilPT18_ili26rocblas_geam_ex_operation_,@function
_ZN12_GLOBAL__N_120geam_min_plus_kernelIDF16_Dv2_DF16_S1_Li8ELi32ELi64ELi128ELi4ELi64ELi4ELi64ELi4ELc78ELc84ELb0ELb1ELb0EPKDF16_S2_DF16_EEviiiT16_PT17_ilS6_ilS4_S6_ilPT18_ili26rocblas_geam_ex_operation_: ; @_ZN12_GLOBAL__N_120geam_min_plus_kernelIDF16_Dv2_DF16_S1_Li8ELi32ELi64ELi128ELi4ELi64ELi4ELi64ELi4ELc78ELc84ELb0ELb1ELb0EPKDF16_S2_DF16_EEviiiT16_PT17_ilS6_ilS4_S6_ilPT18_ili26rocblas_geam_ex_operation_
; %bb.0:
	s_load_dwordx4 s[4:7], s[0:1], 0x10
	s_load_dwordx4 s[8:11], s[0:1], 0x28
	;; [unrolled: 1-line block ×3, first 2 shown]
	s_load_dwordx2 s[20:21], s[0:1], 0x50
	s_mov_b32 s26, s3
	s_mov_b32 s27, 0
	s_lshl_b64 s[16:17], s[26:27], 1
	s_waitcnt lgkmcnt(0)
	s_add_u32 s4, s4, s16
	s_addc_u32 s5, s5, s17
	v_mov_b32_e32 v1, 0
	global_load_ushort v36, v1, s[4:5]
	s_add_u32 s4, s14, s16
	s_addc_u32 s5, s15, s17
	global_load_ushort v44, v1, s[4:5]
	s_mov_b64 s[14:15], 0
	s_mov_b64 s[28:29], 0
	s_waitcnt vmcnt(1)
	v_cmp_eq_f16_e32 vcc, 0, v36
	v_cmp_neq_f16_e64 s[4:5], 0, v36
	s_cbranch_vccnz .LBB297_2
; %bb.1:
	s_mul_i32 s3, s26, s9
	s_mul_hi_u32 s9, s26, s8
	s_add_i32 s9, s9, s3
	s_mul_i32 s8, s26, s8
	s_lshl_b64 s[8:9], s[8:9], 1
	s_add_u32 s28, s6, s8
	s_addc_u32 s29, s7, s9
.LBB297_2:
	s_andn2_b64 vcc, exec, s[4:5]
	s_cbranch_vccnz .LBB297_4
; %bb.3:
	s_mul_i32 s3, s26, s13
	s_mul_hi_u32 s6, s26, s12
	s_add_i32 s7, s6, s3
	s_mul_i32 s6, s26, s12
	s_lshl_b64 s[6:7], s[6:7], 1
	s_add_u32 s14, s10, s6
	s_addc_u32 s15, s11, s7
.LBB297_4:
	s_load_dwordx4 s[16:19], s[0:1], 0x60
	s_waitcnt vmcnt(0)
	v_cmp_eq_f16_e32 vcc, 0, v44
	v_cmp_neq_f16_e64 s[12:13], 0, v44
	s_cbranch_vccnz .LBB297_6
; %bb.5:
	s_waitcnt lgkmcnt(0)
	s_mul_i32 s3, s26, s17
	s_mul_hi_u32 s6, s26, s16
	s_add_i32 s7, s6, s3
	s_mul_i32 s6, s26, s16
	s_lshl_b64 s[6:7], s[6:7], 1
	s_add_u32 s24, s20, s6
	s_addc_u32 s25, s21, s7
	s_branch .LBB297_7
.LBB297_6:
	s_mov_b64 s[24:25], 0
.LBB297_7:
	s_load_dwordx4 s[20:23], s[0:1], 0x0
	s_load_dword s30, s[0:1], 0x20
	v_and_b32_e32 v34, 0x3ff, v0
	v_bfe_u32 v35, v0, 10, 10
	v_mov_b32_e32 v8, 0
	s_waitcnt lgkmcnt(0)
	s_add_i32 s3, s20, -1
	s_ashr_i32 s6, s3, 31
	s_lshr_b32 s6, s6, 26
	s_add_i32 s3, s3, s6
	s_ashr_i32 s3, s3, 6
	s_add_i32 s9, s3, 1
	v_cvt_f32_u32_e32 v1, s9
	s_not_b32 s3, s3
	s_ashr_i32 s31, s30, 31
	v_mov_b32_e32 v9, 0
	v_rcp_iflag_f32_e32 v0, v1
	v_lshl_add_u32 v1, v35, 3, v34
	v_and_b32_e32 v7, 63, v1
	v_lshrrev_b32_e32 v37, 6, v1
	v_mul_f32_e32 v0, 0x4f7ffffe, v0
	v_cvt_u32_f32_e32 v0, v0
	v_cmp_gt_i32_e64 s[6:7], s22, v37
	v_readfirstlane_b32 s8, v0
	s_mul_i32 s3, s3, s8
	s_mul_hi_u32 s3, s8, s3
	s_add_i32 s8, s8, s3
	s_mul_hi_u32 s3, s2, s8
	s_mul_i32 s8, s3, s9
	s_sub_i32 s8, s2, s8
	s_add_i32 s10, s3, 1
	s_sub_i32 s11, s8, s9
	s_cmp_ge_u32 s8, s9
	s_cselect_b32 s3, s10, s3
	s_cselect_b32 s8, s11, s8
	s_add_i32 s10, s3, 1
	s_cmp_ge_u32 s8, s9
	s_cselect_b32 s8, s10, s3
	s_mul_i32 s3, s8, s9
	s_sub_i32 s2, s2, s3
	s_lshl_b32 s27, s2, 6
	v_or_b32_e32 v0, s27, v7
	v_cmp_gt_i32_e32 vcc, s20, v0
	s_and_b64 s[2:3], s[6:7], vcc
	v_ashrrev_i32_e32 v1, 31, v0
	s_and_b64 s[6:7], s[4:5], s[2:3]
	s_and_saveexec_b64 s[2:3], s[6:7]
	s_cbranch_execz .LBB297_9
; %bb.8:
	v_mad_i64_i32 v[2:3], s[6:7], s30, v37, 0
	v_lshl_add_u64 v[2:3], v[2:3], 1, s[28:29]
	v_lshl_add_u64 v[2:3], v[0:1], 1, v[2:3]
	flat_load_ushort v2, v[2:3]
	s_waitcnt vmcnt(0) lgkmcnt(0)
	v_mul_f16_e32 v9, v36, v2
.LBB297_9:
	s_or_b64 exec, exec, s[2:3]
	s_load_dword s23, s[0:1], 0x38
	s_lshl_b32 s33, s8, 7
	s_add_i32 s34, s22, -1
	v_or_b32_e32 v24, s33, v7
	v_min_i32_e32 v2, s34, v37
	v_cmp_le_i32_e64 s[10:11], s22, v37
	s_waitcnt lgkmcnt(0)
	v_mad_i64_i32 v[2:3], s[2:3], s23, v2, 0
	v_cmp_le_i32_e64 s[6:7], s21, v24
	s_or_b64 s[2:3], s[10:11], s[6:7]
	s_xor_b64 s[16:17], s[4:5], -1
	s_or_b64 s[2:3], s[2:3], s[16:17]
	v_lshl_add_u64 v[2:3], v[2:3], 1, s[14:15]
	s_xor_b64 s[8:9], s[2:3], -1
	v_ashrrev_i32_e32 v25, 31, v24
	s_and_saveexec_b64 s[2:3], s[8:9]
	s_cbranch_execz .LBB297_11
; %bb.10:
	v_lshl_add_u64 v[4:5], v[24:25], 1, v[2:3]
	flat_load_ushort v4, v[4:5]
	s_waitcnt vmcnt(0) lgkmcnt(0)
	v_mul_f16_e32 v8, v36, v4
.LBB297_11:
	s_or_b64 exec, exec, s[2:3]
	v_or_b32_e32 v4, 64, v24
	v_cmp_le_i32_e64 s[8:9], s21, v4
	s_or_b64 s[2:3], s[10:11], s[8:9]
	s_or_b64 s[2:3], s[2:3], s[16:17]
	s_xor_b64 s[10:11], s[2:3], -1
	v_mov_b32_e32 v4, 0
	v_mov_b32_e32 v10, 0
	s_and_saveexec_b64 s[2:3], s[10:11]
	s_cbranch_execz .LBB297_13
; %bb.12:
	v_lshl_add_u64 v[2:3], v[24:25], 1, v[2:3]
	flat_load_ushort v2, v[2:3] offset:128
	s_waitcnt vmcnt(0) lgkmcnt(0)
	v_mul_f16_e32 v10, v36, v2
.LBB297_13:
	s_or_b64 exec, exec, s[2:3]
	v_add_u32_e32 v2, 4, v37
	v_cmp_gt_i32_e64 s[2:3], s22, v2
	s_and_b64 s[2:3], vcc, s[2:3]
	s_and_b64 s[10:11], s[4:5], s[2:3]
	s_and_saveexec_b64 s[2:3], s[10:11]
	s_cbranch_execz .LBB297_15
; %bb.14:
	v_mad_u64_u32 v[4:5], s[10:11], s30, v2, 0
	v_mov_b32_e32 v6, v5
	v_mad_u64_u32 v[12:13], s[10:11], s31, v2, v[6:7]
	v_mov_b32_e32 v5, v12
	v_lshl_add_u64 v[4:5], v[4:5], 1, s[28:29]
	v_lshl_add_u64 v[4:5], v[0:1], 1, v[4:5]
	flat_load_ushort v3, v[4:5]
	s_waitcnt vmcnt(0) lgkmcnt(0)
	v_mul_f16_e32 v4, v36, v3
.LBB297_15:
	s_or_b64 exec, exec, s[2:3]
	v_cmp_le_i32_e64 s[10:11], s22, v2
	v_min_i32_e32 v2, s34, v2
	v_mad_i64_i32 v[2:3], s[2:3], s23, v2, 0
	s_or_b64 s[2:3], s[6:7], s[10:11]
	s_or_b64 s[2:3], s[2:3], s[16:17]
	v_lshl_add_u64 v[2:3], v[2:3], 1, s[14:15]
	s_xor_b64 s[36:37], s[2:3], -1
	v_mov_b32_e32 v5, 0
	v_mov_b32_e32 v6, 0
	s_and_saveexec_b64 s[2:3], s[36:37]
	s_cbranch_execz .LBB297_17
; %bb.16:
	v_lshl_add_u64 v[12:13], v[24:25], 1, v[2:3]
	flat_load_ushort v6, v[12:13]
	s_waitcnt vmcnt(0) lgkmcnt(0)
	v_mul_f16_e32 v6, v36, v6
.LBB297_17:
	s_or_b64 exec, exec, s[2:3]
	s_or_b64 s[2:3], s[8:9], s[10:11]
	s_or_b64 s[2:3], s[2:3], s[16:17]
	s_xor_b64 s[10:11], s[2:3], -1
	s_and_saveexec_b64 s[2:3], s[10:11]
	s_cbranch_execz .LBB297_19
; %bb.18:
	v_lshl_add_u64 v[2:3], v[24:25], 1, v[2:3]
	flat_load_ushort v2, v[2:3] offset:128
	s_waitcnt vmcnt(0) lgkmcnt(0)
	v_mul_f16_e32 v5, v36, v2
.LBB297_19:
	s_or_b64 exec, exec, s[2:3]
	v_lshlrev_b32_e32 v2, 1, v37
	v_lshlrev_b32_e32 v39, 3, v34
	v_lshl_add_u32 v40, v7, 3, v2
	v_lshlrev_b32_e32 v38, 3, v35
	v_add_u32_e32 v41, 0x800, v39
	ds_write_b16 v40, v9 offset:2048
	ds_write_b16 v40, v8
	ds_write_b16 v40, v10 offset:512
	s_waitcnt lgkmcnt(0)
	s_barrier
	ds_read2_b64 v[8:11], v38 offset1:32
	ds_read2_b64 v[12:15], v41 offset0:48 offset1:56
	ds_read2_b64 v[16:19], v38 offset0:64 offset1:96
	ds_read2_b64 v[20:23], v41 offset1:8
	ds_read2_b64 v[26:29], v41 offset0:16 offset1:24
	ds_read2_b64 v[30:33], v41 offset0:32 offset1:40
	s_waitcnt lgkmcnt(5)
	v_pk_max_f16 v2, v8, v8
	s_waitcnt lgkmcnt(4)
	v_pk_max_f16 v3, v14, v14
	v_pk_max_f16 v8, v10, v10
	v_pk_min_f16 v7, v3, v2
	s_waitcnt lgkmcnt(3)
	v_pk_max_f16 v14, v16, v16
	s_waitcnt lgkmcnt(2)
	v_pk_max_f16 v16, v20, v20
	v_pk_max_f16 v18, v18, v18
	;; [unrolled: 1-line block ×3, first 2 shown]
	s_waitcnt lgkmcnt(1)
	v_pk_max_f16 v26, v26, v26
	v_pk_max_f16 v28, v28, v28
	s_waitcnt lgkmcnt(0)
	v_pk_max_f16 v30, v30, v30
	v_pk_max_f16 v9, v9, v9
	;; [unrolled: 1-line block ×5, first 2 shown]
	v_pk_min_f16 v10, v3, v8
	v_pk_min_f16 v20, v16, v2
	;; [unrolled: 1-line block ×18, first 2 shown]
	v_pk_max_f16 v11, v11, v11
	v_pk_min_f16 v62, v30, v8
	v_pk_min_f16 v63, v30, v14
	;; [unrolled: 1-line block ×13, first 2 shown]
	v_pk_add_f16 v7, v7, 0
	v_pk_min_f16 v18, v15, v9
	v_pk_max_f16 v17, v17, v17
	v_pk_add_f16 v69, v7, v18
	v_pk_add_f16 v7, v10, 0
	v_pk_min_f16 v10, v15, v11
	v_pk_max_f16 v21, v21, v21
	v_pk_add_f16 v61, v7, v10
	;; [unrolled: 4-line block ×4, first 2 shown]
	v_pk_add_f16 v7, v42, 0
	v_pk_min_f16 v10, v21, v11
	v_pk_add_f16 v18, v55, 0
	v_pk_add_f16 v68, v7, v10
	;; [unrolled: 1-line block ×3, first 2 shown]
	v_pk_min_f16 v10, v21, v17
	v_pk_add_f16 v20, v56, 0
	v_pk_add_f16 v60, v7, v10
	;; [unrolled: 1-line block ×3, first 2 shown]
	v_pk_min_f16 v10, v21, v19
	v_pk_min_f16 v16, v23, v19
	v_pk_add_f16 v52, v7, v10
	v_pk_add_f16 v7, v45, 0
	v_pk_min_f16 v10, v23, v9
	v_pk_add_f16 v21, v28, 0
	v_pk_add_f16 v76, v7, v10
	v_pk_add_f16 v7, v46, 0
	v_pk_min_f16 v10, v23, v11
	v_pk_add_f16 v28, v64, 0
	;; [unrolled: 4-line block ×3, first 2 shown]
	v_pk_add_f16 v59, v7, v10
	v_pk_add_f16 v7, v22, 0
	;; [unrolled: 1-line block ×4, first 2 shown]
	v_pk_max_f16 v7, v27, v27
	v_pk_add_f16 v27, v30, 0
	v_pk_min_f16 v16, v7, v9
	v_pk_add_f16 v30, v65, 0
	v_pk_add_f16 v75, v10, v16
	;; [unrolled: 1-line block ×3, first 2 shown]
	v_pk_min_f16 v16, v7, v11
	v_pk_add_f16 v22, v57, 0
	v_pk_add_f16 v66, v10, v16
	;; [unrolled: 1-line block ×3, first 2 shown]
	v_pk_min_f16 v16, v7, v17
	v_pk_min_f16 v7, v7, v19
	v_pk_add_f16 v58, v10, v16
	v_pk_add_f16 v10, v26, 0
	;; [unrolled: 1-line block ×4, first 2 shown]
	v_pk_max_f16 v7, v29, v29
	v_pk_add_f16 v26, v63, 0
	v_pk_min_f16 v10, v7, v9
	v_pk_add_f16 v32, v32, 0
	v_pk_add_f16 v74, v16, v10
	v_pk_min_f16 v10, v7, v11
	v_pk_add_f16 v2, v2, 0
	v_pk_add_f16 v65, v18, v10
	v_pk_min_f16 v10, v7, v17
	v_pk_min_f16 v7, v7, v19
	v_pk_add_f16 v57, v20, v10
	v_pk_add_f16 v49, v21, v7
	v_pk_max_f16 v7, v31, v31
	v_pk_add_f16 v8, v8, 0
	v_pk_min_f16 v10, v7, v9
	v_pk_add_f16 v14, v14, 0
	v_pk_add_f16 v73, v22, v10
	v_pk_min_f16 v10, v7, v11
	v_pk_add_f16 v12, v12, 0
	v_pk_add_f16 v64, v23, v10
	v_pk_min_f16 v10, v7, v17
	v_pk_min_f16 v7, v7, v19
	v_pk_add_f16 v56, v26, v10
	v_pk_add_f16 v48, v27, v7
	v_pk_max_f16 v7, v33, v33
	v_pk_add_f16 v42, v70, 0
	v_pk_min_f16 v10, v7, v9
	v_pk_add_f16 v3, v3, 0
	v_pk_add_f16 v72, v28, v10
	v_pk_min_f16 v10, v7, v11
	s_mov_b32 s35, 0
	v_pk_add_f16 v63, v30, v10
	v_pk_min_f16 v10, v7, v17
	v_pk_min_f16 v7, v7, v19
	v_pk_add_f16 v55, v42, v10
	v_pk_add_f16 v47, v32, v7
	v_pk_max_f16 v7, v13, v13
	s_cmp_lt_i32 s22, 9
	v_pk_min_f16 v9, v7, v9
	ds_write_b16 v40, v4 offset:2560
	ds_write_b16 v40, v6 offset:1024
	;; [unrolled: 1-line block ×3, first 2 shown]
	v_pk_add_f16 v71, v2, v9
	v_pk_min_f16 v2, v7, v11
	s_waitcnt lgkmcnt(0)
	v_pk_add_f16 v62, v8, v2
	v_pk_min_f16 v2, v7, v17
	s_barrier
	v_pk_add_f16 v54, v14, v2
	v_pk_min_f16 v2, v7, v19
	s_nop 0
	v_pk_add_f16 v46, v12, v2
	v_pk_min_f16 v2, v15, v19
	s_nop 0
	v_pk_add_f16 v45, v3, v2
	s_cbranch_scc1 .LBB297_34
; %bb.20:
	v_lshl_add_u64 v[26:27], v[0:1], 1, s[28:29]
	v_mov_b32_e32 v0, 0xa00
	v_lshl_add_u32 v78, v34, 3, v0
	v_add_u32_e32 v0, v38, v34
	v_lshrrev_b32_e32 v2, 6, v0
	v_add_u32_e32 v0, 12, v2
	v_mad_i64_i32 v[0:1], s[2:3], v0, s30, 0
	v_lshlrev_b64 v[28:29], 1, v[0:1]
	v_add_u32_e32 v0, 8, v2
	v_mad_i64_i32 v[0:1], s[2:3], v0, s30, 0
	v_or_b32_e32 v42, 0x800, v40
	v_add_u32_e32 v43, 0xa00, v40
	v_or_b32_e32 v70, 0x400, v40
	s_add_i32 s36, s22, -8
	v_add_u32_e32 v79, 0x400, v38
	s_lshl_b64 s[28:29], s[30:31], 4
	v_lshlrev_b64 v[30:31], 1, v[0:1]
	s_branch .LBB297_22
.LBB297_21:                             ;   in Loop: Header=BB297_22 Depth=1
	s_or_b64 exec, exec, s[2:3]
	v_pk_add_f16 v20, v61, v20
	v_pk_add_f16 v12, v53, v12
	;; [unrolled: 1-line block ×19, first 2 shown]
	ds_read2_b64 v[6:9], v41 offset0:48 offset1:56
	ds_read2_b64 v[10:13], v38 offset1:32
	v_pk_add_f16 v2, v69, v2
	v_pk_add_f16 v22, v68, v22
	;; [unrolled: 1-line block ×5, first 2 shown]
	s_waitcnt lgkmcnt(1)
	v_pk_max_f16 v8, v8, v8
	s_waitcnt lgkmcnt(0)
	v_pk_max_f16 v10, v10, v10
	v_pk_add_f16 v16, v77, v16
	v_pk_add_f16 v61, v63, v96
	;; [unrolled: 1-line block ×9, first 2 shown]
	ds_read2_b64 v[0:3], v38 offset0:64 offset1:96
	v_pk_min_f16 v14, v8, v10
	v_pk_add_f16 v60, v64, v93
	v_pk_add_f16 v64, v16, v17
	v_pk_add_f16 v5, v45, v5
	v_pk_add_f16 v45, v63, v14
	ds_read2_b64 v[14:17], v41 offset1:8
	v_pk_max_f16 v12, v12, v12
	s_waitcnt lgkmcnt(1)
	v_pk_max_f16 v0, v0, v0
	v_pk_min_f16 v63, v8, v12
	v_pk_max_f16 v2, v2, v2
	v_pk_add_f16 v63, v20, v63
	v_pk_min_f16 v20, v8, v0
	s_waitcnt lgkmcnt(0)
	v_pk_max_f16 v14, v14, v14
	v_pk_add_f16 v68, v21, v20
	v_pk_min_f16 v20, v14, v10
	v_pk_max_f16 v16, v16, v16
	v_pk_add_f16 v64, v64, v20
	v_pk_min_f16 v20, v14, v12
	v_pk_add_f16 v51, v51, v86
	v_pk_add_f16 v22, v22, v20
	v_pk_min_f16 v20, v14, v0
	v_pk_min_f16 v14, v14, v2
	v_pk_add_f16 v23, v23, v20
	v_pk_min_f16 v20, v16, v10
	v_pk_add_f16 v14, v32, v14
	v_pk_add_f16 v32, v18, v20
	v_pk_min_f16 v18, v16, v12
	v_pk_add_f16 v51, v51, v106
	v_pk_add_f16 v71, v19, v18
	ds_read2_b64 v[18:21], v41 offset0:16 offset1:24
	v_pk_min_f16 v69, v16, v0
	v_pk_min_f16 v16, v16, v2
	v_pk_add_f16 v50, v50, v89
	v_pk_add_f16 v16, v51, v16
	s_waitcnt lgkmcnt(0)
	v_pk_max_f16 v18, v18, v18
	v_pk_add_f16 v53, v53, v107
	v_pk_min_f16 v51, v18, v10
	ds_read2_b64 v[84:87], v41 offset0:32 offset1:40
	v_pk_add_f16 v72, v52, v51
	v_pk_min_f16 v51, v18, v12
	v_pk_add_f16 v4, v73, v4
	v_pk_add_f16 v50, v50, v109
	;; [unrolled: 1-line block ×3, first 2 shown]
	v_pk_min_f16 v51, v18, v0
	v_pk_min_f16 v18, v18, v2
	v_pk_max_f16 v20, v20, v20
	v_pk_add_f16 v18, v50, v18
	v_pk_min_f16 v50, v20, v10
	v_pk_add_f16 v49, v49, v92
	v_pk_add_f16 v59, v59, v110
	;; [unrolled: 1-line block ×3, first 2 shown]
	v_pk_min_f16 v50, v20, v12
	v_pk_add_f16 v57, v57, v91
	v_pk_add_f16 v49, v49, v112
	;; [unrolled: 1-line block ×3, first 2 shown]
	v_pk_min_f16 v50, v20, v0
	v_pk_min_f16 v20, v20, v2
	v_pk_add_f16 v57, v57, v111
	v_pk_add_f16 v20, v49, v20
	s_waitcnt lgkmcnt(0)
	v_pk_max_f16 v49, v84, v84
	v_pk_add_f16 v4, v4, v113
	v_pk_add_f16 v57, v57, v50
	v_pk_min_f16 v50, v49, v10
	v_pk_add_f16 v48, v48, v95
	v_pk_add_f16 v60, v60, v114
	;; [unrolled: 1-line block ×3, first 2 shown]
	v_pk_min_f16 v50, v49, v12
	v_pk_add_f16 v56, v56, v94
	v_pk_add_f16 v48, v48, v116
	;; [unrolled: 1-line block ×3, first 2 shown]
	v_pk_min_f16 v50, v49, v0
	v_pk_min_f16 v49, v49, v2
	v_pk_add_f16 v56, v56, v115
	v_pk_add_f16 v48, v48, v49
	v_pk_max_f16 v49, v86, v86
	v_pk_add_f16 v56, v56, v50
	v_pk_min_f16 v50, v49, v10
	v_pk_add_f16 v61, v61, v117
	v_pk_add_f16 v86, v66, v50
	v_pk_min_f16 v50, v49, v12
	v_pk_max_f16 v6, v6, v6
	v_pk_add_f16 v58, v58, v88
	v_pk_add_f16 v88, v61, v50
	v_pk_min_f16 v50, v49, v0
	v_pk_min_f16 v49, v49, v2
	;; [unrolled: 1-line block ×7, first 2 shown]
	v_pk_max_f16 v8, v11, v11
	v_pk_add_f16 v2, v5, v2
	v_pk_max_f16 v5, v9, v9
	v_pk_add_f16 v33, v33, v69
	v_pk_min_f16 v9, v5, v8
	v_pk_max_f16 v1, v1, v1
	v_pk_add_f16 v69, v45, v9
	v_pk_max_f16 v9, v13, v13
	v_pk_max_f16 v3, v3, v3
	v_pk_min_f16 v11, v5, v9
	v_pk_add_f16 v58, v58, v108
	v_pk_add_f16 v61, v63, v11
	v_pk_min_f16 v11, v5, v1
	v_pk_add_f16 v10, v67, v10
	v_pk_add_f16 v53, v68, v11
	v_pk_max_f16 v11, v15, v15
	v_pk_add_f16 v58, v58, v51
	v_pk_min_f16 v13, v11, v8
	v_pk_add_f16 v55, v55, v97
	v_pk_add_f16 v77, v64, v13
	v_pk_min_f16 v13, v11, v9
	v_pk_add_f16 v55, v55, v118
	v_pk_add_f16 v68, v22, v13
	v_pk_min_f16 v13, v11, v1
	v_pk_min_f16 v11, v11, v3
	v_pk_add_f16 v60, v23, v13
	v_pk_add_f16 v52, v14, v11
	v_pk_max_f16 v11, v17, v17
	v_pk_add_f16 v55, v55, v50
	v_pk_min_f16 v13, v11, v8
	v_pk_add_f16 v47, v47, v98
	v_pk_add_f16 v76, v32, v13
	v_pk_min_f16 v13, v11, v9
	v_pk_add_f16 v47, v47, v119
	v_pk_add_f16 v67, v71, v13
	v_pk_min_f16 v13, v11, v1
	;; [unrolled: 12-line block ×4, first 2 shown]
	v_pk_min_f16 v11, v11, v3
	v_pk_add_f16 v57, v57, v13
	v_pk_add_f16 v49, v20, v11
	v_pk_max_f16 v11, v85, v85
	v_pk_add_f16 v6, v46, v6
	v_pk_min_f16 v13, v11, v8
	v_pk_add_f16 v12, v62, v12
	v_pk_add_f16 v73, v4, v13
	v_pk_min_f16 v4, v11, v9
	s_add_i32 s35, s35, 8
	v_pk_add_f16 v64, v84, v4
	v_pk_min_f16 v4, v11, v1
	s_cmp_ge_i32 s35, s36
	v_pk_add_f16 v56, v56, v4
	v_pk_min_f16 v4, v11, v3
	v_lshl_add_u64 v[26:27], v[26:27], 0, s[28:29]
	v_pk_add_f16 v48, v48, v4
	v_pk_max_f16 v4, v87, v87
	ds_write_b16 v43, v80
	ds_write_b16 v70, v82
	ds_write_b16 v70, v81 offset:512
	v_pk_min_f16 v11, v4, v8
	s_waitcnt lgkmcnt(0)
	v_pk_add_f16 v72, v86, v11
	v_pk_min_f16 v11, v4, v9
	s_barrier
	v_pk_add_f16 v63, v88, v11
	v_pk_min_f16 v11, v4, v1
	v_pk_min_f16 v4, v4, v3
	v_pk_add_f16 v55, v55, v11
	v_pk_add_f16 v47, v47, v4
	v_pk_max_f16 v4, v7, v7
	s_nop 0
	v_pk_min_f16 v1, v4, v1
	v_pk_min_f16 v7, v4, v8
	v_pk_add_f16 v54, v0, v1
	v_pk_min_f16 v0, v4, v3
	v_pk_add_f16 v71, v10, v7
	;; [unrolled: 2-line block ×4, first 2 shown]
	v_pk_add_f16 v45, v2, v0
	s_cbranch_scc1 .LBB297_34
.LBB297_22:                             ; =>This Inner Loop Header: Depth=1
	v_add_u32_e32 v32, s35, v37
	v_add_u32_e32 v0, 8, v32
	v_cmp_gt_i32_e64 s[2:3], s22, v0
	s_and_b64 s[2:3], vcc, s[2:3]
	s_and_b64 s[10:11], s[4:5], s[2:3]
	v_mov_b32_e32 v33, 0
	v_mov_b32_e32 v81, 0
	s_and_saveexec_b64 s[2:3], s[10:11]
	s_cbranch_execz .LBB297_24
; %bb.23:                               ;   in Loop: Header=BB297_22 Depth=1
	v_lshl_add_u64 v[2:3], v[26:27], 0, v[30:31]
	flat_load_ushort v1, v[2:3]
	s_waitcnt vmcnt(0) lgkmcnt(0)
	v_mul_f16_e32 v81, v36, v1
.LBB297_24:                             ;   in Loop: Header=BB297_22 Depth=1
	s_or_b64 exec, exec, s[2:3]
	v_cmp_le_i32_e64 s[10:11], s22, v0
	v_min_i32_e32 v0, s34, v0
	v_mad_i64_i32 v[0:1], s[2:3], v0, s23, 0
	s_or_b64 s[2:3], s[6:7], s[10:11]
	v_lshl_add_u64 v[0:1], v[0:1], 1, s[14:15]
	s_or_b64 s[2:3], s[2:3], s[16:17]
	s_xor_b64 s[30:31], s[2:3], -1
	v_lshl_add_u64 v[0:1], v[24:25], 1, v[0:1]
	s_and_saveexec_b64 s[2:3], s[30:31]
	s_cbranch_execz .LBB297_26
; %bb.25:                               ;   in Loop: Header=BB297_22 Depth=1
	flat_load_ushort v2, v[0:1]
	s_waitcnt vmcnt(0) lgkmcnt(0)
	v_mul_f16_e32 v33, v36, v2
.LBB297_26:                             ;   in Loop: Header=BB297_22 Depth=1
	s_or_b64 exec, exec, s[2:3]
	s_or_b64 s[2:3], s[8:9], s[10:11]
	s_or_b64 s[2:3], s[2:3], s[16:17]
	s_xor_b64 s[10:11], s[2:3], -1
	v_mov_b32_e32 v80, 0
	v_mov_b32_e32 v82, 0
	s_and_saveexec_b64 s[2:3], s[10:11]
	s_cbranch_execz .LBB297_28
; %bb.27:                               ;   in Loop: Header=BB297_22 Depth=1
	flat_load_ushort v0, v[0:1] offset:128
	s_waitcnt vmcnt(0) lgkmcnt(0)
	v_mul_f16_e32 v82, v36, v0
.LBB297_28:                             ;   in Loop: Header=BB297_22 Depth=1
	s_or_b64 exec, exec, s[2:3]
	ds_read2_b64 v[0:3], v78 offset0:48 offset1:56
	ds_read2_b64 v[12:15], v79 offset0:64 offset1:96
	ds_read2_b64 v[20:23], v79 offset1:32
	ds_read2_b64 v[16:19], v78 offset1:8
	ds_read2_b64 v[8:11], v78 offset0:16 offset1:24
	ds_read2_b64 v[4:7], v78 offset0:32 offset1:40
	v_add_u32_e32 v32, 12, v32
	v_cmp_gt_i32_e64 s[2:3], s22, v32
	s_and_b64 s[2:3], vcc, s[2:3]
	s_and_b64 s[10:11], s[4:5], s[2:3]
	ds_write_b16 v42, v81
	ds_write_b16 v40, v33
	ds_write_b16 v40, v82 offset:512
	s_waitcnt lgkmcnt(0)
	s_barrier
	s_and_saveexec_b64 s[2:3], s[10:11]
	s_cbranch_execz .LBB297_30
; %bb.29:                               ;   in Loop: Header=BB297_22 Depth=1
	v_lshl_add_u64 v[80:81], v[26:27], 0, v[28:29]
	flat_load_ushort v33, v[80:81]
	s_waitcnt vmcnt(0) lgkmcnt(0)
	v_mul_f16_e32 v80, v36, v33
.LBB297_30:                             ;   in Loop: Header=BB297_22 Depth=1
	s_or_b64 exec, exec, s[2:3]
	v_cmp_le_i32_e64 s[10:11], s22, v32
	v_min_i32_e32 v32, s34, v32
	v_mad_i64_i32 v[32:33], s[2:3], v32, s23, 0
	s_or_b64 s[2:3], s[6:7], s[10:11]
	v_lshl_add_u64 v[32:33], v[32:33], 1, s[14:15]
	s_or_b64 s[2:3], s[2:3], s[16:17]
	s_xor_b64 s[30:31], s[2:3], -1
	v_mov_b32_e32 v81, 0
	v_lshl_add_u64 v[32:33], v[24:25], 1, v[32:33]
	v_mov_b32_e32 v82, 0
	s_and_saveexec_b64 s[2:3], s[30:31]
	s_cbranch_execz .LBB297_32
; %bb.31:                               ;   in Loop: Header=BB297_22 Depth=1
	flat_load_ushort v82, v[32:33]
	s_waitcnt vmcnt(0) lgkmcnt(0)
	v_mul_f16_e32 v82, v36, v82
.LBB297_32:                             ;   in Loop: Header=BB297_22 Depth=1
	s_or_b64 exec, exec, s[2:3]
	v_pk_max_f16 v102, v2, v2
	v_pk_max_f16 v99, v20, v20
	;; [unrolled: 1-line block ×17, first 2 shown]
	s_or_b64 s[2:3], s[8:9], s[10:11]
	v_pk_min_f16 v2, v102, v99
	v_pk_min_f16 v20, v102, v100
	;; [unrolled: 1-line block ×26, first 2 shown]
	v_pk_max_f16 v123, v3, v3
	v_pk_max_f16 v104, v17, v17
	;; [unrolled: 1-line block ×5, first 2 shown]
	v_pk_min_f16 v113, v5, v120
	v_pk_min_f16 v114, v5, v121
	;; [unrolled: 1-line block ×4, first 2 shown]
	v_pk_max_f16 v5, v7, v7
	v_pk_max_f16 v1, v1, v1
	s_or_b64 s[2:3], s[2:3], s[16:17]
	v_pk_min_f16 v86, v86, v103
	v_pk_min_f16 v89, v89, v103
	;; [unrolled: 1-line block ×34, first 2 shown]
	s_xor_b64 s[10:11], s[2:3], -1
	s_and_saveexec_b64 s[2:3], s[10:11]
	s_cbranch_execz .LBB297_21
; %bb.33:                               ;   in Loop: Header=BB297_22 Depth=1
	flat_load_ushort v32, v[32:33] offset:128
	s_waitcnt vmcnt(0) lgkmcnt(0)
	v_mul_f16_e32 v81, v36, v32
	s_branch .LBB297_21
.LBB297_34:
	s_load_dwordx2 s[2:3], s[0:1], 0x78
	s_load_dword s29, s[0:1], 0x58
	s_load_dword s28, s[0:1], 0x70
	v_add_u32_e32 v8, 0x800, v39
	ds_read2_b64 v[0:3], v8 offset0:112 offset1:120
	ds_read2_b64 v[4:7], v38 offset0:192 offset1:224
	ds_read2_b64 v[20:23], v38 offset0:128 offset1:160
	ds_read2_b64 v[16:19], v8 offset0:64 offset1:72
	ds_read2_b64 v[12:15], v8 offset0:80 offset1:88
	ds_read2_b64 v[8:11], v8 offset0:96 offset1:104
	s_waitcnt lgkmcnt(0)
	s_mul_i32 s1, s26, s3
	s_mul_hi_u32 s3, s26, s2
	s_mul_i32 s0, s26, s2
	s_add_i32 s1, s3, s1
	s_lshl_b64 s[0:1], s[0:1], 1
	s_add_u32 s22, s18, s0
	v_add_u32_e32 v70, s33, v35
	s_addc_u32 s23, s19, s1
	v_mad_i64_i32 v[26:27], s[0:1], v70, s29, 0
	v_add_u32_e32 v24, s27, v34
	v_lshl_add_u64 v[42:43], v[26:27], 1, s[24:25]
	v_mad_i64_i32 v[26:27], s[0:1], v70, s28, 0
	v_cmp_gt_i32_e64 s[18:19], s21, v70
	v_lshl_add_u64 v[40:41], v[26:27], 1, s[22:23]
	v_cmp_gt_i32_e64 s[4:5], s20, v24
	v_cndmask_b32_e64 v26, 0, 1, s[12:13]
	s_and_b64 s[6:7], s[4:5], s[18:19]
	v_ashrrev_i32_e32 v25, 31, v24
	v_cmp_ne_u32_e64 s[0:1], 1, v26
	s_and_saveexec_b64 s[2:3], s[6:7]
	s_cbranch_execz .LBB297_39
; %bb.35:
	s_and_b64 vcc, exec, s[0:1]
	s_cbranch_vccnz .LBB297_37
; %bb.36:
	v_lshl_add_u64 v[26:27], v[24:25], 1, v[42:43]
	flat_load_ushort v26, v[26:27]
	s_waitcnt vmcnt(0) lgkmcnt(0)
	v_mul_f16_e32 v26, v44, v26
	s_branch .LBB297_38
.LBB297_37:
	v_mov_b32_e32 v26, 0
.LBB297_38:
	v_pk_max_f16 v27, v20, v20
	v_pk_max_f16 v28, v16, v16
	v_pk_max_f16 v29, v17, v17
	v_pk_min_f16 v27, v28, v27
	v_pk_max_f16 v28, v21, v21
	v_pk_add_f16 v27, v77, v27
	v_pk_min_f16 v28, v29, v28
	s_nop 0
	v_pk_add_f16 v27, v27, v28
	s_nop 0
	v_add_f16_sdwa v27, v27, v27 dst_sel:DWORD dst_unused:UNUSED_PAD src0_sel:DWORD src1_sel:WORD_1
	v_add_f16_e32 v28, v27, v26
	v_lshl_add_u64 v[26:27], v[24:25], 1, v[40:41]
	global_store_short v[26:27], v28, off
.LBB297_39:
	s_or_b64 exec, exec, s[2:3]
	v_add_u32_e32 v26, 8, v24
	v_cmp_gt_i32_e64 s[2:3], s20, v26
	s_and_b64 s[8:9], s[2:3], s[18:19]
	v_ashrrev_i32_e32 v27, 31, v26
	s_and_saveexec_b64 s[6:7], s[8:9]
	s_cbranch_execz .LBB297_44
; %bb.40:
	s_and_b64 vcc, exec, s[0:1]
	s_cbranch_vccnz .LBB297_42
; %bb.41:
	v_lshl_add_u64 v[28:29], v[26:27], 1, v[42:43]
	flat_load_ushort v28, v[28:29]
	s_waitcnt vmcnt(0) lgkmcnt(0)
	v_mul_f16_e32 v28, v44, v28
	s_branch .LBB297_43
.LBB297_42:
	v_mov_b32_e32 v28, 0
.LBB297_43:
	v_pk_max_f16 v29, v20, v20
	v_pk_max_f16 v30, v18, v18
	v_pk_max_f16 v31, v19, v19
	v_pk_min_f16 v29, v30, v29
	v_pk_max_f16 v30, v21, v21
	v_pk_add_f16 v29, v76, v29
	v_pk_min_f16 v30, v31, v30
	s_nop 0
	v_pk_add_f16 v29, v29, v30
	s_nop 0
	v_add_f16_sdwa v29, v29, v29 dst_sel:DWORD dst_unused:UNUSED_PAD src0_sel:DWORD src1_sel:WORD_1
	v_add_f16_e32 v30, v29, v28
	v_lshl_add_u64 v[28:29], v[26:27], 1, v[40:41]
	global_store_short v[28:29], v30, off
.LBB297_44:
	s_or_b64 exec, exec, s[6:7]
	v_add_u32_e32 v28, 16, v24
	v_cmp_gt_i32_e64 s[6:7], s20, v28
	s_and_b64 s[10:11], s[6:7], s[18:19]
	v_ashrrev_i32_e32 v29, 31, v28
	;; [unrolled: 34-line block ×6, first 2 shown]
	s_and_saveexec_b64 s[16:17], s[26:27]
	s_cbranch_execz .LBB297_69
; %bb.65:
	s_and_b64 vcc, exec, s[0:1]
	s_cbranch_vccnz .LBB297_67
; %bb.66:
	v_lshl_add_u64 v[38:39], v[36:37], 1, v[42:43]
	flat_load_ushort v38, v[38:39]
	s_waitcnt vmcnt(0) lgkmcnt(0)
	v_mul_f16_e32 v38, v44, v38
	s_branch .LBB297_68
.LBB297_67:
	v_mov_b32_e32 v38, 0
.LBB297_68:
	v_pk_max_f16 v39, v20, v20
	v_pk_max_f16 v72, v0, v0
	s_nop 0
	v_pk_min_f16 v39, v72, v39
	v_pk_max_f16 v72, v1, v1
	v_pk_add_f16 v39, v71, v39
	v_pk_max_f16 v71, v21, v21
	s_nop 0
	v_pk_min_f16 v71, v72, v71
	s_nop 0
	v_pk_add_f16 v39, v39, v71
	s_nop 0
	v_add_f16_sdwa v39, v39, v39 dst_sel:DWORD dst_unused:UNUSED_PAD src0_sel:DWORD src1_sel:WORD_1
	v_add_f16_e32 v71, v39, v38
	v_lshl_add_u64 v[38:39], v[36:37], 1, v[40:41]
	global_store_short v[38:39], v71, off
.LBB297_69:
	s_or_b64 exec, exec, s[16:17]
	v_add_u32_e32 v38, 56, v24
	v_cmp_gt_i32_e64 s[16:17], s20, v38
	s_and_b64 s[26:27], s[16:17], s[18:19]
	v_ashrrev_i32_e32 v39, 31, v38
	s_and_saveexec_b64 s[18:19], s[26:27]
	s_cbranch_execz .LBB297_74
; %bb.70:
	s_and_b64 vcc, exec, s[0:1]
	s_cbranch_vccnz .LBB297_72
; %bb.71:
	v_lshl_add_u64 v[42:43], v[38:39], 1, v[42:43]
	flat_load_ushort v42, v[42:43]
	s_waitcnt vmcnt(0) lgkmcnt(0)
	v_mul_f16_e32 v42, v44, v42
	s_branch .LBB297_73
.LBB297_72:
	v_mov_b32_e32 v42, 0
.LBB297_73:
	v_pk_max_f16 v20, v20, v20
	v_pk_max_f16 v43, v2, v2
	;; [unrolled: 1-line block ×3, first 2 shown]
	v_pk_min_f16 v20, v43, v20
	v_pk_max_f16 v43, v3, v3
	v_pk_add_f16 v20, v69, v20
	v_pk_min_f16 v21, v43, v21
	s_nop 0
	v_pk_add_f16 v20, v20, v21
	s_nop 0
	v_add_f16_sdwa v20, v20, v20 dst_sel:DWORD dst_unused:UNUSED_PAD src0_sel:DWORD src1_sel:WORD_1
	v_add_f16_e32 v42, v20, v42
	v_lshl_add_u64 v[20:21], v[38:39], 1, v[40:41]
	global_store_short v[20:21], v42, off
.LBB297_74:
	s_or_b64 exec, exec, s[18:19]
	v_add_u32_e32 v42, 32, v70
	v_mad_i64_i32 v[20:21], s[26:27], v42, s29, 0
	v_cmp_gt_i32_e64 s[18:19], s21, v42
	v_lshl_add_u64 v[40:41], v[20:21], 1, s[24:25]
	v_mad_i64_i32 v[20:21], s[26:27], v42, s28, 0
	v_lshl_add_u64 v[20:21], v[20:21], 1, s[22:23]
	s_and_b64 s[30:31], s[4:5], s[18:19]
	s_and_saveexec_b64 s[26:27], s[30:31]
	s_cbranch_execnz .LBB297_82
; %bb.75:
	s_or_b64 exec, exec, s[26:27]
	s_and_b64 s[30:31], s[2:3], s[18:19]
	s_and_saveexec_b64 s[26:27], s[30:31]
	s_cbranch_execnz .LBB297_86
.LBB297_76:
	s_or_b64 exec, exec, s[26:27]
	s_and_b64 s[30:31], s[6:7], s[18:19]
	s_and_saveexec_b64 s[26:27], s[30:31]
	s_cbranch_execnz .LBB297_90
.LBB297_77:
	s_or_b64 exec, exec, s[26:27]
	s_and_b64 s[30:31], s[8:9], s[18:19]
	s_and_saveexec_b64 s[26:27], s[30:31]
	s_cbranch_execnz .LBB297_94
.LBB297_78:
	s_or_b64 exec, exec, s[26:27]
	s_and_b64 s[30:31], s[10:11], s[18:19]
	s_and_saveexec_b64 s[26:27], s[30:31]
	s_cbranch_execnz .LBB297_98
.LBB297_79:
	s_or_b64 exec, exec, s[26:27]
	s_and_b64 s[30:31], s[12:13], s[18:19]
	s_and_saveexec_b64 s[26:27], s[30:31]
	s_cbranch_execnz .LBB297_102
.LBB297_80:
	s_or_b64 exec, exec, s[26:27]
	s_and_b64 s[30:31], s[14:15], s[18:19]
	s_and_saveexec_b64 s[26:27], s[30:31]
	s_cbranch_execnz .LBB297_106
.LBB297_81:
	s_or_b64 exec, exec, s[26:27]
	s_and_b64 s[26:27], s[16:17], s[18:19]
	s_and_saveexec_b64 s[18:19], s[26:27]
	s_cbranch_execnz .LBB297_110
	s_branch .LBB297_114
.LBB297_82:
	s_and_b64 vcc, exec, s[0:1]
	s_cbranch_vccnz .LBB297_84
; %bb.83:
	v_lshl_add_u64 v[42:43], v[24:25], 1, v[40:41]
	flat_load_ushort v42, v[42:43]
	s_waitcnt vmcnt(0) lgkmcnt(0)
	v_mul_f16_e32 v42, v44, v42
	s_branch .LBB297_85
.LBB297_84:
	v_mov_b32_e32 v42, 0
.LBB297_85:
	v_pk_max_f16 v43, v22, v22
	v_pk_max_f16 v69, v16, v16
	s_nop 0
	v_pk_min_f16 v43, v69, v43
	v_pk_max_f16 v69, v17, v17
	v_pk_add_f16 v43, v68, v43
	v_pk_max_f16 v68, v23, v23
	s_nop 0
	v_pk_min_f16 v68, v69, v68
	s_nop 0
	v_pk_add_f16 v43, v43, v68
	s_nop 0
	v_add_f16_sdwa v43, v43, v43 dst_sel:DWORD dst_unused:UNUSED_PAD src0_sel:DWORD src1_sel:WORD_1
	v_add_f16_e32 v68, v43, v42
	v_lshl_add_u64 v[42:43], v[24:25], 1, v[20:21]
	global_store_short v[42:43], v68, off
	s_or_b64 exec, exec, s[26:27]
	s_and_b64 s[30:31], s[2:3], s[18:19]
	s_and_saveexec_b64 s[26:27], s[30:31]
	s_cbranch_execz .LBB297_76
.LBB297_86:
	s_and_b64 vcc, exec, s[0:1]
	s_cbranch_vccnz .LBB297_88
; %bb.87:
	v_lshl_add_u64 v[42:43], v[26:27], 1, v[40:41]
	flat_load_ushort v42, v[42:43]
	s_waitcnt vmcnt(0) lgkmcnt(0)
	v_mul_f16_e32 v42, v44, v42
	s_branch .LBB297_89
.LBB297_88:
	v_mov_b32_e32 v42, 0
.LBB297_89:
	v_pk_max_f16 v43, v22, v22
	v_pk_max_f16 v68, v18, v18
	s_nop 0
	v_pk_min_f16 v43, v68, v43
	v_pk_max_f16 v68, v19, v19
	v_pk_add_f16 v43, v67, v43
	v_pk_max_f16 v67, v23, v23
	s_nop 0
	v_pk_min_f16 v67, v68, v67
	s_nop 0
	v_pk_add_f16 v43, v43, v67
	s_nop 0
	v_add_f16_sdwa v43, v43, v43 dst_sel:DWORD dst_unused:UNUSED_PAD src0_sel:DWORD src1_sel:WORD_1
	v_add_f16_e32 v67, v43, v42
	v_lshl_add_u64 v[42:43], v[26:27], 1, v[20:21]
	global_store_short v[42:43], v67, off
	s_or_b64 exec, exec, s[26:27]
	s_and_b64 s[30:31], s[6:7], s[18:19]
	s_and_saveexec_b64 s[26:27], s[30:31]
	s_cbranch_execz .LBB297_77
.LBB297_90:
	s_and_b64 vcc, exec, s[0:1]
	s_cbranch_vccnz .LBB297_92
; %bb.91:
	v_lshl_add_u64 v[42:43], v[28:29], 1, v[40:41]
	flat_load_ushort v42, v[42:43]
	s_waitcnt vmcnt(0) lgkmcnt(0)
	v_mul_f16_e32 v42, v44, v42
	s_branch .LBB297_93
.LBB297_92:
	v_mov_b32_e32 v42, 0
.LBB297_93:
	v_pk_max_f16 v43, v22, v22
	v_pk_max_f16 v67, v12, v12
	s_nop 0
	v_pk_min_f16 v43, v67, v43
	v_pk_max_f16 v67, v13, v13
	v_pk_add_f16 v43, v66, v43
	v_pk_max_f16 v66, v23, v23
	s_nop 0
	v_pk_min_f16 v66, v67, v66
	s_nop 0
	v_pk_add_f16 v43, v43, v66
	s_nop 0
	v_add_f16_sdwa v43, v43, v43 dst_sel:DWORD dst_unused:UNUSED_PAD src0_sel:DWORD src1_sel:WORD_1
	v_add_f16_e32 v66, v43, v42
	v_lshl_add_u64 v[42:43], v[28:29], 1, v[20:21]
	global_store_short v[42:43], v66, off
	s_or_b64 exec, exec, s[26:27]
	s_and_b64 s[30:31], s[8:9], s[18:19]
	s_and_saveexec_b64 s[26:27], s[30:31]
	s_cbranch_execz .LBB297_78
.LBB297_94:
	s_and_b64 vcc, exec, s[0:1]
	s_cbranch_vccnz .LBB297_96
; %bb.95:
	v_lshl_add_u64 v[42:43], v[30:31], 1, v[40:41]
	flat_load_ushort v42, v[42:43]
	s_waitcnt vmcnt(0) lgkmcnt(0)
	v_mul_f16_e32 v42, v44, v42
	s_branch .LBB297_97
.LBB297_96:
	v_mov_b32_e32 v42, 0
.LBB297_97:
	v_pk_max_f16 v43, v22, v22
	v_pk_max_f16 v66, v14, v14
	s_nop 0
	v_pk_min_f16 v43, v66, v43
	v_pk_max_f16 v66, v15, v15
	v_pk_add_f16 v43, v65, v43
	v_pk_max_f16 v65, v23, v23
	s_nop 0
	v_pk_min_f16 v65, v66, v65
	s_nop 0
	v_pk_add_f16 v43, v43, v65
	s_nop 0
	v_add_f16_sdwa v43, v43, v43 dst_sel:DWORD dst_unused:UNUSED_PAD src0_sel:DWORD src1_sel:WORD_1
	v_add_f16_e32 v65, v43, v42
	v_lshl_add_u64 v[42:43], v[30:31], 1, v[20:21]
	global_store_short v[42:43], v65, off
	s_or_b64 exec, exec, s[26:27]
	s_and_b64 s[30:31], s[10:11], s[18:19]
	s_and_saveexec_b64 s[26:27], s[30:31]
	s_cbranch_execz .LBB297_79
.LBB297_98:
	s_and_b64 vcc, exec, s[0:1]
	s_cbranch_vccnz .LBB297_100
; %bb.99:
	v_lshl_add_u64 v[42:43], v[32:33], 1, v[40:41]
	flat_load_ushort v42, v[42:43]
	s_waitcnt vmcnt(0) lgkmcnt(0)
	v_mul_f16_e32 v42, v44, v42
	s_branch .LBB297_101
.LBB297_100:
	v_mov_b32_e32 v42, 0
.LBB297_101:
	v_pk_max_f16 v43, v22, v22
	v_pk_max_f16 v65, v8, v8
	s_nop 0
	v_pk_min_f16 v43, v65, v43
	v_pk_max_f16 v65, v9, v9
	v_pk_add_f16 v43, v64, v43
	v_pk_max_f16 v64, v23, v23
	s_nop 0
	v_pk_min_f16 v64, v65, v64
	s_nop 0
	v_pk_add_f16 v43, v43, v64
	s_nop 0
	v_add_f16_sdwa v43, v43, v43 dst_sel:DWORD dst_unused:UNUSED_PAD src0_sel:DWORD src1_sel:WORD_1
	v_add_f16_e32 v64, v43, v42
	v_lshl_add_u64 v[42:43], v[32:33], 1, v[20:21]
	global_store_short v[42:43], v64, off
	s_or_b64 exec, exec, s[26:27]
	s_and_b64 s[30:31], s[12:13], s[18:19]
	s_and_saveexec_b64 s[26:27], s[30:31]
	s_cbranch_execz .LBB297_80
.LBB297_102:
	s_and_b64 vcc, exec, s[0:1]
	s_cbranch_vccnz .LBB297_104
; %bb.103:
	v_lshl_add_u64 v[42:43], v[34:35], 1, v[40:41]
	flat_load_ushort v42, v[42:43]
	s_waitcnt vmcnt(0) lgkmcnt(0)
	v_mul_f16_e32 v42, v44, v42
	s_branch .LBB297_105
.LBB297_104:
	v_mov_b32_e32 v42, 0
.LBB297_105:
	v_pk_max_f16 v43, v22, v22
	v_pk_max_f16 v64, v10, v10
	s_nop 0
	v_pk_min_f16 v43, v64, v43
	v_pk_max_f16 v64, v11, v11
	v_pk_add_f16 v43, v63, v43
	v_pk_max_f16 v63, v23, v23
	s_nop 0
	v_pk_min_f16 v63, v64, v63
	s_nop 0
	v_pk_add_f16 v43, v43, v63
	s_nop 0
	v_add_f16_sdwa v43, v43, v43 dst_sel:DWORD dst_unused:UNUSED_PAD src0_sel:DWORD src1_sel:WORD_1
	v_add_f16_e32 v63, v43, v42
	v_lshl_add_u64 v[42:43], v[34:35], 1, v[20:21]
	global_store_short v[42:43], v63, off
	s_or_b64 exec, exec, s[26:27]
	s_and_b64 s[30:31], s[14:15], s[18:19]
	s_and_saveexec_b64 s[26:27], s[30:31]
	s_cbranch_execz .LBB297_81
.LBB297_106:
	s_and_b64 vcc, exec, s[0:1]
	s_cbranch_vccnz .LBB297_108
; %bb.107:
	v_lshl_add_u64 v[42:43], v[36:37], 1, v[40:41]
	flat_load_ushort v42, v[42:43]
	s_waitcnt vmcnt(0) lgkmcnt(0)
	v_mul_f16_e32 v42, v44, v42
	s_branch .LBB297_109
.LBB297_108:
	v_mov_b32_e32 v42, 0
.LBB297_109:
	v_pk_max_f16 v43, v22, v22
	v_pk_max_f16 v63, v0, v0
	s_nop 0
	v_pk_min_f16 v43, v63, v43
	v_pk_max_f16 v63, v1, v1
	v_pk_add_f16 v43, v62, v43
	v_pk_max_f16 v62, v23, v23
	s_nop 0
	v_pk_min_f16 v62, v63, v62
	s_nop 0
	v_pk_add_f16 v43, v43, v62
	s_nop 0
	v_add_f16_sdwa v43, v43, v43 dst_sel:DWORD dst_unused:UNUSED_PAD src0_sel:DWORD src1_sel:WORD_1
	v_add_f16_e32 v62, v43, v42
	v_lshl_add_u64 v[42:43], v[36:37], 1, v[20:21]
	global_store_short v[42:43], v62, off
	s_or_b64 exec, exec, s[26:27]
	s_and_b64 s[26:27], s[16:17], s[18:19]
	s_and_saveexec_b64 s[18:19], s[26:27]
	s_cbranch_execz .LBB297_114
.LBB297_110:
	s_and_b64 vcc, exec, s[0:1]
	s_cbranch_vccnz .LBB297_112
; %bb.111:
	v_lshl_add_u64 v[40:41], v[38:39], 1, v[40:41]
	flat_load_ushort v40, v[40:41]
	s_waitcnt vmcnt(0) lgkmcnt(0)
	v_mul_f16_e32 v40, v44, v40
	s_branch .LBB297_113
.LBB297_112:
	v_mov_b32_e32 v40, 0
.LBB297_113:
	v_pk_max_f16 v22, v22, v22
	v_pk_max_f16 v41, v2, v2
	;; [unrolled: 1-line block ×3, first 2 shown]
	v_pk_min_f16 v22, v41, v22
	v_pk_max_f16 v41, v3, v3
	v_pk_add_f16 v22, v61, v22
	v_pk_min_f16 v23, v41, v23
	v_lshl_add_u64 v[20:21], v[38:39], 1, v[20:21]
	v_pk_add_f16 v22, v22, v23
	s_nop 0
	v_add_f16_sdwa v22, v22, v22 dst_sel:DWORD dst_unused:UNUSED_PAD src0_sel:DWORD src1_sel:WORD_1
	v_add_f16_e32 v22, v22, v40
	global_store_short v[20:21], v22, off
.LBB297_114:
	s_or_b64 exec, exec, s[18:19]
	v_add_u32_e32 v40, 64, v70
	v_mad_i64_i32 v[20:21], s[26:27], v40, s29, 0
	v_cmp_gt_i32_e64 s[18:19], s21, v40
	v_lshl_add_u64 v[22:23], v[20:21], 1, s[24:25]
	v_mad_i64_i32 v[20:21], s[26:27], v40, s28, 0
	v_lshl_add_u64 v[20:21], v[20:21], 1, s[22:23]
	s_and_b64 s[30:31], s[4:5], s[18:19]
	s_and_saveexec_b64 s[26:27], s[30:31]
	s_cbranch_execnz .LBB297_122
; %bb.115:
	s_or_b64 exec, exec, s[26:27]
	s_and_b64 s[30:31], s[2:3], s[18:19]
	s_and_saveexec_b64 s[26:27], s[30:31]
	s_cbranch_execnz .LBB297_126
.LBB297_116:
	s_or_b64 exec, exec, s[26:27]
	s_and_b64 s[30:31], s[6:7], s[18:19]
	s_and_saveexec_b64 s[26:27], s[30:31]
	s_cbranch_execnz .LBB297_130
.LBB297_117:
	s_or_b64 exec, exec, s[26:27]
	s_and_b64 s[30:31], s[8:9], s[18:19]
	s_and_saveexec_b64 s[26:27], s[30:31]
	s_cbranch_execnz .LBB297_134
.LBB297_118:
	s_or_b64 exec, exec, s[26:27]
	s_and_b64 s[30:31], s[10:11], s[18:19]
	s_and_saveexec_b64 s[26:27], s[30:31]
	s_cbranch_execnz .LBB297_138
.LBB297_119:
	s_or_b64 exec, exec, s[26:27]
	s_and_b64 s[30:31], s[12:13], s[18:19]
	s_and_saveexec_b64 s[26:27], s[30:31]
	s_cbranch_execnz .LBB297_142
.LBB297_120:
	s_or_b64 exec, exec, s[26:27]
	s_and_b64 s[30:31], s[14:15], s[18:19]
	s_and_saveexec_b64 s[26:27], s[30:31]
	s_cbranch_execnz .LBB297_146
.LBB297_121:
	s_or_b64 exec, exec, s[26:27]
	s_and_b64 s[26:27], s[16:17], s[18:19]
	s_and_saveexec_b64 s[18:19], s[26:27]
	s_cbranch_execnz .LBB297_150
	s_branch .LBB297_154
.LBB297_122:
	s_and_b64 vcc, exec, s[0:1]
	s_cbranch_vccnz .LBB297_124
; %bb.123:
	v_lshl_add_u64 v[40:41], v[24:25], 1, v[22:23]
	flat_load_ushort v40, v[40:41]
	s_waitcnt vmcnt(0) lgkmcnt(0)
	v_mul_f16_e32 v40, v44, v40
	s_branch .LBB297_125
.LBB297_124:
	v_mov_b32_e32 v40, 0
.LBB297_125:
	v_pk_max_f16 v41, v4, v4
	v_pk_max_f16 v42, v16, v16
	;; [unrolled: 1-line block ×3, first 2 shown]
	v_pk_min_f16 v41, v42, v41
	v_pk_max_f16 v42, v5, v5
	v_pk_add_f16 v41, v60, v41
	v_pk_min_f16 v42, v43, v42
	s_nop 0
	v_pk_add_f16 v41, v41, v42
	s_nop 0
	v_add_f16_sdwa v41, v41, v41 dst_sel:DWORD dst_unused:UNUSED_PAD src0_sel:DWORD src1_sel:WORD_1
	v_add_f16_e32 v42, v41, v40
	v_lshl_add_u64 v[40:41], v[24:25], 1, v[20:21]
	global_store_short v[40:41], v42, off
	s_or_b64 exec, exec, s[26:27]
	s_and_b64 s[30:31], s[2:3], s[18:19]
	s_and_saveexec_b64 s[26:27], s[30:31]
	s_cbranch_execz .LBB297_116
.LBB297_126:
	s_and_b64 vcc, exec, s[0:1]
	s_cbranch_vccnz .LBB297_128
; %bb.127:
	v_lshl_add_u64 v[40:41], v[26:27], 1, v[22:23]
	flat_load_ushort v40, v[40:41]
	s_waitcnt vmcnt(0) lgkmcnt(0)
	v_mul_f16_e32 v40, v44, v40
	s_branch .LBB297_129
.LBB297_128:
	v_mov_b32_e32 v40, 0
.LBB297_129:
	v_pk_max_f16 v41, v4, v4
	v_pk_max_f16 v42, v18, v18
	v_pk_max_f16 v43, v19, v19
	v_pk_min_f16 v41, v42, v41
	v_pk_max_f16 v42, v5, v5
	v_pk_add_f16 v41, v59, v41
	v_pk_min_f16 v42, v43, v42
	s_nop 0
	v_pk_add_f16 v41, v41, v42
	s_nop 0
	v_add_f16_sdwa v41, v41, v41 dst_sel:DWORD dst_unused:UNUSED_PAD src0_sel:DWORD src1_sel:WORD_1
	v_add_f16_e32 v42, v41, v40
	v_lshl_add_u64 v[40:41], v[26:27], 1, v[20:21]
	global_store_short v[40:41], v42, off
	s_or_b64 exec, exec, s[26:27]
	s_and_b64 s[30:31], s[6:7], s[18:19]
	s_and_saveexec_b64 s[26:27], s[30:31]
	s_cbranch_execz .LBB297_117
.LBB297_130:
	s_and_b64 vcc, exec, s[0:1]
	s_cbranch_vccnz .LBB297_132
; %bb.131:
	v_lshl_add_u64 v[40:41], v[28:29], 1, v[22:23]
	flat_load_ushort v40, v[40:41]
	s_waitcnt vmcnt(0) lgkmcnt(0)
	v_mul_f16_e32 v40, v44, v40
	s_branch .LBB297_133
.LBB297_132:
	v_mov_b32_e32 v40, 0
.LBB297_133:
	v_pk_max_f16 v41, v4, v4
	v_pk_max_f16 v42, v12, v12
	;; [unrolled: 1-line block ×3, first 2 shown]
	v_pk_min_f16 v41, v42, v41
	v_pk_max_f16 v42, v5, v5
	v_pk_add_f16 v41, v58, v41
	v_pk_min_f16 v42, v43, v42
	s_nop 0
	v_pk_add_f16 v41, v41, v42
	s_nop 0
	v_add_f16_sdwa v41, v41, v41 dst_sel:DWORD dst_unused:UNUSED_PAD src0_sel:DWORD src1_sel:WORD_1
	v_add_f16_e32 v42, v41, v40
	v_lshl_add_u64 v[40:41], v[28:29], 1, v[20:21]
	global_store_short v[40:41], v42, off
	s_or_b64 exec, exec, s[26:27]
	s_and_b64 s[30:31], s[8:9], s[18:19]
	s_and_saveexec_b64 s[26:27], s[30:31]
	s_cbranch_execz .LBB297_118
.LBB297_134:
	s_and_b64 vcc, exec, s[0:1]
	s_cbranch_vccnz .LBB297_136
; %bb.135:
	v_lshl_add_u64 v[40:41], v[30:31], 1, v[22:23]
	flat_load_ushort v40, v[40:41]
	s_waitcnt vmcnt(0) lgkmcnt(0)
	v_mul_f16_e32 v40, v44, v40
	s_branch .LBB297_137
.LBB297_136:
	v_mov_b32_e32 v40, 0
.LBB297_137:
	v_pk_max_f16 v41, v4, v4
	v_pk_max_f16 v42, v14, v14
	;; [unrolled: 1-line block ×3, first 2 shown]
	v_pk_min_f16 v41, v42, v41
	v_pk_max_f16 v42, v5, v5
	v_pk_add_f16 v41, v57, v41
	v_pk_min_f16 v42, v43, v42
	s_nop 0
	v_pk_add_f16 v41, v41, v42
	s_nop 0
	v_add_f16_sdwa v41, v41, v41 dst_sel:DWORD dst_unused:UNUSED_PAD src0_sel:DWORD src1_sel:WORD_1
	v_add_f16_e32 v42, v41, v40
	v_lshl_add_u64 v[40:41], v[30:31], 1, v[20:21]
	global_store_short v[40:41], v42, off
	s_or_b64 exec, exec, s[26:27]
	s_and_b64 s[30:31], s[10:11], s[18:19]
	s_and_saveexec_b64 s[26:27], s[30:31]
	s_cbranch_execz .LBB297_119
.LBB297_138:
	s_and_b64 vcc, exec, s[0:1]
	s_cbranch_vccnz .LBB297_140
; %bb.139:
	v_lshl_add_u64 v[40:41], v[32:33], 1, v[22:23]
	flat_load_ushort v40, v[40:41]
	s_waitcnt vmcnt(0) lgkmcnt(0)
	v_mul_f16_e32 v40, v44, v40
	s_branch .LBB297_141
.LBB297_140:
	v_mov_b32_e32 v40, 0
.LBB297_141:
	v_pk_max_f16 v41, v4, v4
	v_pk_max_f16 v42, v8, v8
	;; [unrolled: 1-line block ×3, first 2 shown]
	v_pk_min_f16 v41, v42, v41
	v_pk_max_f16 v42, v5, v5
	v_pk_add_f16 v41, v56, v41
	v_pk_min_f16 v42, v43, v42
	s_nop 0
	v_pk_add_f16 v41, v41, v42
	s_nop 0
	v_add_f16_sdwa v41, v41, v41 dst_sel:DWORD dst_unused:UNUSED_PAD src0_sel:DWORD src1_sel:WORD_1
	v_add_f16_e32 v42, v41, v40
	v_lshl_add_u64 v[40:41], v[32:33], 1, v[20:21]
	global_store_short v[40:41], v42, off
	s_or_b64 exec, exec, s[26:27]
	s_and_b64 s[30:31], s[12:13], s[18:19]
	s_and_saveexec_b64 s[26:27], s[30:31]
	s_cbranch_execz .LBB297_120
.LBB297_142:
	s_and_b64 vcc, exec, s[0:1]
	s_cbranch_vccnz .LBB297_144
; %bb.143:
	v_lshl_add_u64 v[40:41], v[34:35], 1, v[22:23]
	flat_load_ushort v40, v[40:41]
	s_waitcnt vmcnt(0) lgkmcnt(0)
	v_mul_f16_e32 v40, v44, v40
	s_branch .LBB297_145
.LBB297_144:
	v_mov_b32_e32 v40, 0
.LBB297_145:
	v_pk_max_f16 v41, v4, v4
	v_pk_max_f16 v42, v10, v10
	;; [unrolled: 1-line block ×3, first 2 shown]
	v_pk_min_f16 v41, v42, v41
	v_pk_max_f16 v42, v5, v5
	v_pk_add_f16 v41, v55, v41
	v_pk_min_f16 v42, v43, v42
	s_nop 0
	v_pk_add_f16 v41, v41, v42
	s_nop 0
	v_add_f16_sdwa v41, v41, v41 dst_sel:DWORD dst_unused:UNUSED_PAD src0_sel:DWORD src1_sel:WORD_1
	v_add_f16_e32 v42, v41, v40
	v_lshl_add_u64 v[40:41], v[34:35], 1, v[20:21]
	global_store_short v[40:41], v42, off
	s_or_b64 exec, exec, s[26:27]
	s_and_b64 s[30:31], s[14:15], s[18:19]
	s_and_saveexec_b64 s[26:27], s[30:31]
	s_cbranch_execz .LBB297_121
.LBB297_146:
	s_and_b64 vcc, exec, s[0:1]
	s_cbranch_vccnz .LBB297_148
; %bb.147:
	v_lshl_add_u64 v[40:41], v[36:37], 1, v[22:23]
	flat_load_ushort v40, v[40:41]
	s_waitcnt vmcnt(0) lgkmcnt(0)
	v_mul_f16_e32 v40, v44, v40
	s_branch .LBB297_149
.LBB297_148:
	v_mov_b32_e32 v40, 0
.LBB297_149:
	v_pk_max_f16 v41, v4, v4
	v_pk_max_f16 v42, v0, v0
	;; [unrolled: 1-line block ×3, first 2 shown]
	v_pk_min_f16 v41, v42, v41
	v_pk_max_f16 v42, v5, v5
	v_pk_add_f16 v41, v54, v41
	v_pk_min_f16 v42, v43, v42
	s_nop 0
	v_pk_add_f16 v41, v41, v42
	s_nop 0
	v_add_f16_sdwa v41, v41, v41 dst_sel:DWORD dst_unused:UNUSED_PAD src0_sel:DWORD src1_sel:WORD_1
	v_add_f16_e32 v42, v41, v40
	v_lshl_add_u64 v[40:41], v[36:37], 1, v[20:21]
	global_store_short v[40:41], v42, off
	s_or_b64 exec, exec, s[26:27]
	s_and_b64 s[26:27], s[16:17], s[18:19]
	s_and_saveexec_b64 s[18:19], s[26:27]
	s_cbranch_execz .LBB297_154
.LBB297_150:
	s_and_b64 vcc, exec, s[0:1]
	s_cbranch_vccnz .LBB297_152
; %bb.151:
	v_lshl_add_u64 v[22:23], v[38:39], 1, v[22:23]
	flat_load_ushort v22, v[22:23]
	s_waitcnt vmcnt(0) lgkmcnt(0)
	v_mul_f16_e32 v22, v44, v22
	s_branch .LBB297_153
.LBB297_152:
	v_mov_b32_e32 v22, 0
.LBB297_153:
	v_pk_max_f16 v4, v4, v4
	v_pk_max_f16 v23, v2, v2
	;; [unrolled: 1-line block ×3, first 2 shown]
	v_pk_min_f16 v4, v23, v4
	v_pk_max_f16 v23, v3, v3
	v_pk_add_f16 v4, v53, v4
	v_pk_min_f16 v5, v23, v5
	s_nop 0
	v_pk_add_f16 v4, v4, v5
	s_nop 0
	v_add_f16_sdwa v4, v4, v4 dst_sel:DWORD dst_unused:UNUSED_PAD src0_sel:DWORD src1_sel:WORD_1
	v_add_f16_e32 v22, v4, v22
	v_lshl_add_u64 v[4:5], v[38:39], 1, v[20:21]
	global_store_short v[4:5], v22, off
.LBB297_154:
	s_or_b64 exec, exec, s[18:19]
	v_add_u32_e32 v22, 0x60, v70
	v_cmp_gt_i32_e64 s[18:19], s21, v22
	v_mad_i64_i32 v[4:5], s[20:21], v22, s29, 0
	v_lshl_add_u64 v[20:21], v[4:5], 1, s[24:25]
	v_mad_i64_i32 v[4:5], s[20:21], v22, s28, 0
	v_lshl_add_u64 v[4:5], v[4:5], 1, s[22:23]
	s_and_b64 s[20:21], s[4:5], s[18:19]
	s_and_saveexec_b64 s[4:5], s[20:21]
	s_cbranch_execnz .LBB297_163
; %bb.155:
	s_or_b64 exec, exec, s[4:5]
	s_and_b64 s[4:5], s[2:3], s[18:19]
	s_and_saveexec_b64 s[2:3], s[4:5]
	s_cbranch_execnz .LBB297_167
.LBB297_156:
	s_or_b64 exec, exec, s[2:3]
	s_and_b64 s[4:5], s[6:7], s[18:19]
	s_and_saveexec_b64 s[2:3], s[4:5]
	s_cbranch_execnz .LBB297_171
.LBB297_157:
	s_or_b64 exec, exec, s[2:3]
	s_and_b64 s[4:5], s[8:9], s[18:19]
	s_and_saveexec_b64 s[2:3], s[4:5]
	s_cbranch_execnz .LBB297_175
.LBB297_158:
	s_or_b64 exec, exec, s[2:3]
	s_and_b64 s[4:5], s[10:11], s[18:19]
	s_and_saveexec_b64 s[2:3], s[4:5]
	s_cbranch_execnz .LBB297_179
.LBB297_159:
	s_or_b64 exec, exec, s[2:3]
	s_and_b64 s[4:5], s[12:13], s[18:19]
	s_and_saveexec_b64 s[2:3], s[4:5]
	s_cbranch_execnz .LBB297_183
.LBB297_160:
	s_or_b64 exec, exec, s[2:3]
	s_and_b64 s[4:5], s[14:15], s[18:19]
	s_and_saveexec_b64 s[2:3], s[4:5]
	s_cbranch_execnz .LBB297_187
.LBB297_161:
	s_or_b64 exec, exec, s[2:3]
	s_and_b64 s[2:3], s[16:17], s[18:19]
	s_and_saveexec_b64 s[4:5], s[2:3]
	s_cbranch_execnz .LBB297_191
.LBB297_162:
	s_endpgm
.LBB297_163:
	s_and_b64 vcc, exec, s[0:1]
	s_cbranch_vccnz .LBB297_165
; %bb.164:
	v_lshl_add_u64 v[22:23], v[24:25], 1, v[20:21]
	flat_load_ushort v22, v[22:23]
	s_waitcnt vmcnt(0) lgkmcnt(0)
	v_mul_f16_e32 v22, v44, v22
	s_branch .LBB297_166
.LBB297_165:
	v_mov_b32_e32 v22, 0
.LBB297_166:
	v_pk_max_f16 v23, v6, v6
	v_pk_max_f16 v16, v16, v16
	;; [unrolled: 1-line block ×3, first 2 shown]
	v_pk_min_f16 v16, v16, v23
	v_pk_max_f16 v23, v7, v7
	v_pk_add_f16 v16, v52, v16
	v_pk_min_f16 v17, v17, v23
	s_nop 0
	v_pk_add_f16 v16, v16, v17
	s_nop 0
	v_add_f16_sdwa v16, v16, v16 dst_sel:DWORD dst_unused:UNUSED_PAD src0_sel:DWORD src1_sel:WORD_1
	v_add_f16_e32 v22, v16, v22
	v_lshl_add_u64 v[16:17], v[24:25], 1, v[4:5]
	global_store_short v[16:17], v22, off
	s_or_b64 exec, exec, s[4:5]
	s_and_b64 s[4:5], s[2:3], s[18:19]
	s_and_saveexec_b64 s[2:3], s[4:5]
	s_cbranch_execz .LBB297_156
.LBB297_167:
	s_and_b64 vcc, exec, s[0:1]
	s_cbranch_vccnz .LBB297_169
; %bb.168:
	v_lshl_add_u64 v[16:17], v[26:27], 1, v[20:21]
	flat_load_ushort v16, v[16:17]
	s_waitcnt vmcnt(0) lgkmcnt(0)
	v_mul_f16_e32 v16, v44, v16
	s_branch .LBB297_170
.LBB297_169:
	v_mov_b32_e32 v16, 0
.LBB297_170:
	v_pk_max_f16 v17, v6, v6
	v_pk_max_f16 v18, v18, v18
	;; [unrolled: 1-line block ×3, first 2 shown]
	v_pk_min_f16 v17, v18, v17
	v_pk_max_f16 v18, v7, v7
	v_pk_add_f16 v17, v51, v17
	v_pk_min_f16 v18, v19, v18
	s_nop 0
	v_pk_add_f16 v17, v17, v18
	s_nop 0
	v_add_f16_sdwa v17, v17, v17 dst_sel:DWORD dst_unused:UNUSED_PAD src0_sel:DWORD src1_sel:WORD_1
	v_add_f16_e32 v18, v17, v16
	v_lshl_add_u64 v[16:17], v[26:27], 1, v[4:5]
	global_store_short v[16:17], v18, off
	s_or_b64 exec, exec, s[2:3]
	s_and_b64 s[4:5], s[6:7], s[18:19]
	s_and_saveexec_b64 s[2:3], s[4:5]
	s_cbranch_execz .LBB297_157
.LBB297_171:
	s_and_b64 vcc, exec, s[0:1]
	s_cbranch_vccnz .LBB297_173
; %bb.172:
	v_lshl_add_u64 v[16:17], v[28:29], 1, v[20:21]
	flat_load_ushort v16, v[16:17]
	s_waitcnt vmcnt(0) lgkmcnt(0)
	v_mul_f16_e32 v16, v44, v16
	s_branch .LBB297_174
.LBB297_173:
	v_mov_b32_e32 v16, 0
.LBB297_174:
	v_pk_max_f16 v17, v6, v6
	v_pk_max_f16 v12, v12, v12
	;; [unrolled: 1-line block ×3, first 2 shown]
	v_pk_min_f16 v12, v12, v17
	v_pk_max_f16 v17, v7, v7
	v_pk_add_f16 v12, v50, v12
	v_pk_min_f16 v13, v13, v17
	s_nop 0
	v_pk_add_f16 v12, v12, v13
	s_nop 0
	v_add_f16_sdwa v12, v12, v12 dst_sel:DWORD dst_unused:UNUSED_PAD src0_sel:DWORD src1_sel:WORD_1
	v_add_f16_e32 v16, v12, v16
	v_lshl_add_u64 v[12:13], v[28:29], 1, v[4:5]
	global_store_short v[12:13], v16, off
	s_or_b64 exec, exec, s[2:3]
	s_and_b64 s[4:5], s[8:9], s[18:19]
	s_and_saveexec_b64 s[2:3], s[4:5]
	s_cbranch_execz .LBB297_158
.LBB297_175:
	s_and_b64 vcc, exec, s[0:1]
	s_cbranch_vccnz .LBB297_177
; %bb.176:
	v_lshl_add_u64 v[12:13], v[30:31], 1, v[20:21]
	flat_load_ushort v12, v[12:13]
	s_waitcnt vmcnt(0) lgkmcnt(0)
	v_mul_f16_e32 v12, v44, v12
	s_branch .LBB297_178
.LBB297_177:
	v_mov_b32_e32 v12, 0
.LBB297_178:
	v_pk_max_f16 v13, v6, v6
	v_pk_max_f16 v14, v14, v14
	;; [unrolled: 1-line block ×3, first 2 shown]
	v_pk_min_f16 v13, v14, v13
	v_pk_max_f16 v14, v7, v7
	v_pk_add_f16 v13, v49, v13
	v_pk_min_f16 v14, v15, v14
	s_nop 0
	v_pk_add_f16 v13, v13, v14
	s_nop 0
	v_add_f16_sdwa v13, v13, v13 dst_sel:DWORD dst_unused:UNUSED_PAD src0_sel:DWORD src1_sel:WORD_1
	v_add_f16_e32 v14, v13, v12
	v_lshl_add_u64 v[12:13], v[30:31], 1, v[4:5]
	global_store_short v[12:13], v14, off
	s_or_b64 exec, exec, s[2:3]
	s_and_b64 s[4:5], s[10:11], s[18:19]
	s_and_saveexec_b64 s[2:3], s[4:5]
	s_cbranch_execz .LBB297_159
.LBB297_179:
	s_and_b64 vcc, exec, s[0:1]
	s_cbranch_vccnz .LBB297_181
; %bb.180:
	v_lshl_add_u64 v[12:13], v[32:33], 1, v[20:21]
	flat_load_ushort v12, v[12:13]
	s_waitcnt vmcnt(0) lgkmcnt(0)
	v_mul_f16_e32 v12, v44, v12
	s_branch .LBB297_182
.LBB297_181:
	v_mov_b32_e32 v12, 0
.LBB297_182:
	v_pk_max_f16 v13, v6, v6
	v_pk_max_f16 v8, v8, v8
	;; [unrolled: 1-line block ×3, first 2 shown]
	v_pk_min_f16 v8, v8, v13
	v_pk_max_f16 v13, v7, v7
	v_pk_add_f16 v8, v48, v8
	v_pk_min_f16 v9, v9, v13
	s_nop 0
	v_pk_add_f16 v8, v8, v9
	s_nop 0
	v_add_f16_sdwa v8, v8, v8 dst_sel:DWORD dst_unused:UNUSED_PAD src0_sel:DWORD src1_sel:WORD_1
	v_add_f16_e32 v12, v8, v12
	v_lshl_add_u64 v[8:9], v[32:33], 1, v[4:5]
	global_store_short v[8:9], v12, off
	s_or_b64 exec, exec, s[2:3]
	s_and_b64 s[4:5], s[12:13], s[18:19]
	s_and_saveexec_b64 s[2:3], s[4:5]
	s_cbranch_execz .LBB297_160
.LBB297_183:
	s_and_b64 vcc, exec, s[0:1]
	s_cbranch_vccnz .LBB297_185
; %bb.184:
	v_lshl_add_u64 v[8:9], v[34:35], 1, v[20:21]
	flat_load_ushort v8, v[8:9]
	s_waitcnt vmcnt(0) lgkmcnt(0)
	v_mul_f16_e32 v8, v44, v8
	s_branch .LBB297_186
.LBB297_185:
	v_mov_b32_e32 v8, 0
.LBB297_186:
	v_pk_max_f16 v9, v6, v6
	v_pk_max_f16 v10, v10, v10
	;; [unrolled: 1-line block ×3, first 2 shown]
	v_pk_min_f16 v9, v10, v9
	v_pk_max_f16 v10, v7, v7
	v_pk_add_f16 v9, v47, v9
	v_pk_min_f16 v10, v11, v10
	s_nop 0
	v_pk_add_f16 v9, v9, v10
	s_nop 0
	v_add_f16_sdwa v9, v9, v9 dst_sel:DWORD dst_unused:UNUSED_PAD src0_sel:DWORD src1_sel:WORD_1
	v_add_f16_e32 v10, v9, v8
	v_lshl_add_u64 v[8:9], v[34:35], 1, v[4:5]
	global_store_short v[8:9], v10, off
	s_or_b64 exec, exec, s[2:3]
	s_and_b64 s[4:5], s[14:15], s[18:19]
	s_and_saveexec_b64 s[2:3], s[4:5]
	s_cbranch_execz .LBB297_161
.LBB297_187:
	s_and_b64 vcc, exec, s[0:1]
	s_cbranch_vccnz .LBB297_189
; %bb.188:
	v_lshl_add_u64 v[8:9], v[36:37], 1, v[20:21]
	flat_load_ushort v8, v[8:9]
	s_waitcnt vmcnt(0) lgkmcnt(0)
	v_mul_f16_e32 v8, v44, v8
	s_branch .LBB297_190
.LBB297_189:
	v_mov_b32_e32 v8, 0
.LBB297_190:
	v_pk_max_f16 v9, v6, v6
	v_pk_max_f16 v0, v0, v0
	;; [unrolled: 1-line block ×3, first 2 shown]
	v_pk_min_f16 v0, v0, v9
	v_pk_max_f16 v9, v7, v7
	v_pk_add_f16 v0, v46, v0
	v_pk_min_f16 v1, v1, v9
	s_nop 0
	v_pk_add_f16 v0, v0, v1
	s_nop 0
	v_add_f16_sdwa v0, v0, v0 dst_sel:DWORD dst_unused:UNUSED_PAD src0_sel:DWORD src1_sel:WORD_1
	v_add_f16_e32 v8, v0, v8
	v_lshl_add_u64 v[0:1], v[36:37], 1, v[4:5]
	global_store_short v[0:1], v8, off
	s_or_b64 exec, exec, s[2:3]
	s_and_b64 s[2:3], s[16:17], s[18:19]
	s_and_saveexec_b64 s[4:5], s[2:3]
	s_cbranch_execz .LBB297_162
.LBB297_191:
	s_and_b64 vcc, exec, s[0:1]
	s_cbranch_vccnz .LBB297_193
; %bb.192:
	v_lshl_add_u64 v[0:1], v[38:39], 1, v[20:21]
	flat_load_ushort v0, v[0:1]
	s_waitcnt vmcnt(0) lgkmcnt(0)
	v_mul_f16_e32 v0, v44, v0
	s_branch .LBB297_194
.LBB297_193:
	v_mov_b32_e32 v0, 0
.LBB297_194:
	v_pk_max_f16 v1, v6, v6
	v_pk_max_f16 v2, v2, v2
	;; [unrolled: 1-line block ×3, first 2 shown]
	v_pk_min_f16 v1, v2, v1
	v_pk_max_f16 v2, v7, v7
	v_pk_add_f16 v1, v45, v1
	v_pk_min_f16 v2, v3, v2
	s_nop 0
	v_pk_add_f16 v1, v1, v2
	s_nop 0
	v_add_f16_sdwa v1, v1, v1 dst_sel:DWORD dst_unused:UNUSED_PAD src0_sel:DWORD src1_sel:WORD_1
	v_add_f16_e32 v2, v1, v0
	v_lshl_add_u64 v[0:1], v[38:39], 1, v[4:5]
	global_store_short v[0:1], v2, off
	s_endpgm
	.section	.rodata,"a",@progbits
	.p2align	6, 0x0
	.amdhsa_kernel _ZN12_GLOBAL__N_120geam_min_plus_kernelIDF16_Dv2_DF16_S1_Li8ELi32ELi64ELi128ELi4ELi64ELi4ELi64ELi4ELc78ELc84ELb0ELb1ELb0EPKDF16_S2_DF16_EEviiiT16_PT17_ilS6_ilS4_S6_ilPT18_ili26rocblas_geam_ex_operation_
		.amdhsa_group_segment_fixed_size 3072
		.amdhsa_private_segment_fixed_size 0
		.amdhsa_kernarg_size 136
		.amdhsa_user_sgpr_count 2
		.amdhsa_user_sgpr_dispatch_ptr 0
		.amdhsa_user_sgpr_queue_ptr 0
		.amdhsa_user_sgpr_kernarg_segment_ptr 1
		.amdhsa_user_sgpr_dispatch_id 0
		.amdhsa_user_sgpr_kernarg_preload_length 0
		.amdhsa_user_sgpr_kernarg_preload_offset 0
		.amdhsa_user_sgpr_private_segment_size 0
		.amdhsa_uses_dynamic_stack 0
		.amdhsa_enable_private_segment 0
		.amdhsa_system_sgpr_workgroup_id_x 1
		.amdhsa_system_sgpr_workgroup_id_y 0
		.amdhsa_system_sgpr_workgroup_id_z 1
		.amdhsa_system_sgpr_workgroup_info 0
		.amdhsa_system_vgpr_workitem_id 1
		.amdhsa_next_free_vgpr 125
		.amdhsa_next_free_sgpr 38
		.amdhsa_accum_offset 128
		.amdhsa_reserve_vcc 1
		.amdhsa_float_round_mode_32 0
		.amdhsa_float_round_mode_16_64 0
		.amdhsa_float_denorm_mode_32 3
		.amdhsa_float_denorm_mode_16_64 3
		.amdhsa_dx10_clamp 1
		.amdhsa_ieee_mode 1
		.amdhsa_fp16_overflow 0
		.amdhsa_tg_split 0
		.amdhsa_exception_fp_ieee_invalid_op 0
		.amdhsa_exception_fp_denorm_src 0
		.amdhsa_exception_fp_ieee_div_zero 0
		.amdhsa_exception_fp_ieee_overflow 0
		.amdhsa_exception_fp_ieee_underflow 0
		.amdhsa_exception_fp_ieee_inexact 0
		.amdhsa_exception_int_div_zero 0
	.end_amdhsa_kernel
	.section	.text._ZN12_GLOBAL__N_120geam_min_plus_kernelIDF16_Dv2_DF16_S1_Li8ELi32ELi64ELi128ELi4ELi64ELi4ELi64ELi4ELc78ELc84ELb0ELb1ELb0EPKDF16_S2_DF16_EEviiiT16_PT17_ilS6_ilS4_S6_ilPT18_ili26rocblas_geam_ex_operation_,"axG",@progbits,_ZN12_GLOBAL__N_120geam_min_plus_kernelIDF16_Dv2_DF16_S1_Li8ELi32ELi64ELi128ELi4ELi64ELi4ELi64ELi4ELc78ELc84ELb0ELb1ELb0EPKDF16_S2_DF16_EEviiiT16_PT17_ilS6_ilS4_S6_ilPT18_ili26rocblas_geam_ex_operation_,comdat
.Lfunc_end297:
	.size	_ZN12_GLOBAL__N_120geam_min_plus_kernelIDF16_Dv2_DF16_S1_Li8ELi32ELi64ELi128ELi4ELi64ELi4ELi64ELi4ELc78ELc84ELb0ELb1ELb0EPKDF16_S2_DF16_EEviiiT16_PT17_ilS6_ilS4_S6_ilPT18_ili26rocblas_geam_ex_operation_, .Lfunc_end297-_ZN12_GLOBAL__N_120geam_min_plus_kernelIDF16_Dv2_DF16_S1_Li8ELi32ELi64ELi128ELi4ELi64ELi4ELi64ELi4ELc78ELc84ELb0ELb1ELb0EPKDF16_S2_DF16_EEviiiT16_PT17_ilS6_ilS4_S6_ilPT18_ili26rocblas_geam_ex_operation_
                                        ; -- End function
	.section	.AMDGPU.csdata,"",@progbits
; Kernel info:
; codeLenInByte = 11280
; NumSgprs: 44
; NumVgprs: 125
; NumAgprs: 0
; TotalNumVgprs: 125
; ScratchSize: 0
; MemoryBound: 0
; FloatMode: 240
; IeeeMode: 1
; LDSByteSize: 3072 bytes/workgroup (compile time only)
; SGPRBlocks: 5
; VGPRBlocks: 15
; NumSGPRsForWavesPerEU: 44
; NumVGPRsForWavesPerEU: 125
; AccumOffset: 128
; Occupancy: 4
; WaveLimiterHint : 0
; COMPUTE_PGM_RSRC2:SCRATCH_EN: 0
; COMPUTE_PGM_RSRC2:USER_SGPR: 2
; COMPUTE_PGM_RSRC2:TRAP_HANDLER: 0
; COMPUTE_PGM_RSRC2:TGID_X_EN: 1
; COMPUTE_PGM_RSRC2:TGID_Y_EN: 0
; COMPUTE_PGM_RSRC2:TGID_Z_EN: 1
; COMPUTE_PGM_RSRC2:TIDIG_COMP_CNT: 1
; COMPUTE_PGM_RSRC3_GFX90A:ACCUM_OFFSET: 31
; COMPUTE_PGM_RSRC3_GFX90A:TG_SPLIT: 0
	.section	.text._ZN12_GLOBAL__N_120geam_min_plus_kernelIDF16_Dv2_DF16_S1_Li8ELi32ELi64ELi128ELi4ELi64ELi4ELi64ELi4ELc78ELc84ELb1ELb1ELb0EDF16_KDF16_DF16_EEviiiT16_PT17_ilS5_ilS3_S5_ilPT18_ili26rocblas_geam_ex_operation_,"axG",@progbits,_ZN12_GLOBAL__N_120geam_min_plus_kernelIDF16_Dv2_DF16_S1_Li8ELi32ELi64ELi128ELi4ELi64ELi4ELi64ELi4ELc78ELc84ELb1ELb1ELb0EDF16_KDF16_DF16_EEviiiT16_PT17_ilS5_ilS3_S5_ilPT18_ili26rocblas_geam_ex_operation_,comdat
	.globl	_ZN12_GLOBAL__N_120geam_min_plus_kernelIDF16_Dv2_DF16_S1_Li8ELi32ELi64ELi128ELi4ELi64ELi4ELi64ELi4ELc78ELc84ELb1ELb1ELb0EDF16_KDF16_DF16_EEviiiT16_PT17_ilS5_ilS3_S5_ilPT18_ili26rocblas_geam_ex_operation_ ; -- Begin function _ZN12_GLOBAL__N_120geam_min_plus_kernelIDF16_Dv2_DF16_S1_Li8ELi32ELi64ELi128ELi4ELi64ELi4ELi64ELi4ELc78ELc84ELb1ELb1ELb0EDF16_KDF16_DF16_EEviiiT16_PT17_ilS5_ilS3_S5_ilPT18_ili26rocblas_geam_ex_operation_
	.p2align	8
	.type	_ZN12_GLOBAL__N_120geam_min_plus_kernelIDF16_Dv2_DF16_S1_Li8ELi32ELi64ELi128ELi4ELi64ELi4ELi64ELi4ELc78ELc84ELb1ELb1ELb0EDF16_KDF16_DF16_EEviiiT16_PT17_ilS5_ilS3_S5_ilPT18_ili26rocblas_geam_ex_operation_,@function
_ZN12_GLOBAL__N_120geam_min_plus_kernelIDF16_Dv2_DF16_S1_Li8ELi32ELi64ELi128ELi4ELi64ELi4ELi64ELi4ELc78ELc84ELb1ELb1ELb0EDF16_KDF16_DF16_EEviiiT16_PT17_ilS5_ilS3_S5_ilPT18_ili26rocblas_geam_ex_operation_: ; @_ZN12_GLOBAL__N_120geam_min_plus_kernelIDF16_Dv2_DF16_S1_Li8ELi32ELi64ELi128ELi4ELi64ELi4ELi64ELi4ELc78ELc84ELb1ELb1ELb0EDF16_KDF16_DF16_EEviiiT16_PT17_ilS5_ilS3_S5_ilPT18_ili26rocblas_geam_ex_operation_
; %bb.0:
	s_load_dwordx4 s[20:23], s[0:1], 0x0
	s_load_dwordx4 s[4:7], s[0:1], 0x20
	s_waitcnt lgkmcnt(0)
	v_cmp_eq_f16_e64 s[8:9], s23, 0
	s_and_b64 vcc, exec, s[8:9]
	s_cbranch_vccnz .LBB298_3
; %bb.1:
	s_load_dwordx2 s[10:11], s[0:1], 0x10
	s_mul_i32 s5, s3, s5
	s_mul_hi_u32 s12, s3, s4
	s_add_i32 s5, s12, s5
	s_mul_i32 s4, s3, s4
	s_lshl_b64 s[4:5], s[4:5], 1
	s_waitcnt lgkmcnt(0)
	s_add_u32 s16, s10, s4
	s_addc_u32 s17, s11, s5
	s_andn2_b64 vcc, exec, s[8:9]
	s_cbranch_vccnz .LBB298_4
.LBB298_2:
	s_mov_b32 s15, 0
	s_mov_b64 s[18:19], 0
	s_cbranch_execz .LBB298_5
	s_branch .LBB298_6
.LBB298_3:
	s_mov_b64 s[16:17], 0
	s_andn2_b64 vcc, exec, s[8:9]
	s_cbranch_vccz .LBB298_2
.LBB298_4:
                                        ; implicit-def: $sgpr18_sgpr19
                                        ; implicit-def: $sgpr14_sgpr15
.LBB298_5:
	s_load_dwordx2 s[4:5], s[0:1], 0x38
	s_mov_b32 s15, 0
	s_waitcnt lgkmcnt(0)
	s_mul_i32 s5, s3, s5
	s_mul_hi_u32 s8, s3, s4
	s_add_i32 s5, s8, s5
	s_mul_i32 s4, s3, s4
	s_lshl_b64 s[4:5], s[4:5], 1
	s_add_u32 s18, s6, s4
	s_addc_u32 s19, s7, s5
.LBB298_6:
	s_load_dword s33, s[0:1], 0x40
	s_load_dwordx4 s[8:11], s[0:1], 0x58
	s_waitcnt lgkmcnt(0)
	v_cmp_eq_f16_e64 s[4:5], s33, 0
	v_cmp_neq_f16_e64 s[12:13], s33, 0
	s_and_b64 vcc, exec, s[4:5]
	s_cbranch_vccnz .LBB298_8
; %bb.7:
	s_load_dwordx2 s[4:5], s[0:1], 0x48
	s_mul_i32 s6, s3, s9
	s_mul_hi_u32 s7, s3, s8
	s_add_i32 s6, s7, s6
	s_mul_i32 s7, s15, s8
	s_add_i32 s7, s6, s7
	s_mul_i32 s6, s3, s8
	s_lshl_b64 s[6:7], s[6:7], 1
	s_waitcnt lgkmcnt(0)
	s_add_u32 s24, s4, s6
	s_addc_u32 s25, s5, s7
	s_branch .LBB298_9
.LBB298_8:
	s_mov_b64 s[24:25], 0
.LBB298_9:
	s_add_i32 s4, s20, -1
	s_ashr_i32 s5, s4, 31
	s_lshr_b32 s5, s5, 26
	s_add_i32 s4, s4, s5
	s_ashr_i32 s4, s4, 6
	s_add_i32 s5, s4, 1
	v_cvt_f32_u32_e32 v1, s5
	s_not_b32 s4, s4
	s_load_dword s26, s[0:1], 0x18
	v_and_b32_e32 v38, 0x3ff, v0
	v_rcp_iflag_f32_e32 v1, v1
	v_bfe_u32 v39, v0, 10, 10
	v_lshl_add_u32 v0, v39, 3, v38
	s_waitcnt lgkmcnt(0)
	s_ashr_i32 s27, s26, 31
	v_mul_f32_e32 v1, 0x4f7ffffe, v1
	v_cvt_u32_f32_e32 v1, v1
	v_and_b32_e32 v9, 63, v0
	v_lshrrev_b32_e32 v40, 6, v0
	v_mov_b32_e32 v10, 0
	v_readfirstlane_b32 s6, v1
	s_mul_i32 s4, s4, s6
	s_mul_hi_u32 s4, s6, s4
	s_add_i32 s6, s6, s4
	s_mul_hi_u32 s4, s2, s6
	s_mul_i32 s6, s4, s5
	s_sub_i32 s6, s2, s6
	s_add_i32 s7, s4, 1
	s_sub_i32 s8, s6, s5
	s_cmp_ge_u32 s6, s5
	s_cselect_b32 s4, s7, s4
	s_cselect_b32 s6, s8, s6
	s_add_i32 s7, s4, 1
	s_cmp_ge_u32 s6, s5
	s_cselect_b32 s8, s7, s4
	s_mul_i32 s4, s8, s5
	s_sub_i32 s2, s2, s4
	s_lshl_b32 s2, s2, 6
	v_or_b32_e32 v0, s2, v9
	v_cmp_le_i32_e32 vcc, s20, v0
	v_cmp_le_i32_e64 s[6:7], s22, v40
	s_or_b64 s[4:5], s[6:7], vcc
	s_xor_b64 s[28:29], s[4:5], -1
	v_ashrrev_i32_e32 v1, 31, v0
	v_mov_b32_e32 v11, 0
	s_and_saveexec_b64 s[4:5], s[28:29]
	s_cbranch_execz .LBB298_11
; %bb.10:
	v_mad_i64_i32 v[2:3], s[28:29], s26, v40, 0
	v_lshl_add_u64 v[2:3], v[2:3], 1, s[16:17]
	v_lshl_add_u64 v[2:3], v[0:1], 1, v[2:3]
	flat_load_ushort v11, v[2:3]
.LBB298_11:
	s_or_b64 exec, exec, s[4:5]
	s_load_dword s28, s[0:1], 0x30
	s_lshl_b32 s14, s8, 7
	v_or_b32_e32 v2, s14, v9
	v_cmp_le_i32_e64 s[8:9], s21, v2
	v_ashrrev_i32_e32 v3, 31, v2
	s_waitcnt lgkmcnt(0)
	v_mad_i64_i32 v[4:5], s[4:5], v40, s28, 0
	s_or_b64 s[4:5], s[6:7], s[8:9]
	s_ashr_i32 s29, s28, 31
	v_lshl_add_u64 v[4:5], v[4:5], 1, s[18:19]
	s_xor_b64 s[30:31], s[4:5], -1
	s_and_saveexec_b64 s[4:5], s[30:31]
	s_cbranch_execz .LBB298_13
; %bb.12:
	v_lshl_add_u64 v[6:7], v[2:3], 1, v[4:5]
	flat_load_ushort v10, v[6:7]
.LBB298_13:
	s_or_b64 exec, exec, s[4:5]
	v_or_b32_e32 v6, 64, v2
	v_cmp_le_i32_e64 s[4:5], s21, v6
	s_or_b64 s[6:7], s[6:7], s[4:5]
	s_xor_b64 s[30:31], s[6:7], -1
	v_mov_b32_e32 v6, 0
	v_mov_b32_e32 v12, 0
	s_and_saveexec_b64 s[6:7], s[30:31]
	s_cbranch_execz .LBB298_15
; %bb.14:
	v_lshl_add_u64 v[4:5], v[2:3], 1, v[4:5]
	flat_load_ushort v12, v[4:5] offset:128
.LBB298_15:
	s_or_b64 exec, exec, s[6:7]
	v_add_u32_e32 v4, 4, v40
	v_cmp_le_i32_e64 s[6:7], s22, v4
	s_or_b64 s[30:31], vcc, s[6:7]
	s_xor_b64 s[34:35], s[30:31], -1
	s_and_saveexec_b64 s[30:31], s[34:35]
	s_cbranch_execz .LBB298_17
; %bb.16:
	v_mad_i64_i32 v[6:7], s[34:35], s26, v4, 0
	v_lshl_add_u64 v[6:7], v[6:7], 1, s[16:17]
	v_lshl_add_u64 v[6:7], v[0:1], 1, v[6:7]
	flat_load_ushort v6, v[6:7]
.LBB298_17:
	s_or_b64 exec, exec, s[30:31]
	v_mad_i64_i32 v[4:5], s[30:31], v4, s28, 0
	s_or_b64 s[30:31], s[8:9], s[6:7]
	v_lshl_add_u64 v[4:5], v[4:5], 1, s[18:19]
	s_xor_b64 s[34:35], s[30:31], -1
	v_mov_b32_e32 v7, 0
	v_mov_b32_e32 v8, 0
	s_and_saveexec_b64 s[30:31], s[34:35]
	s_cbranch_execz .LBB298_19
; %bb.18:
	v_lshl_add_u64 v[14:15], v[2:3], 1, v[4:5]
	flat_load_ushort v8, v[14:15]
.LBB298_19:
	s_or_b64 exec, exec, s[30:31]
	s_or_b64 s[6:7], s[4:5], s[6:7]
	s_xor_b64 s[30:31], s[6:7], -1
	s_and_saveexec_b64 s[6:7], s[30:31]
	s_cbranch_execz .LBB298_21
; %bb.20:
	v_lshl_add_u64 v[4:5], v[2:3], 1, v[4:5]
	flat_load_ushort v7, v[4:5] offset:128
.LBB298_21:
	s_or_b64 exec, exec, s[6:7]
	v_lshlrev_b32_e32 v4, 1, v40
	v_lshlrev_b32_e32 v42, 3, v38
	v_lshl_add_u32 v43, v9, 3, v4
	v_lshlrev_b32_e32 v41, 3, v39
	v_add_u32_e32 v69, 0x800, v42
	s_waitcnt vmcnt(0)
	ds_write_b16 v43, v11 offset:2048
	s_waitcnt lgkmcnt(0)
	ds_write_b16 v43, v10
	ds_write_b16 v43, v12 offset:512
	s_waitcnt lgkmcnt(0)
	s_barrier
	ds_read2_b64 v[10:13], v41 offset1:32
	ds_read2_b64 v[14:17], v69 offset0:48 offset1:56
	ds_read2_b64 v[18:21], v41 offset0:64 offset1:96
	ds_read2_b64 v[22:25], v69 offset1:8
	ds_read2_b64 v[26:29], v69 offset0:16 offset1:24
	ds_read2_b64 v[30:33], v69 offset0:32 offset1:40
	s_waitcnt lgkmcnt(5)
	v_pk_max_f16 v4, v10, v10
	s_waitcnt lgkmcnt(4)
	v_pk_max_f16 v5, v16, v16
	v_pk_max_f16 v10, v12, v12
	v_pk_min_f16 v9, v5, v4
	s_waitcnt lgkmcnt(3)
	v_pk_max_f16 v16, v18, v18
	s_waitcnt lgkmcnt(2)
	v_pk_max_f16 v18, v22, v22
	v_pk_max_f16 v20, v20, v20
	;; [unrolled: 1-line block ×3, first 2 shown]
	s_waitcnt lgkmcnt(1)
	v_pk_max_f16 v26, v26, v26
	v_pk_max_f16 v28, v28, v28
	s_waitcnt lgkmcnt(0)
	v_pk_max_f16 v30, v30, v30
	v_pk_max_f16 v11, v11, v11
	;; [unrolled: 1-line block ×5, first 2 shown]
	v_pk_min_f16 v12, v5, v10
	v_pk_min_f16 v22, v18, v4
	;; [unrolled: 1-line block ×18, first 2 shown]
	v_pk_max_f16 v13, v13, v13
	v_pk_min_f16 v55, v30, v10
	v_pk_min_f16 v56, v30, v16
	;; [unrolled: 1-line block ×13, first 2 shown]
	v_pk_add_f16 v9, v9, 0
	v_pk_min_f16 v20, v17, v11
	v_pk_max_f16 v19, v19, v19
	v_pk_add_f16 v68, v9, v20
	v_pk_add_f16 v9, v12, 0
	v_pk_min_f16 v12, v17, v13
	v_pk_max_f16 v23, v23, v23
	v_pk_add_f16 v60, v9, v12
	;; [unrolled: 4-line block ×4, first 2 shown]
	v_pk_add_f16 v9, v34, 0
	v_pk_min_f16 v12, v23, v13
	v_pk_add_f16 v20, v49, 0
	v_pk_add_f16 v67, v9, v12
	;; [unrolled: 1-line block ×3, first 2 shown]
	v_pk_min_f16 v12, v23, v19
	v_pk_add_f16 v22, v53, 0
	v_pk_add_f16 v59, v9, v12
	;; [unrolled: 1-line block ×3, first 2 shown]
	v_pk_min_f16 v12, v23, v21
	v_pk_min_f16 v18, v25, v21
	v_pk_add_f16 v51, v9, v12
	v_pk_add_f16 v9, v36, 0
	v_pk_min_f16 v12, v25, v11
	v_pk_add_f16 v23, v28, 0
	v_pk_add_f16 v75, v9, v12
	v_pk_add_f16 v9, v37, 0
	v_pk_min_f16 v12, v25, v13
	v_pk_add_f16 v34, v63, 0
	;; [unrolled: 4-line block ×3, first 2 shown]
	v_pk_add_f16 v58, v9, v12
	v_pk_add_f16 v9, v24, 0
	;; [unrolled: 1-line block ×4, first 2 shown]
	v_pk_max_f16 v9, v27, v27
	v_pk_add_f16 v24, v54, 0
	v_pk_min_f16 v18, v9, v11
	v_pk_add_f16 v27, v30, 0
	v_pk_add_f16 v74, v12, v18
	;; [unrolled: 1-line block ×3, first 2 shown]
	v_pk_min_f16 v18, v9, v13
	v_pk_add_f16 v28, v61, 0
	v_pk_add_f16 v65, v12, v18
	;; [unrolled: 1-line block ×3, first 2 shown]
	v_pk_min_f16 v18, v9, v19
	v_pk_min_f16 v9, v9, v21
	v_pk_add_f16 v57, v12, v18
	v_pk_add_f16 v12, v26, 0
	;; [unrolled: 1-line block ×4, first 2 shown]
	v_pk_max_f16 v9, v29, v29
	v_pk_add_f16 v26, v56, 0
	v_pk_min_f16 v12, v9, v11
	v_pk_add_f16 v30, v62, 0
	v_pk_add_f16 v73, v18, v12
	v_pk_min_f16 v12, v9, v13
	v_pk_add_f16 v32, v32, 0
	v_pk_add_f16 v64, v20, v12
	v_pk_min_f16 v12, v9, v19
	v_pk_min_f16 v9, v9, v21
	v_pk_add_f16 v56, v22, v12
	v_pk_add_f16 v48, v23, v9
	v_pk_max_f16 v9, v31, v31
	v_pk_add_f16 v4, v4, 0
	v_pk_min_f16 v12, v9, v11
	v_pk_add_f16 v10, v10, 0
	v_pk_add_f16 v72, v24, v12
	v_pk_min_f16 v12, v9, v13
	v_pk_add_f16 v16, v16, 0
	v_pk_add_f16 v63, v25, v12
	v_pk_min_f16 v12, v9, v19
	v_pk_min_f16 v9, v9, v21
	v_pk_add_f16 v55, v26, v12
	v_pk_add_f16 v47, v27, v9
	v_pk_max_f16 v9, v33, v33
	v_pk_add_f16 v14, v14, 0
	v_pk_min_f16 v12, v9, v11
	v_pk_add_f16 v5, v5, 0
	v_pk_add_f16 v71, v28, v12
	v_pk_min_f16 v12, v9, v13
	s_mov_b32 s23, 0
	v_pk_add_f16 v62, v30, v12
	v_pk_min_f16 v12, v9, v19
	v_pk_min_f16 v9, v9, v21
	v_pk_add_f16 v54, v34, v12
	v_pk_add_f16 v46, v32, v9
	v_pk_max_f16 v9, v15, v15
	s_cmp_lt_i32 s22, 9
	v_pk_min_f16 v11, v9, v11
	ds_write_b16 v43, v6 offset:2560
	ds_write_b16 v43, v8 offset:1024
	;; [unrolled: 1-line block ×3, first 2 shown]
	v_pk_add_f16 v70, v4, v11
	v_pk_min_f16 v4, v9, v13
	s_waitcnt lgkmcnt(0)
	v_pk_add_f16 v61, v10, v4
	v_pk_min_f16 v4, v9, v19
	s_barrier
	v_pk_add_f16 v53, v16, v4
	v_pk_min_f16 v4, v9, v21
	s_nop 0
	v_pk_add_f16 v45, v14, v4
	v_pk_min_f16 v4, v17, v21
	s_nop 0
	v_pk_add_f16 v44, v5, v4
	s_cbranch_scc1 .LBB298_36
; %bb.22:
	v_lshl_add_u64 v[24:25], v[0:1], 1, s[16:17]
	v_mov_b32_e32 v0, 0xa00
	v_lshl_add_u32 v80, v38, 3, v0
	v_add_u32_e32 v0, v41, v38
	v_lshrrev_b32_e32 v4, 6, v0
	v_add_u32_e32 v5, 12, v4
	v_mad_i64_i32 v[0:1], s[6:7], v5, s28, 0
	v_lshlrev_b64 v[26:27], 1, v[0:1]
	v_lshl_add_u64 v[28:29], v[2:3], 1, s[18:19]
	v_mad_i64_i32 v[0:1], s[6:7], v5, s26, 0
	v_add_u32_e32 v2, 8, v4
	v_lshlrev_b64 v[30:31], 1, v[0:1]
	v_mad_i64_i32 v[0:1], s[6:7], v2, s26, 0
	v_lshlrev_b64 v[32:33], 1, v[0:1]
	v_mad_i64_i32 v[0:1], s[6:7], v2, s28, 0
	v_or_b32_e32 v77, 0x800, v43
	v_add_u32_e32 v78, 0xa00, v43
	v_or_b32_e32 v79, 0x400, v43
	s_add_i32 s30, s22, -8
	v_add_u32_e32 v81, 0x400, v41
	s_lshl_b64 s[16:17], s[28:29], 4
	s_lshl_b64 s[18:19], s[26:27], 4
	v_lshlrev_b64 v[34:35], 1, v[0:1]
	s_branch .LBB298_24
.LBB298_23:                             ;   in Loop: Header=BB298_24 Depth=1
	s_or_b64 exec, exec, s[6:7]
	v_pk_add_f16 v20, v60, v20
	v_pk_add_f16 v12, v52, v12
	;; [unrolled: 1-line block ×19, first 2 shown]
	ds_read2_b64 v[6:9], v69 offset0:48 offset1:56
	ds_read2_b64 v[10:13], v41 offset1:32
	v_pk_add_f16 v2, v68, v2
	v_pk_add_f16 v22, v67, v22
	;; [unrolled: 1-line block ×5, first 2 shown]
	s_waitcnt lgkmcnt(0)
	v_pk_max_f16 v8, v8, v8
	v_pk_max_f16 v10, v10, v10
	v_pk_add_f16 v16, v76, v16
	v_pk_add_f16 v60, v62, v98
	;; [unrolled: 1-line block ×9, first 2 shown]
	ds_read2_b64 v[0:3], v41 offset0:64 offset1:96
	v_pk_min_f16 v14, v8, v10
	v_pk_add_f16 v59, v63, v95
	v_pk_add_f16 v63, v16, v17
	;; [unrolled: 1-line block ×4, first 2 shown]
	ds_read2_b64 v[14:17], v69 offset1:8
	v_pk_max_f16 v12, v12, v12
	s_waitcnt lgkmcnt(0)
	v_pk_max_f16 v0, v0, v0
	v_pk_min_f16 v62, v8, v12
	v_pk_max_f16 v2, v2, v2
	v_pk_add_f16 v62, v20, v62
	v_pk_min_f16 v20, v8, v0
	v_pk_max_f16 v14, v14, v14
	v_pk_add_f16 v67, v21, v20
	;; [unrolled: 3-line block ×3, first 2 shown]
	v_pk_min_f16 v20, v14, v12
	v_pk_add_f16 v50, v50, v88
	v_pk_add_f16 v22, v22, v20
	v_pk_min_f16 v20, v14, v0
	v_pk_min_f16 v14, v14, v2
	v_pk_add_f16 v23, v23, v20
	v_pk_min_f16 v20, v16, v10
	v_pk_add_f16 v14, v36, v14
	v_pk_add_f16 v36, v18, v20
	v_pk_min_f16 v18, v16, v12
	v_pk_add_f16 v50, v50, v108
	v_pk_add_f16 v70, v19, v18
	ds_read2_b64 v[18:21], v69 offset0:16 offset1:24
	v_pk_min_f16 v68, v16, v0
	v_pk_min_f16 v16, v16, v2
	v_pk_add_f16 v49, v49, v91
	v_pk_add_f16 v16, v50, v16
	s_waitcnt lgkmcnt(0)
	v_pk_max_f16 v18, v18, v18
	v_pk_add_f16 v52, v52, v109
	v_pk_min_f16 v50, v18, v10
	ds_read2_b64 v[86:89], v69 offset0:32 offset1:40
	v_pk_add_f16 v71, v51, v50
	v_pk_min_f16 v50, v18, v12
	v_pk_add_f16 v4, v72, v4
	v_pk_add_f16 v49, v49, v111
	;; [unrolled: 1-line block ×3, first 2 shown]
	v_pk_min_f16 v50, v18, v0
	v_pk_min_f16 v18, v18, v2
	v_pk_max_f16 v20, v20, v20
	v_pk_add_f16 v18, v49, v18
	v_pk_min_f16 v49, v20, v10
	v_pk_add_f16 v48, v48, v94
	v_pk_add_f16 v58, v58, v112
	;; [unrolled: 1-line block ×3, first 2 shown]
	v_pk_min_f16 v49, v20, v12
	v_pk_add_f16 v56, v56, v93
	v_pk_add_f16 v48, v48, v114
	;; [unrolled: 1-line block ×3, first 2 shown]
	v_pk_min_f16 v49, v20, v0
	v_pk_min_f16 v20, v20, v2
	v_pk_add_f16 v56, v56, v113
	v_pk_add_f16 v20, v48, v20
	s_waitcnt lgkmcnt(0)
	v_pk_max_f16 v48, v86, v86
	v_pk_add_f16 v4, v4, v115
	v_pk_add_f16 v56, v56, v49
	v_pk_min_f16 v49, v48, v10
	v_pk_add_f16 v47, v47, v97
	v_pk_add_f16 v59, v59, v116
	;; [unrolled: 1-line block ×3, first 2 shown]
	v_pk_min_f16 v49, v48, v12
	v_pk_add_f16 v55, v55, v96
	v_pk_add_f16 v47, v47, v118
	;; [unrolled: 1-line block ×3, first 2 shown]
	v_pk_min_f16 v49, v48, v0
	v_pk_min_f16 v48, v48, v2
	v_pk_add_f16 v55, v55, v117
	v_pk_add_f16 v47, v47, v48
	v_pk_max_f16 v48, v88, v88
	v_pk_add_f16 v55, v55, v49
	v_pk_min_f16 v49, v48, v10
	v_pk_add_f16 v60, v60, v119
	v_pk_add_f16 v88, v65, v49
	v_pk_min_f16 v49, v48, v12
	v_pk_max_f16 v6, v6, v6
	v_pk_add_f16 v57, v57, v90
	v_pk_add_f16 v90, v60, v49
	v_pk_min_f16 v49, v48, v0
	v_pk_min_f16 v48, v48, v2
	;; [unrolled: 1-line block ×7, first 2 shown]
	v_pk_max_f16 v8, v11, v11
	v_pk_add_f16 v2, v5, v2
	v_pk_max_f16 v5, v9, v9
	v_pk_add_f16 v37, v37, v68
	v_pk_min_f16 v9, v5, v8
	v_pk_max_f16 v1, v1, v1
	v_pk_add_f16 v68, v44, v9
	v_pk_max_f16 v9, v13, v13
	v_pk_max_f16 v3, v3, v3
	v_pk_min_f16 v11, v5, v9
	v_pk_add_f16 v57, v57, v110
	v_pk_add_f16 v60, v62, v11
	v_pk_min_f16 v11, v5, v1
	v_pk_add_f16 v10, v66, v10
	v_pk_add_f16 v52, v67, v11
	v_pk_max_f16 v11, v15, v15
	v_pk_add_f16 v57, v57, v50
	v_pk_min_f16 v13, v11, v8
	v_pk_add_f16 v54, v54, v99
	v_pk_add_f16 v76, v63, v13
	v_pk_min_f16 v13, v11, v9
	v_pk_add_f16 v54, v54, v120
	v_pk_add_f16 v67, v22, v13
	v_pk_min_f16 v13, v11, v1
	v_pk_min_f16 v11, v11, v3
	v_pk_add_f16 v59, v23, v13
	v_pk_add_f16 v51, v14, v11
	v_pk_max_f16 v11, v17, v17
	v_pk_add_f16 v54, v54, v49
	v_pk_min_f16 v13, v11, v8
	v_pk_add_f16 v46, v46, v100
	v_pk_add_f16 v75, v36, v13
	v_pk_min_f16 v13, v11, v9
	v_pk_add_f16 v46, v46, v121
	v_pk_add_f16 v66, v70, v13
	v_pk_min_f16 v13, v11, v1
	;; [unrolled: 12-line block ×4, first 2 shown]
	v_pk_min_f16 v11, v11, v3
	v_pk_add_f16 v56, v56, v13
	v_pk_add_f16 v48, v20, v11
	v_pk_max_f16 v11, v87, v87
	v_pk_add_f16 v6, v45, v6
	v_pk_min_f16 v13, v11, v8
	v_pk_add_f16 v12, v61, v12
	v_pk_add_f16 v72, v4, v13
	v_pk_min_f16 v4, v11, v9
	s_add_i32 s23, s23, 8
	v_pk_add_f16 v63, v86, v4
	v_pk_min_f16 v4, v11, v1
	v_lshl_add_u64 v[28:29], v[28:29], 0, s[16:17]
	v_pk_add_f16 v55, v55, v4
	v_pk_min_f16 v4, v11, v3
	s_cmp_ge_i32 s23, s30
	v_pk_add_f16 v47, v47, v4
	v_pk_max_f16 v4, v89, v89
	v_lshl_add_u64 v[24:25], v[24:25], 0, s[18:19]
	v_pk_min_f16 v11, v4, v8
	s_waitcnt vmcnt(0)
	ds_write_b16 v78, v82
	ds_write_b16 v79, v84
	ds_write_b16 v79, v83 offset:512
	v_pk_add_f16 v71, v88, v11
	v_pk_min_f16 v11, v4, v9
	s_waitcnt lgkmcnt(0)
	v_pk_add_f16 v62, v90, v11
	v_pk_min_f16 v11, v4, v1
	v_pk_min_f16 v4, v4, v3
	v_pk_add_f16 v54, v54, v11
	v_pk_add_f16 v46, v46, v4
	v_pk_max_f16 v4, v7, v7
	s_barrier
	v_pk_min_f16 v1, v4, v1
	v_pk_min_f16 v7, v4, v8
	v_pk_add_f16 v53, v0, v1
	v_pk_min_f16 v0, v4, v3
	v_pk_add_f16 v70, v10, v7
	;; [unrolled: 2-line block ×4, first 2 shown]
	v_pk_add_f16 v44, v2, v0
	s_cbranch_scc1 .LBB298_36
.LBB298_24:                             ; =>This Inner Loop Header: Depth=1
	v_add_u32_e32 v36, s23, v40
	v_add_u32_e32 v0, 8, v36
	v_cmp_le_i32_e64 s[6:7], s22, v0
	s_or_b64 s[26:27], vcc, s[6:7]
	s_xor_b64 s[28:29], s[26:27], -1
	v_mov_b32_e32 v37, 0
	v_mov_b32_e32 v83, 0
	s_and_saveexec_b64 s[26:27], s[28:29]
	s_cbranch_execz .LBB298_26
; %bb.25:                               ;   in Loop: Header=BB298_24 Depth=1
	v_lshl_add_u64 v[0:1], v[24:25], 0, v[32:33]
	flat_load_ushort v83, v[0:1]
.LBB298_26:                             ;   in Loop: Header=BB298_24 Depth=1
	s_or_b64 exec, exec, s[26:27]
	s_or_b64 s[26:27], s[8:9], s[6:7]
	s_xor_b64 s[28:29], s[26:27], -1
	v_lshl_add_u64 v[0:1], v[28:29], 0, v[34:35]
	s_and_saveexec_b64 s[26:27], s[28:29]
	s_cbranch_execz .LBB298_28
; %bb.27:                               ;   in Loop: Header=BB298_24 Depth=1
	flat_load_ushort v37, v[0:1]
.LBB298_28:                             ;   in Loop: Header=BB298_24 Depth=1
	s_or_b64 exec, exec, s[26:27]
	s_or_b64 s[6:7], s[4:5], s[6:7]
	s_xor_b64 s[26:27], s[6:7], -1
	v_mov_b32_e32 v82, 0
	v_mov_b32_e32 v84, 0
	s_and_saveexec_b64 s[6:7], s[26:27]
	s_cbranch_execz .LBB298_30
; %bb.29:                               ;   in Loop: Header=BB298_24 Depth=1
	flat_load_ushort v84, v[0:1] offset:128
.LBB298_30:                             ;   in Loop: Header=BB298_24 Depth=1
	s_or_b64 exec, exec, s[6:7]
	ds_read2_b64 v[0:3], v80 offset0:48 offset1:56
	ds_read2_b64 v[12:15], v81 offset0:64 offset1:96
	ds_read2_b64 v[20:23], v81 offset1:32
	ds_read2_b64 v[16:19], v80 offset1:8
	ds_read2_b64 v[8:11], v80 offset0:16 offset1:24
	ds_read2_b64 v[4:7], v80 offset0:32 offset1:40
	v_add_u32_e32 v36, 12, v36
	v_cmp_le_i32_e64 s[6:7], s22, v36
	s_or_b64 s[26:27], vcc, s[6:7]
	s_xor_b64 s[28:29], s[26:27], -1
	s_waitcnt vmcnt(0) lgkmcnt(0)
	ds_write_b16 v77, v83
	ds_write_b16 v43, v37
	ds_write_b16 v43, v84 offset:512
	s_waitcnt lgkmcnt(0)
	s_barrier
	s_and_saveexec_b64 s[26:27], s[28:29]
	s_cbranch_execz .LBB298_32
; %bb.31:                               ;   in Loop: Header=BB298_24 Depth=1
	v_lshl_add_u64 v[36:37], v[24:25], 0, v[30:31]
	flat_load_ushort v82, v[36:37]
.LBB298_32:                             ;   in Loop: Header=BB298_24 Depth=1
	s_or_b64 exec, exec, s[26:27]
	s_or_b64 s[26:27], s[8:9], s[6:7]
	s_xor_b64 s[28:29], s[26:27], -1
	v_mov_b32_e32 v83, 0
	v_lshl_add_u64 v[36:37], v[28:29], 0, v[26:27]
	v_mov_b32_e32 v84, 0
	s_and_saveexec_b64 s[26:27], s[28:29]
	s_cbranch_execz .LBB298_34
; %bb.33:                               ;   in Loop: Header=BB298_24 Depth=1
	flat_load_ushort v84, v[36:37]
.LBB298_34:                             ;   in Loop: Header=BB298_24 Depth=1
	s_or_b64 exec, exec, s[26:27]
	v_pk_max_f16 v104, v2, v2
	v_pk_max_f16 v101, v20, v20
	;; [unrolled: 1-line block ×17, first 2 shown]
	v_pk_min_f16 v2, v104, v101
	v_pk_min_f16 v20, v104, v102
	;; [unrolled: 1-line block ×26, first 2 shown]
	v_pk_max_f16 v125, v3, v3
	v_pk_max_f16 v106, v17, v17
	;; [unrolled: 1-line block ×5, first 2 shown]
	v_pk_min_f16 v115, v5, v122
	v_pk_min_f16 v116, v5, v123
	;; [unrolled: 1-line block ×4, first 2 shown]
	v_pk_max_f16 v5, v7, v7
	v_pk_max_f16 v1, v1, v1
	s_or_b64 s[6:7], s[4:5], s[6:7]
	v_pk_min_f16 v88, v88, v105
	v_pk_min_f16 v91, v91, v105
	;; [unrolled: 1-line block ×34, first 2 shown]
	s_xor_b64 s[26:27], s[6:7], -1
	s_and_saveexec_b64 s[6:7], s[26:27]
	s_cbranch_execz .LBB298_23
; %bb.35:                               ;   in Loop: Header=BB298_24 Depth=1
	flat_load_ushort v83, v[36:37] offset:128
	s_branch .LBB298_23
.LBB298_36:
	s_load_dwordx2 s[4:5], s[0:1], 0x70
	s_load_dword s29, s[0:1], 0x50
	s_load_dword s28, s[0:1], 0x68
	v_add_u32_e32 v8, 0x800, v42
	ds_read2_b64 v[0:3], v8 offset0:112 offset1:120
	ds_read2_b64 v[4:7], v41 offset0:192 offset1:224
	;; [unrolled: 1-line block ×6, first 2 shown]
	s_waitcnt lgkmcnt(0)
	s_mul_i32 s0, s3, s5
	s_mul_hi_u32 s1, s3, s4
	s_mul_i32 s5, s15, s4
	s_add_i32 s0, s1, s0
	s_add_i32 s1, s0, s5
	s_mul_i32 s0, s3, s4
	s_lshl_b64 s[0:1], s[0:1], 1
	s_add_u32 s22, s10, s0
	v_add_u32_e32 v69, s14, v39
	s_addc_u32 s23, s11, s1
	v_mad_i64_i32 v[26:27], s[0:1], v69, s29, 0
	v_add_u32_e32 v24, s2, v38
	v_lshl_add_u64 v[42:43], v[26:27], 1, s[24:25]
	v_mad_i64_i32 v[26:27], s[0:1], v69, s28, 0
	v_cmp_gt_i32_e64 s[18:19], s21, v69
	v_lshl_add_u64 v[40:41], v[26:27], 1, s[22:23]
	v_cmp_gt_i32_e64 s[2:3], s20, v24
	v_cndmask_b32_e64 v26, 0, 1, s[12:13]
	s_and_b64 s[6:7], s[2:3], s[18:19]
	v_ashrrev_i32_e32 v25, 31, v24
	v_cmp_ne_u32_e64 s[0:1], 1, v26
	s_and_saveexec_b64 s[4:5], s[6:7]
	s_cbranch_execz .LBB298_41
; %bb.37:
	s_and_b64 vcc, exec, s[0:1]
	s_cbranch_vccnz .LBB298_39
; %bb.38:
	v_lshl_add_u64 v[26:27], v[24:25], 1, v[42:43]
	flat_load_ushort v26, v[26:27]
	s_waitcnt vmcnt(0) lgkmcnt(0)
	v_mul_f16_e32 v26, s33, v26
	s_branch .LBB298_40
.LBB298_39:
	v_mov_b32_e32 v26, 0
.LBB298_40:
	v_pk_max_f16 v27, v20, v20
	v_pk_max_f16 v28, v16, v16
	v_pk_max_f16 v29, v17, v17
	v_pk_min_f16 v27, v28, v27
	v_pk_max_f16 v28, v21, v21
	v_pk_add_f16 v27, v76, v27
	v_pk_min_f16 v28, v29, v28
	s_nop 0
	v_pk_add_f16 v27, v27, v28
	s_nop 0
	v_add_f16_sdwa v27, v27, v27 dst_sel:DWORD dst_unused:UNUSED_PAD src0_sel:DWORD src1_sel:WORD_1
	v_add_f16_e32 v28, v27, v26
	v_lshl_add_u64 v[26:27], v[24:25], 1, v[40:41]
	global_store_short v[26:27], v28, off
.LBB298_41:
	s_or_b64 exec, exec, s[4:5]
	v_add_u32_e32 v26, 8, v24
	v_cmp_gt_i32_e64 s[4:5], s20, v26
	s_and_b64 s[8:9], s[4:5], s[18:19]
	v_ashrrev_i32_e32 v27, 31, v26
	s_and_saveexec_b64 s[6:7], s[8:9]
	s_cbranch_execz .LBB298_46
; %bb.42:
	s_and_b64 vcc, exec, s[0:1]
	s_cbranch_vccnz .LBB298_44
; %bb.43:
	v_lshl_add_u64 v[28:29], v[26:27], 1, v[42:43]
	flat_load_ushort v28, v[28:29]
	s_waitcnt vmcnt(0) lgkmcnt(0)
	v_mul_f16_e32 v28, s33, v28
	s_branch .LBB298_45
.LBB298_44:
	v_mov_b32_e32 v28, 0
.LBB298_45:
	v_pk_max_f16 v29, v20, v20
	v_pk_max_f16 v30, v18, v18
	v_pk_max_f16 v31, v19, v19
	v_pk_min_f16 v29, v30, v29
	v_pk_max_f16 v30, v21, v21
	v_pk_add_f16 v29, v75, v29
	v_pk_min_f16 v30, v31, v30
	s_nop 0
	v_pk_add_f16 v29, v29, v30
	s_nop 0
	v_add_f16_sdwa v29, v29, v29 dst_sel:DWORD dst_unused:UNUSED_PAD src0_sel:DWORD src1_sel:WORD_1
	v_add_f16_e32 v30, v29, v28
	v_lshl_add_u64 v[28:29], v[26:27], 1, v[40:41]
	global_store_short v[28:29], v30, off
.LBB298_46:
	s_or_b64 exec, exec, s[6:7]
	v_add_u32_e32 v28, 16, v24
	v_cmp_gt_i32_e64 s[6:7], s20, v28
	s_and_b64 s[10:11], s[6:7], s[18:19]
	v_ashrrev_i32_e32 v29, 31, v28
	;; [unrolled: 34-line block ×6, first 2 shown]
	s_and_saveexec_b64 s[16:17], s[26:27]
	s_cbranch_execz .LBB298_71
; %bb.67:
	s_and_b64 vcc, exec, s[0:1]
	s_cbranch_vccnz .LBB298_69
; %bb.68:
	v_lshl_add_u64 v[38:39], v[36:37], 1, v[42:43]
	flat_load_ushort v38, v[38:39]
	s_waitcnt vmcnt(0) lgkmcnt(0)
	v_mul_f16_e32 v38, s33, v38
	s_branch .LBB298_70
.LBB298_69:
	v_mov_b32_e32 v38, 0
.LBB298_70:
	v_pk_max_f16 v39, v20, v20
	v_pk_max_f16 v71, v0, v0
	s_nop 0
	v_pk_min_f16 v39, v71, v39
	v_pk_max_f16 v71, v1, v1
	v_pk_add_f16 v39, v70, v39
	v_pk_max_f16 v70, v21, v21
	s_nop 0
	v_pk_min_f16 v70, v71, v70
	s_nop 0
	v_pk_add_f16 v39, v39, v70
	s_nop 0
	v_add_f16_sdwa v39, v39, v39 dst_sel:DWORD dst_unused:UNUSED_PAD src0_sel:DWORD src1_sel:WORD_1
	v_add_f16_e32 v70, v39, v38
	v_lshl_add_u64 v[38:39], v[36:37], 1, v[40:41]
	global_store_short v[38:39], v70, off
.LBB298_71:
	s_or_b64 exec, exec, s[16:17]
	v_add_u32_e32 v38, 56, v24
	v_cmp_gt_i32_e64 s[16:17], s20, v38
	s_and_b64 s[26:27], s[16:17], s[18:19]
	v_ashrrev_i32_e32 v39, 31, v38
	s_and_saveexec_b64 s[18:19], s[26:27]
	s_cbranch_execz .LBB298_76
; %bb.72:
	s_and_b64 vcc, exec, s[0:1]
	s_cbranch_vccnz .LBB298_74
; %bb.73:
	v_lshl_add_u64 v[42:43], v[38:39], 1, v[42:43]
	flat_load_ushort v42, v[42:43]
	s_waitcnt vmcnt(0) lgkmcnt(0)
	v_mul_f16_e32 v42, s33, v42
	s_branch .LBB298_75
.LBB298_74:
	v_mov_b32_e32 v42, 0
.LBB298_75:
	v_pk_max_f16 v20, v20, v20
	v_pk_max_f16 v43, v2, v2
	;; [unrolled: 1-line block ×3, first 2 shown]
	v_pk_min_f16 v20, v43, v20
	v_pk_max_f16 v43, v3, v3
	v_pk_add_f16 v20, v68, v20
	v_pk_min_f16 v21, v43, v21
	s_nop 0
	v_pk_add_f16 v20, v20, v21
	s_nop 0
	v_add_f16_sdwa v20, v20, v20 dst_sel:DWORD dst_unused:UNUSED_PAD src0_sel:DWORD src1_sel:WORD_1
	v_add_f16_e32 v42, v20, v42
	v_lshl_add_u64 v[20:21], v[38:39], 1, v[40:41]
	global_store_short v[20:21], v42, off
.LBB298_76:
	s_or_b64 exec, exec, s[18:19]
	v_add_u32_e32 v42, 32, v69
	v_mad_i64_i32 v[20:21], s[26:27], v42, s29, 0
	v_cmp_gt_i32_e64 s[18:19], s21, v42
	v_lshl_add_u64 v[40:41], v[20:21], 1, s[24:25]
	v_mad_i64_i32 v[20:21], s[26:27], v42, s28, 0
	v_lshl_add_u64 v[20:21], v[20:21], 1, s[22:23]
	s_and_b64 s[30:31], s[2:3], s[18:19]
	s_and_saveexec_b64 s[26:27], s[30:31]
	s_cbranch_execnz .LBB298_84
; %bb.77:
	s_or_b64 exec, exec, s[26:27]
	s_and_b64 s[30:31], s[4:5], s[18:19]
	s_and_saveexec_b64 s[26:27], s[30:31]
	s_cbranch_execnz .LBB298_88
.LBB298_78:
	s_or_b64 exec, exec, s[26:27]
	s_and_b64 s[30:31], s[6:7], s[18:19]
	s_and_saveexec_b64 s[26:27], s[30:31]
	s_cbranch_execnz .LBB298_92
.LBB298_79:
	s_or_b64 exec, exec, s[26:27]
	s_and_b64 s[30:31], s[8:9], s[18:19]
	s_and_saveexec_b64 s[26:27], s[30:31]
	s_cbranch_execnz .LBB298_96
.LBB298_80:
	s_or_b64 exec, exec, s[26:27]
	s_and_b64 s[30:31], s[10:11], s[18:19]
	s_and_saveexec_b64 s[26:27], s[30:31]
	s_cbranch_execnz .LBB298_100
.LBB298_81:
	s_or_b64 exec, exec, s[26:27]
	s_and_b64 s[30:31], s[12:13], s[18:19]
	s_and_saveexec_b64 s[26:27], s[30:31]
	s_cbranch_execnz .LBB298_104
.LBB298_82:
	s_or_b64 exec, exec, s[26:27]
	s_and_b64 s[30:31], s[14:15], s[18:19]
	s_and_saveexec_b64 s[26:27], s[30:31]
	s_cbranch_execnz .LBB298_108
.LBB298_83:
	s_or_b64 exec, exec, s[26:27]
	s_and_b64 s[26:27], s[16:17], s[18:19]
	s_and_saveexec_b64 s[18:19], s[26:27]
	s_cbranch_execnz .LBB298_112
	s_branch .LBB298_116
.LBB298_84:
	s_and_b64 vcc, exec, s[0:1]
	s_cbranch_vccnz .LBB298_86
; %bb.85:
	v_lshl_add_u64 v[42:43], v[24:25], 1, v[40:41]
	flat_load_ushort v42, v[42:43]
	s_waitcnt vmcnt(0) lgkmcnt(0)
	v_mul_f16_e32 v42, s33, v42
	s_branch .LBB298_87
.LBB298_86:
	v_mov_b32_e32 v42, 0
.LBB298_87:
	v_pk_max_f16 v43, v22, v22
	v_pk_max_f16 v68, v16, v16
	s_nop 0
	v_pk_min_f16 v43, v68, v43
	v_pk_max_f16 v68, v17, v17
	v_pk_add_f16 v43, v67, v43
	v_pk_max_f16 v67, v23, v23
	s_nop 0
	v_pk_min_f16 v67, v68, v67
	s_nop 0
	v_pk_add_f16 v43, v43, v67
	s_nop 0
	v_add_f16_sdwa v43, v43, v43 dst_sel:DWORD dst_unused:UNUSED_PAD src0_sel:DWORD src1_sel:WORD_1
	v_add_f16_e32 v67, v43, v42
	v_lshl_add_u64 v[42:43], v[24:25], 1, v[20:21]
	global_store_short v[42:43], v67, off
	s_or_b64 exec, exec, s[26:27]
	s_and_b64 s[30:31], s[4:5], s[18:19]
	s_and_saveexec_b64 s[26:27], s[30:31]
	s_cbranch_execz .LBB298_78
.LBB298_88:
	s_and_b64 vcc, exec, s[0:1]
	s_cbranch_vccnz .LBB298_90
; %bb.89:
	v_lshl_add_u64 v[42:43], v[26:27], 1, v[40:41]
	flat_load_ushort v42, v[42:43]
	s_waitcnt vmcnt(0) lgkmcnt(0)
	v_mul_f16_e32 v42, s33, v42
	s_branch .LBB298_91
.LBB298_90:
	v_mov_b32_e32 v42, 0
.LBB298_91:
	v_pk_max_f16 v43, v22, v22
	v_pk_max_f16 v67, v18, v18
	s_nop 0
	v_pk_min_f16 v43, v67, v43
	v_pk_max_f16 v67, v19, v19
	v_pk_add_f16 v43, v66, v43
	v_pk_max_f16 v66, v23, v23
	s_nop 0
	v_pk_min_f16 v66, v67, v66
	s_nop 0
	v_pk_add_f16 v43, v43, v66
	s_nop 0
	v_add_f16_sdwa v43, v43, v43 dst_sel:DWORD dst_unused:UNUSED_PAD src0_sel:DWORD src1_sel:WORD_1
	v_add_f16_e32 v66, v43, v42
	v_lshl_add_u64 v[42:43], v[26:27], 1, v[20:21]
	global_store_short v[42:43], v66, off
	s_or_b64 exec, exec, s[26:27]
	s_and_b64 s[30:31], s[6:7], s[18:19]
	s_and_saveexec_b64 s[26:27], s[30:31]
	s_cbranch_execz .LBB298_79
.LBB298_92:
	s_and_b64 vcc, exec, s[0:1]
	s_cbranch_vccnz .LBB298_94
; %bb.93:
	v_lshl_add_u64 v[42:43], v[28:29], 1, v[40:41]
	flat_load_ushort v42, v[42:43]
	s_waitcnt vmcnt(0) lgkmcnt(0)
	v_mul_f16_e32 v42, s33, v42
	s_branch .LBB298_95
.LBB298_94:
	v_mov_b32_e32 v42, 0
.LBB298_95:
	v_pk_max_f16 v43, v22, v22
	v_pk_max_f16 v66, v12, v12
	s_nop 0
	v_pk_min_f16 v43, v66, v43
	v_pk_max_f16 v66, v13, v13
	v_pk_add_f16 v43, v65, v43
	v_pk_max_f16 v65, v23, v23
	s_nop 0
	v_pk_min_f16 v65, v66, v65
	s_nop 0
	v_pk_add_f16 v43, v43, v65
	s_nop 0
	v_add_f16_sdwa v43, v43, v43 dst_sel:DWORD dst_unused:UNUSED_PAD src0_sel:DWORD src1_sel:WORD_1
	v_add_f16_e32 v65, v43, v42
	v_lshl_add_u64 v[42:43], v[28:29], 1, v[20:21]
	global_store_short v[42:43], v65, off
	s_or_b64 exec, exec, s[26:27]
	s_and_b64 s[30:31], s[8:9], s[18:19]
	s_and_saveexec_b64 s[26:27], s[30:31]
	s_cbranch_execz .LBB298_80
.LBB298_96:
	s_and_b64 vcc, exec, s[0:1]
	s_cbranch_vccnz .LBB298_98
; %bb.97:
	v_lshl_add_u64 v[42:43], v[30:31], 1, v[40:41]
	flat_load_ushort v42, v[42:43]
	s_waitcnt vmcnt(0) lgkmcnt(0)
	v_mul_f16_e32 v42, s33, v42
	s_branch .LBB298_99
.LBB298_98:
	v_mov_b32_e32 v42, 0
.LBB298_99:
	v_pk_max_f16 v43, v22, v22
	v_pk_max_f16 v65, v14, v14
	s_nop 0
	v_pk_min_f16 v43, v65, v43
	v_pk_max_f16 v65, v15, v15
	v_pk_add_f16 v43, v64, v43
	v_pk_max_f16 v64, v23, v23
	s_nop 0
	v_pk_min_f16 v64, v65, v64
	s_nop 0
	v_pk_add_f16 v43, v43, v64
	s_nop 0
	v_add_f16_sdwa v43, v43, v43 dst_sel:DWORD dst_unused:UNUSED_PAD src0_sel:DWORD src1_sel:WORD_1
	v_add_f16_e32 v64, v43, v42
	v_lshl_add_u64 v[42:43], v[30:31], 1, v[20:21]
	global_store_short v[42:43], v64, off
	s_or_b64 exec, exec, s[26:27]
	s_and_b64 s[30:31], s[10:11], s[18:19]
	s_and_saveexec_b64 s[26:27], s[30:31]
	s_cbranch_execz .LBB298_81
.LBB298_100:
	s_and_b64 vcc, exec, s[0:1]
	s_cbranch_vccnz .LBB298_102
; %bb.101:
	v_lshl_add_u64 v[42:43], v[32:33], 1, v[40:41]
	flat_load_ushort v42, v[42:43]
	s_waitcnt vmcnt(0) lgkmcnt(0)
	v_mul_f16_e32 v42, s33, v42
	s_branch .LBB298_103
.LBB298_102:
	v_mov_b32_e32 v42, 0
.LBB298_103:
	v_pk_max_f16 v43, v22, v22
	v_pk_max_f16 v64, v8, v8
	s_nop 0
	v_pk_min_f16 v43, v64, v43
	v_pk_max_f16 v64, v9, v9
	v_pk_add_f16 v43, v63, v43
	v_pk_max_f16 v63, v23, v23
	s_nop 0
	v_pk_min_f16 v63, v64, v63
	s_nop 0
	v_pk_add_f16 v43, v43, v63
	s_nop 0
	v_add_f16_sdwa v43, v43, v43 dst_sel:DWORD dst_unused:UNUSED_PAD src0_sel:DWORD src1_sel:WORD_1
	v_add_f16_e32 v63, v43, v42
	v_lshl_add_u64 v[42:43], v[32:33], 1, v[20:21]
	global_store_short v[42:43], v63, off
	s_or_b64 exec, exec, s[26:27]
	s_and_b64 s[30:31], s[12:13], s[18:19]
	s_and_saveexec_b64 s[26:27], s[30:31]
	s_cbranch_execz .LBB298_82
.LBB298_104:
	s_and_b64 vcc, exec, s[0:1]
	s_cbranch_vccnz .LBB298_106
; %bb.105:
	v_lshl_add_u64 v[42:43], v[34:35], 1, v[40:41]
	flat_load_ushort v42, v[42:43]
	s_waitcnt vmcnt(0) lgkmcnt(0)
	v_mul_f16_e32 v42, s33, v42
	s_branch .LBB298_107
.LBB298_106:
	v_mov_b32_e32 v42, 0
.LBB298_107:
	v_pk_max_f16 v43, v22, v22
	v_pk_max_f16 v63, v10, v10
	s_nop 0
	v_pk_min_f16 v43, v63, v43
	v_pk_max_f16 v63, v11, v11
	v_pk_add_f16 v43, v62, v43
	v_pk_max_f16 v62, v23, v23
	s_nop 0
	v_pk_min_f16 v62, v63, v62
	s_nop 0
	v_pk_add_f16 v43, v43, v62
	s_nop 0
	v_add_f16_sdwa v43, v43, v43 dst_sel:DWORD dst_unused:UNUSED_PAD src0_sel:DWORD src1_sel:WORD_1
	v_add_f16_e32 v62, v43, v42
	v_lshl_add_u64 v[42:43], v[34:35], 1, v[20:21]
	global_store_short v[42:43], v62, off
	s_or_b64 exec, exec, s[26:27]
	s_and_b64 s[30:31], s[14:15], s[18:19]
	s_and_saveexec_b64 s[26:27], s[30:31]
	s_cbranch_execz .LBB298_83
.LBB298_108:
	s_and_b64 vcc, exec, s[0:1]
	s_cbranch_vccnz .LBB298_110
; %bb.109:
	v_lshl_add_u64 v[42:43], v[36:37], 1, v[40:41]
	flat_load_ushort v42, v[42:43]
	s_waitcnt vmcnt(0) lgkmcnt(0)
	v_mul_f16_e32 v42, s33, v42
	s_branch .LBB298_111
.LBB298_110:
	v_mov_b32_e32 v42, 0
.LBB298_111:
	v_pk_max_f16 v43, v22, v22
	v_pk_max_f16 v62, v0, v0
	s_nop 0
	v_pk_min_f16 v43, v62, v43
	v_pk_max_f16 v62, v1, v1
	v_pk_add_f16 v43, v61, v43
	v_pk_max_f16 v61, v23, v23
	s_nop 0
	v_pk_min_f16 v61, v62, v61
	s_nop 0
	v_pk_add_f16 v43, v43, v61
	s_nop 0
	v_add_f16_sdwa v43, v43, v43 dst_sel:DWORD dst_unused:UNUSED_PAD src0_sel:DWORD src1_sel:WORD_1
	v_add_f16_e32 v61, v43, v42
	v_lshl_add_u64 v[42:43], v[36:37], 1, v[20:21]
	global_store_short v[42:43], v61, off
	s_or_b64 exec, exec, s[26:27]
	s_and_b64 s[26:27], s[16:17], s[18:19]
	s_and_saveexec_b64 s[18:19], s[26:27]
	s_cbranch_execz .LBB298_116
.LBB298_112:
	s_and_b64 vcc, exec, s[0:1]
	s_cbranch_vccnz .LBB298_114
; %bb.113:
	v_lshl_add_u64 v[40:41], v[38:39], 1, v[40:41]
	flat_load_ushort v40, v[40:41]
	s_waitcnt vmcnt(0) lgkmcnt(0)
	v_mul_f16_e32 v40, s33, v40
	s_branch .LBB298_115
.LBB298_114:
	v_mov_b32_e32 v40, 0
.LBB298_115:
	v_pk_max_f16 v22, v22, v22
	v_pk_max_f16 v41, v2, v2
	;; [unrolled: 1-line block ×3, first 2 shown]
	v_pk_min_f16 v22, v41, v22
	v_pk_max_f16 v41, v3, v3
	v_pk_add_f16 v22, v60, v22
	v_pk_min_f16 v23, v41, v23
	v_lshl_add_u64 v[20:21], v[38:39], 1, v[20:21]
	v_pk_add_f16 v22, v22, v23
	s_nop 0
	v_add_f16_sdwa v22, v22, v22 dst_sel:DWORD dst_unused:UNUSED_PAD src0_sel:DWORD src1_sel:WORD_1
	v_add_f16_e32 v22, v22, v40
	global_store_short v[20:21], v22, off
.LBB298_116:
	s_or_b64 exec, exec, s[18:19]
	v_add_u32_e32 v40, 64, v69
	v_mad_i64_i32 v[20:21], s[26:27], v40, s29, 0
	v_cmp_gt_i32_e64 s[18:19], s21, v40
	v_lshl_add_u64 v[22:23], v[20:21], 1, s[24:25]
	v_mad_i64_i32 v[20:21], s[26:27], v40, s28, 0
	v_lshl_add_u64 v[20:21], v[20:21], 1, s[22:23]
	s_and_b64 s[30:31], s[2:3], s[18:19]
	s_and_saveexec_b64 s[26:27], s[30:31]
	s_cbranch_execnz .LBB298_124
; %bb.117:
	s_or_b64 exec, exec, s[26:27]
	s_and_b64 s[30:31], s[4:5], s[18:19]
	s_and_saveexec_b64 s[26:27], s[30:31]
	s_cbranch_execnz .LBB298_128
.LBB298_118:
	s_or_b64 exec, exec, s[26:27]
	s_and_b64 s[30:31], s[6:7], s[18:19]
	s_and_saveexec_b64 s[26:27], s[30:31]
	s_cbranch_execnz .LBB298_132
.LBB298_119:
	s_or_b64 exec, exec, s[26:27]
	s_and_b64 s[30:31], s[8:9], s[18:19]
	s_and_saveexec_b64 s[26:27], s[30:31]
	s_cbranch_execnz .LBB298_136
.LBB298_120:
	s_or_b64 exec, exec, s[26:27]
	s_and_b64 s[30:31], s[10:11], s[18:19]
	s_and_saveexec_b64 s[26:27], s[30:31]
	s_cbranch_execnz .LBB298_140
.LBB298_121:
	s_or_b64 exec, exec, s[26:27]
	s_and_b64 s[30:31], s[12:13], s[18:19]
	s_and_saveexec_b64 s[26:27], s[30:31]
	s_cbranch_execnz .LBB298_144
.LBB298_122:
	s_or_b64 exec, exec, s[26:27]
	s_and_b64 s[30:31], s[14:15], s[18:19]
	s_and_saveexec_b64 s[26:27], s[30:31]
	s_cbranch_execnz .LBB298_148
.LBB298_123:
	s_or_b64 exec, exec, s[26:27]
	s_and_b64 s[26:27], s[16:17], s[18:19]
	s_and_saveexec_b64 s[18:19], s[26:27]
	s_cbranch_execnz .LBB298_152
	s_branch .LBB298_156
.LBB298_124:
	s_and_b64 vcc, exec, s[0:1]
	s_cbranch_vccnz .LBB298_126
; %bb.125:
	v_lshl_add_u64 v[40:41], v[24:25], 1, v[22:23]
	flat_load_ushort v40, v[40:41]
	s_waitcnt vmcnt(0) lgkmcnt(0)
	v_mul_f16_e32 v40, s33, v40
	s_branch .LBB298_127
.LBB298_126:
	v_mov_b32_e32 v40, 0
.LBB298_127:
	v_pk_max_f16 v41, v4, v4
	v_pk_max_f16 v42, v16, v16
	;; [unrolled: 1-line block ×3, first 2 shown]
	v_pk_min_f16 v41, v42, v41
	v_pk_max_f16 v42, v5, v5
	v_pk_add_f16 v41, v59, v41
	v_pk_min_f16 v42, v43, v42
	s_nop 0
	v_pk_add_f16 v41, v41, v42
	s_nop 0
	v_add_f16_sdwa v41, v41, v41 dst_sel:DWORD dst_unused:UNUSED_PAD src0_sel:DWORD src1_sel:WORD_1
	v_add_f16_e32 v42, v41, v40
	v_lshl_add_u64 v[40:41], v[24:25], 1, v[20:21]
	global_store_short v[40:41], v42, off
	s_or_b64 exec, exec, s[26:27]
	s_and_b64 s[30:31], s[4:5], s[18:19]
	s_and_saveexec_b64 s[26:27], s[30:31]
	s_cbranch_execz .LBB298_118
.LBB298_128:
	s_and_b64 vcc, exec, s[0:1]
	s_cbranch_vccnz .LBB298_130
; %bb.129:
	v_lshl_add_u64 v[40:41], v[26:27], 1, v[22:23]
	flat_load_ushort v40, v[40:41]
	s_waitcnt vmcnt(0) lgkmcnt(0)
	v_mul_f16_e32 v40, s33, v40
	s_branch .LBB298_131
.LBB298_130:
	v_mov_b32_e32 v40, 0
.LBB298_131:
	v_pk_max_f16 v41, v4, v4
	v_pk_max_f16 v42, v18, v18
	;; [unrolled: 1-line block ×3, first 2 shown]
	v_pk_min_f16 v41, v42, v41
	v_pk_max_f16 v42, v5, v5
	v_pk_add_f16 v41, v58, v41
	v_pk_min_f16 v42, v43, v42
	s_nop 0
	v_pk_add_f16 v41, v41, v42
	s_nop 0
	v_add_f16_sdwa v41, v41, v41 dst_sel:DWORD dst_unused:UNUSED_PAD src0_sel:DWORD src1_sel:WORD_1
	v_add_f16_e32 v42, v41, v40
	v_lshl_add_u64 v[40:41], v[26:27], 1, v[20:21]
	global_store_short v[40:41], v42, off
	s_or_b64 exec, exec, s[26:27]
	s_and_b64 s[30:31], s[6:7], s[18:19]
	s_and_saveexec_b64 s[26:27], s[30:31]
	s_cbranch_execz .LBB298_119
.LBB298_132:
	s_and_b64 vcc, exec, s[0:1]
	s_cbranch_vccnz .LBB298_134
; %bb.133:
	v_lshl_add_u64 v[40:41], v[28:29], 1, v[22:23]
	flat_load_ushort v40, v[40:41]
	s_waitcnt vmcnt(0) lgkmcnt(0)
	v_mul_f16_e32 v40, s33, v40
	s_branch .LBB298_135
.LBB298_134:
	v_mov_b32_e32 v40, 0
.LBB298_135:
	v_pk_max_f16 v41, v4, v4
	v_pk_max_f16 v42, v12, v12
	;; [unrolled: 1-line block ×3, first 2 shown]
	v_pk_min_f16 v41, v42, v41
	v_pk_max_f16 v42, v5, v5
	v_pk_add_f16 v41, v57, v41
	v_pk_min_f16 v42, v43, v42
	s_nop 0
	v_pk_add_f16 v41, v41, v42
	s_nop 0
	v_add_f16_sdwa v41, v41, v41 dst_sel:DWORD dst_unused:UNUSED_PAD src0_sel:DWORD src1_sel:WORD_1
	v_add_f16_e32 v42, v41, v40
	v_lshl_add_u64 v[40:41], v[28:29], 1, v[20:21]
	global_store_short v[40:41], v42, off
	s_or_b64 exec, exec, s[26:27]
	s_and_b64 s[30:31], s[8:9], s[18:19]
	s_and_saveexec_b64 s[26:27], s[30:31]
	s_cbranch_execz .LBB298_120
.LBB298_136:
	s_and_b64 vcc, exec, s[0:1]
	s_cbranch_vccnz .LBB298_138
; %bb.137:
	v_lshl_add_u64 v[40:41], v[30:31], 1, v[22:23]
	flat_load_ushort v40, v[40:41]
	s_waitcnt vmcnt(0) lgkmcnt(0)
	v_mul_f16_e32 v40, s33, v40
	s_branch .LBB298_139
.LBB298_138:
	v_mov_b32_e32 v40, 0
.LBB298_139:
	v_pk_max_f16 v41, v4, v4
	v_pk_max_f16 v42, v14, v14
	;; [unrolled: 1-line block ×3, first 2 shown]
	v_pk_min_f16 v41, v42, v41
	v_pk_max_f16 v42, v5, v5
	v_pk_add_f16 v41, v56, v41
	v_pk_min_f16 v42, v43, v42
	s_nop 0
	v_pk_add_f16 v41, v41, v42
	s_nop 0
	v_add_f16_sdwa v41, v41, v41 dst_sel:DWORD dst_unused:UNUSED_PAD src0_sel:DWORD src1_sel:WORD_1
	v_add_f16_e32 v42, v41, v40
	v_lshl_add_u64 v[40:41], v[30:31], 1, v[20:21]
	global_store_short v[40:41], v42, off
	s_or_b64 exec, exec, s[26:27]
	s_and_b64 s[30:31], s[10:11], s[18:19]
	s_and_saveexec_b64 s[26:27], s[30:31]
	s_cbranch_execz .LBB298_121
.LBB298_140:
	s_and_b64 vcc, exec, s[0:1]
	s_cbranch_vccnz .LBB298_142
; %bb.141:
	v_lshl_add_u64 v[40:41], v[32:33], 1, v[22:23]
	flat_load_ushort v40, v[40:41]
	s_waitcnt vmcnt(0) lgkmcnt(0)
	v_mul_f16_e32 v40, s33, v40
	s_branch .LBB298_143
.LBB298_142:
	v_mov_b32_e32 v40, 0
.LBB298_143:
	v_pk_max_f16 v41, v4, v4
	v_pk_max_f16 v42, v8, v8
	;; [unrolled: 1-line block ×3, first 2 shown]
	v_pk_min_f16 v41, v42, v41
	v_pk_max_f16 v42, v5, v5
	v_pk_add_f16 v41, v55, v41
	v_pk_min_f16 v42, v43, v42
	s_nop 0
	v_pk_add_f16 v41, v41, v42
	s_nop 0
	v_add_f16_sdwa v41, v41, v41 dst_sel:DWORD dst_unused:UNUSED_PAD src0_sel:DWORD src1_sel:WORD_1
	v_add_f16_e32 v42, v41, v40
	v_lshl_add_u64 v[40:41], v[32:33], 1, v[20:21]
	global_store_short v[40:41], v42, off
	s_or_b64 exec, exec, s[26:27]
	s_and_b64 s[30:31], s[12:13], s[18:19]
	s_and_saveexec_b64 s[26:27], s[30:31]
	s_cbranch_execz .LBB298_122
.LBB298_144:
	s_and_b64 vcc, exec, s[0:1]
	s_cbranch_vccnz .LBB298_146
; %bb.145:
	v_lshl_add_u64 v[40:41], v[34:35], 1, v[22:23]
	flat_load_ushort v40, v[40:41]
	s_waitcnt vmcnt(0) lgkmcnt(0)
	v_mul_f16_e32 v40, s33, v40
	s_branch .LBB298_147
.LBB298_146:
	v_mov_b32_e32 v40, 0
.LBB298_147:
	v_pk_max_f16 v41, v4, v4
	v_pk_max_f16 v42, v10, v10
	;; [unrolled: 1-line block ×3, first 2 shown]
	v_pk_min_f16 v41, v42, v41
	v_pk_max_f16 v42, v5, v5
	v_pk_add_f16 v41, v54, v41
	v_pk_min_f16 v42, v43, v42
	s_nop 0
	v_pk_add_f16 v41, v41, v42
	s_nop 0
	v_add_f16_sdwa v41, v41, v41 dst_sel:DWORD dst_unused:UNUSED_PAD src0_sel:DWORD src1_sel:WORD_1
	v_add_f16_e32 v42, v41, v40
	v_lshl_add_u64 v[40:41], v[34:35], 1, v[20:21]
	global_store_short v[40:41], v42, off
	s_or_b64 exec, exec, s[26:27]
	s_and_b64 s[30:31], s[14:15], s[18:19]
	s_and_saveexec_b64 s[26:27], s[30:31]
	s_cbranch_execz .LBB298_123
.LBB298_148:
	s_and_b64 vcc, exec, s[0:1]
	s_cbranch_vccnz .LBB298_150
; %bb.149:
	v_lshl_add_u64 v[40:41], v[36:37], 1, v[22:23]
	flat_load_ushort v40, v[40:41]
	s_waitcnt vmcnt(0) lgkmcnt(0)
	v_mul_f16_e32 v40, s33, v40
	s_branch .LBB298_151
.LBB298_150:
	v_mov_b32_e32 v40, 0
.LBB298_151:
	v_pk_max_f16 v41, v4, v4
	v_pk_max_f16 v42, v0, v0
	;; [unrolled: 1-line block ×3, first 2 shown]
	v_pk_min_f16 v41, v42, v41
	v_pk_max_f16 v42, v5, v5
	v_pk_add_f16 v41, v53, v41
	v_pk_min_f16 v42, v43, v42
	s_nop 0
	v_pk_add_f16 v41, v41, v42
	s_nop 0
	v_add_f16_sdwa v41, v41, v41 dst_sel:DWORD dst_unused:UNUSED_PAD src0_sel:DWORD src1_sel:WORD_1
	v_add_f16_e32 v42, v41, v40
	v_lshl_add_u64 v[40:41], v[36:37], 1, v[20:21]
	global_store_short v[40:41], v42, off
	s_or_b64 exec, exec, s[26:27]
	s_and_b64 s[26:27], s[16:17], s[18:19]
	s_and_saveexec_b64 s[18:19], s[26:27]
	s_cbranch_execz .LBB298_156
.LBB298_152:
	s_and_b64 vcc, exec, s[0:1]
	s_cbranch_vccnz .LBB298_154
; %bb.153:
	v_lshl_add_u64 v[22:23], v[38:39], 1, v[22:23]
	flat_load_ushort v22, v[22:23]
	s_waitcnt vmcnt(0) lgkmcnt(0)
	v_mul_f16_e32 v22, s33, v22
	s_branch .LBB298_155
.LBB298_154:
	v_mov_b32_e32 v22, 0
.LBB298_155:
	v_pk_max_f16 v4, v4, v4
	v_pk_max_f16 v23, v2, v2
	;; [unrolled: 1-line block ×3, first 2 shown]
	v_pk_min_f16 v4, v23, v4
	v_pk_max_f16 v23, v3, v3
	v_pk_add_f16 v4, v52, v4
	v_pk_min_f16 v5, v23, v5
	s_nop 0
	v_pk_add_f16 v4, v4, v5
	s_nop 0
	v_add_f16_sdwa v4, v4, v4 dst_sel:DWORD dst_unused:UNUSED_PAD src0_sel:DWORD src1_sel:WORD_1
	v_add_f16_e32 v22, v4, v22
	v_lshl_add_u64 v[4:5], v[38:39], 1, v[20:21]
	global_store_short v[4:5], v22, off
.LBB298_156:
	s_or_b64 exec, exec, s[18:19]
	v_add_u32_e32 v22, 0x60, v69
	v_cmp_gt_i32_e64 s[18:19], s21, v22
	v_mad_i64_i32 v[4:5], s[20:21], v22, s29, 0
	v_lshl_add_u64 v[20:21], v[4:5], 1, s[24:25]
	v_mad_i64_i32 v[4:5], s[20:21], v22, s28, 0
	v_lshl_add_u64 v[4:5], v[4:5], 1, s[22:23]
	s_and_b64 s[20:21], s[2:3], s[18:19]
	s_and_saveexec_b64 s[2:3], s[20:21]
	s_cbranch_execnz .LBB298_165
; %bb.157:
	s_or_b64 exec, exec, s[2:3]
	s_and_b64 s[4:5], s[4:5], s[18:19]
	s_and_saveexec_b64 s[2:3], s[4:5]
	s_cbranch_execnz .LBB298_169
.LBB298_158:
	s_or_b64 exec, exec, s[2:3]
	s_and_b64 s[4:5], s[6:7], s[18:19]
	s_and_saveexec_b64 s[2:3], s[4:5]
	s_cbranch_execnz .LBB298_173
.LBB298_159:
	s_or_b64 exec, exec, s[2:3]
	s_and_b64 s[4:5], s[8:9], s[18:19]
	s_and_saveexec_b64 s[2:3], s[4:5]
	s_cbranch_execnz .LBB298_177
.LBB298_160:
	s_or_b64 exec, exec, s[2:3]
	s_and_b64 s[4:5], s[10:11], s[18:19]
	s_and_saveexec_b64 s[2:3], s[4:5]
	s_cbranch_execnz .LBB298_181
.LBB298_161:
	s_or_b64 exec, exec, s[2:3]
	s_and_b64 s[4:5], s[12:13], s[18:19]
	s_and_saveexec_b64 s[2:3], s[4:5]
	s_cbranch_execnz .LBB298_185
.LBB298_162:
	s_or_b64 exec, exec, s[2:3]
	s_and_b64 s[4:5], s[14:15], s[18:19]
	s_and_saveexec_b64 s[2:3], s[4:5]
	s_cbranch_execnz .LBB298_189
.LBB298_163:
	s_or_b64 exec, exec, s[2:3]
	s_and_b64 s[2:3], s[16:17], s[18:19]
	s_and_saveexec_b64 s[4:5], s[2:3]
	s_cbranch_execnz .LBB298_193
.LBB298_164:
	s_endpgm
.LBB298_165:
	s_and_b64 vcc, exec, s[0:1]
	s_cbranch_vccnz .LBB298_167
; %bb.166:
	v_lshl_add_u64 v[22:23], v[24:25], 1, v[20:21]
	flat_load_ushort v22, v[22:23]
	s_waitcnt vmcnt(0) lgkmcnt(0)
	v_mul_f16_e32 v22, s33, v22
	s_branch .LBB298_168
.LBB298_167:
	v_mov_b32_e32 v22, 0
.LBB298_168:
	v_pk_max_f16 v23, v6, v6
	v_pk_max_f16 v16, v16, v16
	;; [unrolled: 1-line block ×3, first 2 shown]
	v_pk_min_f16 v16, v16, v23
	v_pk_max_f16 v23, v7, v7
	v_pk_add_f16 v16, v51, v16
	v_pk_min_f16 v17, v17, v23
	s_nop 0
	v_pk_add_f16 v16, v16, v17
	s_nop 0
	v_add_f16_sdwa v16, v16, v16 dst_sel:DWORD dst_unused:UNUSED_PAD src0_sel:DWORD src1_sel:WORD_1
	v_add_f16_e32 v22, v16, v22
	v_lshl_add_u64 v[16:17], v[24:25], 1, v[4:5]
	global_store_short v[16:17], v22, off
	s_or_b64 exec, exec, s[2:3]
	s_and_b64 s[4:5], s[4:5], s[18:19]
	s_and_saveexec_b64 s[2:3], s[4:5]
	s_cbranch_execz .LBB298_158
.LBB298_169:
	s_and_b64 vcc, exec, s[0:1]
	s_cbranch_vccnz .LBB298_171
; %bb.170:
	v_lshl_add_u64 v[16:17], v[26:27], 1, v[20:21]
	flat_load_ushort v16, v[16:17]
	s_waitcnt vmcnt(0) lgkmcnt(0)
	v_mul_f16_e32 v16, s33, v16
	s_branch .LBB298_172
.LBB298_171:
	v_mov_b32_e32 v16, 0
.LBB298_172:
	v_pk_max_f16 v17, v6, v6
	v_pk_max_f16 v18, v18, v18
	;; [unrolled: 1-line block ×3, first 2 shown]
	v_pk_min_f16 v17, v18, v17
	v_pk_max_f16 v18, v7, v7
	v_pk_add_f16 v17, v50, v17
	v_pk_min_f16 v18, v19, v18
	s_nop 0
	v_pk_add_f16 v17, v17, v18
	s_nop 0
	v_add_f16_sdwa v17, v17, v17 dst_sel:DWORD dst_unused:UNUSED_PAD src0_sel:DWORD src1_sel:WORD_1
	v_add_f16_e32 v18, v17, v16
	v_lshl_add_u64 v[16:17], v[26:27], 1, v[4:5]
	global_store_short v[16:17], v18, off
	s_or_b64 exec, exec, s[2:3]
	s_and_b64 s[4:5], s[6:7], s[18:19]
	s_and_saveexec_b64 s[2:3], s[4:5]
	s_cbranch_execz .LBB298_159
.LBB298_173:
	s_and_b64 vcc, exec, s[0:1]
	s_cbranch_vccnz .LBB298_175
; %bb.174:
	v_lshl_add_u64 v[16:17], v[28:29], 1, v[20:21]
	flat_load_ushort v16, v[16:17]
	s_waitcnt vmcnt(0) lgkmcnt(0)
	v_mul_f16_e32 v16, s33, v16
	s_branch .LBB298_176
.LBB298_175:
	v_mov_b32_e32 v16, 0
.LBB298_176:
	v_pk_max_f16 v17, v6, v6
	v_pk_max_f16 v12, v12, v12
	v_pk_max_f16 v13, v13, v13
	v_pk_min_f16 v12, v12, v17
	v_pk_max_f16 v17, v7, v7
	v_pk_add_f16 v12, v49, v12
	v_pk_min_f16 v13, v13, v17
	s_nop 0
	v_pk_add_f16 v12, v12, v13
	s_nop 0
	v_add_f16_sdwa v12, v12, v12 dst_sel:DWORD dst_unused:UNUSED_PAD src0_sel:DWORD src1_sel:WORD_1
	v_add_f16_e32 v16, v12, v16
	v_lshl_add_u64 v[12:13], v[28:29], 1, v[4:5]
	global_store_short v[12:13], v16, off
	s_or_b64 exec, exec, s[2:3]
	s_and_b64 s[4:5], s[8:9], s[18:19]
	s_and_saveexec_b64 s[2:3], s[4:5]
	s_cbranch_execz .LBB298_160
.LBB298_177:
	s_and_b64 vcc, exec, s[0:1]
	s_cbranch_vccnz .LBB298_179
; %bb.178:
	v_lshl_add_u64 v[12:13], v[30:31], 1, v[20:21]
	flat_load_ushort v12, v[12:13]
	s_waitcnt vmcnt(0) lgkmcnt(0)
	v_mul_f16_e32 v12, s33, v12
	s_branch .LBB298_180
.LBB298_179:
	v_mov_b32_e32 v12, 0
.LBB298_180:
	v_pk_max_f16 v13, v6, v6
	v_pk_max_f16 v14, v14, v14
	;; [unrolled: 1-line block ×3, first 2 shown]
	v_pk_min_f16 v13, v14, v13
	v_pk_max_f16 v14, v7, v7
	v_pk_add_f16 v13, v48, v13
	v_pk_min_f16 v14, v15, v14
	s_nop 0
	v_pk_add_f16 v13, v13, v14
	s_nop 0
	v_add_f16_sdwa v13, v13, v13 dst_sel:DWORD dst_unused:UNUSED_PAD src0_sel:DWORD src1_sel:WORD_1
	v_add_f16_e32 v14, v13, v12
	v_lshl_add_u64 v[12:13], v[30:31], 1, v[4:5]
	global_store_short v[12:13], v14, off
	s_or_b64 exec, exec, s[2:3]
	s_and_b64 s[4:5], s[10:11], s[18:19]
	s_and_saveexec_b64 s[2:3], s[4:5]
	s_cbranch_execz .LBB298_161
.LBB298_181:
	s_and_b64 vcc, exec, s[0:1]
	s_cbranch_vccnz .LBB298_183
; %bb.182:
	v_lshl_add_u64 v[12:13], v[32:33], 1, v[20:21]
	flat_load_ushort v12, v[12:13]
	s_waitcnt vmcnt(0) lgkmcnt(0)
	v_mul_f16_e32 v12, s33, v12
	s_branch .LBB298_184
.LBB298_183:
	v_mov_b32_e32 v12, 0
.LBB298_184:
	v_pk_max_f16 v13, v6, v6
	v_pk_max_f16 v8, v8, v8
	;; [unrolled: 1-line block ×3, first 2 shown]
	v_pk_min_f16 v8, v8, v13
	v_pk_max_f16 v13, v7, v7
	v_pk_add_f16 v8, v47, v8
	v_pk_min_f16 v9, v9, v13
	s_nop 0
	v_pk_add_f16 v8, v8, v9
	s_nop 0
	v_add_f16_sdwa v8, v8, v8 dst_sel:DWORD dst_unused:UNUSED_PAD src0_sel:DWORD src1_sel:WORD_1
	v_add_f16_e32 v12, v8, v12
	v_lshl_add_u64 v[8:9], v[32:33], 1, v[4:5]
	global_store_short v[8:9], v12, off
	s_or_b64 exec, exec, s[2:3]
	s_and_b64 s[4:5], s[12:13], s[18:19]
	s_and_saveexec_b64 s[2:3], s[4:5]
	s_cbranch_execz .LBB298_162
.LBB298_185:
	s_and_b64 vcc, exec, s[0:1]
	s_cbranch_vccnz .LBB298_187
; %bb.186:
	v_lshl_add_u64 v[8:9], v[34:35], 1, v[20:21]
	flat_load_ushort v8, v[8:9]
	s_waitcnt vmcnt(0) lgkmcnt(0)
	v_mul_f16_e32 v8, s33, v8
	s_branch .LBB298_188
.LBB298_187:
	v_mov_b32_e32 v8, 0
.LBB298_188:
	v_pk_max_f16 v9, v6, v6
	v_pk_max_f16 v10, v10, v10
	;; [unrolled: 1-line block ×3, first 2 shown]
	v_pk_min_f16 v9, v10, v9
	v_pk_max_f16 v10, v7, v7
	v_pk_add_f16 v9, v46, v9
	v_pk_min_f16 v10, v11, v10
	s_nop 0
	v_pk_add_f16 v9, v9, v10
	s_nop 0
	v_add_f16_sdwa v9, v9, v9 dst_sel:DWORD dst_unused:UNUSED_PAD src0_sel:DWORD src1_sel:WORD_1
	v_add_f16_e32 v10, v9, v8
	v_lshl_add_u64 v[8:9], v[34:35], 1, v[4:5]
	global_store_short v[8:9], v10, off
	s_or_b64 exec, exec, s[2:3]
	s_and_b64 s[4:5], s[14:15], s[18:19]
	s_and_saveexec_b64 s[2:3], s[4:5]
	s_cbranch_execz .LBB298_163
.LBB298_189:
	s_and_b64 vcc, exec, s[0:1]
	s_cbranch_vccnz .LBB298_191
; %bb.190:
	v_lshl_add_u64 v[8:9], v[36:37], 1, v[20:21]
	flat_load_ushort v8, v[8:9]
	s_waitcnt vmcnt(0) lgkmcnt(0)
	v_mul_f16_e32 v8, s33, v8
	s_branch .LBB298_192
.LBB298_191:
	v_mov_b32_e32 v8, 0
.LBB298_192:
	v_pk_max_f16 v9, v6, v6
	v_pk_max_f16 v0, v0, v0
	;; [unrolled: 1-line block ×3, first 2 shown]
	v_pk_min_f16 v0, v0, v9
	v_pk_max_f16 v9, v7, v7
	v_pk_add_f16 v0, v45, v0
	v_pk_min_f16 v1, v1, v9
	s_nop 0
	v_pk_add_f16 v0, v0, v1
	s_nop 0
	v_add_f16_sdwa v0, v0, v0 dst_sel:DWORD dst_unused:UNUSED_PAD src0_sel:DWORD src1_sel:WORD_1
	v_add_f16_e32 v8, v0, v8
	v_lshl_add_u64 v[0:1], v[36:37], 1, v[4:5]
	global_store_short v[0:1], v8, off
	s_or_b64 exec, exec, s[2:3]
	s_and_b64 s[2:3], s[16:17], s[18:19]
	s_and_saveexec_b64 s[4:5], s[2:3]
	s_cbranch_execz .LBB298_164
.LBB298_193:
	s_and_b64 vcc, exec, s[0:1]
	s_cbranch_vccnz .LBB298_195
; %bb.194:
	v_lshl_add_u64 v[0:1], v[38:39], 1, v[20:21]
	flat_load_ushort v0, v[0:1]
	s_waitcnt vmcnt(0) lgkmcnt(0)
	v_mul_f16_e32 v0, s33, v0
	s_branch .LBB298_196
.LBB298_195:
	v_mov_b32_e32 v0, 0
.LBB298_196:
	v_pk_max_f16 v1, v6, v6
	v_pk_max_f16 v2, v2, v2
	;; [unrolled: 1-line block ×3, first 2 shown]
	v_pk_min_f16 v1, v2, v1
	v_pk_max_f16 v2, v7, v7
	v_pk_add_f16 v1, v44, v1
	v_pk_min_f16 v2, v3, v2
	s_nop 0
	v_pk_add_f16 v1, v1, v2
	s_nop 0
	v_add_f16_sdwa v1, v1, v1 dst_sel:DWORD dst_unused:UNUSED_PAD src0_sel:DWORD src1_sel:WORD_1
	v_add_f16_e32 v2, v1, v0
	v_lshl_add_u64 v[0:1], v[38:39], 1, v[4:5]
	global_store_short v[0:1], v2, off
	s_endpgm
	.section	.rodata,"a",@progbits
	.p2align	6, 0x0
	.amdhsa_kernel _ZN12_GLOBAL__N_120geam_min_plus_kernelIDF16_Dv2_DF16_S1_Li8ELi32ELi64ELi128ELi4ELi64ELi4ELi64ELi4ELc78ELc84ELb1ELb1ELb0EDF16_KDF16_DF16_EEviiiT16_PT17_ilS5_ilS3_S5_ilPT18_ili26rocblas_geam_ex_operation_
		.amdhsa_group_segment_fixed_size 3072
		.amdhsa_private_segment_fixed_size 0
		.amdhsa_kernarg_size 128
		.amdhsa_user_sgpr_count 2
		.amdhsa_user_sgpr_dispatch_ptr 0
		.amdhsa_user_sgpr_queue_ptr 0
		.amdhsa_user_sgpr_kernarg_segment_ptr 1
		.amdhsa_user_sgpr_dispatch_id 0
		.amdhsa_user_sgpr_kernarg_preload_length 0
		.amdhsa_user_sgpr_kernarg_preload_offset 0
		.amdhsa_user_sgpr_private_segment_size 0
		.amdhsa_uses_dynamic_stack 0
		.amdhsa_enable_private_segment 0
		.amdhsa_system_sgpr_workgroup_id_x 1
		.amdhsa_system_sgpr_workgroup_id_y 0
		.amdhsa_system_sgpr_workgroup_id_z 1
		.amdhsa_system_sgpr_workgroup_info 0
		.amdhsa_system_vgpr_workitem_id 1
		.amdhsa_next_free_vgpr 127
		.amdhsa_next_free_sgpr 36
		.amdhsa_accum_offset 128
		.amdhsa_reserve_vcc 1
		.amdhsa_float_round_mode_32 0
		.amdhsa_float_round_mode_16_64 0
		.amdhsa_float_denorm_mode_32 3
		.amdhsa_float_denorm_mode_16_64 3
		.amdhsa_dx10_clamp 1
		.amdhsa_ieee_mode 1
		.amdhsa_fp16_overflow 0
		.amdhsa_tg_split 0
		.amdhsa_exception_fp_ieee_invalid_op 0
		.amdhsa_exception_fp_denorm_src 0
		.amdhsa_exception_fp_ieee_div_zero 0
		.amdhsa_exception_fp_ieee_overflow 0
		.amdhsa_exception_fp_ieee_underflow 0
		.amdhsa_exception_fp_ieee_inexact 0
		.amdhsa_exception_int_div_zero 0
	.end_amdhsa_kernel
	.section	.text._ZN12_GLOBAL__N_120geam_min_plus_kernelIDF16_Dv2_DF16_S1_Li8ELi32ELi64ELi128ELi4ELi64ELi4ELi64ELi4ELc78ELc84ELb1ELb1ELb0EDF16_KDF16_DF16_EEviiiT16_PT17_ilS5_ilS3_S5_ilPT18_ili26rocblas_geam_ex_operation_,"axG",@progbits,_ZN12_GLOBAL__N_120geam_min_plus_kernelIDF16_Dv2_DF16_S1_Li8ELi32ELi64ELi128ELi4ELi64ELi4ELi64ELi4ELc78ELc84ELb1ELb1ELb0EDF16_KDF16_DF16_EEviiiT16_PT17_ilS5_ilS3_S5_ilPT18_ili26rocblas_geam_ex_operation_,comdat
.Lfunc_end298:
	.size	_ZN12_GLOBAL__N_120geam_min_plus_kernelIDF16_Dv2_DF16_S1_Li8ELi32ELi64ELi128ELi4ELi64ELi4ELi64ELi4ELc78ELc84ELb1ELb1ELb0EDF16_KDF16_DF16_EEviiiT16_PT17_ilS5_ilS3_S5_ilPT18_ili26rocblas_geam_ex_operation_, .Lfunc_end298-_ZN12_GLOBAL__N_120geam_min_plus_kernelIDF16_Dv2_DF16_S1_Li8ELi32ELi64ELi128ELi4ELi64ELi4ELi64ELi4ELc78ELc84ELb1ELb1ELb0EDF16_KDF16_DF16_EEviiiT16_PT17_ilS5_ilS3_S5_ilPT18_ili26rocblas_geam_ex_operation_
                                        ; -- End function
	.section	.AMDGPU.csdata,"",@progbits
; Kernel info:
; codeLenInByte = 11120
; NumSgprs: 42
; NumVgprs: 127
; NumAgprs: 0
; TotalNumVgprs: 127
; ScratchSize: 0
; MemoryBound: 0
; FloatMode: 240
; IeeeMode: 1
; LDSByteSize: 3072 bytes/workgroup (compile time only)
; SGPRBlocks: 5
; VGPRBlocks: 15
; NumSGPRsForWavesPerEU: 42
; NumVGPRsForWavesPerEU: 127
; AccumOffset: 128
; Occupancy: 4
; WaveLimiterHint : 0
; COMPUTE_PGM_RSRC2:SCRATCH_EN: 0
; COMPUTE_PGM_RSRC2:USER_SGPR: 2
; COMPUTE_PGM_RSRC2:TRAP_HANDLER: 0
; COMPUTE_PGM_RSRC2:TGID_X_EN: 1
; COMPUTE_PGM_RSRC2:TGID_Y_EN: 0
; COMPUTE_PGM_RSRC2:TGID_Z_EN: 1
; COMPUTE_PGM_RSRC2:TIDIG_COMP_CNT: 1
; COMPUTE_PGM_RSRC3_GFX90A:ACCUM_OFFSET: 31
; COMPUTE_PGM_RSRC3_GFX90A:TG_SPLIT: 0
	.section	.text._ZN12_GLOBAL__N_120geam_min_plus_kernelIDF16_Dv2_DF16_S1_Li8ELi32ELi64ELi128ELi4ELi64ELi4ELi64ELi4ELc78ELc84ELb0ELb1ELb0EDF16_KDF16_DF16_EEviiiT16_PT17_ilS5_ilS3_S5_ilPT18_ili26rocblas_geam_ex_operation_,"axG",@progbits,_ZN12_GLOBAL__N_120geam_min_plus_kernelIDF16_Dv2_DF16_S1_Li8ELi32ELi64ELi128ELi4ELi64ELi4ELi64ELi4ELc78ELc84ELb0ELb1ELb0EDF16_KDF16_DF16_EEviiiT16_PT17_ilS5_ilS3_S5_ilPT18_ili26rocblas_geam_ex_operation_,comdat
	.globl	_ZN12_GLOBAL__N_120geam_min_plus_kernelIDF16_Dv2_DF16_S1_Li8ELi32ELi64ELi128ELi4ELi64ELi4ELi64ELi4ELc78ELc84ELb0ELb1ELb0EDF16_KDF16_DF16_EEviiiT16_PT17_ilS5_ilS3_S5_ilPT18_ili26rocblas_geam_ex_operation_ ; -- Begin function _ZN12_GLOBAL__N_120geam_min_plus_kernelIDF16_Dv2_DF16_S1_Li8ELi32ELi64ELi128ELi4ELi64ELi4ELi64ELi4ELc78ELc84ELb0ELb1ELb0EDF16_KDF16_DF16_EEviiiT16_PT17_ilS5_ilS3_S5_ilPT18_ili26rocblas_geam_ex_operation_
	.p2align	8
	.type	_ZN12_GLOBAL__N_120geam_min_plus_kernelIDF16_Dv2_DF16_S1_Li8ELi32ELi64ELi128ELi4ELi64ELi4ELi64ELi4ELc78ELc84ELb0ELb1ELb0EDF16_KDF16_DF16_EEviiiT16_PT17_ilS5_ilS3_S5_ilPT18_ili26rocblas_geam_ex_operation_,@function
_ZN12_GLOBAL__N_120geam_min_plus_kernelIDF16_Dv2_DF16_S1_Li8ELi32ELi64ELi128ELi4ELi64ELi4ELi64ELi4ELc78ELc84ELb0ELb1ELb0EDF16_KDF16_DF16_EEviiiT16_PT17_ilS5_ilS3_S5_ilPT18_ili26rocblas_geam_ex_operation_: ; @_ZN12_GLOBAL__N_120geam_min_plus_kernelIDF16_Dv2_DF16_S1_Li8ELi32ELi64ELi128ELi4ELi64ELi4ELi64ELi4ELc78ELc84ELb0ELb1ELb0EDF16_KDF16_DF16_EEviiiT16_PT17_ilS5_ilS3_S5_ilPT18_ili26rocblas_geam_ex_operation_
; %bb.0:
	s_load_dwordx4 s[20:23], s[0:1], 0x0
	s_load_dwordx4 s[4:7], s[0:1], 0x20
	s_waitcnt lgkmcnt(0)
	v_cmp_eq_f16_e64 s[8:9], s23, 0
	v_cmp_neq_f16_e64 s[16:17], s23, 0
	s_and_b64 vcc, exec, s[8:9]
	s_cbranch_vccnz .LBB299_3
; %bb.1:
	s_load_dwordx2 s[10:11], s[0:1], 0x10
	s_mul_i32 s5, s3, s5
	s_mul_hi_u32 s12, s3, s4
	s_add_i32 s5, s12, s5
	s_mul_i32 s4, s3, s4
	s_lshl_b64 s[4:5], s[4:5], 1
	s_waitcnt lgkmcnt(0)
	s_add_u32 s28, s10, s4
	s_addc_u32 s29, s11, s5
	s_andn2_b64 vcc, exec, s[8:9]
	s_cbranch_vccnz .LBB299_4
.LBB299_2:
	s_mov_b32 s15, 0
	s_mov_b64 s[18:19], 0
	s_cbranch_execz .LBB299_5
	s_branch .LBB299_6
.LBB299_3:
	s_mov_b64 s[28:29], 0
	s_andn2_b64 vcc, exec, s[8:9]
	s_cbranch_vccz .LBB299_2
.LBB299_4:
                                        ; implicit-def: $sgpr18_sgpr19
                                        ; implicit-def: $sgpr14_sgpr15
.LBB299_5:
	s_load_dwordx2 s[4:5], s[0:1], 0x38
	s_mov_b32 s15, 0
	s_waitcnt lgkmcnt(0)
	s_mul_i32 s5, s3, s5
	s_mul_hi_u32 s8, s3, s4
	s_add_i32 s5, s8, s5
	s_mul_i32 s4, s3, s4
	s_lshl_b64 s[4:5], s[4:5], 1
	s_add_u32 s18, s6, s4
	s_addc_u32 s19, s7, s5
.LBB299_6:
	s_load_dword s33, s[0:1], 0x40
	s_load_dwordx4 s[8:11], s[0:1], 0x58
	s_waitcnt lgkmcnt(0)
	v_cmp_eq_f16_e64 s[4:5], s33, 0
	v_cmp_neq_f16_e64 s[12:13], s33, 0
	s_and_b64 vcc, exec, s[4:5]
	s_cbranch_vccnz .LBB299_8
; %bb.7:
	s_load_dwordx2 s[4:5], s[0:1], 0x48
	s_mul_i32 s6, s3, s9
	s_mul_hi_u32 s7, s3, s8
	s_add_i32 s6, s7, s6
	s_mul_i32 s7, s15, s8
	s_add_i32 s7, s6, s7
	s_mul_i32 s6, s3, s8
	s_lshl_b64 s[6:7], s[6:7], 1
	s_waitcnt lgkmcnt(0)
	s_add_u32 s24, s4, s6
	s_addc_u32 s25, s5, s7
	s_branch .LBB299_9
.LBB299_8:
	s_mov_b64 s[24:25], 0
.LBB299_9:
	s_add_i32 s4, s20, -1
	s_ashr_i32 s5, s4, 31
	s_lshr_b32 s5, s5, 26
	s_add_i32 s4, s4, s5
	s_ashr_i32 s4, s4, 6
	s_add_i32 s5, s4, 1
	v_cvt_f32_u32_e32 v1, s5
	s_not_b32 s4, s4
	s_load_dword s30, s[0:1], 0x18
	v_and_b32_e32 v34, 0x3ff, v0
	v_rcp_iflag_f32_e32 v1, v1
	v_bfe_u32 v35, v0, 10, 10
	v_lshl_add_u32 v0, v35, 3, v34
	s_waitcnt lgkmcnt(0)
	s_ashr_i32 s31, s30, 31
	v_mul_f32_e32 v1, 0x4f7ffffe, v1
	v_cvt_u32_f32_e32 v1, v1
	v_and_b32_e32 v7, 63, v0
	v_lshrrev_b32_e32 v36, 6, v0
	v_mov_b32_e32 v8, 0
	v_readfirstlane_b32 s6, v1
	s_mul_i32 s4, s4, s6
	s_mul_hi_u32 s4, s6, s4
	s_add_i32 s6, s6, s4
	s_mul_hi_u32 s4, s2, s6
	s_mul_i32 s6, s4, s5
	s_sub_i32 s6, s2, s6
	s_add_i32 s7, s4, 1
	s_sub_i32 s8, s6, s5
	s_cmp_ge_u32 s6, s5
	s_cselect_b32 s4, s7, s4
	s_cselect_b32 s6, s8, s6
	s_add_i32 s7, s4, 1
	s_cmp_ge_u32 s6, s5
	s_cselect_b32 s6, s7, s4
	s_mul_i32 s4, s6, s5
	s_sub_i32 s2, s2, s4
	s_lshl_b32 s2, s2, 6
	v_or_b32_e32 v0, s2, v7
	v_cmp_gt_i32_e32 vcc, s20, v0
	v_cmp_gt_i32_e64 s[4:5], s22, v36
	s_and_b64 s[4:5], s[4:5], vcc
	s_and_b64 s[8:9], s[16:17], s[4:5]
	v_ashrrev_i32_e32 v1, 31, v0
	v_mov_b32_e32 v9, 0
	s_and_saveexec_b64 s[4:5], s[8:9]
	s_cbranch_execz .LBB299_11
; %bb.10:
	v_mad_i64_i32 v[2:3], s[8:9], s30, v36, 0
	v_lshl_add_u64 v[2:3], v[2:3], 1, s[28:29]
	v_lshl_add_u64 v[2:3], v[0:1], 1, v[2:3]
	flat_load_ushort v2, v[2:3]
	s_waitcnt vmcnt(0) lgkmcnt(0)
	v_mul_f16_e32 v9, s23, v2
.LBB299_11:
	s_or_b64 exec, exec, s[4:5]
	s_load_dword s36, s[0:1], 0x30
	s_lshl_b32 s14, s6, 7
	s_add_i32 s37, s22, -1
	v_or_b32_e32 v24, s14, v7
	v_min_i32_e32 v2, s37, v36
	v_cmp_le_i32_e64 s[6:7], s22, v36
	s_waitcnt lgkmcnt(0)
	v_mad_i64_i32 v[2:3], s[4:5], s36, v2, 0
	v_cmp_le_i32_e64 s[8:9], s21, v24
	s_or_b64 s[4:5], s[6:7], s[8:9]
	s_xor_b64 s[26:27], s[16:17], -1
	s_or_b64 s[4:5], s[4:5], s[26:27]
	v_lshl_add_u64 v[2:3], v[2:3], 1, s[18:19]
	s_xor_b64 s[34:35], s[4:5], -1
	v_ashrrev_i32_e32 v25, 31, v24
	s_and_saveexec_b64 s[4:5], s[34:35]
	s_cbranch_execz .LBB299_13
; %bb.12:
	v_lshl_add_u64 v[4:5], v[24:25], 1, v[2:3]
	flat_load_ushort v4, v[4:5]
	s_waitcnt vmcnt(0) lgkmcnt(0)
	v_mul_f16_e32 v8, s23, v4
.LBB299_13:
	s_or_b64 exec, exec, s[4:5]
	v_or_b32_e32 v4, 64, v24
	v_cmp_le_i32_e64 s[4:5], s21, v4
	s_or_b64 s[6:7], s[6:7], s[4:5]
	s_or_b64 s[6:7], s[6:7], s[26:27]
	s_xor_b64 s[34:35], s[6:7], -1
	v_mov_b32_e32 v4, 0
	v_mov_b32_e32 v10, 0
	s_and_saveexec_b64 s[6:7], s[34:35]
	s_cbranch_execz .LBB299_15
; %bb.14:
	v_lshl_add_u64 v[2:3], v[24:25], 1, v[2:3]
	flat_load_ushort v2, v[2:3] offset:128
	s_waitcnt vmcnt(0) lgkmcnt(0)
	v_mul_f16_e32 v10, s23, v2
.LBB299_15:
	s_or_b64 exec, exec, s[6:7]
	v_add_u32_e32 v2, 4, v36
	v_cmp_gt_i32_e64 s[6:7], s22, v2
	s_and_b64 s[6:7], vcc, s[6:7]
	s_and_b64 s[34:35], s[16:17], s[6:7]
	s_and_saveexec_b64 s[6:7], s[34:35]
	s_cbranch_execz .LBB299_17
; %bb.16:
	v_mad_u64_u32 v[4:5], s[34:35], s30, v2, 0
	v_mov_b32_e32 v6, v5
	v_mad_u64_u32 v[12:13], s[34:35], s31, v2, v[6:7]
	v_mov_b32_e32 v5, v12
	v_lshl_add_u64 v[4:5], v[4:5], 1, s[28:29]
	v_lshl_add_u64 v[4:5], v[0:1], 1, v[4:5]
	flat_load_ushort v3, v[4:5]
	s_waitcnt vmcnt(0) lgkmcnt(0)
	v_mul_f16_e32 v4, s23, v3
.LBB299_17:
	s_or_b64 exec, exec, s[6:7]
	v_cmp_le_i32_e64 s[6:7], s22, v2
	v_min_i32_e32 v2, s37, v2
	v_mad_i64_i32 v[2:3], s[34:35], s36, v2, 0
	s_or_b64 s[34:35], s[8:9], s[6:7]
	s_or_b64 s[34:35], s[34:35], s[26:27]
	v_lshl_add_u64 v[2:3], v[2:3], 1, s[18:19]
	s_xor_b64 s[38:39], s[34:35], -1
	v_mov_b32_e32 v5, 0
	v_mov_b32_e32 v6, 0
	s_and_saveexec_b64 s[34:35], s[38:39]
	s_cbranch_execz .LBB299_19
; %bb.18:
	v_lshl_add_u64 v[12:13], v[24:25], 1, v[2:3]
	flat_load_ushort v6, v[12:13]
	s_waitcnt vmcnt(0) lgkmcnt(0)
	v_mul_f16_e32 v6, s23, v6
.LBB299_19:
	s_or_b64 exec, exec, s[34:35]
	s_or_b64 s[6:7], s[4:5], s[6:7]
	s_or_b64 s[6:7], s[6:7], s[26:27]
	s_xor_b64 s[34:35], s[6:7], -1
	s_and_saveexec_b64 s[6:7], s[34:35]
	s_cbranch_execz .LBB299_21
; %bb.20:
	v_lshl_add_u64 v[2:3], v[24:25], 1, v[2:3]
	flat_load_ushort v2, v[2:3] offset:128
	s_waitcnt vmcnt(0) lgkmcnt(0)
	v_mul_f16_e32 v5, s23, v2
.LBB299_21:
	s_or_b64 exec, exec, s[6:7]
	v_lshlrev_b32_e32 v2, 1, v36
	v_lshlrev_b32_e32 v38, 3, v34
	v_lshl_add_u32 v39, v7, 3, v2
	v_lshlrev_b32_e32 v37, 3, v35
	v_add_u32_e32 v40, 0x800, v38
	ds_write_b16 v39, v9 offset:2048
	ds_write_b16 v39, v8
	ds_write_b16 v39, v10 offset:512
	s_waitcnt lgkmcnt(0)
	s_barrier
	ds_read2_b64 v[8:11], v37 offset1:32
	ds_read2_b64 v[12:15], v40 offset0:48 offset1:56
	ds_read2_b64 v[16:19], v37 offset0:64 offset1:96
	ds_read2_b64 v[20:23], v40 offset1:8
	ds_read2_b64 v[26:29], v40 offset0:16 offset1:24
	ds_read2_b64 v[30:33], v40 offset0:32 offset1:40
	s_waitcnt lgkmcnt(5)
	v_pk_max_f16 v2, v8, v8
	s_waitcnt lgkmcnt(4)
	v_pk_max_f16 v3, v14, v14
	v_pk_max_f16 v8, v10, v10
	v_pk_min_f16 v7, v3, v2
	s_waitcnt lgkmcnt(3)
	v_pk_max_f16 v14, v16, v16
	s_waitcnt lgkmcnt(2)
	v_pk_max_f16 v16, v20, v20
	v_pk_max_f16 v18, v18, v18
	;; [unrolled: 1-line block ×3, first 2 shown]
	s_waitcnt lgkmcnt(1)
	v_pk_max_f16 v26, v26, v26
	v_pk_max_f16 v28, v28, v28
	s_waitcnt lgkmcnt(0)
	v_pk_max_f16 v30, v30, v30
	v_pk_max_f16 v9, v9, v9
	;; [unrolled: 1-line block ×5, first 2 shown]
	v_pk_min_f16 v10, v3, v8
	v_pk_min_f16 v20, v16, v2
	;; [unrolled: 1-line block ×18, first 2 shown]
	v_pk_max_f16 v11, v11, v11
	v_pk_min_f16 v56, v30, v8
	v_pk_min_f16 v61, v30, v14
	;; [unrolled: 1-line block ×13, first 2 shown]
	v_pk_add_f16 v7, v7, 0
	v_pk_min_f16 v18, v15, v9
	v_pk_max_f16 v17, v17, v17
	v_pk_add_f16 v68, v7, v18
	v_pk_add_f16 v7, v10, 0
	v_pk_min_f16 v10, v15, v11
	v_pk_max_f16 v21, v21, v21
	v_pk_add_f16 v60, v7, v10
	;; [unrolled: 4-line block ×4, first 2 shown]
	v_pk_add_f16 v7, v41, 0
	v_pk_min_f16 v10, v21, v11
	v_pk_add_f16 v18, v53, 0
	v_pk_add_f16 v67, v7, v10
	;; [unrolled: 1-line block ×3, first 2 shown]
	v_pk_min_f16 v10, v21, v17
	v_pk_add_f16 v41, v64, 0
	v_pk_add_f16 v59, v7, v10
	;; [unrolled: 1-line block ×3, first 2 shown]
	v_pk_min_f16 v10, v21, v19
	v_pk_min_f16 v16, v23, v19
	v_pk_add_f16 v51, v7, v10
	v_pk_add_f16 v7, v43, 0
	v_pk_min_f16 v10, v23, v9
	v_pk_add_f16 v21, v28, 0
	v_pk_add_f16 v75, v7, v10
	v_pk_add_f16 v7, v44, 0
	v_pk_min_f16 v10, v23, v11
	v_pk_add_f16 v20, v54, 0
	v_pk_add_f16 v66, v7, v10
	v_pk_add_f16 v7, v45, 0
	v_pk_min_f16 v10, v23, v17
	v_pk_add_f16 v23, v56, 0
	v_pk_add_f16 v58, v7, v10
	v_pk_add_f16 v7, v22, 0
	;; [unrolled: 1-line block ×4, first 2 shown]
	v_pk_max_f16 v7, v27, v27
	v_pk_add_f16 v22, v55, 0
	v_pk_min_f16 v16, v7, v9
	v_pk_add_f16 v27, v30, 0
	v_pk_add_f16 v74, v10, v16
	;; [unrolled: 1-line block ×3, first 2 shown]
	v_pk_min_f16 v16, v7, v11
	v_pk_add_f16 v30, v63, 0
	v_pk_add_f16 v65, v10, v16
	;; [unrolled: 1-line block ×3, first 2 shown]
	v_pk_min_f16 v16, v7, v17
	v_pk_min_f16 v7, v7, v19
	v_pk_add_f16 v57, v10, v16
	v_pk_add_f16 v10, v26, 0
	v_pk_add_f16 v16, v49, 0
	v_pk_add_f16 v49, v10, v7
	v_pk_max_f16 v7, v29, v29
	v_pk_add_f16 v26, v61, 0
	v_pk_min_f16 v10, v7, v9
	v_pk_add_f16 v28, v62, 0
	v_pk_add_f16 v73, v16, v10
	v_pk_min_f16 v10, v7, v11
	v_pk_add_f16 v32, v32, 0
	v_pk_add_f16 v64, v18, v10
	v_pk_min_f16 v10, v7, v17
	v_pk_min_f16 v7, v7, v19
	v_pk_add_f16 v56, v20, v10
	v_pk_add_f16 v48, v21, v7
	v_pk_max_f16 v7, v31, v31
	v_pk_add_f16 v2, v2, 0
	v_pk_min_f16 v10, v7, v9
	v_pk_add_f16 v8, v8, 0
	v_pk_add_f16 v72, v22, v10
	v_pk_min_f16 v10, v7, v11
	v_pk_add_f16 v14, v14, 0
	v_pk_add_f16 v63, v23, v10
	v_pk_min_f16 v10, v7, v17
	v_pk_min_f16 v7, v7, v19
	v_pk_add_f16 v55, v26, v10
	v_pk_add_f16 v47, v27, v7
	v_pk_max_f16 v7, v33, v33
	v_pk_add_f16 v12, v12, 0
	v_pk_min_f16 v10, v7, v9
	v_pk_add_f16 v3, v3, 0
	v_pk_add_f16 v71, v28, v10
	v_pk_min_f16 v10, v7, v11
	s_mov_b32 s34, 0
	v_pk_add_f16 v62, v30, v10
	v_pk_min_f16 v10, v7, v17
	v_pk_min_f16 v7, v7, v19
	v_pk_add_f16 v54, v41, v10
	v_pk_add_f16 v46, v32, v7
	v_pk_max_f16 v7, v13, v13
	s_cmp_lt_i32 s22, 9
	v_pk_min_f16 v9, v7, v9
	ds_write_b16 v39, v4 offset:2560
	ds_write_b16 v39, v6 offset:1024
	;; [unrolled: 1-line block ×3, first 2 shown]
	v_pk_add_f16 v70, v2, v9
	v_pk_min_f16 v2, v7, v11
	s_waitcnt lgkmcnt(0)
	v_pk_add_f16 v61, v8, v2
	v_pk_min_f16 v2, v7, v17
	s_barrier
	v_pk_add_f16 v53, v14, v2
	v_pk_min_f16 v2, v7, v19
	s_nop 0
	v_pk_add_f16 v45, v12, v2
	v_pk_min_f16 v2, v15, v19
	s_nop 0
	v_pk_add_f16 v44, v3, v2
	s_cbranch_scc1 .LBB299_36
; %bb.22:
	v_lshl_add_u64 v[26:27], v[0:1], 1, s[28:29]
	v_mov_b32_e32 v0, 0xa00
	v_lshl_add_u32 v69, v34, 3, v0
	v_add_u32_e32 v0, v37, v34
	v_lshrrev_b32_e32 v2, 6, v0
	v_add_u32_e32 v0, 12, v2
	v_mad_i64_i32 v[0:1], s[6:7], v0, s30, 0
	v_lshlrev_b64 v[28:29], 1, v[0:1]
	v_add_u32_e32 v0, 8, v2
	v_mad_i64_i32 v[0:1], s[6:7], v0, s30, 0
	v_or_b32_e32 v41, 0x800, v39
	v_add_u32_e32 v42, 0xa00, v39
	v_or_b32_e32 v43, 0x400, v39
	s_add_i32 s35, s22, -8
	v_add_u32_e32 v77, 0x400, v37
	s_lshl_b64 s[28:29], s[30:31], 4
	v_lshlrev_b64 v[30:31], 1, v[0:1]
	s_branch .LBB299_24
.LBB299_23:                             ;   in Loop: Header=BB299_24 Depth=1
	s_or_b64 exec, exec, s[6:7]
	v_pk_add_f16 v20, v60, v20
	v_pk_add_f16 v12, v52, v12
	;; [unrolled: 1-line block ×19, first 2 shown]
	ds_read2_b64 v[6:9], v40 offset0:48 offset1:56
	ds_read2_b64 v[10:13], v37 offset1:32
	v_pk_add_f16 v2, v68, v2
	v_pk_add_f16 v22, v67, v22
	;; [unrolled: 1-line block ×5, first 2 shown]
	s_waitcnt lgkmcnt(1)
	v_pk_max_f16 v8, v8, v8
	s_waitcnt lgkmcnt(0)
	v_pk_max_f16 v10, v10, v10
	v_pk_add_f16 v16, v76, v16
	v_pk_add_f16 v60, v62, v94
	;; [unrolled: 1-line block ×9, first 2 shown]
	ds_read2_b64 v[0:3], v37 offset0:64 offset1:96
	v_pk_min_f16 v14, v8, v10
	v_pk_add_f16 v59, v63, v91
	v_pk_add_f16 v63, v16, v17
	;; [unrolled: 1-line block ×4, first 2 shown]
	ds_read2_b64 v[14:17], v40 offset1:8
	v_pk_max_f16 v12, v12, v12
	s_waitcnt lgkmcnt(1)
	v_pk_max_f16 v0, v0, v0
	v_pk_min_f16 v62, v8, v12
	v_pk_max_f16 v2, v2, v2
	v_pk_add_f16 v62, v20, v62
	v_pk_min_f16 v20, v8, v0
	s_waitcnt lgkmcnt(0)
	v_pk_max_f16 v14, v14, v14
	v_pk_add_f16 v67, v21, v20
	v_pk_min_f16 v20, v14, v10
	v_pk_max_f16 v16, v16, v16
	v_pk_add_f16 v63, v63, v20
	v_pk_min_f16 v20, v14, v12
	v_pk_add_f16 v50, v50, v84
	v_pk_add_f16 v22, v22, v20
	v_pk_min_f16 v20, v14, v0
	v_pk_min_f16 v14, v14, v2
	v_pk_add_f16 v23, v23, v20
	v_pk_min_f16 v20, v16, v10
	v_pk_add_f16 v14, v32, v14
	v_pk_add_f16 v32, v18, v20
	v_pk_min_f16 v18, v16, v12
	v_pk_add_f16 v50, v50, v104
	v_pk_add_f16 v70, v19, v18
	ds_read2_b64 v[18:21], v40 offset0:16 offset1:24
	v_pk_min_f16 v68, v16, v0
	v_pk_min_f16 v16, v16, v2
	v_pk_add_f16 v49, v49, v87
	v_pk_add_f16 v16, v50, v16
	s_waitcnt lgkmcnt(0)
	v_pk_max_f16 v18, v18, v18
	v_pk_add_f16 v52, v52, v105
	v_pk_min_f16 v50, v18, v10
	ds_read2_b64 v[82:85], v40 offset0:32 offset1:40
	v_pk_add_f16 v71, v51, v50
	v_pk_min_f16 v50, v18, v12
	v_pk_add_f16 v4, v72, v4
	v_pk_add_f16 v49, v49, v107
	;; [unrolled: 1-line block ×3, first 2 shown]
	v_pk_min_f16 v50, v18, v0
	v_pk_min_f16 v18, v18, v2
	v_pk_max_f16 v20, v20, v20
	v_pk_add_f16 v18, v49, v18
	v_pk_min_f16 v49, v20, v10
	v_pk_add_f16 v48, v48, v90
	v_pk_add_f16 v58, v58, v108
	;; [unrolled: 1-line block ×3, first 2 shown]
	v_pk_min_f16 v49, v20, v12
	v_pk_add_f16 v56, v56, v89
	v_pk_add_f16 v48, v48, v110
	;; [unrolled: 1-line block ×3, first 2 shown]
	v_pk_min_f16 v49, v20, v0
	v_pk_min_f16 v20, v20, v2
	v_pk_add_f16 v56, v56, v109
	v_pk_add_f16 v20, v48, v20
	s_waitcnt lgkmcnt(0)
	v_pk_max_f16 v48, v82, v82
	v_pk_add_f16 v4, v4, v111
	v_pk_add_f16 v56, v56, v49
	v_pk_min_f16 v49, v48, v10
	v_pk_add_f16 v47, v47, v93
	v_pk_add_f16 v59, v59, v112
	v_pk_add_f16 v4, v4, v49
	v_pk_min_f16 v49, v48, v12
	v_pk_add_f16 v55, v55, v92
	v_pk_add_f16 v47, v47, v114
	;; [unrolled: 1-line block ×3, first 2 shown]
	v_pk_min_f16 v49, v48, v0
	v_pk_min_f16 v48, v48, v2
	v_pk_add_f16 v55, v55, v113
	v_pk_add_f16 v47, v47, v48
	v_pk_max_f16 v48, v84, v84
	v_pk_add_f16 v55, v55, v49
	v_pk_min_f16 v49, v48, v10
	v_pk_add_f16 v60, v60, v115
	v_pk_add_f16 v84, v65, v49
	v_pk_min_f16 v49, v48, v12
	v_pk_max_f16 v6, v6, v6
	v_pk_add_f16 v57, v57, v86
	v_pk_add_f16 v86, v60, v49
	v_pk_min_f16 v49, v48, v0
	v_pk_min_f16 v48, v48, v2
	;; [unrolled: 1-line block ×7, first 2 shown]
	v_pk_max_f16 v8, v11, v11
	v_pk_add_f16 v2, v5, v2
	v_pk_max_f16 v5, v9, v9
	v_pk_add_f16 v33, v33, v68
	v_pk_min_f16 v9, v5, v8
	v_pk_max_f16 v1, v1, v1
	v_pk_add_f16 v68, v44, v9
	v_pk_max_f16 v9, v13, v13
	v_pk_max_f16 v3, v3, v3
	v_pk_min_f16 v11, v5, v9
	v_pk_add_f16 v57, v57, v106
	v_pk_add_f16 v60, v62, v11
	v_pk_min_f16 v11, v5, v1
	v_pk_add_f16 v10, v66, v10
	v_pk_add_f16 v52, v67, v11
	v_pk_max_f16 v11, v15, v15
	v_pk_add_f16 v57, v57, v50
	v_pk_min_f16 v13, v11, v8
	v_pk_add_f16 v54, v54, v95
	v_pk_add_f16 v76, v63, v13
	v_pk_min_f16 v13, v11, v9
	v_pk_add_f16 v54, v54, v116
	v_pk_add_f16 v67, v22, v13
	v_pk_min_f16 v13, v11, v1
	v_pk_min_f16 v11, v11, v3
	v_pk_add_f16 v59, v23, v13
	v_pk_add_f16 v51, v14, v11
	v_pk_max_f16 v11, v17, v17
	v_pk_add_f16 v54, v54, v49
	v_pk_min_f16 v13, v11, v8
	v_pk_add_f16 v46, v46, v96
	v_pk_add_f16 v75, v32, v13
	v_pk_min_f16 v13, v11, v9
	v_pk_add_f16 v46, v46, v117
	v_pk_add_f16 v66, v70, v13
	v_pk_min_f16 v13, v11, v1
	;; [unrolled: 12-line block ×4, first 2 shown]
	v_pk_min_f16 v11, v11, v3
	v_pk_add_f16 v56, v56, v13
	v_pk_add_f16 v48, v20, v11
	v_pk_max_f16 v11, v83, v83
	v_pk_add_f16 v6, v45, v6
	v_pk_min_f16 v13, v11, v8
	v_pk_add_f16 v12, v61, v12
	v_pk_add_f16 v72, v4, v13
	v_pk_min_f16 v4, v11, v9
	s_add_i32 s34, s34, 8
	v_pk_add_f16 v63, v82, v4
	v_pk_min_f16 v4, v11, v1
	s_cmp_ge_i32 s34, s35
	v_pk_add_f16 v55, v55, v4
	v_pk_min_f16 v4, v11, v3
	v_lshl_add_u64 v[26:27], v[26:27], 0, s[28:29]
	v_pk_add_f16 v47, v47, v4
	v_pk_max_f16 v4, v85, v85
	ds_write_b16 v42, v78
	ds_write_b16 v43, v80
	ds_write_b16 v43, v79 offset:512
	v_pk_min_f16 v11, v4, v8
	s_waitcnt lgkmcnt(0)
	v_pk_add_f16 v71, v84, v11
	v_pk_min_f16 v11, v4, v9
	s_barrier
	v_pk_add_f16 v62, v86, v11
	v_pk_min_f16 v11, v4, v1
	v_pk_min_f16 v4, v4, v3
	v_pk_add_f16 v54, v54, v11
	v_pk_add_f16 v46, v46, v4
	v_pk_max_f16 v4, v7, v7
	s_nop 0
	v_pk_min_f16 v1, v4, v1
	v_pk_min_f16 v7, v4, v8
	v_pk_add_f16 v53, v0, v1
	v_pk_min_f16 v0, v4, v3
	v_pk_add_f16 v70, v10, v7
	;; [unrolled: 2-line block ×4, first 2 shown]
	v_pk_add_f16 v44, v2, v0
	s_cbranch_scc1 .LBB299_36
.LBB299_24:                             ; =>This Inner Loop Header: Depth=1
	v_add_u32_e32 v32, s34, v36
	v_add_u32_e32 v0, 8, v32
	v_cmp_gt_i32_e64 s[6:7], s22, v0
	s_and_b64 s[6:7], vcc, s[6:7]
	s_and_b64 s[30:31], s[16:17], s[6:7]
	v_mov_b32_e32 v33, 0
	v_mov_b32_e32 v79, 0
	s_and_saveexec_b64 s[6:7], s[30:31]
	s_cbranch_execz .LBB299_26
; %bb.25:                               ;   in Loop: Header=BB299_24 Depth=1
	v_lshl_add_u64 v[2:3], v[26:27], 0, v[30:31]
	flat_load_ushort v1, v[2:3]
	s_waitcnt vmcnt(0) lgkmcnt(0)
	v_mul_f16_e32 v79, s23, v1
.LBB299_26:                             ;   in Loop: Header=BB299_24 Depth=1
	s_or_b64 exec, exec, s[6:7]
	v_cmp_le_i32_e64 s[6:7], s22, v0
	v_min_i32_e32 v0, s37, v0
	v_mad_i64_i32 v[0:1], s[30:31], v0, s36, 0
	s_or_b64 s[30:31], s[8:9], s[6:7]
	v_lshl_add_u64 v[0:1], v[0:1], 1, s[18:19]
	s_or_b64 s[30:31], s[30:31], s[26:27]
	s_xor_b64 s[38:39], s[30:31], -1
	v_lshl_add_u64 v[0:1], v[24:25], 1, v[0:1]
	s_and_saveexec_b64 s[30:31], s[38:39]
	s_cbranch_execz .LBB299_28
; %bb.27:                               ;   in Loop: Header=BB299_24 Depth=1
	flat_load_ushort v2, v[0:1]
	s_waitcnt vmcnt(0) lgkmcnt(0)
	v_mul_f16_e32 v33, s23, v2
.LBB299_28:                             ;   in Loop: Header=BB299_24 Depth=1
	s_or_b64 exec, exec, s[30:31]
	s_or_b64 s[6:7], s[4:5], s[6:7]
	s_or_b64 s[6:7], s[6:7], s[26:27]
	s_xor_b64 s[30:31], s[6:7], -1
	v_mov_b32_e32 v78, 0
	v_mov_b32_e32 v80, 0
	s_and_saveexec_b64 s[6:7], s[30:31]
	s_cbranch_execz .LBB299_30
; %bb.29:                               ;   in Loop: Header=BB299_24 Depth=1
	flat_load_ushort v0, v[0:1] offset:128
	s_waitcnt vmcnt(0) lgkmcnt(0)
	v_mul_f16_e32 v80, s23, v0
.LBB299_30:                             ;   in Loop: Header=BB299_24 Depth=1
	s_or_b64 exec, exec, s[6:7]
	ds_read2_b64 v[0:3], v69 offset0:48 offset1:56
	ds_read2_b64 v[12:15], v77 offset0:64 offset1:96
	ds_read2_b64 v[20:23], v77 offset1:32
	ds_read2_b64 v[16:19], v69 offset1:8
	ds_read2_b64 v[8:11], v69 offset0:16 offset1:24
	ds_read2_b64 v[4:7], v69 offset0:32 offset1:40
	v_add_u32_e32 v32, 12, v32
	v_cmp_gt_i32_e64 s[6:7], s22, v32
	s_and_b64 s[6:7], vcc, s[6:7]
	s_and_b64 s[30:31], s[16:17], s[6:7]
	ds_write_b16 v41, v79
	ds_write_b16 v39, v33
	ds_write_b16 v39, v80 offset:512
	s_waitcnt lgkmcnt(0)
	s_barrier
	s_and_saveexec_b64 s[6:7], s[30:31]
	s_cbranch_execz .LBB299_32
; %bb.31:                               ;   in Loop: Header=BB299_24 Depth=1
	v_lshl_add_u64 v[78:79], v[26:27], 0, v[28:29]
	flat_load_ushort v33, v[78:79]
	s_waitcnt vmcnt(0) lgkmcnt(0)
	v_mul_f16_e32 v78, s23, v33
.LBB299_32:                             ;   in Loop: Header=BB299_24 Depth=1
	s_or_b64 exec, exec, s[6:7]
	v_cmp_le_i32_e64 s[6:7], s22, v32
	v_min_i32_e32 v32, s37, v32
	v_mad_i64_i32 v[32:33], s[30:31], v32, s36, 0
	s_or_b64 s[30:31], s[8:9], s[6:7]
	v_lshl_add_u64 v[32:33], v[32:33], 1, s[18:19]
	s_or_b64 s[30:31], s[30:31], s[26:27]
	s_xor_b64 s[38:39], s[30:31], -1
	v_mov_b32_e32 v79, 0
	v_lshl_add_u64 v[32:33], v[24:25], 1, v[32:33]
	v_mov_b32_e32 v80, 0
	s_and_saveexec_b64 s[30:31], s[38:39]
	s_cbranch_execz .LBB299_34
; %bb.33:                               ;   in Loop: Header=BB299_24 Depth=1
	flat_load_ushort v80, v[32:33]
	s_waitcnt vmcnt(0) lgkmcnt(0)
	v_mul_f16_e32 v80, s23, v80
.LBB299_34:                             ;   in Loop: Header=BB299_24 Depth=1
	s_or_b64 exec, exec, s[30:31]
	v_pk_max_f16 v100, v2, v2
	v_pk_max_f16 v97, v20, v20
	;; [unrolled: 1-line block ×17, first 2 shown]
	s_or_b64 s[6:7], s[4:5], s[6:7]
	v_pk_min_f16 v2, v100, v97
	v_pk_min_f16 v20, v100, v98
	;; [unrolled: 1-line block ×26, first 2 shown]
	v_pk_max_f16 v121, v3, v3
	v_pk_max_f16 v102, v17, v17
	;; [unrolled: 1-line block ×5, first 2 shown]
	v_pk_min_f16 v111, v5, v118
	v_pk_min_f16 v112, v5, v119
	;; [unrolled: 1-line block ×4, first 2 shown]
	v_pk_max_f16 v5, v7, v7
	v_pk_max_f16 v1, v1, v1
	s_or_b64 s[6:7], s[6:7], s[26:27]
	v_pk_min_f16 v84, v84, v101
	v_pk_min_f16 v87, v87, v101
	v_pk_min_f16 v90, v90, v101
	v_pk_min_f16 v93, v93, v101
	v_pk_min_f16 v96, v96, v101
	v_pk_min_f16 v100, v100, v101
	v_pk_min_f16 v3, v121, v118
	v_pk_min_f16 v21, v121, v119
	v_pk_min_f16 v13, v121, v120
	v_pk_min_f16 v17, v102, v118
	v_pk_min_f16 v23, v102, v119
	v_pk_min_f16 v101, v102, v120
	v_pk_min_f16 v15, v102, v122
	v_pk_min_f16 v19, v104, v118
	v_pk_min_f16 v102, v104, v119
	v_pk_min_f16 v103, v104, v120
	v_pk_min_f16 v104, v104, v122
	v_pk_min_f16 v9, v107, v118
	v_pk_min_f16 v105, v107, v119
	v_pk_min_f16 v106, v107, v120
	v_pk_min_f16 v107, v107, v122
	v_pk_min_f16 v11, v110, v118
	v_pk_min_f16 v108, v110, v119
	v_pk_min_f16 v109, v110, v120
	v_pk_min_f16 v110, v110, v122
	v_pk_min_f16 v7, v5, v118
	v_pk_min_f16 v115, v5, v119
	v_pk_min_f16 v116, v5, v120
	v_pk_min_f16 v117, v5, v122
	v_pk_min_f16 v118, v1, v118
	v_pk_min_f16 v119, v1, v119
	v_pk_min_f16 v120, v1, v120
	v_pk_min_f16 v1, v1, v122
	v_pk_min_f16 v5, v121, v122
	s_xor_b64 s[30:31], s[6:7], -1
	s_and_saveexec_b64 s[6:7], s[30:31]
	s_cbranch_execz .LBB299_23
; %bb.35:                               ;   in Loop: Header=BB299_24 Depth=1
	flat_load_ushort v32, v[32:33] offset:128
	s_waitcnt vmcnt(0) lgkmcnt(0)
	v_mul_f16_e32 v79, s23, v32
	s_branch .LBB299_23
.LBB299_36:
	s_load_dwordx2 s[4:5], s[0:1], 0x70
	s_load_dword s29, s[0:1], 0x50
	s_load_dword s28, s[0:1], 0x68
	v_add_u32_e32 v8, 0x800, v38
	ds_read2_b64 v[0:3], v8 offset0:112 offset1:120
	ds_read2_b64 v[4:7], v37 offset0:192 offset1:224
	ds_read2_b64 v[20:23], v37 offset0:128 offset1:160
	ds_read2_b64 v[16:19], v8 offset0:64 offset1:72
	ds_read2_b64 v[12:15], v8 offset0:80 offset1:88
	ds_read2_b64 v[8:11], v8 offset0:96 offset1:104
	s_waitcnt lgkmcnt(0)
	s_mul_i32 s0, s3, s5
	s_mul_hi_u32 s1, s3, s4
	s_mul_i32 s5, s15, s4
	s_add_i32 s0, s1, s0
	s_add_i32 s1, s0, s5
	s_mul_i32 s0, s3, s4
	s_lshl_b64 s[0:1], s[0:1], 1
	s_add_u32 s22, s10, s0
	v_add_u32_e32 v69, s14, v35
	s_addc_u32 s23, s11, s1
	v_mad_i64_i32 v[26:27], s[0:1], v69, s29, 0
	v_add_u32_e32 v24, s2, v34
	v_lshl_add_u64 v[42:43], v[26:27], 1, s[24:25]
	v_mad_i64_i32 v[26:27], s[0:1], v69, s28, 0
	v_cmp_gt_i32_e64 s[18:19], s21, v69
	v_lshl_add_u64 v[40:41], v[26:27], 1, s[22:23]
	v_cmp_gt_i32_e64 s[2:3], s20, v24
	v_cndmask_b32_e64 v26, 0, 1, s[12:13]
	s_and_b64 s[6:7], s[2:3], s[18:19]
	v_ashrrev_i32_e32 v25, 31, v24
	v_cmp_ne_u32_e64 s[0:1], 1, v26
	s_and_saveexec_b64 s[4:5], s[6:7]
	s_cbranch_execz .LBB299_41
; %bb.37:
	s_and_b64 vcc, exec, s[0:1]
	s_cbranch_vccnz .LBB299_39
; %bb.38:
	v_lshl_add_u64 v[26:27], v[24:25], 1, v[42:43]
	flat_load_ushort v26, v[26:27]
	s_waitcnt vmcnt(0) lgkmcnt(0)
	v_mul_f16_e32 v26, s33, v26
	s_branch .LBB299_40
.LBB299_39:
	v_mov_b32_e32 v26, 0
.LBB299_40:
	v_pk_max_f16 v27, v20, v20
	v_pk_max_f16 v28, v16, v16
	v_pk_max_f16 v29, v17, v17
	v_pk_min_f16 v27, v28, v27
	v_pk_max_f16 v28, v21, v21
	v_pk_add_f16 v27, v76, v27
	v_pk_min_f16 v28, v29, v28
	s_nop 0
	v_pk_add_f16 v27, v27, v28
	s_nop 0
	v_add_f16_sdwa v27, v27, v27 dst_sel:DWORD dst_unused:UNUSED_PAD src0_sel:DWORD src1_sel:WORD_1
	v_add_f16_e32 v28, v27, v26
	v_lshl_add_u64 v[26:27], v[24:25], 1, v[40:41]
	global_store_short v[26:27], v28, off
.LBB299_41:
	s_or_b64 exec, exec, s[4:5]
	v_add_u32_e32 v26, 8, v24
	v_cmp_gt_i32_e64 s[4:5], s20, v26
	s_and_b64 s[8:9], s[4:5], s[18:19]
	v_ashrrev_i32_e32 v27, 31, v26
	s_and_saveexec_b64 s[6:7], s[8:9]
	s_cbranch_execz .LBB299_46
; %bb.42:
	s_and_b64 vcc, exec, s[0:1]
	s_cbranch_vccnz .LBB299_44
; %bb.43:
	v_lshl_add_u64 v[28:29], v[26:27], 1, v[42:43]
	flat_load_ushort v28, v[28:29]
	s_waitcnt vmcnt(0) lgkmcnt(0)
	v_mul_f16_e32 v28, s33, v28
	s_branch .LBB299_45
.LBB299_44:
	v_mov_b32_e32 v28, 0
.LBB299_45:
	v_pk_max_f16 v29, v20, v20
	v_pk_max_f16 v30, v18, v18
	v_pk_max_f16 v31, v19, v19
	v_pk_min_f16 v29, v30, v29
	v_pk_max_f16 v30, v21, v21
	v_pk_add_f16 v29, v75, v29
	v_pk_min_f16 v30, v31, v30
	s_nop 0
	v_pk_add_f16 v29, v29, v30
	s_nop 0
	v_add_f16_sdwa v29, v29, v29 dst_sel:DWORD dst_unused:UNUSED_PAD src0_sel:DWORD src1_sel:WORD_1
	v_add_f16_e32 v30, v29, v28
	v_lshl_add_u64 v[28:29], v[26:27], 1, v[40:41]
	global_store_short v[28:29], v30, off
.LBB299_46:
	s_or_b64 exec, exec, s[6:7]
	v_add_u32_e32 v28, 16, v24
	v_cmp_gt_i32_e64 s[6:7], s20, v28
	s_and_b64 s[10:11], s[6:7], s[18:19]
	v_ashrrev_i32_e32 v29, 31, v28
	;; [unrolled: 34-line block ×6, first 2 shown]
	s_and_saveexec_b64 s[16:17], s[26:27]
	s_cbranch_execz .LBB299_71
; %bb.67:
	s_and_b64 vcc, exec, s[0:1]
	s_cbranch_vccnz .LBB299_69
; %bb.68:
	v_lshl_add_u64 v[38:39], v[36:37], 1, v[42:43]
	flat_load_ushort v38, v[38:39]
	s_waitcnt vmcnt(0) lgkmcnt(0)
	v_mul_f16_e32 v38, s33, v38
	s_branch .LBB299_70
.LBB299_69:
	v_mov_b32_e32 v38, 0
.LBB299_70:
	v_pk_max_f16 v39, v20, v20
	v_pk_max_f16 v71, v0, v0
	s_nop 0
	v_pk_min_f16 v39, v71, v39
	v_pk_max_f16 v71, v1, v1
	v_pk_add_f16 v39, v70, v39
	v_pk_max_f16 v70, v21, v21
	s_nop 0
	v_pk_min_f16 v70, v71, v70
	s_nop 0
	v_pk_add_f16 v39, v39, v70
	s_nop 0
	v_add_f16_sdwa v39, v39, v39 dst_sel:DWORD dst_unused:UNUSED_PAD src0_sel:DWORD src1_sel:WORD_1
	v_add_f16_e32 v70, v39, v38
	v_lshl_add_u64 v[38:39], v[36:37], 1, v[40:41]
	global_store_short v[38:39], v70, off
.LBB299_71:
	s_or_b64 exec, exec, s[16:17]
	v_add_u32_e32 v38, 56, v24
	v_cmp_gt_i32_e64 s[16:17], s20, v38
	s_and_b64 s[26:27], s[16:17], s[18:19]
	v_ashrrev_i32_e32 v39, 31, v38
	s_and_saveexec_b64 s[18:19], s[26:27]
	s_cbranch_execz .LBB299_76
; %bb.72:
	s_and_b64 vcc, exec, s[0:1]
	s_cbranch_vccnz .LBB299_74
; %bb.73:
	v_lshl_add_u64 v[42:43], v[38:39], 1, v[42:43]
	flat_load_ushort v42, v[42:43]
	s_waitcnt vmcnt(0) lgkmcnt(0)
	v_mul_f16_e32 v42, s33, v42
	s_branch .LBB299_75
.LBB299_74:
	v_mov_b32_e32 v42, 0
.LBB299_75:
	v_pk_max_f16 v20, v20, v20
	v_pk_max_f16 v43, v2, v2
	;; [unrolled: 1-line block ×3, first 2 shown]
	v_pk_min_f16 v20, v43, v20
	v_pk_max_f16 v43, v3, v3
	v_pk_add_f16 v20, v68, v20
	v_pk_min_f16 v21, v43, v21
	s_nop 0
	v_pk_add_f16 v20, v20, v21
	s_nop 0
	v_add_f16_sdwa v20, v20, v20 dst_sel:DWORD dst_unused:UNUSED_PAD src0_sel:DWORD src1_sel:WORD_1
	v_add_f16_e32 v42, v20, v42
	v_lshl_add_u64 v[20:21], v[38:39], 1, v[40:41]
	global_store_short v[20:21], v42, off
.LBB299_76:
	s_or_b64 exec, exec, s[18:19]
	v_add_u32_e32 v42, 32, v69
	v_mad_i64_i32 v[20:21], s[26:27], v42, s29, 0
	v_cmp_gt_i32_e64 s[18:19], s21, v42
	v_lshl_add_u64 v[40:41], v[20:21], 1, s[24:25]
	v_mad_i64_i32 v[20:21], s[26:27], v42, s28, 0
	v_lshl_add_u64 v[20:21], v[20:21], 1, s[22:23]
	s_and_b64 s[30:31], s[2:3], s[18:19]
	s_and_saveexec_b64 s[26:27], s[30:31]
	s_cbranch_execnz .LBB299_84
; %bb.77:
	s_or_b64 exec, exec, s[26:27]
	s_and_b64 s[30:31], s[4:5], s[18:19]
	s_and_saveexec_b64 s[26:27], s[30:31]
	s_cbranch_execnz .LBB299_88
.LBB299_78:
	s_or_b64 exec, exec, s[26:27]
	s_and_b64 s[30:31], s[6:7], s[18:19]
	s_and_saveexec_b64 s[26:27], s[30:31]
	s_cbranch_execnz .LBB299_92
.LBB299_79:
	s_or_b64 exec, exec, s[26:27]
	s_and_b64 s[30:31], s[8:9], s[18:19]
	s_and_saveexec_b64 s[26:27], s[30:31]
	s_cbranch_execnz .LBB299_96
.LBB299_80:
	s_or_b64 exec, exec, s[26:27]
	s_and_b64 s[30:31], s[10:11], s[18:19]
	s_and_saveexec_b64 s[26:27], s[30:31]
	s_cbranch_execnz .LBB299_100
.LBB299_81:
	s_or_b64 exec, exec, s[26:27]
	s_and_b64 s[30:31], s[12:13], s[18:19]
	s_and_saveexec_b64 s[26:27], s[30:31]
	s_cbranch_execnz .LBB299_104
.LBB299_82:
	s_or_b64 exec, exec, s[26:27]
	s_and_b64 s[30:31], s[14:15], s[18:19]
	s_and_saveexec_b64 s[26:27], s[30:31]
	s_cbranch_execnz .LBB299_108
.LBB299_83:
	s_or_b64 exec, exec, s[26:27]
	s_and_b64 s[26:27], s[16:17], s[18:19]
	s_and_saveexec_b64 s[18:19], s[26:27]
	s_cbranch_execnz .LBB299_112
	s_branch .LBB299_116
.LBB299_84:
	s_and_b64 vcc, exec, s[0:1]
	s_cbranch_vccnz .LBB299_86
; %bb.85:
	v_lshl_add_u64 v[42:43], v[24:25], 1, v[40:41]
	flat_load_ushort v42, v[42:43]
	s_waitcnt vmcnt(0) lgkmcnt(0)
	v_mul_f16_e32 v42, s33, v42
	s_branch .LBB299_87
.LBB299_86:
	v_mov_b32_e32 v42, 0
.LBB299_87:
	v_pk_max_f16 v43, v22, v22
	v_pk_max_f16 v68, v16, v16
	s_nop 0
	v_pk_min_f16 v43, v68, v43
	v_pk_max_f16 v68, v17, v17
	v_pk_add_f16 v43, v67, v43
	v_pk_max_f16 v67, v23, v23
	s_nop 0
	v_pk_min_f16 v67, v68, v67
	s_nop 0
	v_pk_add_f16 v43, v43, v67
	s_nop 0
	v_add_f16_sdwa v43, v43, v43 dst_sel:DWORD dst_unused:UNUSED_PAD src0_sel:DWORD src1_sel:WORD_1
	v_add_f16_e32 v67, v43, v42
	v_lshl_add_u64 v[42:43], v[24:25], 1, v[20:21]
	global_store_short v[42:43], v67, off
	s_or_b64 exec, exec, s[26:27]
	s_and_b64 s[30:31], s[4:5], s[18:19]
	s_and_saveexec_b64 s[26:27], s[30:31]
	s_cbranch_execz .LBB299_78
.LBB299_88:
	s_and_b64 vcc, exec, s[0:1]
	s_cbranch_vccnz .LBB299_90
; %bb.89:
	v_lshl_add_u64 v[42:43], v[26:27], 1, v[40:41]
	flat_load_ushort v42, v[42:43]
	s_waitcnt vmcnt(0) lgkmcnt(0)
	v_mul_f16_e32 v42, s33, v42
	s_branch .LBB299_91
.LBB299_90:
	v_mov_b32_e32 v42, 0
.LBB299_91:
	v_pk_max_f16 v43, v22, v22
	v_pk_max_f16 v67, v18, v18
	s_nop 0
	v_pk_min_f16 v43, v67, v43
	v_pk_max_f16 v67, v19, v19
	v_pk_add_f16 v43, v66, v43
	v_pk_max_f16 v66, v23, v23
	s_nop 0
	v_pk_min_f16 v66, v67, v66
	s_nop 0
	v_pk_add_f16 v43, v43, v66
	s_nop 0
	v_add_f16_sdwa v43, v43, v43 dst_sel:DWORD dst_unused:UNUSED_PAD src0_sel:DWORD src1_sel:WORD_1
	v_add_f16_e32 v66, v43, v42
	v_lshl_add_u64 v[42:43], v[26:27], 1, v[20:21]
	global_store_short v[42:43], v66, off
	s_or_b64 exec, exec, s[26:27]
	s_and_b64 s[30:31], s[6:7], s[18:19]
	s_and_saveexec_b64 s[26:27], s[30:31]
	s_cbranch_execz .LBB299_79
.LBB299_92:
	s_and_b64 vcc, exec, s[0:1]
	s_cbranch_vccnz .LBB299_94
; %bb.93:
	v_lshl_add_u64 v[42:43], v[28:29], 1, v[40:41]
	flat_load_ushort v42, v[42:43]
	s_waitcnt vmcnt(0) lgkmcnt(0)
	v_mul_f16_e32 v42, s33, v42
	s_branch .LBB299_95
.LBB299_94:
	v_mov_b32_e32 v42, 0
.LBB299_95:
	v_pk_max_f16 v43, v22, v22
	v_pk_max_f16 v66, v12, v12
	s_nop 0
	v_pk_min_f16 v43, v66, v43
	v_pk_max_f16 v66, v13, v13
	v_pk_add_f16 v43, v65, v43
	v_pk_max_f16 v65, v23, v23
	s_nop 0
	v_pk_min_f16 v65, v66, v65
	s_nop 0
	v_pk_add_f16 v43, v43, v65
	s_nop 0
	v_add_f16_sdwa v43, v43, v43 dst_sel:DWORD dst_unused:UNUSED_PAD src0_sel:DWORD src1_sel:WORD_1
	v_add_f16_e32 v65, v43, v42
	v_lshl_add_u64 v[42:43], v[28:29], 1, v[20:21]
	global_store_short v[42:43], v65, off
	s_or_b64 exec, exec, s[26:27]
	s_and_b64 s[30:31], s[8:9], s[18:19]
	s_and_saveexec_b64 s[26:27], s[30:31]
	s_cbranch_execz .LBB299_80
.LBB299_96:
	s_and_b64 vcc, exec, s[0:1]
	s_cbranch_vccnz .LBB299_98
; %bb.97:
	v_lshl_add_u64 v[42:43], v[30:31], 1, v[40:41]
	flat_load_ushort v42, v[42:43]
	s_waitcnt vmcnt(0) lgkmcnt(0)
	v_mul_f16_e32 v42, s33, v42
	s_branch .LBB299_99
.LBB299_98:
	v_mov_b32_e32 v42, 0
.LBB299_99:
	v_pk_max_f16 v43, v22, v22
	v_pk_max_f16 v65, v14, v14
	s_nop 0
	v_pk_min_f16 v43, v65, v43
	v_pk_max_f16 v65, v15, v15
	v_pk_add_f16 v43, v64, v43
	v_pk_max_f16 v64, v23, v23
	s_nop 0
	v_pk_min_f16 v64, v65, v64
	s_nop 0
	v_pk_add_f16 v43, v43, v64
	s_nop 0
	v_add_f16_sdwa v43, v43, v43 dst_sel:DWORD dst_unused:UNUSED_PAD src0_sel:DWORD src1_sel:WORD_1
	v_add_f16_e32 v64, v43, v42
	v_lshl_add_u64 v[42:43], v[30:31], 1, v[20:21]
	global_store_short v[42:43], v64, off
	s_or_b64 exec, exec, s[26:27]
	s_and_b64 s[30:31], s[10:11], s[18:19]
	s_and_saveexec_b64 s[26:27], s[30:31]
	s_cbranch_execz .LBB299_81
.LBB299_100:
	s_and_b64 vcc, exec, s[0:1]
	s_cbranch_vccnz .LBB299_102
; %bb.101:
	v_lshl_add_u64 v[42:43], v[32:33], 1, v[40:41]
	flat_load_ushort v42, v[42:43]
	s_waitcnt vmcnt(0) lgkmcnt(0)
	v_mul_f16_e32 v42, s33, v42
	s_branch .LBB299_103
.LBB299_102:
	v_mov_b32_e32 v42, 0
.LBB299_103:
	v_pk_max_f16 v43, v22, v22
	v_pk_max_f16 v64, v8, v8
	s_nop 0
	v_pk_min_f16 v43, v64, v43
	v_pk_max_f16 v64, v9, v9
	v_pk_add_f16 v43, v63, v43
	v_pk_max_f16 v63, v23, v23
	s_nop 0
	v_pk_min_f16 v63, v64, v63
	s_nop 0
	v_pk_add_f16 v43, v43, v63
	s_nop 0
	v_add_f16_sdwa v43, v43, v43 dst_sel:DWORD dst_unused:UNUSED_PAD src0_sel:DWORD src1_sel:WORD_1
	v_add_f16_e32 v63, v43, v42
	v_lshl_add_u64 v[42:43], v[32:33], 1, v[20:21]
	global_store_short v[42:43], v63, off
	s_or_b64 exec, exec, s[26:27]
	s_and_b64 s[30:31], s[12:13], s[18:19]
	s_and_saveexec_b64 s[26:27], s[30:31]
	s_cbranch_execz .LBB299_82
.LBB299_104:
	s_and_b64 vcc, exec, s[0:1]
	s_cbranch_vccnz .LBB299_106
; %bb.105:
	v_lshl_add_u64 v[42:43], v[34:35], 1, v[40:41]
	flat_load_ushort v42, v[42:43]
	s_waitcnt vmcnt(0) lgkmcnt(0)
	v_mul_f16_e32 v42, s33, v42
	s_branch .LBB299_107
.LBB299_106:
	v_mov_b32_e32 v42, 0
.LBB299_107:
	v_pk_max_f16 v43, v22, v22
	v_pk_max_f16 v63, v10, v10
	s_nop 0
	v_pk_min_f16 v43, v63, v43
	v_pk_max_f16 v63, v11, v11
	v_pk_add_f16 v43, v62, v43
	v_pk_max_f16 v62, v23, v23
	s_nop 0
	v_pk_min_f16 v62, v63, v62
	s_nop 0
	v_pk_add_f16 v43, v43, v62
	s_nop 0
	v_add_f16_sdwa v43, v43, v43 dst_sel:DWORD dst_unused:UNUSED_PAD src0_sel:DWORD src1_sel:WORD_1
	v_add_f16_e32 v62, v43, v42
	v_lshl_add_u64 v[42:43], v[34:35], 1, v[20:21]
	global_store_short v[42:43], v62, off
	s_or_b64 exec, exec, s[26:27]
	s_and_b64 s[30:31], s[14:15], s[18:19]
	s_and_saveexec_b64 s[26:27], s[30:31]
	s_cbranch_execz .LBB299_83
.LBB299_108:
	s_and_b64 vcc, exec, s[0:1]
	s_cbranch_vccnz .LBB299_110
; %bb.109:
	v_lshl_add_u64 v[42:43], v[36:37], 1, v[40:41]
	flat_load_ushort v42, v[42:43]
	s_waitcnt vmcnt(0) lgkmcnt(0)
	v_mul_f16_e32 v42, s33, v42
	s_branch .LBB299_111
.LBB299_110:
	v_mov_b32_e32 v42, 0
.LBB299_111:
	v_pk_max_f16 v43, v22, v22
	v_pk_max_f16 v62, v0, v0
	s_nop 0
	v_pk_min_f16 v43, v62, v43
	v_pk_max_f16 v62, v1, v1
	v_pk_add_f16 v43, v61, v43
	v_pk_max_f16 v61, v23, v23
	s_nop 0
	v_pk_min_f16 v61, v62, v61
	s_nop 0
	v_pk_add_f16 v43, v43, v61
	s_nop 0
	v_add_f16_sdwa v43, v43, v43 dst_sel:DWORD dst_unused:UNUSED_PAD src0_sel:DWORD src1_sel:WORD_1
	v_add_f16_e32 v61, v43, v42
	v_lshl_add_u64 v[42:43], v[36:37], 1, v[20:21]
	global_store_short v[42:43], v61, off
	s_or_b64 exec, exec, s[26:27]
	s_and_b64 s[26:27], s[16:17], s[18:19]
	s_and_saveexec_b64 s[18:19], s[26:27]
	s_cbranch_execz .LBB299_116
.LBB299_112:
	s_and_b64 vcc, exec, s[0:1]
	s_cbranch_vccnz .LBB299_114
; %bb.113:
	v_lshl_add_u64 v[40:41], v[38:39], 1, v[40:41]
	flat_load_ushort v40, v[40:41]
	s_waitcnt vmcnt(0) lgkmcnt(0)
	v_mul_f16_e32 v40, s33, v40
	s_branch .LBB299_115
.LBB299_114:
	v_mov_b32_e32 v40, 0
.LBB299_115:
	v_pk_max_f16 v22, v22, v22
	v_pk_max_f16 v41, v2, v2
	v_pk_max_f16 v23, v23, v23
	v_pk_min_f16 v22, v41, v22
	v_pk_max_f16 v41, v3, v3
	v_pk_add_f16 v22, v60, v22
	v_pk_min_f16 v23, v41, v23
	v_lshl_add_u64 v[20:21], v[38:39], 1, v[20:21]
	v_pk_add_f16 v22, v22, v23
	s_nop 0
	v_add_f16_sdwa v22, v22, v22 dst_sel:DWORD dst_unused:UNUSED_PAD src0_sel:DWORD src1_sel:WORD_1
	v_add_f16_e32 v22, v22, v40
	global_store_short v[20:21], v22, off
.LBB299_116:
	s_or_b64 exec, exec, s[18:19]
	v_add_u32_e32 v40, 64, v69
	v_mad_i64_i32 v[20:21], s[26:27], v40, s29, 0
	v_cmp_gt_i32_e64 s[18:19], s21, v40
	v_lshl_add_u64 v[22:23], v[20:21], 1, s[24:25]
	v_mad_i64_i32 v[20:21], s[26:27], v40, s28, 0
	v_lshl_add_u64 v[20:21], v[20:21], 1, s[22:23]
	s_and_b64 s[30:31], s[2:3], s[18:19]
	s_and_saveexec_b64 s[26:27], s[30:31]
	s_cbranch_execnz .LBB299_124
; %bb.117:
	s_or_b64 exec, exec, s[26:27]
	s_and_b64 s[30:31], s[4:5], s[18:19]
	s_and_saveexec_b64 s[26:27], s[30:31]
	s_cbranch_execnz .LBB299_128
.LBB299_118:
	s_or_b64 exec, exec, s[26:27]
	s_and_b64 s[30:31], s[6:7], s[18:19]
	s_and_saveexec_b64 s[26:27], s[30:31]
	s_cbranch_execnz .LBB299_132
.LBB299_119:
	s_or_b64 exec, exec, s[26:27]
	s_and_b64 s[30:31], s[8:9], s[18:19]
	s_and_saveexec_b64 s[26:27], s[30:31]
	s_cbranch_execnz .LBB299_136
.LBB299_120:
	s_or_b64 exec, exec, s[26:27]
	s_and_b64 s[30:31], s[10:11], s[18:19]
	s_and_saveexec_b64 s[26:27], s[30:31]
	s_cbranch_execnz .LBB299_140
.LBB299_121:
	s_or_b64 exec, exec, s[26:27]
	s_and_b64 s[30:31], s[12:13], s[18:19]
	s_and_saveexec_b64 s[26:27], s[30:31]
	s_cbranch_execnz .LBB299_144
.LBB299_122:
	s_or_b64 exec, exec, s[26:27]
	s_and_b64 s[30:31], s[14:15], s[18:19]
	s_and_saveexec_b64 s[26:27], s[30:31]
	s_cbranch_execnz .LBB299_148
.LBB299_123:
	s_or_b64 exec, exec, s[26:27]
	s_and_b64 s[26:27], s[16:17], s[18:19]
	s_and_saveexec_b64 s[18:19], s[26:27]
	s_cbranch_execnz .LBB299_152
	s_branch .LBB299_156
.LBB299_124:
	s_and_b64 vcc, exec, s[0:1]
	s_cbranch_vccnz .LBB299_126
; %bb.125:
	v_lshl_add_u64 v[40:41], v[24:25], 1, v[22:23]
	flat_load_ushort v40, v[40:41]
	s_waitcnt vmcnt(0) lgkmcnt(0)
	v_mul_f16_e32 v40, s33, v40
	s_branch .LBB299_127
.LBB299_126:
	v_mov_b32_e32 v40, 0
.LBB299_127:
	v_pk_max_f16 v41, v4, v4
	v_pk_max_f16 v42, v16, v16
	;; [unrolled: 1-line block ×3, first 2 shown]
	v_pk_min_f16 v41, v42, v41
	v_pk_max_f16 v42, v5, v5
	v_pk_add_f16 v41, v59, v41
	v_pk_min_f16 v42, v43, v42
	s_nop 0
	v_pk_add_f16 v41, v41, v42
	s_nop 0
	v_add_f16_sdwa v41, v41, v41 dst_sel:DWORD dst_unused:UNUSED_PAD src0_sel:DWORD src1_sel:WORD_1
	v_add_f16_e32 v42, v41, v40
	v_lshl_add_u64 v[40:41], v[24:25], 1, v[20:21]
	global_store_short v[40:41], v42, off
	s_or_b64 exec, exec, s[26:27]
	s_and_b64 s[30:31], s[4:5], s[18:19]
	s_and_saveexec_b64 s[26:27], s[30:31]
	s_cbranch_execz .LBB299_118
.LBB299_128:
	s_and_b64 vcc, exec, s[0:1]
	s_cbranch_vccnz .LBB299_130
; %bb.129:
	v_lshl_add_u64 v[40:41], v[26:27], 1, v[22:23]
	flat_load_ushort v40, v[40:41]
	s_waitcnt vmcnt(0) lgkmcnt(0)
	v_mul_f16_e32 v40, s33, v40
	s_branch .LBB299_131
.LBB299_130:
	v_mov_b32_e32 v40, 0
.LBB299_131:
	v_pk_max_f16 v41, v4, v4
	v_pk_max_f16 v42, v18, v18
	;; [unrolled: 1-line block ×3, first 2 shown]
	v_pk_min_f16 v41, v42, v41
	v_pk_max_f16 v42, v5, v5
	v_pk_add_f16 v41, v58, v41
	v_pk_min_f16 v42, v43, v42
	s_nop 0
	v_pk_add_f16 v41, v41, v42
	s_nop 0
	v_add_f16_sdwa v41, v41, v41 dst_sel:DWORD dst_unused:UNUSED_PAD src0_sel:DWORD src1_sel:WORD_1
	v_add_f16_e32 v42, v41, v40
	v_lshl_add_u64 v[40:41], v[26:27], 1, v[20:21]
	global_store_short v[40:41], v42, off
	s_or_b64 exec, exec, s[26:27]
	s_and_b64 s[30:31], s[6:7], s[18:19]
	s_and_saveexec_b64 s[26:27], s[30:31]
	s_cbranch_execz .LBB299_119
.LBB299_132:
	s_and_b64 vcc, exec, s[0:1]
	s_cbranch_vccnz .LBB299_134
; %bb.133:
	v_lshl_add_u64 v[40:41], v[28:29], 1, v[22:23]
	flat_load_ushort v40, v[40:41]
	s_waitcnt vmcnt(0) lgkmcnt(0)
	v_mul_f16_e32 v40, s33, v40
	s_branch .LBB299_135
.LBB299_134:
	v_mov_b32_e32 v40, 0
.LBB299_135:
	v_pk_max_f16 v41, v4, v4
	v_pk_max_f16 v42, v12, v12
	;; [unrolled: 1-line block ×3, first 2 shown]
	v_pk_min_f16 v41, v42, v41
	v_pk_max_f16 v42, v5, v5
	v_pk_add_f16 v41, v57, v41
	v_pk_min_f16 v42, v43, v42
	s_nop 0
	v_pk_add_f16 v41, v41, v42
	s_nop 0
	v_add_f16_sdwa v41, v41, v41 dst_sel:DWORD dst_unused:UNUSED_PAD src0_sel:DWORD src1_sel:WORD_1
	v_add_f16_e32 v42, v41, v40
	v_lshl_add_u64 v[40:41], v[28:29], 1, v[20:21]
	global_store_short v[40:41], v42, off
	s_or_b64 exec, exec, s[26:27]
	s_and_b64 s[30:31], s[8:9], s[18:19]
	s_and_saveexec_b64 s[26:27], s[30:31]
	s_cbranch_execz .LBB299_120
.LBB299_136:
	s_and_b64 vcc, exec, s[0:1]
	s_cbranch_vccnz .LBB299_138
; %bb.137:
	v_lshl_add_u64 v[40:41], v[30:31], 1, v[22:23]
	flat_load_ushort v40, v[40:41]
	s_waitcnt vmcnt(0) lgkmcnt(0)
	v_mul_f16_e32 v40, s33, v40
	s_branch .LBB299_139
.LBB299_138:
	v_mov_b32_e32 v40, 0
.LBB299_139:
	v_pk_max_f16 v41, v4, v4
	v_pk_max_f16 v42, v14, v14
	;; [unrolled: 1-line block ×3, first 2 shown]
	v_pk_min_f16 v41, v42, v41
	v_pk_max_f16 v42, v5, v5
	v_pk_add_f16 v41, v56, v41
	v_pk_min_f16 v42, v43, v42
	s_nop 0
	v_pk_add_f16 v41, v41, v42
	s_nop 0
	v_add_f16_sdwa v41, v41, v41 dst_sel:DWORD dst_unused:UNUSED_PAD src0_sel:DWORD src1_sel:WORD_1
	v_add_f16_e32 v42, v41, v40
	v_lshl_add_u64 v[40:41], v[30:31], 1, v[20:21]
	global_store_short v[40:41], v42, off
	s_or_b64 exec, exec, s[26:27]
	s_and_b64 s[30:31], s[10:11], s[18:19]
	s_and_saveexec_b64 s[26:27], s[30:31]
	s_cbranch_execz .LBB299_121
.LBB299_140:
	s_and_b64 vcc, exec, s[0:1]
	s_cbranch_vccnz .LBB299_142
; %bb.141:
	v_lshl_add_u64 v[40:41], v[32:33], 1, v[22:23]
	flat_load_ushort v40, v[40:41]
	s_waitcnt vmcnt(0) lgkmcnt(0)
	v_mul_f16_e32 v40, s33, v40
	s_branch .LBB299_143
.LBB299_142:
	v_mov_b32_e32 v40, 0
.LBB299_143:
	v_pk_max_f16 v41, v4, v4
	v_pk_max_f16 v42, v8, v8
	;; [unrolled: 1-line block ×3, first 2 shown]
	v_pk_min_f16 v41, v42, v41
	v_pk_max_f16 v42, v5, v5
	v_pk_add_f16 v41, v55, v41
	v_pk_min_f16 v42, v43, v42
	s_nop 0
	v_pk_add_f16 v41, v41, v42
	s_nop 0
	v_add_f16_sdwa v41, v41, v41 dst_sel:DWORD dst_unused:UNUSED_PAD src0_sel:DWORD src1_sel:WORD_1
	v_add_f16_e32 v42, v41, v40
	v_lshl_add_u64 v[40:41], v[32:33], 1, v[20:21]
	global_store_short v[40:41], v42, off
	s_or_b64 exec, exec, s[26:27]
	s_and_b64 s[30:31], s[12:13], s[18:19]
	s_and_saveexec_b64 s[26:27], s[30:31]
	s_cbranch_execz .LBB299_122
.LBB299_144:
	s_and_b64 vcc, exec, s[0:1]
	s_cbranch_vccnz .LBB299_146
; %bb.145:
	v_lshl_add_u64 v[40:41], v[34:35], 1, v[22:23]
	flat_load_ushort v40, v[40:41]
	s_waitcnt vmcnt(0) lgkmcnt(0)
	v_mul_f16_e32 v40, s33, v40
	s_branch .LBB299_147
.LBB299_146:
	v_mov_b32_e32 v40, 0
.LBB299_147:
	v_pk_max_f16 v41, v4, v4
	v_pk_max_f16 v42, v10, v10
	;; [unrolled: 1-line block ×3, first 2 shown]
	v_pk_min_f16 v41, v42, v41
	v_pk_max_f16 v42, v5, v5
	v_pk_add_f16 v41, v54, v41
	v_pk_min_f16 v42, v43, v42
	s_nop 0
	v_pk_add_f16 v41, v41, v42
	s_nop 0
	v_add_f16_sdwa v41, v41, v41 dst_sel:DWORD dst_unused:UNUSED_PAD src0_sel:DWORD src1_sel:WORD_1
	v_add_f16_e32 v42, v41, v40
	v_lshl_add_u64 v[40:41], v[34:35], 1, v[20:21]
	global_store_short v[40:41], v42, off
	s_or_b64 exec, exec, s[26:27]
	s_and_b64 s[30:31], s[14:15], s[18:19]
	s_and_saveexec_b64 s[26:27], s[30:31]
	s_cbranch_execz .LBB299_123
.LBB299_148:
	s_and_b64 vcc, exec, s[0:1]
	s_cbranch_vccnz .LBB299_150
; %bb.149:
	v_lshl_add_u64 v[40:41], v[36:37], 1, v[22:23]
	flat_load_ushort v40, v[40:41]
	s_waitcnt vmcnt(0) lgkmcnt(0)
	v_mul_f16_e32 v40, s33, v40
	s_branch .LBB299_151
.LBB299_150:
	v_mov_b32_e32 v40, 0
.LBB299_151:
	v_pk_max_f16 v41, v4, v4
	v_pk_max_f16 v42, v0, v0
	;; [unrolled: 1-line block ×3, first 2 shown]
	v_pk_min_f16 v41, v42, v41
	v_pk_max_f16 v42, v5, v5
	v_pk_add_f16 v41, v53, v41
	v_pk_min_f16 v42, v43, v42
	s_nop 0
	v_pk_add_f16 v41, v41, v42
	s_nop 0
	v_add_f16_sdwa v41, v41, v41 dst_sel:DWORD dst_unused:UNUSED_PAD src0_sel:DWORD src1_sel:WORD_1
	v_add_f16_e32 v42, v41, v40
	v_lshl_add_u64 v[40:41], v[36:37], 1, v[20:21]
	global_store_short v[40:41], v42, off
	s_or_b64 exec, exec, s[26:27]
	s_and_b64 s[26:27], s[16:17], s[18:19]
	s_and_saveexec_b64 s[18:19], s[26:27]
	s_cbranch_execz .LBB299_156
.LBB299_152:
	s_and_b64 vcc, exec, s[0:1]
	s_cbranch_vccnz .LBB299_154
; %bb.153:
	v_lshl_add_u64 v[22:23], v[38:39], 1, v[22:23]
	flat_load_ushort v22, v[22:23]
	s_waitcnt vmcnt(0) lgkmcnt(0)
	v_mul_f16_e32 v22, s33, v22
	s_branch .LBB299_155
.LBB299_154:
	v_mov_b32_e32 v22, 0
.LBB299_155:
	v_pk_max_f16 v4, v4, v4
	v_pk_max_f16 v23, v2, v2
	;; [unrolled: 1-line block ×3, first 2 shown]
	v_pk_min_f16 v4, v23, v4
	v_pk_max_f16 v23, v3, v3
	v_pk_add_f16 v4, v52, v4
	v_pk_min_f16 v5, v23, v5
	s_nop 0
	v_pk_add_f16 v4, v4, v5
	s_nop 0
	v_add_f16_sdwa v4, v4, v4 dst_sel:DWORD dst_unused:UNUSED_PAD src0_sel:DWORD src1_sel:WORD_1
	v_add_f16_e32 v22, v4, v22
	v_lshl_add_u64 v[4:5], v[38:39], 1, v[20:21]
	global_store_short v[4:5], v22, off
.LBB299_156:
	s_or_b64 exec, exec, s[18:19]
	v_add_u32_e32 v22, 0x60, v69
	v_cmp_gt_i32_e64 s[18:19], s21, v22
	v_mad_i64_i32 v[4:5], s[20:21], v22, s29, 0
	v_lshl_add_u64 v[20:21], v[4:5], 1, s[24:25]
	v_mad_i64_i32 v[4:5], s[20:21], v22, s28, 0
	v_lshl_add_u64 v[4:5], v[4:5], 1, s[22:23]
	s_and_b64 s[20:21], s[2:3], s[18:19]
	s_and_saveexec_b64 s[2:3], s[20:21]
	s_cbranch_execnz .LBB299_165
; %bb.157:
	s_or_b64 exec, exec, s[2:3]
	s_and_b64 s[4:5], s[4:5], s[18:19]
	s_and_saveexec_b64 s[2:3], s[4:5]
	s_cbranch_execnz .LBB299_169
.LBB299_158:
	s_or_b64 exec, exec, s[2:3]
	s_and_b64 s[4:5], s[6:7], s[18:19]
	s_and_saveexec_b64 s[2:3], s[4:5]
	s_cbranch_execnz .LBB299_173
.LBB299_159:
	s_or_b64 exec, exec, s[2:3]
	s_and_b64 s[4:5], s[8:9], s[18:19]
	s_and_saveexec_b64 s[2:3], s[4:5]
	s_cbranch_execnz .LBB299_177
.LBB299_160:
	s_or_b64 exec, exec, s[2:3]
	s_and_b64 s[4:5], s[10:11], s[18:19]
	s_and_saveexec_b64 s[2:3], s[4:5]
	s_cbranch_execnz .LBB299_181
.LBB299_161:
	s_or_b64 exec, exec, s[2:3]
	s_and_b64 s[4:5], s[12:13], s[18:19]
	s_and_saveexec_b64 s[2:3], s[4:5]
	s_cbranch_execnz .LBB299_185
.LBB299_162:
	s_or_b64 exec, exec, s[2:3]
	s_and_b64 s[4:5], s[14:15], s[18:19]
	s_and_saveexec_b64 s[2:3], s[4:5]
	s_cbranch_execnz .LBB299_189
.LBB299_163:
	s_or_b64 exec, exec, s[2:3]
	s_and_b64 s[2:3], s[16:17], s[18:19]
	s_and_saveexec_b64 s[4:5], s[2:3]
	s_cbranch_execnz .LBB299_193
.LBB299_164:
	s_endpgm
.LBB299_165:
	s_and_b64 vcc, exec, s[0:1]
	s_cbranch_vccnz .LBB299_167
; %bb.166:
	v_lshl_add_u64 v[22:23], v[24:25], 1, v[20:21]
	flat_load_ushort v22, v[22:23]
	s_waitcnt vmcnt(0) lgkmcnt(0)
	v_mul_f16_e32 v22, s33, v22
	s_branch .LBB299_168
.LBB299_167:
	v_mov_b32_e32 v22, 0
.LBB299_168:
	v_pk_max_f16 v23, v6, v6
	v_pk_max_f16 v16, v16, v16
	;; [unrolled: 1-line block ×3, first 2 shown]
	v_pk_min_f16 v16, v16, v23
	v_pk_max_f16 v23, v7, v7
	v_pk_add_f16 v16, v51, v16
	v_pk_min_f16 v17, v17, v23
	s_nop 0
	v_pk_add_f16 v16, v16, v17
	s_nop 0
	v_add_f16_sdwa v16, v16, v16 dst_sel:DWORD dst_unused:UNUSED_PAD src0_sel:DWORD src1_sel:WORD_1
	v_add_f16_e32 v22, v16, v22
	v_lshl_add_u64 v[16:17], v[24:25], 1, v[4:5]
	global_store_short v[16:17], v22, off
	s_or_b64 exec, exec, s[2:3]
	s_and_b64 s[4:5], s[4:5], s[18:19]
	s_and_saveexec_b64 s[2:3], s[4:5]
	s_cbranch_execz .LBB299_158
.LBB299_169:
	s_and_b64 vcc, exec, s[0:1]
	s_cbranch_vccnz .LBB299_171
; %bb.170:
	v_lshl_add_u64 v[16:17], v[26:27], 1, v[20:21]
	flat_load_ushort v16, v[16:17]
	s_waitcnt vmcnt(0) lgkmcnt(0)
	v_mul_f16_e32 v16, s33, v16
	s_branch .LBB299_172
.LBB299_171:
	v_mov_b32_e32 v16, 0
.LBB299_172:
	v_pk_max_f16 v17, v6, v6
	v_pk_max_f16 v18, v18, v18
	;; [unrolled: 1-line block ×3, first 2 shown]
	v_pk_min_f16 v17, v18, v17
	v_pk_max_f16 v18, v7, v7
	v_pk_add_f16 v17, v50, v17
	v_pk_min_f16 v18, v19, v18
	s_nop 0
	v_pk_add_f16 v17, v17, v18
	s_nop 0
	v_add_f16_sdwa v17, v17, v17 dst_sel:DWORD dst_unused:UNUSED_PAD src0_sel:DWORD src1_sel:WORD_1
	v_add_f16_e32 v18, v17, v16
	v_lshl_add_u64 v[16:17], v[26:27], 1, v[4:5]
	global_store_short v[16:17], v18, off
	s_or_b64 exec, exec, s[2:3]
	s_and_b64 s[4:5], s[6:7], s[18:19]
	s_and_saveexec_b64 s[2:3], s[4:5]
	s_cbranch_execz .LBB299_159
.LBB299_173:
	s_and_b64 vcc, exec, s[0:1]
	s_cbranch_vccnz .LBB299_175
; %bb.174:
	v_lshl_add_u64 v[16:17], v[28:29], 1, v[20:21]
	flat_load_ushort v16, v[16:17]
	s_waitcnt vmcnt(0) lgkmcnt(0)
	v_mul_f16_e32 v16, s33, v16
	s_branch .LBB299_176
.LBB299_175:
	v_mov_b32_e32 v16, 0
.LBB299_176:
	v_pk_max_f16 v17, v6, v6
	v_pk_max_f16 v12, v12, v12
	;; [unrolled: 1-line block ×3, first 2 shown]
	v_pk_min_f16 v12, v12, v17
	v_pk_max_f16 v17, v7, v7
	v_pk_add_f16 v12, v49, v12
	v_pk_min_f16 v13, v13, v17
	s_nop 0
	v_pk_add_f16 v12, v12, v13
	s_nop 0
	v_add_f16_sdwa v12, v12, v12 dst_sel:DWORD dst_unused:UNUSED_PAD src0_sel:DWORD src1_sel:WORD_1
	v_add_f16_e32 v16, v12, v16
	v_lshl_add_u64 v[12:13], v[28:29], 1, v[4:5]
	global_store_short v[12:13], v16, off
	s_or_b64 exec, exec, s[2:3]
	s_and_b64 s[4:5], s[8:9], s[18:19]
	s_and_saveexec_b64 s[2:3], s[4:5]
	s_cbranch_execz .LBB299_160
.LBB299_177:
	s_and_b64 vcc, exec, s[0:1]
	s_cbranch_vccnz .LBB299_179
; %bb.178:
	v_lshl_add_u64 v[12:13], v[30:31], 1, v[20:21]
	flat_load_ushort v12, v[12:13]
	s_waitcnt vmcnt(0) lgkmcnt(0)
	v_mul_f16_e32 v12, s33, v12
	s_branch .LBB299_180
.LBB299_179:
	v_mov_b32_e32 v12, 0
.LBB299_180:
	v_pk_max_f16 v13, v6, v6
	v_pk_max_f16 v14, v14, v14
	;; [unrolled: 1-line block ×3, first 2 shown]
	v_pk_min_f16 v13, v14, v13
	v_pk_max_f16 v14, v7, v7
	v_pk_add_f16 v13, v48, v13
	v_pk_min_f16 v14, v15, v14
	s_nop 0
	v_pk_add_f16 v13, v13, v14
	s_nop 0
	v_add_f16_sdwa v13, v13, v13 dst_sel:DWORD dst_unused:UNUSED_PAD src0_sel:DWORD src1_sel:WORD_1
	v_add_f16_e32 v14, v13, v12
	v_lshl_add_u64 v[12:13], v[30:31], 1, v[4:5]
	global_store_short v[12:13], v14, off
	s_or_b64 exec, exec, s[2:3]
	s_and_b64 s[4:5], s[10:11], s[18:19]
	s_and_saveexec_b64 s[2:3], s[4:5]
	s_cbranch_execz .LBB299_161
.LBB299_181:
	s_and_b64 vcc, exec, s[0:1]
	s_cbranch_vccnz .LBB299_183
; %bb.182:
	v_lshl_add_u64 v[12:13], v[32:33], 1, v[20:21]
	flat_load_ushort v12, v[12:13]
	s_waitcnt vmcnt(0) lgkmcnt(0)
	v_mul_f16_e32 v12, s33, v12
	s_branch .LBB299_184
.LBB299_183:
	v_mov_b32_e32 v12, 0
.LBB299_184:
	v_pk_max_f16 v13, v6, v6
	v_pk_max_f16 v8, v8, v8
	;; [unrolled: 1-line block ×3, first 2 shown]
	v_pk_min_f16 v8, v8, v13
	v_pk_max_f16 v13, v7, v7
	v_pk_add_f16 v8, v47, v8
	v_pk_min_f16 v9, v9, v13
	s_nop 0
	v_pk_add_f16 v8, v8, v9
	s_nop 0
	v_add_f16_sdwa v8, v8, v8 dst_sel:DWORD dst_unused:UNUSED_PAD src0_sel:DWORD src1_sel:WORD_1
	v_add_f16_e32 v12, v8, v12
	v_lshl_add_u64 v[8:9], v[32:33], 1, v[4:5]
	global_store_short v[8:9], v12, off
	s_or_b64 exec, exec, s[2:3]
	s_and_b64 s[4:5], s[12:13], s[18:19]
	s_and_saveexec_b64 s[2:3], s[4:5]
	s_cbranch_execz .LBB299_162
.LBB299_185:
	s_and_b64 vcc, exec, s[0:1]
	s_cbranch_vccnz .LBB299_187
; %bb.186:
	v_lshl_add_u64 v[8:9], v[34:35], 1, v[20:21]
	flat_load_ushort v8, v[8:9]
	s_waitcnt vmcnt(0) lgkmcnt(0)
	v_mul_f16_e32 v8, s33, v8
	s_branch .LBB299_188
.LBB299_187:
	v_mov_b32_e32 v8, 0
.LBB299_188:
	v_pk_max_f16 v9, v6, v6
	v_pk_max_f16 v10, v10, v10
	;; [unrolled: 1-line block ×3, first 2 shown]
	v_pk_min_f16 v9, v10, v9
	v_pk_max_f16 v10, v7, v7
	v_pk_add_f16 v9, v46, v9
	v_pk_min_f16 v10, v11, v10
	s_nop 0
	v_pk_add_f16 v9, v9, v10
	s_nop 0
	v_add_f16_sdwa v9, v9, v9 dst_sel:DWORD dst_unused:UNUSED_PAD src0_sel:DWORD src1_sel:WORD_1
	v_add_f16_e32 v10, v9, v8
	v_lshl_add_u64 v[8:9], v[34:35], 1, v[4:5]
	global_store_short v[8:9], v10, off
	s_or_b64 exec, exec, s[2:3]
	s_and_b64 s[4:5], s[14:15], s[18:19]
	s_and_saveexec_b64 s[2:3], s[4:5]
	s_cbranch_execz .LBB299_163
.LBB299_189:
	s_and_b64 vcc, exec, s[0:1]
	s_cbranch_vccnz .LBB299_191
; %bb.190:
	v_lshl_add_u64 v[8:9], v[36:37], 1, v[20:21]
	flat_load_ushort v8, v[8:9]
	s_waitcnt vmcnt(0) lgkmcnt(0)
	v_mul_f16_e32 v8, s33, v8
	s_branch .LBB299_192
.LBB299_191:
	v_mov_b32_e32 v8, 0
.LBB299_192:
	v_pk_max_f16 v9, v6, v6
	v_pk_max_f16 v0, v0, v0
	;; [unrolled: 1-line block ×3, first 2 shown]
	v_pk_min_f16 v0, v0, v9
	v_pk_max_f16 v9, v7, v7
	v_pk_add_f16 v0, v45, v0
	v_pk_min_f16 v1, v1, v9
	s_nop 0
	v_pk_add_f16 v0, v0, v1
	s_nop 0
	v_add_f16_sdwa v0, v0, v0 dst_sel:DWORD dst_unused:UNUSED_PAD src0_sel:DWORD src1_sel:WORD_1
	v_add_f16_e32 v8, v0, v8
	v_lshl_add_u64 v[0:1], v[36:37], 1, v[4:5]
	global_store_short v[0:1], v8, off
	s_or_b64 exec, exec, s[2:3]
	s_and_b64 s[2:3], s[16:17], s[18:19]
	s_and_saveexec_b64 s[4:5], s[2:3]
	s_cbranch_execz .LBB299_164
.LBB299_193:
	s_and_b64 vcc, exec, s[0:1]
	s_cbranch_vccnz .LBB299_195
; %bb.194:
	v_lshl_add_u64 v[0:1], v[38:39], 1, v[20:21]
	flat_load_ushort v0, v[0:1]
	s_waitcnt vmcnt(0) lgkmcnt(0)
	v_mul_f16_e32 v0, s33, v0
	s_branch .LBB299_196
.LBB299_195:
	v_mov_b32_e32 v0, 0
.LBB299_196:
	v_pk_max_f16 v1, v6, v6
	v_pk_max_f16 v2, v2, v2
	;; [unrolled: 1-line block ×3, first 2 shown]
	v_pk_min_f16 v1, v2, v1
	v_pk_max_f16 v2, v7, v7
	v_pk_add_f16 v1, v44, v1
	v_pk_min_f16 v2, v3, v2
	s_nop 0
	v_pk_add_f16 v1, v1, v2
	s_nop 0
	v_add_f16_sdwa v1, v1, v1 dst_sel:DWORD dst_unused:UNUSED_PAD src0_sel:DWORD src1_sel:WORD_1
	v_add_f16_e32 v2, v1, v0
	v_lshl_add_u64 v[0:1], v[38:39], 1, v[4:5]
	global_store_short v[0:1], v2, off
	s_endpgm
	.section	.rodata,"a",@progbits
	.p2align	6, 0x0
	.amdhsa_kernel _ZN12_GLOBAL__N_120geam_min_plus_kernelIDF16_Dv2_DF16_S1_Li8ELi32ELi64ELi128ELi4ELi64ELi4ELi64ELi4ELc78ELc84ELb0ELb1ELb0EDF16_KDF16_DF16_EEviiiT16_PT17_ilS5_ilS3_S5_ilPT18_ili26rocblas_geam_ex_operation_
		.amdhsa_group_segment_fixed_size 3072
		.amdhsa_private_segment_fixed_size 0
		.amdhsa_kernarg_size 128
		.amdhsa_user_sgpr_count 2
		.amdhsa_user_sgpr_dispatch_ptr 0
		.amdhsa_user_sgpr_queue_ptr 0
		.amdhsa_user_sgpr_kernarg_segment_ptr 1
		.amdhsa_user_sgpr_dispatch_id 0
		.amdhsa_user_sgpr_kernarg_preload_length 0
		.amdhsa_user_sgpr_kernarg_preload_offset 0
		.amdhsa_user_sgpr_private_segment_size 0
		.amdhsa_uses_dynamic_stack 0
		.amdhsa_enable_private_segment 0
		.amdhsa_system_sgpr_workgroup_id_x 1
		.amdhsa_system_sgpr_workgroup_id_y 0
		.amdhsa_system_sgpr_workgroup_id_z 1
		.amdhsa_system_sgpr_workgroup_info 0
		.amdhsa_system_vgpr_workitem_id 1
		.amdhsa_next_free_vgpr 123
		.amdhsa_next_free_sgpr 40
		.amdhsa_accum_offset 124
		.amdhsa_reserve_vcc 1
		.amdhsa_float_round_mode_32 0
		.amdhsa_float_round_mode_16_64 0
		.amdhsa_float_denorm_mode_32 3
		.amdhsa_float_denorm_mode_16_64 3
		.amdhsa_dx10_clamp 1
		.amdhsa_ieee_mode 1
		.amdhsa_fp16_overflow 0
		.amdhsa_tg_split 0
		.amdhsa_exception_fp_ieee_invalid_op 0
		.amdhsa_exception_fp_denorm_src 0
		.amdhsa_exception_fp_ieee_div_zero 0
		.amdhsa_exception_fp_ieee_overflow 0
		.amdhsa_exception_fp_ieee_underflow 0
		.amdhsa_exception_fp_ieee_inexact 0
		.amdhsa_exception_int_div_zero 0
	.end_amdhsa_kernel
	.section	.text._ZN12_GLOBAL__N_120geam_min_plus_kernelIDF16_Dv2_DF16_S1_Li8ELi32ELi64ELi128ELi4ELi64ELi4ELi64ELi4ELc78ELc84ELb0ELb1ELb0EDF16_KDF16_DF16_EEviiiT16_PT17_ilS5_ilS3_S5_ilPT18_ili26rocblas_geam_ex_operation_,"axG",@progbits,_ZN12_GLOBAL__N_120geam_min_plus_kernelIDF16_Dv2_DF16_S1_Li8ELi32ELi64ELi128ELi4ELi64ELi4ELi64ELi4ELc78ELc84ELb0ELb1ELb0EDF16_KDF16_DF16_EEviiiT16_PT17_ilS5_ilS3_S5_ilPT18_ili26rocblas_geam_ex_operation_,comdat
.Lfunc_end299:
	.size	_ZN12_GLOBAL__N_120geam_min_plus_kernelIDF16_Dv2_DF16_S1_Li8ELi32ELi64ELi128ELi4ELi64ELi4ELi64ELi4ELc78ELc84ELb0ELb1ELb0EDF16_KDF16_DF16_EEviiiT16_PT17_ilS5_ilS3_S5_ilPT18_ili26rocblas_geam_ex_operation_, .Lfunc_end299-_ZN12_GLOBAL__N_120geam_min_plus_kernelIDF16_Dv2_DF16_S1_Li8ELi32ELi64ELi128ELi4ELi64ELi4ELi64ELi4ELc78ELc84ELb0ELb1ELb0EDF16_KDF16_DF16_EEviiiT16_PT17_ilS5_ilS3_S5_ilPT18_ili26rocblas_geam_ex_operation_
                                        ; -- End function
	.section	.AMDGPU.csdata,"",@progbits
; Kernel info:
; codeLenInByte = 11300
; NumSgprs: 46
; NumVgprs: 123
; NumAgprs: 0
; TotalNumVgprs: 123
; ScratchSize: 0
; MemoryBound: 0
; FloatMode: 240
; IeeeMode: 1
; LDSByteSize: 3072 bytes/workgroup (compile time only)
; SGPRBlocks: 5
; VGPRBlocks: 15
; NumSGPRsForWavesPerEU: 46
; NumVGPRsForWavesPerEU: 123
; AccumOffset: 124
; Occupancy: 4
; WaveLimiterHint : 0
; COMPUTE_PGM_RSRC2:SCRATCH_EN: 0
; COMPUTE_PGM_RSRC2:USER_SGPR: 2
; COMPUTE_PGM_RSRC2:TRAP_HANDLER: 0
; COMPUTE_PGM_RSRC2:TGID_X_EN: 1
; COMPUTE_PGM_RSRC2:TGID_Y_EN: 0
; COMPUTE_PGM_RSRC2:TGID_Z_EN: 1
; COMPUTE_PGM_RSRC2:TIDIG_COMP_CNT: 1
; COMPUTE_PGM_RSRC3_GFX90A:ACCUM_OFFSET: 30
; COMPUTE_PGM_RSRC3_GFX90A:TG_SPLIT: 0
	.section	.text._ZN12_GLOBAL__N_120geam_min_plus_kernelIDF16_Dv2_DF16_S1_Li8ELi32ELi64ELi128ELi4ELi4ELi64ELi64ELi4ELc84ELc84ELb0ELb0ELb0EPKDF16_S2_DF16_EEviiiT16_PT17_ilS6_ilS4_S6_ilPT18_ili26rocblas_geam_ex_operation_,"axG",@progbits,_ZN12_GLOBAL__N_120geam_min_plus_kernelIDF16_Dv2_DF16_S1_Li8ELi32ELi64ELi128ELi4ELi4ELi64ELi64ELi4ELc84ELc84ELb0ELb0ELb0EPKDF16_S2_DF16_EEviiiT16_PT17_ilS6_ilS4_S6_ilPT18_ili26rocblas_geam_ex_operation_,comdat
	.globl	_ZN12_GLOBAL__N_120geam_min_plus_kernelIDF16_Dv2_DF16_S1_Li8ELi32ELi64ELi128ELi4ELi4ELi64ELi64ELi4ELc84ELc84ELb0ELb0ELb0EPKDF16_S2_DF16_EEviiiT16_PT17_ilS6_ilS4_S6_ilPT18_ili26rocblas_geam_ex_operation_ ; -- Begin function _ZN12_GLOBAL__N_120geam_min_plus_kernelIDF16_Dv2_DF16_S1_Li8ELi32ELi64ELi128ELi4ELi4ELi64ELi64ELi4ELc84ELc84ELb0ELb0ELb0EPKDF16_S2_DF16_EEviiiT16_PT17_ilS6_ilS4_S6_ilPT18_ili26rocblas_geam_ex_operation_
	.p2align	8
	.type	_ZN12_GLOBAL__N_120geam_min_plus_kernelIDF16_Dv2_DF16_S1_Li8ELi32ELi64ELi128ELi4ELi4ELi64ELi64ELi4ELc84ELc84ELb0ELb0ELb0EPKDF16_S2_DF16_EEviiiT16_PT17_ilS6_ilS4_S6_ilPT18_ili26rocblas_geam_ex_operation_,@function
_ZN12_GLOBAL__N_120geam_min_plus_kernelIDF16_Dv2_DF16_S1_Li8ELi32ELi64ELi128ELi4ELi4ELi64ELi64ELi4ELc84ELc84ELb0ELb0ELb0EPKDF16_S2_DF16_EEviiiT16_PT17_ilS6_ilS4_S6_ilPT18_ili26rocblas_geam_ex_operation_: ; @_ZN12_GLOBAL__N_120geam_min_plus_kernelIDF16_Dv2_DF16_S1_Li8ELi32ELi64ELi128ELi4ELi4ELi64ELi64ELi4ELc84ELc84ELb0ELb0ELb0EPKDF16_S2_DF16_EEviiiT16_PT17_ilS6_ilS4_S6_ilPT18_ili26rocblas_geam_ex_operation_
; %bb.0:
	s_load_dwordx4 s[16:19], s[0:1], 0x10
	s_load_dwordx4 s[8:11], s[0:1], 0x28
	s_mov_b32 s20, s3
	s_mov_b32 s21, 0
	s_lshl_b64 s[4:5], s[20:21], 1
	s_waitcnt lgkmcnt(0)
	s_add_u32 s6, s16, s4
	s_addc_u32 s7, s17, s5
	v_mov_b32_e32 v1, 0
	global_load_ushort v42, v1, s[6:7]
	s_load_dwordx4 s[12:15], s[0:1], 0x40
	s_load_dwordx2 s[22:23], s[0:1], 0x50
	s_mov_b64 s[16:17], 0
	s_waitcnt lgkmcnt(0)
	s_add_u32 s4, s14, s4
	s_addc_u32 s5, s15, s5
	s_mov_b64 s[14:15], 0
	s_waitcnt vmcnt(0)
	v_cmp_eq_f16_e32 vcc, 0, v42
	v_cmp_neq_f16_e64 s[6:7], 0, v42
	s_cbranch_vccnz .LBB300_2
; %bb.1:
	s_mul_i32 s3, s20, s9
	s_mul_hi_u32 s9, s20, s8
	s_add_i32 s9, s9, s3
	s_mul_i32 s8, s20, s8
	s_lshl_b64 s[8:9], s[8:9], 1
	s_add_u32 s14, s18, s8
	s_addc_u32 s15, s19, s9
.LBB300_2:
	global_load_ushort v32, v1, s[4:5]
	v_cndmask_b32_e64 v1, 0, 1, s[6:7]
	v_cmp_ne_u32_e64 s[4:5], 1, v1
	s_andn2_b64 vcc, exec, s[6:7]
	s_cbranch_vccnz .LBB300_4
; %bb.3:
	s_mul_i32 s3, s20, s13
	s_mul_hi_u32 s6, s20, s12
	s_add_i32 s7, s6, s3
	s_mul_i32 s6, s20, s12
	s_lshl_b64 s[6:7], s[6:7], 1
	s_add_u32 s16, s10, s6
	s_addc_u32 s17, s11, s7
.LBB300_4:
	s_load_dwordx4 s[8:11], s[0:1], 0x60
	s_waitcnt vmcnt(0)
	v_cmp_eq_f16_e32 vcc, 0, v32
	s_and_b64 s[6:7], exec, vcc
	s_mov_b64 vcc, s[6:7]
	s_cbranch_vccnz .LBB300_6
; %bb.5:
	s_waitcnt lgkmcnt(0)
	s_mul_i32 s3, s20, s9
	s_mul_hi_u32 s9, s20, s8
	s_add_i32 s9, s9, s3
	s_mul_i32 s8, s20, s8
	s_lshl_b64 s[8:9], s[8:9], 1
	s_add_u32 s8, s22, s8
	s_addc_u32 s9, s23, s9
	s_branch .LBB300_7
.LBB300_6:
	s_waitcnt lgkmcnt(0)
	s_mov_b64 s[8:9], 0
.LBB300_7:
	s_load_dword s3, s[0:1], 0x0
	s_load_dword s22, s[0:1], 0x20
	v_and_b32_e32 v43, 0x3ff, v0
	v_bfe_u32 v44, v0, 10, 10
	v_lshl_add_u32 v2, v44, 3, v43
	s_waitcnt lgkmcnt(0)
	s_add_i32 s3, s3, -1
	s_ashr_i32 s12, s3, 31
	s_lshr_b32 s12, s12, 26
	s_add_i32 s3, s3, s12
	s_ashr_i32 s3, s3, 6
	s_add_i32 s12, s3, 1
	v_cvt_f32_u32_e32 v1, s12
	s_not_b32 s3, s3
	v_lshrrev_b32_e32 v8, 2, v2
	v_rcp_iflag_f32_e32 v1, v1
	s_nop 0
	v_mul_f32_e32 v0, 0x4f7ffffe, v1
	v_cvt_u32_f32_e32 v0, v0
	v_and_b32_e32 v1, 3, v43
	v_readfirstlane_b32 s13, v0
	s_mul_i32 s3, s3, s13
	s_mul_hi_u32 s3, s13, s3
	s_add_i32 s13, s13, s3
	s_mul_hi_u32 s3, s2, s13
	s_mul_i32 s13, s3, s12
	s_sub_i32 s13, s2, s13
	s_add_i32 s18, s3, 1
	s_sub_i32 s19, s13, s12
	s_cmp_ge_u32 s13, s12
	s_cselect_b32 s3, s18, s3
	s_cselect_b32 s13, s19, s13
	s_add_i32 s18, s3, 1
	s_cmp_ge_u32 s13, s12
	s_cselect_b32 s3, s18, s3
	s_mul_i32 s12, s3, s12
	s_sub_i32 s2, s2, s12
	s_lshl_b32 s18, s2, 6
	s_and_b64 vcc, exec, s[4:5]
	v_add_u32_e32 v4, s18, v8
	v_lshlrev_b32_e32 v0, 1, v1
	s_cbranch_vccnz .LBB300_9
; %bb.8:
	v_mad_i64_i32 v[6:7], s[12:13], v4, s22, 0
	v_lshl_add_u64 v[6:7], v[6:7], 1, s[14:15]
	v_mov_b32_e32 v1, 0
	v_lshl_add_u64 v[6:7], v[6:7], 0, v[0:1]
	flat_load_ushort v1, v[6:7]
	s_waitcnt vmcnt(0) lgkmcnt(0)
	v_mul_f16_e32 v9, v42, v1
	s_branch .LBB300_10
.LBB300_9:
	v_mov_b32_e32 v9, 0
.LBB300_10:
	s_load_dword s12, s[0:1], 0x38
	v_and_b32_e32 v6, 63, v2
	s_lshl_b32 s19, s3, 7
	v_lshrrev_b32_e32 v5, 6, v2
	v_or_b32_e32 v2, s19, v6
	s_and_b64 vcc, exec, s[4:5]
	s_waitcnt lgkmcnt(0)
	s_ashr_i32 s13, s12, 31
	v_ashrrev_i32_e32 v3, 31, v2
	s_cbranch_vccnz .LBB300_14
; %bb.11:
	v_mad_i64_i32 v[10:11], s[2:3], s12, v5, 0
	v_lshl_add_u64 v[10:11], v[10:11], 1, s[16:17]
	v_lshl_add_u64 v[10:11], v[2:3], 1, v[10:11]
	flat_load_ushort v1, v[10:11]
	flat_load_ushort v7, v[10:11] offset:128
	s_waitcnt vmcnt(0) lgkmcnt(0)
	v_mul_f16_e32 v10, v42, v1
	v_mul_f16_e32 v11, v42, v7
	s_and_b64 vcc, exec, s[4:5]
	s_cbranch_vccnz .LBB300_15
.LBB300_12:
	v_mad_i64_i32 v[12:13], s[2:3], v4, s22, 0
	v_lshl_add_u64 v[12:13], v[12:13], 1, s[14:15]
	v_mov_b32_e32 v1, 0
	v_lshl_add_u64 v[12:13], v[12:13], 0, v[0:1]
	flat_load_ushort v1, v[12:13] offset:8
	s_waitcnt vmcnt(0) lgkmcnt(0)
	v_mul_f16_e32 v1, v42, v1
	s_and_b64 vcc, exec, s[4:5]
	s_cbranch_vccnz .LBB300_16
.LBB300_13:
	v_add_u32_e32 v7, 4, v5
	v_mad_i64_i32 v[12:13], s[2:3], s12, v7, 0
	v_lshl_add_u64 v[12:13], v[12:13], 1, s[16:17]
	v_lshl_add_u64 v[2:3], v[2:3], 1, v[12:13]
	flat_load_ushort v7, v[2:3]
	flat_load_ushort v12, v[2:3] offset:128
	s_waitcnt vmcnt(0) lgkmcnt(0)
	v_mul_f16_e32 v3, v42, v7
	v_mul_f16_e32 v7, v42, v12
	s_branch .LBB300_17
.LBB300_14:
	v_mov_b32_e32 v10, 0
	v_mov_b32_e32 v11, 0
	s_and_b64 vcc, exec, s[4:5]
	s_cbranch_vccz .LBB300_12
.LBB300_15:
	v_mov_b32_e32 v1, 0
	s_and_b64 vcc, exec, s[4:5]
	s_cbranch_vccz .LBB300_13
.LBB300_16:
	v_mov_b32_e32 v3, 0
	v_mov_b32_e32 v7, 0
.LBB300_17:
	v_lshl_or_b32 v2, v8, 3, v0
	v_lshlrev_b32_e32 v8, 1, v5
	v_lshl_add_u32 v63, v6, 3, v8
	v_lshlrev_b32_e32 v53, 3, v43
	v_lshlrev_b32_e32 v54, 3, v44
	ds_write_b16 v2, v9 offset:2048
	ds_write_b16 v63, v10
	ds_write_b16 v63, v11 offset:512
	s_waitcnt lgkmcnt(0)
	s_barrier
	ds_read2_b64 v[8:11], v54 offset1:32
	v_add_u32_e32 v64, 0x800, v53
	ds_read2_b64 v[12:15], v64 offset0:48 offset1:56
	ds_read2_b64 v[16:19], v54 offset0:64 offset1:96
	ds_read2_b64 v[20:23], v64 offset1:8
	ds_read2_b64 v[24:27], v64 offset0:16 offset1:24
	ds_read2_b64 v[28:31], v64 offset0:32 offset1:40
	s_waitcnt lgkmcnt(5)
	v_pk_max_f16 v8, v8, v8
	s_waitcnt lgkmcnt(4)
	v_pk_max_f16 v14, v14, v14
	v_pk_max_f16 v10, v10, v10
	v_pk_min_f16 v33, v14, v8
	s_waitcnt lgkmcnt(3)
	v_pk_max_f16 v16, v16, v16
	s_waitcnt lgkmcnt(2)
	v_pk_max_f16 v20, v20, v20
	v_pk_max_f16 v18, v18, v18
	v_pk_max_f16 v22, v22, v22
	s_waitcnt lgkmcnt(1)
	v_pk_max_f16 v24, v24, v24
	v_pk_max_f16 v26, v26, v26
	;; [unrolled: 4-line block ×3, first 2 shown]
	v_pk_max_f16 v12, v12, v12
	v_pk_max_f16 v15, v15, v15
	v_pk_min_f16 v34, v20, v8
	v_pk_min_f16 v35, v20, v10
	;; [unrolled: 1-line block ×14, first 2 shown]
	v_pk_max_f16 v11, v11, v11
	v_pk_min_f16 v56, v26, v16
	v_pk_min_f16 v26, v26, v18
	;; [unrolled: 1-line block ×17, first 2 shown]
	v_pk_add_f16 v18, v33, 0
	v_pk_min_f16 v33, v15, v9
	v_pk_max_f16 v17, v17, v17
	v_pk_add_f16 v62, v33, v18
	v_pk_add_f16 v18, v40, 0
	v_pk_min_f16 v33, v15, v11
	v_pk_max_f16 v21, v21, v21
	v_pk_add_f16 v52, v33, v18
	;; [unrolled: 4-line block ×6, first 2 shown]
	v_pk_add_f16 v18, v20, 0
	v_pk_min_f16 v20, v21, v19
	v_pk_min_f16 v21, v27, v19
	v_pk_add_f16 v40, v20, v18
	v_pk_add_f16 v18, v37, 0
	v_pk_min_f16 v20, v23, v9
	v_pk_max_f16 v13, v13, v13
	v_pk_add_f16 v70, v20, v18
	v_pk_add_f16 v18, v38, 0
	v_pk_min_f16 v20, v23, v11
	s_load_dword s21, s[0:1], 0x8
	v_pk_add_f16 v60, v20, v18
	v_pk_add_f16 v18, v39, 0
	v_pk_min_f16 v20, v23, v17
	v_pk_add_f16 v8, v8, 0
	v_pk_add_f16 v50, v20, v18
	v_pk_add_f16 v18, v22, 0
	v_pk_min_f16 v20, v23, v19
	v_pk_add_f16 v10, v10, 0
	;; [unrolled: 4-line block ×8, first 2 shown]
	v_pk_add_f16 v57, v20, v18
	v_pk_add_f16 v18, v56, 0
	v_pk_min_f16 v20, v27, v17
	s_waitcnt lgkmcnt(0)
	s_cmp_lt_i32 s21, 9
	v_pk_add_f16 v47, v20, v18
	v_pk_add_f16 v18, v26, 0
	;; [unrolled: 1-line block ×4, first 2 shown]
	v_pk_max_f16 v18, v29, v29
	ds_write_b16 v2, v1 offset:2560
	ds_write_b16 v63, v3 offset:1024
	;; [unrolled: 1-line block ×3, first 2 shown]
	v_pk_min_f16 v21, v18, v9
	s_waitcnt lgkmcnt(0)
	v_pk_add_f16 v67, v21, v20
	v_pk_add_f16 v20, v65, 0
	v_pk_min_f16 v21, v18, v11
	s_barrier
	v_pk_add_f16 v56, v21, v20
	v_pk_add_f16 v20, v66, 0
	v_pk_min_f16 v21, v18, v17
	v_pk_min_f16 v18, v18, v19
	v_pk_add_f16 v46, v21, v20
	v_pk_add_f16 v20, v28, 0
	;; [unrolled: 1-line block ×4, first 2 shown]
	v_pk_max_f16 v18, v31, v31
	s_nop 0
	v_pk_min_f16 v20, v18, v9
	v_pk_min_f16 v9, v13, v9
	v_pk_add_f16 v66, v20, v21
	v_pk_add_f16 v65, v9, v8
	v_pk_min_f16 v8, v13, v11
	v_pk_min_f16 v20, v18, v11
	v_pk_add_f16 v55, v8, v10
	v_pk_min_f16 v8, v13, v17
	v_pk_add_f16 v59, v20, v22
	v_pk_add_f16 v45, v8, v16
	v_pk_min_f16 v8, v13, v19
	v_pk_min_f16 v20, v18, v17
	;; [unrolled: 1-line block ×3, first 2 shown]
	v_pk_add_f16 v39, v8, v12
	v_pk_min_f16 v8, v15, v19
	v_pk_add_f16 v48, v20, v23
	v_pk_add_f16 v35, v18, v24
	;; [unrolled: 1-line block ×3, first 2 shown]
	s_cbranch_scc1 .LBB300_31
; %bb.18:
	v_mov_b32_e32 v1, 0xa00
	v_lshl_add_u32 v75, v43, 3, v1
	v_mov_b32_e32 v1, 0x400
	v_lshl_add_u32 v76, v44, 3, v1
	v_add_u32_e32 v1, 12, v5
	v_add_u32_e32 v72, 0x800, v2
	;; [unrolled: 1-line block ×3, first 2 shown]
	v_mad_i64_i32 v[2:3], s[2:3], v1, s12, 0
	v_lshlrev_b64 v[24:25], 1, v[2:3]
	v_add_u32_e32 v2, s19, v6
	v_ashrrev_i32_e32 v3, 31, v2
	v_lshl_add_u64 v[26:27], v[2:3], 1, s[16:17]
	v_mad_i64_i32 v[2:3], s[16:17], s22, v4, 0
	v_mov_b32_e32 v1, 0
	v_lshl_add_u64 v[0:1], v[2:3], 1, v[0:1]
	v_lshl_add_u64 v[0:1], v[0:1], 0, s[14:15]
	;; [unrolled: 1-line block ×3, first 2 shown]
	v_add_u32_e32 v0, 8, v5
	s_lshl_b64 s[2:3], s[12:13], 4
	v_mad_i64_i32 v[0:1], s[12:13], v0, s12, 0
	v_or_b32_e32 v74, 0x400, v63
	s_add_i32 s21, s21, -8
	v_lshlrev_b64 v[30:31], 1, v[0:1]
	s_mov_b32 s12, 0
	s_branch .LBB300_21
.LBB300_19:                             ;   in Loop: Header=BB300_21 Depth=1
	v_lshl_add_u64 v[0:1], v[26:27], 0, v[24:25]
	flat_load_ushort v120, v[0:1]
	flat_load_ushort v121, v[0:1] offset:128
	s_waitcnt vmcnt(0) lgkmcnt(0)
	v_mul_f16_e32 v0, v42, v120
	v_mul_f16_e32 v1, v42, v121
.LBB300_20:                             ;   in Loop: Header=BB300_21 Depth=1
	v_pk_add_f16 v20, v20, v52
	v_pk_add_f16 v12, v12, v41
	;; [unrolled: 1-line block ×17, first 2 shown]
	ds_read2_b64 v[8:11], v64 offset0:48 offset1:56
	ds_read2_b64 v[12:15], v54 offset1:32
	v_pk_add_f16 v16, v16, v71
	v_pk_add_f16 v4, v4, v67
	;; [unrolled: 1-line block ×3, first 2 shown]
	s_waitcnt lgkmcnt(1)
	v_pk_max_f16 v10, v10, v10
	s_waitcnt lgkmcnt(0)
	v_pk_max_f16 v12, v12, v12
	v_pk_add_f16 v18, v18, v70
	v_pk_add_f16 v40, v79, v60
	v_pk_add_f16 v52, v85, v57
	v_pk_add_f16 v6, v6, v66
	v_pk_add_f16 v57, v91, v59
	v_pk_add_f16 v33, v98, v33
	v_pk_add_f16 v59, v3, v2
	v_pk_add_f16 v60, v17, v16
	v_pk_add_f16 v66, v109, v4
	v_pk_add_f16 v39, v5, v39
	ds_read2_b64 v[2:5], v54 offset0:64 offset1:96
	v_pk_min_f16 v16, v10, v12
	v_pk_add_f16 v61, v19, v18
	v_pk_add_f16 v7, v7, v33
	;; [unrolled: 1-line block ×3, first 2 shown]
	ds_read2_b64 v[16:19], v64 offset1:8
	v_pk_max_f16 v14, v14, v14
	s_waitcnt lgkmcnt(1)
	v_pk_max_f16 v2, v2, v2
	v_pk_min_f16 v59, v10, v14
	v_pk_add_f16 v40, v100, v40
	v_pk_add_f16 v59, v59, v20
	v_pk_min_f16 v20, v10, v2
	s_waitcnt lgkmcnt(0)
	v_pk_max_f16 v16, v16, v16
	v_pk_add_f16 v67, v20, v21
	v_pk_min_f16 v20, v16, v12
	v_pk_max_f16 v18, v18, v18
	v_pk_add_f16 v60, v20, v60
	v_pk_min_f16 v20, v16, v14
	v_pk_add_f16 v37, v81, v37
	v_pk_add_f16 v68, v20, v22
	v_pk_min_f16 v20, v16, v2
	v_pk_max_f16 v4, v4, v4
	v_pk_add_f16 v69, v20, v23
	v_pk_min_f16 v20, v18, v12
	v_pk_add_f16 v37, v102, v37
	v_pk_add_f16 v70, v20, v61
	v_pk_min_f16 v20, v18, v14
	v_pk_add_f16 v50, v80, v50
	v_pk_add_f16 v82, v20, v40
	ds_read2_b64 v[20:23], v64 offset0:16 offset1:24
	v_pk_min_f16 v40, v18, v2
	v_pk_min_f16 v18, v18, v4
	v_pk_add_f16 v49, v83, v49
	v_pk_add_f16 v18, v18, v37
	s_waitcnt lgkmcnt(0)
	v_pk_max_f16 v20, v20, v20
	v_pk_add_f16 v36, v84, v36
	v_pk_min_f16 v37, v20, v12
	v_pk_add_f16 v51, v103, v51
	v_pk_add_f16 v83, v37, v62
	v_pk_min_f16 v37, v20, v14
	ds_read2_b64 v[78:81], v64 offset0:32 offset1:40
	v_pk_add_f16 v36, v105, v36
	v_pk_add_f16 v84, v37, v51
	v_pk_min_f16 v37, v20, v2
	v_pk_min_f16 v20, v20, v4
	v_pk_max_f16 v22, v22, v22
	v_pk_add_f16 v20, v20, v36
	v_pk_min_f16 v36, v22, v12
	v_pk_add_f16 v34, v87, v34
	v_pk_add_f16 v52, v106, v52
	;; [unrolled: 1-line block ×3, first 2 shown]
	v_pk_min_f16 v36, v22, v14
	v_pk_add_f16 v47, v86, v47
	v_pk_add_f16 v34, v108, v34
	;; [unrolled: 1-line block ×3, first 2 shown]
	v_pk_min_f16 v36, v22, v2
	v_pk_min_f16 v22, v22, v4
	v_pk_add_f16 v47, v107, v47
	v_pk_add_f16 v22, v22, v34
	s_waitcnt lgkmcnt(0)
	v_pk_max_f16 v34, v78, v78
	v_pk_add_f16 v56, v88, v56
	v_pk_add_f16 v47, v36, v47
	v_pk_min_f16 v36, v34, v12
	v_pk_add_f16 v38, v90, v38
	v_pk_add_f16 v56, v110, v56
	;; [unrolled: 1-line block ×3, first 2 shown]
	v_pk_min_f16 v36, v34, v14
	v_pk_add_f16 v46, v89, v46
	v_pk_add_f16 v38, v112, v38
	;; [unrolled: 1-line block ×3, first 2 shown]
	v_pk_min_f16 v36, v34, v2
	v_pk_min_f16 v34, v34, v4
	v_pk_add_f16 v46, v111, v46
	v_pk_add_f16 v38, v34, v38
	v_pk_max_f16 v34, v80, v80
	v_pk_add_f16 v6, v113, v6
	v_pk_add_f16 v46, v36, v46
	v_pk_min_f16 v36, v34, v12
	v_pk_add_f16 v57, v114, v57
	v_pk_add_f16 v6, v36, v6
	v_pk_min_f16 v36, v34, v14
	v_pk_max_f16 v8, v8, v8
	v_pk_min_f16 v16, v16, v4
	v_pk_add_f16 v78, v36, v57
	v_pk_min_f16 v36, v34, v2
	v_pk_min_f16 v34, v34, v4
	;; [unrolled: 1-line block ×7, first 2 shown]
	v_pk_max_f16 v10, v13, v13
	v_pk_add_f16 v4, v4, v7
	v_pk_max_f16 v7, v11, v11
	v_pk_max_f16 v3, v3, v3
	v_pk_min_f16 v11, v7, v10
	v_pk_add_f16 v16, v16, v41
	v_pk_add_f16 v62, v11, v33
	v_pk_max_f16 v11, v15, v15
	v_pk_max_f16 v5, v5, v5
	v_pk_min_f16 v13, v7, v11
	v_pk_add_f16 v50, v101, v50
	v_pk_add_f16 v52, v13, v59
	v_pk_min_f16 v13, v7, v3
	v_pk_add_f16 v50, v40, v50
	v_pk_add_f16 v41, v13, v67
	v_pk_max_f16 v13, v17, v17
	v_pk_add_f16 v49, v104, v49
	v_pk_min_f16 v15, v13, v10
	v_pk_add_f16 v49, v37, v49
	v_pk_add_f16 v71, v15, v60
	v_pk_min_f16 v15, v13, v11
	v_pk_add_f16 v48, v92, v48
	v_pk_add_f16 v61, v15, v68
	v_pk_min_f16 v15, v13, v3
	v_pk_min_f16 v13, v13, v5
	v_pk_add_f16 v51, v15, v69
	v_pk_add_f16 v40, v13, v16
	v_pk_max_f16 v13, v19, v19
	v_pk_add_f16 v58, v117, v58
	v_pk_min_f16 v15, v13, v10
	v_pk_add_f16 v48, v115, v48
	v_pk_add_f16 v70, v15, v70
	v_pk_min_f16 v15, v13, v11
	v_pk_add_f16 v12, v12, v58
	v_pk_add_f16 v60, v15, v82
	v_pk_min_f16 v15, v13, v3
	v_pk_min_f16 v13, v13, v5
	v_pk_add_f16 v50, v15, v50
	v_pk_add_f16 v37, v13, v18
	v_pk_max_f16 v13, v21, v21
	v_pk_add_f16 v48, v36, v48
	v_pk_min_f16 v15, v13, v10
	v_pk_add_f16 v35, v93, v35
	v_pk_add_f16 v69, v15, v83
	v_pk_min_f16 v15, v13, v11
	v_pk_add_f16 v35, v116, v35
	v_pk_add_f16 v58, v15, v84
	v_pk_min_f16 v15, v13, v3
	v_pk_min_f16 v13, v13, v5
	v_pk_add_f16 v49, v15, v49
	v_pk_add_f16 v36, v13, v20
	v_pk_max_f16 v13, v23, v23
	v_pk_add_f16 v35, v34, v35
	v_pk_min_f16 v15, v13, v10
	v_pk_add_f16 v45, v96, v45
	v_pk_add_f16 v68, v15, v65
	v_pk_min_f16 v15, v13, v11
	v_pk_add_f16 v45, v119, v45
	v_pk_add_f16 v57, v15, v85
	v_pk_min_f16 v15, v13, v3
	v_pk_min_f16 v13, v13, v5
	v_pk_add_f16 v47, v15, v47
	v_pk_add_f16 v34, v13, v22
	v_pk_max_f16 v13, v79, v79
	v_pk_add_f16 v55, v95, v55
	v_pk_min_f16 v15, v13, v10
	v_pk_add_f16 v2, v2, v45
	v_pk_add_f16 v67, v15, v66
	v_pk_min_f16 v15, v13, v11
	v_pk_add_f16 v55, v118, v55
	v_pk_add_f16 v56, v15, v56
	v_pk_min_f16 v15, v13, v3
	v_pk_min_f16 v13, v13, v5
	v_pk_add_f16 v46, v15, v46
	v_pk_add_f16 v38, v13, v38
	v_pk_max_f16 v13, v81, v81
	v_pk_add_f16 v8, v8, v39
	v_pk_min_f16 v15, v13, v10
	v_pk_add_f16 v14, v14, v55
	v_pk_add_f16 v66, v15, v6
	v_pk_min_f16 v6, v13, v11
	s_add_i32 s12, s12, 8
	v_pk_add_f16 v59, v6, v78
	v_pk_min_f16 v6, v13, v3
	v_lshl_add_u64 v[26:27], v[26:27], 0, s[2:3]
	v_pk_add_f16 v48, v6, v48
	v_pk_min_f16 v6, v13, v5
	s_cmp_ge_i32 s12, s21
	v_pk_add_f16 v35, v6, v35
	v_pk_max_f16 v6, v9, v9
	v_lshl_add_u64 v[28:29], v[28:29], 0, 16
	v_pk_min_f16 v3, v6, v3
	v_pk_min_f16 v9, v6, v10
	v_pk_add_f16 v45, v3, v2
	v_pk_min_f16 v2, v6, v5
	v_pk_add_f16 v65, v9, v12
	;; [unrolled: 2-line block ×4, first 2 shown]
	v_pk_add_f16 v33, v2, v4
	ds_write_b16 v73, v77
	ds_write_b16 v74, v0
	ds_write_b16 v74, v1 offset:512
	s_waitcnt lgkmcnt(0)
	s_barrier
	s_cbranch_scc1 .LBB300_31
.LBB300_21:                             ; =>This Inner Loop Header: Depth=1
	s_and_b64 vcc, exec, s[4:5]
	v_mov_b32_e32 v77, 0
	s_cbranch_vccnz .LBB300_23
; %bb.22:                               ;   in Loop: Header=BB300_21 Depth=1
	flat_load_ushort v0, v[28:29]
	s_waitcnt vmcnt(0) lgkmcnt(0)
	v_mul_f16_e32 v77, v42, v0
.LBB300_23:                             ;   in Loop: Header=BB300_21 Depth=1
	s_and_b64 vcc, exec, s[4:5]
	s_cbranch_vccnz .LBB300_25
; %bb.24:                               ;   in Loop: Header=BB300_21 Depth=1
	v_lshl_add_u64 v[0:1], v[26:27], 0, v[30:31]
	flat_load_ushort v2, v[0:1]
	flat_load_ushort v3, v[0:1] offset:128
	s_waitcnt vmcnt(0) lgkmcnt(0)
	v_mul_f16_e32 v78, v42, v2
	v_mul_f16_e32 v79, v42, v3
	s_branch .LBB300_26
.LBB300_25:                             ;   in Loop: Header=BB300_21 Depth=1
	v_mov_b32_e32 v78, 0
	v_mov_b32_e32 v79, 0
.LBB300_26:                             ;   in Loop: Header=BB300_21 Depth=1
	ds_read2_b64 v[0:3], v75 offset0:48 offset1:56
	ds_read2_b64 v[12:15], v76 offset0:64 offset1:96
	ds_read2_b64 v[20:23], v76 offset1:32
	ds_read2_b64 v[16:19], v75 offset1:8
	ds_read2_b64 v[8:11], v75 offset0:16 offset1:24
	ds_read2_b64 v[4:7], v75 offset0:32 offset1:40
	s_and_b64 vcc, exec, s[4:5]
	ds_write_b16 v72, v77
	ds_write_b16 v63, v78
	ds_write_b16 v63, v79 offset:512
	s_waitcnt lgkmcnt(0)
	s_barrier
	s_cbranch_vccnz .LBB300_28
; %bb.27:                               ;   in Loop: Header=BB300_21 Depth=1
	flat_load_ushort v77, v[28:29] offset:8
	s_waitcnt vmcnt(0) lgkmcnt(0)
	v_mul_f16_e32 v77, v42, v77
	s_branch .LBB300_29
.LBB300_28:                             ;   in Loop: Header=BB300_21 Depth=1
	v_mov_b32_e32 v77, 0
.LBB300_29:                             ;   in Loop: Header=BB300_21 Depth=1
	v_pk_max_f16 v98, v2, v2
	v_pk_max_f16 v94, v20, v20
	v_pk_max_f16 v95, v22, v22
	v_pk_max_f16 v96, v12, v12
	v_pk_max_f16 v79, v16, v16
	v_pk_max_f16 v99, v14, v14
	v_pk_max_f16 v81, v18, v18
	v_pk_max_f16 v84, v8, v8
	v_pk_max_f16 v87, v10, v10
	v_pk_max_f16 v90, v4, v4
	v_pk_max_f16 v93, v6, v6
	v_pk_max_f16 v0, v0, v0
	v_pk_max_f16 v117, v21, v21
	v_pk_max_f16 v118, v23, v23
	v_pk_max_f16 v119, v13, v13
	v_pk_max_f16 v120, v15, v15
	v_pk_max_f16 v5, v5, v5
	v_pk_min_f16 v2, v98, v94
	v_pk_min_f16 v20, v98, v95
	;; [unrolled: 1-line block ×26, first 2 shown]
	v_pk_max_f16 v0, v3, v3
	v_pk_max_f16 v100, v17, v17
	;; [unrolled: 1-line block ×5, first 2 shown]
	v_pk_min_f16 v109, v5, v117
	v_pk_min_f16 v110, v5, v118
	;; [unrolled: 1-line block ×4, first 2 shown]
	v_pk_max_f16 v5, v7, v7
	v_pk_max_f16 v1, v1, v1
	v_pk_min_f16 v81, v81, v99
	v_pk_min_f16 v84, v84, v99
	;; [unrolled: 1-line block ×33, first 2 shown]
	s_and_b64 vcc, exec, s[4:5]
	v_pk_min_f16 v7, v0, v120
	s_cbranch_vccz .LBB300_19
; %bb.30:                               ;   in Loop: Header=BB300_21 Depth=1
	v_mov_b32_e32 v0, 0
	v_mov_b32_e32 v1, 0
	s_branch .LBB300_20
.LBB300_31:
	s_load_dword s12, s[0:1], 0x58
	ds_read_b64 v[20:21], v54 offset:1024
	ds_read_b64 v[26:27], v53 offset:2560
	v_add_u32_e32 v28, s19, v44
	v_cmp_neq_f16_e64 s[4:5], 0, v32
	v_add_u32_e32 v16, s18, v43
	s_waitcnt lgkmcnt(0)
	v_mad_i64_i32 v[0:1], s[2:3], v28, s12, 0
	v_ashrrev_i32_e32 v17, 31, v16
	v_lshl_add_u64 v[22:23], v[0:1], 1, s[8:9]
	s_and_b64 vcc, exec, s[4:5]
	v_mov_b32_e32 v43, 0
	v_mov_b32_e32 v31, 0
	s_cbranch_vccz .LBB300_33
; %bb.32:
	v_lshl_add_u64 v[0:1], v[16:17], 1, v[22:23]
	flat_load_ushort v0, v[0:1]
	s_waitcnt vmcnt(0) lgkmcnt(0)
	v_mul_f16_e32 v31, v32, v0
.LBB300_33:
	ds_read_b64 v[24:25], v53 offset:3008
	ds_read_b64 v[18:19], v54 offset:1792
	ds_read2_b64 v[0:3], v54 offset0:160 offset1:192
	s_load_dword s13, s[0:1], 0x70
	s_load_dwordx2 s[2:3], s[0:1], 0x78
	v_pk_max_f16 v72, v20, v20
	v_pk_max_f16 v29, v26, v26
	v_add_u32_e32 v4, 0x800, v53
	v_pk_min_f16 v20, v29, v72
	s_waitcnt lgkmcnt(0)
	s_mul_i32 s0, s20, s3
	s_mul_hi_u32 s1, s20, s2
	ds_read2_b64 v[12:15], v4 offset0:72 offset1:80
	ds_read2_b64 v[8:11], v4 offset0:88 offset1:96
	;; [unrolled: 1-line block ×3, first 2 shown]
	s_add_i32 s1, s1, s0
	s_mul_i32 s0, s20, s2
	v_pk_add_f16 v20, v20, v71
	v_pk_max_f16 v71, v21, v21
	v_pk_max_f16 v30, v27, v27
	s_lshl_b64 s[0:1], s[0:1], 1
	v_pk_min_f16 v21, v30, v71
	s_add_u32 s2, s10, s0
	v_pk_add_f16 v42, v21, v20
	s_addc_u32 s3, s11, s1
	v_mad_i64_i32 v[26:27], s[0:1], v28, s13, 0
	v_add_f16_sdwa v42, v42, v42 dst_sel:DWORD dst_unused:UNUSED_PAD src0_sel:DWORD src1_sel:WORD_1
	v_add_u32_e32 v20, 8, v16
	v_lshl_add_u64 v[26:27], v[26:27], 1, s[2:3]
	v_add_f16_e32 v31, v42, v31
	v_cndmask_b32_e64 v42, 0, 1, s[4:5]
	v_ashrrev_i32_e32 v21, 31, v20
	v_lshl_add_u64 v[74:75], v[16:17], 1, v[26:27]
	v_cmp_ne_u32_e64 s[0:1], 1, v42
	s_andn2_b64 vcc, exec, s[4:5]
	global_store_short v[74:75], v31, off
	s_cbranch_vccnz .LBB300_35
; %bb.34:
	v_lshl_add_u64 v[42:43], v[20:21], 1, v[22:23]
	flat_load_ushort v31, v[42:43]
	s_waitcnt vmcnt(0) lgkmcnt(0)
	v_mul_f16_e32 v43, v32, v31
.LBB300_35:
	s_waitcnt lgkmcnt(2)
	v_pk_max_f16 v31, v12, v12
	v_pk_max_f16 v42, v13, v13
	v_pk_min_f16 v12, v31, v72
	v_pk_min_f16 v13, v42, v71
	v_pk_add_f16 v12, v12, v70
	v_lshl_add_u64 v[74:75], v[20:21], 1, v[26:27]
	v_pk_add_f16 v12, v13, v12
	s_and_b64 vcc, exec, s[0:1]
	v_add_f16_sdwa v44, v12, v12 dst_sel:DWORD dst_unused:UNUSED_PAD src0_sel:DWORD src1_sel:WORD_1
	v_add_u32_e32 v12, 16, v16
	v_ashrrev_i32_e32 v13, 31, v12
	v_add_f16_e32 v43, v44, v43
	v_mov_b32_e32 v63, 0
	v_mov_b32_e32 v53, 0
	global_store_short v[74:75], v43, off
	s_cbranch_vccnz .LBB300_37
; %bb.36:
	v_lshl_add_u64 v[74:75], v[12:13], 1, v[22:23]
	flat_load_ushort v43, v[74:75]
	s_waitcnt vmcnt(0) lgkmcnt(0)
	v_mul_f16_e32 v53, v32, v43
.LBB300_37:
	v_pk_max_f16 v43, v14, v14
	v_pk_max_f16 v44, v15, v15
	v_pk_min_f16 v14, v43, v72
	v_pk_min_f16 v15, v44, v71
	v_pk_add_f16 v14, v14, v69
	v_lshl_add_u64 v[74:75], v[12:13], 1, v[26:27]
	v_pk_add_f16 v14, v15, v14
	s_and_b64 vcc, exec, s[0:1]
	v_add_f16_sdwa v54, v14, v14 dst_sel:DWORD dst_unused:UNUSED_PAD src0_sel:DWORD src1_sel:WORD_1
	v_add_u32_e32 v14, 24, v16
	v_ashrrev_i32_e32 v15, 31, v14
	v_add_f16_e32 v53, v54, v53
	global_store_short v[74:75], v53, off
	s_cbranch_vccnz .LBB300_39
; %bb.38:
	v_lshl_add_u64 v[74:75], v[14:15], 1, v[22:23]
	flat_load_ushort v53, v[74:75]
	s_waitcnt vmcnt(0) lgkmcnt(0)
	v_mul_f16_e32 v63, v32, v53
.LBB300_39:
	s_waitcnt lgkmcnt(1)
	v_pk_max_f16 v53, v8, v8
	v_pk_max_f16 v54, v9, v9
	v_pk_min_f16 v8, v53, v72
	v_pk_min_f16 v9, v54, v71
	v_pk_add_f16 v8, v8, v68
	v_lshl_add_u64 v[68:69], v[14:15], 1, v[26:27]
	v_pk_add_f16 v8, v9, v8
	s_and_b64 vcc, exec, s[0:1]
	v_add_f16_sdwa v64, v8, v8 dst_sel:DWORD dst_unused:UNUSED_PAD src0_sel:DWORD src1_sel:WORD_1
	v_add_u32_e32 v8, 32, v16
	v_add_f16_e32 v63, v64, v63
	v_ashrrev_i32_e32 v9, 31, v8
	global_store_short v[68:69], v63, off
	v_mov_b32_e32 v68, 0
	v_mov_b32_e32 v69, 0
	s_cbranch_vccnz .LBB300_41
; %bb.40:
	v_lshl_add_u64 v[74:75], v[8:9], 1, v[22:23]
	flat_load_ushort v63, v[74:75]
	s_waitcnt vmcnt(0) lgkmcnt(0)
	v_mul_f16_e32 v69, v32, v63
.LBB300_41:
	v_pk_max_f16 v63, v10, v10
	v_pk_max_f16 v64, v11, v11
	v_pk_min_f16 v10, v63, v72
	v_pk_min_f16 v11, v64, v71
	v_pk_add_f16 v10, v10, v67
	v_lshl_add_u64 v[74:75], v[8:9], 1, v[26:27]
	v_pk_add_f16 v10, v11, v10
	s_and_b64 vcc, exec, s[0:1]
	v_add_f16_sdwa v67, v10, v10 dst_sel:DWORD dst_unused:UNUSED_PAD src0_sel:DWORD src1_sel:WORD_1
	v_add_u32_e32 v10, 40, v16
	v_ashrrev_i32_e32 v11, 31, v10
	v_add_f16_e32 v67, v67, v69
	global_store_short v[74:75], v67, off
	s_cbranch_vccnz .LBB300_43
; %bb.42:
	v_lshl_add_u64 v[68:69], v[10:11], 1, v[22:23]
	flat_load_ushort v67, v[68:69]
	s_waitcnt vmcnt(0) lgkmcnt(0)
	v_mul_f16_e32 v68, v32, v67
.LBB300_43:
	s_waitcnt lgkmcnt(0)
	v_pk_max_f16 v67, v4, v4
	s_and_b64 vcc, exec, s[0:1]
	v_pk_min_f16 v4, v67, v72
	s_nop 0
	v_pk_add_f16 v4, v4, v66
	v_pk_max_f16 v66, v5, v5
	s_nop 0
	v_pk_min_f16 v5, v66, v71
	s_nop 0
	v_pk_add_f16 v4, v5, v4
	s_nop 0
	v_add_f16_sdwa v69, v4, v4 dst_sel:DWORD dst_unused:UNUSED_PAD src0_sel:DWORD src1_sel:WORD_1
	v_add_u32_e32 v4, 48, v16
	v_add_f16_e32 v70, v69, v68
	v_lshl_add_u64 v[68:69], v[10:11], 1, v[26:27]
	v_ashrrev_i32_e32 v5, 31, v4
	global_store_short v[68:69], v70, off
	v_mov_b32_e32 v69, 0
	v_mov_b32_e32 v70, 0
	s_cbranch_vccnz .LBB300_45
; %bb.44:
	v_lshl_add_u64 v[74:75], v[4:5], 1, v[22:23]
	flat_load_ushort v68, v[74:75]
	s_waitcnt vmcnt(0) lgkmcnt(0)
	v_mul_f16_e32 v70, v32, v68
.LBB300_45:
	v_pk_max_f16 v68, v6, v6
	v_lshl_add_u64 v[74:75], v[4:5], 1, v[26:27]
	v_pk_min_f16 v6, v68, v72
	s_and_b64 vcc, exec, s[0:1]
	v_pk_add_f16 v6, v6, v65
	v_pk_max_f16 v65, v7, v7
	s_nop 0
	v_pk_min_f16 v7, v65, v71
	s_nop 0
	v_pk_add_f16 v6, v7, v6
	s_nop 0
	v_add_f16_sdwa v73, v6, v6 dst_sel:DWORD dst_unused:UNUSED_PAD src0_sel:DWORD src1_sel:WORD_1
	v_add_u32_e32 v6, 56, v16
	v_ashrrev_i32_e32 v7, 31, v6
	v_add_f16_e32 v70, v73, v70
	global_store_short v[74:75], v70, off
	s_cbranch_vccnz .LBB300_47
; %bb.46:
	v_lshl_add_u64 v[22:23], v[6:7], 1, v[22:23]
	flat_load_ushort v22, v[22:23]
	s_waitcnt vmcnt(0) lgkmcnt(0)
	v_mul_f16_e32 v69, v32, v22
.LBB300_47:
	v_pk_max_f16 v24, v24, v24
	v_pk_max_f16 v25, v25, v25
	v_pk_min_f16 v22, v24, v72
	v_pk_min_f16 v23, v25, v71
	v_pk_add_f16 v22, v22, v62
	s_and_b64 vcc, exec, s[0:1]
	v_pk_add_f16 v22, v23, v22
	v_mov_b32_e32 v70, 0
	v_add_f16_sdwa v22, v22, v22 dst_sel:DWORD dst_unused:UNUSED_PAD src0_sel:DWORD src1_sel:WORD_1
	v_add_f16_e32 v62, v22, v69
	v_lshl_add_u64 v[22:23], v[6:7], 1, v[26:27]
	v_add_u32_e32 v69, 32, v28
	global_store_short v[22:23], v62, off
	v_mad_i64_i32 v[22:23], s[4:5], v69, s12, 0
	v_lshl_add_u64 v[22:23], v[22:23], 1, s[8:9]
	v_mov_b32_e32 v62, 0
	s_cbranch_vccnz .LBB300_49
; %bb.48:
	v_lshl_add_u64 v[26:27], v[16:17], 1, v[22:23]
	flat_load_ushort v26, v[26:27]
	s_waitcnt vmcnt(0) lgkmcnt(0)
	v_mul_f16_e32 v70, v32, v26
.LBB300_49:
	v_pk_max_f16 v26, v0, v0
	v_pk_max_f16 v27, v1, v1
	v_pk_min_f16 v0, v29, v26
	v_pk_min_f16 v1, v30, v27
	v_pk_add_f16 v0, v0, v61
	s_and_b64 vcc, exec, s[0:1]
	v_pk_add_f16 v61, v1, v0
	v_mad_i64_i32 v[0:1], s[4:5], v69, s13, 0
	v_lshl_add_u64 v[0:1], v[0:1], 1, s[2:3]
	v_add_f16_sdwa v61, v61, v61 dst_sel:DWORD dst_unused:UNUSED_PAD src0_sel:DWORD src1_sel:WORD_1
	v_add_f16_e32 v61, v61, v70
	v_lshl_add_u64 v[70:71], v[16:17], 1, v[0:1]
	global_store_short v[70:71], v61, off
	s_cbranch_vccnz .LBB300_51
; %bb.50:
	v_lshl_add_u64 v[70:71], v[20:21], 1, v[22:23]
	flat_load_ushort v61, v[70:71]
	s_waitcnt vmcnt(0) lgkmcnt(0)
	v_mul_f16_e32 v62, v32, v61
.LBB300_51:
	v_pk_min_f16 v61, v31, v26
	s_and_b64 vcc, exec, s[0:1]
	v_pk_add_f16 v60, v61, v60
	v_pk_min_f16 v61, v42, v27
	s_nop 0
	v_pk_add_f16 v60, v61, v60
	s_nop 0
	v_add_f16_sdwa v60, v60, v60 dst_sel:DWORD dst_unused:UNUSED_PAD src0_sel:DWORD src1_sel:WORD_1
	v_add_f16_e32 v62, v60, v62
	v_lshl_add_u64 v[60:61], v[20:21], 1, v[0:1]
	global_store_short v[60:61], v62, off
	v_mov_b32_e32 v60, 0
	v_mov_b32_e32 v61, 0
	s_cbranch_vccnz .LBB300_53
; %bb.52:
	v_lshl_add_u64 v[70:71], v[12:13], 1, v[22:23]
	flat_load_ushort v61, v[70:71]
	s_waitcnt vmcnt(0) lgkmcnt(0)
	v_mul_f16_e32 v61, v32, v61
.LBB300_53:
	v_pk_min_f16 v62, v43, v26
	v_lshl_add_u64 v[70:71], v[12:13], 1, v[0:1]
	v_pk_add_f16 v58, v62, v58
	v_pk_min_f16 v62, v44, v27
	s_and_b64 vcc, exec, s[0:1]
	v_pk_add_f16 v58, v62, v58
	s_nop 0
	v_add_f16_sdwa v58, v58, v58 dst_sel:DWORD dst_unused:UNUSED_PAD src0_sel:DWORD src1_sel:WORD_1
	v_add_f16_e32 v58, v58, v61
	global_store_short v[70:71], v58, off
	s_cbranch_vccnz .LBB300_55
; %bb.54:
	v_lshl_add_u64 v[60:61], v[14:15], 1, v[22:23]
	flat_load_ushort v58, v[60:61]
	s_waitcnt vmcnt(0) lgkmcnt(0)
	v_mul_f16_e32 v60, v32, v58
.LBB300_55:
	v_pk_min_f16 v58, v53, v26
	s_and_b64 vcc, exec, s[0:1]
	v_pk_add_f16 v57, v58, v57
	v_pk_min_f16 v58, v54, v27
	s_nop 0
	v_pk_add_f16 v57, v58, v57
	v_mov_b32_e32 v58, 0
	v_add_f16_sdwa v57, v57, v57 dst_sel:DWORD dst_unused:UNUSED_PAD src0_sel:DWORD src1_sel:WORD_1
	v_add_f16_e32 v57, v57, v60
	v_lshl_add_u64 v[60:61], v[14:15], 1, v[0:1]
	global_store_short v[60:61], v57, off
	v_mov_b32_e32 v57, 0
	s_cbranch_vccnz .LBB300_57
; %bb.56:
	v_lshl_add_u64 v[60:61], v[8:9], 1, v[22:23]
	flat_load_ushort v58, v[60:61]
	s_waitcnt vmcnt(0) lgkmcnt(0)
	v_mul_f16_e32 v58, v32, v58
.LBB300_57:
	v_pk_min_f16 v60, v63, v26
	s_and_b64 vcc, exec, s[0:1]
	v_pk_add_f16 v56, v60, v56
	v_pk_min_f16 v60, v64, v27
	s_nop 0
	v_pk_add_f16 v56, v60, v56
	v_lshl_add_u64 v[60:61], v[8:9], 1, v[0:1]
	v_add_f16_sdwa v56, v56, v56 dst_sel:DWORD dst_unused:UNUSED_PAD src0_sel:DWORD src1_sel:WORD_1
	v_add_f16_e32 v56, v56, v58
	global_store_short v[60:61], v56, off
	s_cbranch_vccnz .LBB300_59
; %bb.58:
	v_lshl_add_u64 v[56:57], v[10:11], 1, v[22:23]
	flat_load_ushort v56, v[56:57]
	s_waitcnt vmcnt(0) lgkmcnt(0)
	v_mul_f16_e32 v57, v32, v56
.LBB300_59:
	v_pk_min_f16 v56, v67, v26
	v_pk_min_f16 v58, v66, v27
	v_pk_add_f16 v56, v56, v59
	s_and_b64 vcc, exec, s[0:1]
	v_pk_add_f16 v56, v58, v56
	s_nop 0
	v_add_f16_sdwa v56, v56, v56 dst_sel:DWORD dst_unused:UNUSED_PAD src0_sel:DWORD src1_sel:WORD_1
	v_add_f16_e32 v58, v56, v57
	v_lshl_add_u64 v[56:57], v[10:11], 1, v[0:1]
	global_store_short v[56:57], v58, off
	v_mov_b32_e32 v56, 0
	v_mov_b32_e32 v57, 0
	s_cbranch_vccnz .LBB300_61
; %bb.60:
	v_lshl_add_u64 v[58:59], v[4:5], 1, v[22:23]
	flat_load_ushort v57, v[58:59]
	s_waitcnt vmcnt(0) lgkmcnt(0)
	v_mul_f16_e32 v57, v32, v57
.LBB300_61:
	v_pk_min_f16 v58, v68, v26
	s_and_b64 vcc, exec, s[0:1]
	v_pk_add_f16 v55, v58, v55
	v_pk_min_f16 v58, v65, v27
	s_nop 0
	v_pk_add_f16 v55, v58, v55
	v_lshl_add_u64 v[58:59], v[4:5], 1, v[0:1]
	v_add_f16_sdwa v55, v55, v55 dst_sel:DWORD dst_unused:UNUSED_PAD src0_sel:DWORD src1_sel:WORD_1
	v_add_f16_e32 v55, v55, v57
	global_store_short v[58:59], v55, off
	s_cbranch_vccnz .LBB300_63
; %bb.62:
	v_lshl_add_u64 v[22:23], v[6:7], 1, v[22:23]
	flat_load_ushort v22, v[22:23]
	s_waitcnt vmcnt(0) lgkmcnt(0)
	v_mul_f16_e32 v56, v32, v22
.LBB300_63:
	v_pk_min_f16 v22, v24, v26
	v_pk_min_f16 v23, v25, v27
	v_pk_add_f16 v22, v22, v52
	v_lshl_add_u64 v[0:1], v[6:7], 1, v[0:1]
	v_pk_add_f16 v22, v23, v22
	v_add_u32_e32 v27, 64, v28
	v_add_f16_sdwa v22, v22, v22 dst_sel:DWORD dst_unused:UNUSED_PAD src0_sel:DWORD src1_sel:WORD_1
	v_add_f16_e32 v22, v22, v56
	global_store_short v[0:1], v22, off
	v_mad_i64_i32 v[0:1], s[4:5], v27, s12, 0
	v_lshl_add_u64 v[0:1], v[0:1], 1, s[8:9]
	s_and_b64 vcc, exec, s[0:1]
	v_mov_b32_e32 v26, 0
	v_mov_b32_e32 v52, 0
	s_cbranch_vccnz .LBB300_65
; %bb.64:
	v_lshl_add_u64 v[22:23], v[16:17], 1, v[0:1]
	flat_load_ushort v22, v[22:23]
	s_waitcnt vmcnt(0) lgkmcnt(0)
	v_mul_f16_e32 v52, v32, v22
.LBB300_65:
	v_pk_max_f16 v22, v2, v2
	v_pk_max_f16 v23, v3, v3
	v_pk_min_f16 v2, v29, v22
	v_pk_min_f16 v3, v30, v23
	v_pk_add_f16 v2, v2, v51
	s_and_b64 vcc, exec, s[0:1]
	v_pk_add_f16 v51, v3, v2
	v_mad_i64_i32 v[2:3], s[4:5], v27, s13, 0
	v_lshl_add_u64 v[2:3], v[2:3], 1, s[2:3]
	v_add_f16_sdwa v27, v51, v51 dst_sel:DWORD dst_unused:UNUSED_PAD src0_sel:DWORD src1_sel:WORD_1
	v_add_f16_e32 v27, v27, v52
	v_lshl_add_u64 v[56:57], v[16:17], 1, v[2:3]
	global_store_short v[56:57], v27, off
	s_cbranch_vccnz .LBB300_67
; %bb.66:
	v_lshl_add_u64 v[26:27], v[20:21], 1, v[0:1]
	flat_load_ushort v26, v[26:27]
	s_waitcnt vmcnt(0) lgkmcnt(0)
	v_mul_f16_e32 v26, v32, v26
.LBB300_67:
	v_pk_min_f16 v27, v31, v22
	s_and_b64 vcc, exec, s[0:1]
	v_pk_add_f16 v27, v27, v50
	v_pk_min_f16 v50, v42, v23
	s_nop 0
	v_pk_add_f16 v27, v50, v27
	s_nop 0
	v_add_f16_sdwa v27, v27, v27 dst_sel:DWORD dst_unused:UNUSED_PAD src0_sel:DWORD src1_sel:WORD_1
	v_add_f16_e32 v50, v27, v26
	v_lshl_add_u64 v[26:27], v[20:21], 1, v[2:3]
	global_store_short v[26:27], v50, off
	v_mov_b32_e32 v26, 0
	v_mov_b32_e32 v27, 0
	s_cbranch_vccnz .LBB300_69
; %bb.68:
	v_lshl_add_u64 v[50:51], v[12:13], 1, v[0:1]
	flat_load_ushort v27, v[50:51]
	s_waitcnt vmcnt(0) lgkmcnt(0)
	v_mul_f16_e32 v27, v32, v27
.LBB300_69:
	v_pk_min_f16 v50, v43, v22
	s_and_b64 vcc, exec, s[0:1]
	v_pk_add_f16 v49, v50, v49
	v_pk_min_f16 v50, v44, v23
	s_nop 0
	v_pk_add_f16 v49, v50, v49
	v_lshl_add_u64 v[50:51], v[12:13], 1, v[2:3]
	v_add_f16_sdwa v49, v49, v49 dst_sel:DWORD dst_unused:UNUSED_PAD src0_sel:DWORD src1_sel:WORD_1
	v_add_f16_e32 v27, v49, v27
	global_store_short v[50:51], v27, off
	s_cbranch_vccnz .LBB300_71
; %bb.70:
	v_lshl_add_u64 v[26:27], v[14:15], 1, v[0:1]
	flat_load_ushort v26, v[26:27]
	s_waitcnt vmcnt(0) lgkmcnt(0)
	v_mul_f16_e32 v26, v32, v26
.LBB300_71:
	v_pk_min_f16 v27, v53, v22
	s_and_b64 vcc, exec, s[0:1]
	v_pk_add_f16 v27, v27, v47
	v_pk_min_f16 v47, v54, v23
	s_nop 0
	v_pk_add_f16 v27, v47, v27
	s_nop 0
	v_add_f16_sdwa v27, v27, v27 dst_sel:DWORD dst_unused:UNUSED_PAD src0_sel:DWORD src1_sel:WORD_1
	v_add_f16_e32 v47, v27, v26
	v_lshl_add_u64 v[26:27], v[14:15], 1, v[2:3]
	global_store_short v[26:27], v47, off
	v_mov_b32_e32 v26, 0
	v_mov_b32_e32 v27, 0
	s_cbranch_vccnz .LBB300_73
; %bb.72:
	v_lshl_add_u64 v[50:51], v[8:9], 1, v[0:1]
	flat_load_ushort v27, v[50:51]
	s_waitcnt vmcnt(0) lgkmcnt(0)
	v_mul_f16_e32 v27, v32, v27
.LBB300_73:
	v_pk_min_f16 v47, v63, v22
	s_and_b64 vcc, exec, s[0:1]
	v_pk_add_f16 v46, v47, v46
	v_pk_min_f16 v47, v64, v23
	s_nop 0
	v_pk_add_f16 v46, v47, v46
	s_nop 0
	v_add_f16_sdwa v46, v46, v46 dst_sel:DWORD dst_unused:UNUSED_PAD src0_sel:DWORD src1_sel:WORD_1
	v_add_f16_e32 v27, v46, v27
	v_lshl_add_u64 v[46:47], v[8:9], 1, v[2:3]
	global_store_short v[46:47], v27, off
	s_cbranch_vccnz .LBB300_75
; %bb.74:
	v_lshl_add_u64 v[26:27], v[10:11], 1, v[0:1]
	flat_load_ushort v26, v[26:27]
	s_waitcnt vmcnt(0) lgkmcnt(0)
	v_mul_f16_e32 v26, v32, v26
.LBB300_75:
	v_pk_min_f16 v27, v67, v22
	v_pk_min_f16 v46, v66, v23
	v_pk_add_f16 v27, v27, v48
	s_and_b64 vcc, exec, s[0:1]
	v_pk_add_f16 v27, v46, v27
	s_nop 0
	v_add_f16_sdwa v27, v27, v27 dst_sel:DWORD dst_unused:UNUSED_PAD src0_sel:DWORD src1_sel:WORD_1
	v_add_f16_e32 v46, v27, v26
	v_lshl_add_u64 v[26:27], v[10:11], 1, v[2:3]
	global_store_short v[26:27], v46, off
	v_mov_b32_e32 v26, 0
	v_mov_b32_e32 v27, 0
	s_cbranch_vccnz .LBB300_77
; %bb.76:
	v_lshl_add_u64 v[46:47], v[4:5], 1, v[0:1]
	flat_load_ushort v27, v[46:47]
	s_waitcnt vmcnt(0) lgkmcnt(0)
	v_mul_f16_e32 v27, v32, v27
.LBB300_77:
	v_pk_min_f16 v46, v68, v22
	s_and_b64 vcc, exec, s[0:1]
	v_pk_add_f16 v45, v46, v45
	v_pk_min_f16 v46, v65, v23
	s_nop 0
	v_pk_add_f16 v45, v46, v45
	v_lshl_add_u64 v[46:47], v[4:5], 1, v[2:3]
	v_add_f16_sdwa v45, v45, v45 dst_sel:DWORD dst_unused:UNUSED_PAD src0_sel:DWORD src1_sel:WORD_1
	v_add_f16_e32 v27, v45, v27
	global_store_short v[46:47], v27, off
	s_cbranch_vccnz .LBB300_79
; %bb.78:
	v_lshl_add_u64 v[0:1], v[6:7], 1, v[0:1]
	flat_load_ushort v0, v[0:1]
	s_waitcnt vmcnt(0) lgkmcnt(0)
	v_mul_f16_e32 v26, v32, v0
.LBB300_79:
	v_pk_min_f16 v0, v24, v22
	v_pk_min_f16 v1, v25, v23
	v_pk_add_f16 v0, v0, v41
	s_and_b64 vcc, exec, s[0:1]
	v_pk_add_f16 v0, v1, v0
	v_mov_b32_e32 v23, 0
	v_add_f16_sdwa v0, v0, v0 dst_sel:DWORD dst_unused:UNUSED_PAD src0_sel:DWORD src1_sel:WORD_1
	v_add_f16_e32 v22, v0, v26
	v_lshl_add_u64 v[0:1], v[6:7], 1, v[2:3]
	v_add_u32_e32 v2, 0x60, v28
	global_store_short v[0:1], v22, off
	v_mad_i64_i32 v[0:1], s[4:5], v2, s12, 0
	v_lshl_add_u64 v[0:1], v[0:1], 1, s[8:9]
	v_mov_b32_e32 v22, 0
	s_cbranch_vccnz .LBB300_81
; %bb.80:
	v_lshl_add_u64 v[26:27], v[16:17], 1, v[0:1]
	flat_load_ushort v3, v[26:27]
	s_waitcnt vmcnt(0) lgkmcnt(0)
	v_mul_f16_e32 v23, v32, v3
.LBB300_81:
	v_pk_max_f16 v18, v18, v18
	v_pk_max_f16 v19, v19, v19
	v_pk_min_f16 v3, v29, v18
	v_pk_min_f16 v26, v30, v19
	v_pk_add_f16 v3, v3, v40
	s_and_b64 vcc, exec, s[0:1]
	v_pk_add_f16 v26, v26, v3
	v_mad_i64_i32 v[2:3], s[4:5], v2, s13, 0
	v_lshl_add_u64 v[2:3], v[2:3], 1, s[2:3]
	v_add_f16_sdwa v26, v26, v26 dst_sel:DWORD dst_unused:UNUSED_PAD src0_sel:DWORD src1_sel:WORD_1
	v_add_f16_e32 v23, v26, v23
	v_lshl_add_u64 v[16:17], v[16:17], 1, v[2:3]
	global_store_short v[16:17], v23, off
	s_cbranch_vccnz .LBB300_83
; %bb.82:
	v_lshl_add_u64 v[16:17], v[20:21], 1, v[0:1]
	flat_load_ushort v16, v[16:17]
	s_waitcnt vmcnt(0) lgkmcnt(0)
	v_mul_f16_e32 v22, v32, v16
.LBB300_83:
	v_pk_min_f16 v16, v31, v18
	v_pk_min_f16 v17, v42, v19
	v_pk_add_f16 v16, v16, v37
	s_and_b64 vcc, exec, s[0:1]
	v_pk_add_f16 v16, v17, v16
	s_nop 0
	v_add_f16_sdwa v16, v16, v16 dst_sel:DWORD dst_unused:UNUSED_PAD src0_sel:DWORD src1_sel:WORD_1
	v_add_f16_e32 v22, v16, v22
	v_lshl_add_u64 v[16:17], v[20:21], 1, v[2:3]
	global_store_short v[16:17], v22, off
	v_mov_b32_e32 v16, 0
	v_mov_b32_e32 v17, 0
	s_cbranch_vccnz .LBB300_85
; %bb.84:
	v_lshl_add_u64 v[20:21], v[12:13], 1, v[0:1]
	flat_load_ushort v17, v[20:21]
	s_waitcnt vmcnt(0) lgkmcnt(0)
	v_mul_f16_e32 v17, v32, v17
.LBB300_85:
	v_pk_min_f16 v20, v43, v18
	v_pk_min_f16 v21, v44, v19
	v_pk_add_f16 v20, v20, v36
	v_lshl_add_u64 v[12:13], v[12:13], 1, v[2:3]
	v_pk_add_f16 v20, v21, v20
	s_and_b64 vcc, exec, s[0:1]
	v_add_f16_sdwa v20, v20, v20 dst_sel:DWORD dst_unused:UNUSED_PAD src0_sel:DWORD src1_sel:WORD_1
	v_add_f16_e32 v17, v20, v17
	global_store_short v[12:13], v17, off
	s_cbranch_vccnz .LBB300_87
; %bb.86:
	v_lshl_add_u64 v[12:13], v[14:15], 1, v[0:1]
	flat_load_ushort v12, v[12:13]
	s_waitcnt vmcnt(0) lgkmcnt(0)
	v_mul_f16_e32 v16, v32, v12
.LBB300_87:
	v_pk_min_f16 v12, v53, v18
	v_pk_min_f16 v13, v54, v19
	v_pk_add_f16 v12, v12, v34
	s_and_b64 vcc, exec, s[0:1]
	v_pk_add_f16 v12, v13, v12
	s_nop 0
	v_add_f16_sdwa v12, v12, v12 dst_sel:DWORD dst_unused:UNUSED_PAD src0_sel:DWORD src1_sel:WORD_1
	v_add_f16_e32 v16, v12, v16
	v_lshl_add_u64 v[12:13], v[14:15], 1, v[2:3]
	global_store_short v[12:13], v16, off
	v_mov_b32_e32 v12, 0
	v_mov_b32_e32 v13, 0
	s_cbranch_vccnz .LBB300_89
; %bb.88:
	v_lshl_add_u64 v[14:15], v[8:9], 1, v[0:1]
	flat_load_ushort v13, v[14:15]
	s_waitcnt vmcnt(0) lgkmcnt(0)
	v_mul_f16_e32 v13, v32, v13
.LBB300_89:
	v_pk_min_f16 v14, v63, v18
	v_pk_min_f16 v15, v64, v19
	v_pk_add_f16 v14, v14, v38
	v_lshl_add_u64 v[8:9], v[8:9], 1, v[2:3]
	v_pk_add_f16 v14, v15, v14
	s_and_b64 vcc, exec, s[0:1]
	v_add_f16_sdwa v14, v14, v14 dst_sel:DWORD dst_unused:UNUSED_PAD src0_sel:DWORD src1_sel:WORD_1
	v_add_f16_e32 v13, v14, v13
	global_store_short v[8:9], v13, off
	s_cbranch_vccnz .LBB300_91
; %bb.90:
	v_lshl_add_u64 v[8:9], v[10:11], 1, v[0:1]
	flat_load_ushort v8, v[8:9]
	s_waitcnt vmcnt(0) lgkmcnt(0)
	v_mul_f16_e32 v12, v32, v8
.LBB300_91:
	v_pk_min_f16 v8, v67, v18
	v_pk_min_f16 v9, v66, v19
	v_pk_add_f16 v8, v8, v35
	v_pk_min_f16 v13, v65, v19
	v_pk_add_f16 v8, v9, v8
	v_pk_min_f16 v9, v68, v18
	v_add_f16_sdwa v8, v8, v8 dst_sel:DWORD dst_unused:UNUSED_PAD src0_sel:DWORD src1_sel:WORD_1
	v_pk_add_f16 v9, v9, v39
	v_add_f16_e32 v12, v8, v12
	v_pk_add_f16 v13, v13, v9
	v_lshl_add_u64 v[8:9], v[10:11], 1, v[2:3]
	global_store_short v[8:9], v12, off
	v_add_f16_sdwa v8, v13, v13 dst_sel:DWORD dst_unused:UNUSED_PAD src0_sel:DWORD src1_sel:WORD_1
	s_mov_b64 vcc, s[6:7]
	s_cbranch_vccz .LBB300_94
; %bb.92:
	v_add_f16_e32 v9, 0, v8
	v_lshl_add_u64 v[10:11], v[4:5], 1, v[2:3]
	s_mov_b32 s2, 0
	global_store_short v[10:11], v9, off
	s_cbranch_execz .LBB300_95
; %bb.93:
	v_mov_b32_e32 v0, s2
	s_branch .LBB300_96
.LBB300_94:
                                        ; implicit-def: $sgpr2
.LBB300_95:
	v_lshlrev_b64 v[4:5], 1, v[4:5]
	v_lshl_add_u64 v[10:11], v[0:1], 0, v[4:5]
	flat_load_ushort v9, v[10:11]
	v_lshl_add_u64 v[4:5], v[2:3], 0, v[4:5]
	v_lshl_add_u64 v[0:1], v[6:7], 1, v[0:1]
	s_waitcnt vmcnt(0) lgkmcnt(0)
	v_fma_f16 v8, v32, v9, v8
	global_store_short v[4:5], v8, off
	flat_load_ushort v0, v[0:1]
	s_waitcnt vmcnt(0) lgkmcnt(0)
	v_mul_f16_e32 v0, v32, v0
.LBB300_96:
	v_pk_min_f16 v4, v24, v18
	v_pk_min_f16 v1, v25, v19
	v_pk_add_f16 v4, v4, v33
	s_nop 0
	v_pk_add_f16 v1, v1, v4
	s_nop 0
	v_add_f16_sdwa v1, v1, v1 dst_sel:DWORD dst_unused:UNUSED_PAD src0_sel:DWORD src1_sel:WORD_1
	v_add_f16_e32 v4, v1, v0
	v_lshl_add_u64 v[0:1], v[6:7], 1, v[2:3]
	global_store_short v[0:1], v4, off
	s_endpgm
	.section	.rodata,"a",@progbits
	.p2align	6, 0x0
	.amdhsa_kernel _ZN12_GLOBAL__N_120geam_min_plus_kernelIDF16_Dv2_DF16_S1_Li8ELi32ELi64ELi128ELi4ELi4ELi64ELi64ELi4ELc84ELc84ELb0ELb0ELb0EPKDF16_S2_DF16_EEviiiT16_PT17_ilS6_ilS4_S6_ilPT18_ili26rocblas_geam_ex_operation_
		.amdhsa_group_segment_fixed_size 3072
		.amdhsa_private_segment_fixed_size 0
		.amdhsa_kernarg_size 136
		.amdhsa_user_sgpr_count 2
		.amdhsa_user_sgpr_dispatch_ptr 0
		.amdhsa_user_sgpr_queue_ptr 0
		.amdhsa_user_sgpr_kernarg_segment_ptr 1
		.amdhsa_user_sgpr_dispatch_id 0
		.amdhsa_user_sgpr_kernarg_preload_length 0
		.amdhsa_user_sgpr_kernarg_preload_offset 0
		.amdhsa_user_sgpr_private_segment_size 0
		.amdhsa_uses_dynamic_stack 0
		.amdhsa_enable_private_segment 0
		.amdhsa_system_sgpr_workgroup_id_x 1
		.amdhsa_system_sgpr_workgroup_id_y 0
		.amdhsa_system_sgpr_workgroup_id_z 1
		.amdhsa_system_sgpr_workgroup_info 0
		.amdhsa_system_vgpr_workitem_id 1
		.amdhsa_next_free_vgpr 122
		.amdhsa_next_free_sgpr 24
		.amdhsa_accum_offset 124
		.amdhsa_reserve_vcc 1
		.amdhsa_float_round_mode_32 0
		.amdhsa_float_round_mode_16_64 0
		.amdhsa_float_denorm_mode_32 3
		.amdhsa_float_denorm_mode_16_64 3
		.amdhsa_dx10_clamp 1
		.amdhsa_ieee_mode 1
		.amdhsa_fp16_overflow 0
		.amdhsa_tg_split 0
		.amdhsa_exception_fp_ieee_invalid_op 0
		.amdhsa_exception_fp_denorm_src 0
		.amdhsa_exception_fp_ieee_div_zero 0
		.amdhsa_exception_fp_ieee_overflow 0
		.amdhsa_exception_fp_ieee_underflow 0
		.amdhsa_exception_fp_ieee_inexact 0
		.amdhsa_exception_int_div_zero 0
	.end_amdhsa_kernel
	.section	.text._ZN12_GLOBAL__N_120geam_min_plus_kernelIDF16_Dv2_DF16_S1_Li8ELi32ELi64ELi128ELi4ELi4ELi64ELi64ELi4ELc84ELc84ELb0ELb0ELb0EPKDF16_S2_DF16_EEviiiT16_PT17_ilS6_ilS4_S6_ilPT18_ili26rocblas_geam_ex_operation_,"axG",@progbits,_ZN12_GLOBAL__N_120geam_min_plus_kernelIDF16_Dv2_DF16_S1_Li8ELi32ELi64ELi128ELi4ELi4ELi64ELi64ELi4ELc84ELc84ELb0ELb0ELb0EPKDF16_S2_DF16_EEviiiT16_PT17_ilS6_ilS4_S6_ilPT18_ili26rocblas_geam_ex_operation_,comdat
.Lfunc_end300:
	.size	_ZN12_GLOBAL__N_120geam_min_plus_kernelIDF16_Dv2_DF16_S1_Li8ELi32ELi64ELi128ELi4ELi4ELi64ELi64ELi4ELc84ELc84ELb0ELb0ELb0EPKDF16_S2_DF16_EEviiiT16_PT17_ilS6_ilS4_S6_ilPT18_ili26rocblas_geam_ex_operation_, .Lfunc_end300-_ZN12_GLOBAL__N_120geam_min_plus_kernelIDF16_Dv2_DF16_S1_Li8ELi32ELi64ELi128ELi4ELi4ELi64ELi64ELi4ELc84ELc84ELb0ELb0ELb0EPKDF16_S2_DF16_EEviiiT16_PT17_ilS6_ilS4_S6_ilPT18_ili26rocblas_geam_ex_operation_
                                        ; -- End function
	.section	.AMDGPU.csdata,"",@progbits
; Kernel info:
; codeLenInByte = 8940
; NumSgprs: 30
; NumVgprs: 122
; NumAgprs: 0
; TotalNumVgprs: 122
; ScratchSize: 0
; MemoryBound: 0
; FloatMode: 240
; IeeeMode: 1
; LDSByteSize: 3072 bytes/workgroup (compile time only)
; SGPRBlocks: 3
; VGPRBlocks: 15
; NumSGPRsForWavesPerEU: 30
; NumVGPRsForWavesPerEU: 122
; AccumOffset: 124
; Occupancy: 4
; WaveLimiterHint : 1
; COMPUTE_PGM_RSRC2:SCRATCH_EN: 0
; COMPUTE_PGM_RSRC2:USER_SGPR: 2
; COMPUTE_PGM_RSRC2:TRAP_HANDLER: 0
; COMPUTE_PGM_RSRC2:TGID_X_EN: 1
; COMPUTE_PGM_RSRC2:TGID_Y_EN: 0
; COMPUTE_PGM_RSRC2:TGID_Z_EN: 1
; COMPUTE_PGM_RSRC2:TIDIG_COMP_CNT: 1
; COMPUTE_PGM_RSRC3_GFX90A:ACCUM_OFFSET: 30
; COMPUTE_PGM_RSRC3_GFX90A:TG_SPLIT: 0
	.section	.text._ZN12_GLOBAL__N_120geam_min_plus_kernelIDF16_Dv2_DF16_S1_Li8ELi32ELi64ELi128ELi4ELi4ELi64ELi64ELi4ELc84ELc84ELb1ELb0ELb0EDF16_KDF16_DF16_EEviiiT16_PT17_ilS5_ilS3_S5_ilPT18_ili26rocblas_geam_ex_operation_,"axG",@progbits,_ZN12_GLOBAL__N_120geam_min_plus_kernelIDF16_Dv2_DF16_S1_Li8ELi32ELi64ELi128ELi4ELi4ELi64ELi64ELi4ELc84ELc84ELb1ELb0ELb0EDF16_KDF16_DF16_EEviiiT16_PT17_ilS5_ilS3_S5_ilPT18_ili26rocblas_geam_ex_operation_,comdat
	.globl	_ZN12_GLOBAL__N_120geam_min_plus_kernelIDF16_Dv2_DF16_S1_Li8ELi32ELi64ELi128ELi4ELi4ELi64ELi64ELi4ELc84ELc84ELb1ELb0ELb0EDF16_KDF16_DF16_EEviiiT16_PT17_ilS5_ilS3_S5_ilPT18_ili26rocblas_geam_ex_operation_ ; -- Begin function _ZN12_GLOBAL__N_120geam_min_plus_kernelIDF16_Dv2_DF16_S1_Li8ELi32ELi64ELi128ELi4ELi4ELi64ELi64ELi4ELc84ELc84ELb1ELb0ELb0EDF16_KDF16_DF16_EEviiiT16_PT17_ilS5_ilS3_S5_ilPT18_ili26rocblas_geam_ex_operation_
	.p2align	8
	.type	_ZN12_GLOBAL__N_120geam_min_plus_kernelIDF16_Dv2_DF16_S1_Li8ELi32ELi64ELi128ELi4ELi4ELi64ELi64ELi4ELc84ELc84ELb1ELb0ELb0EDF16_KDF16_DF16_EEviiiT16_PT17_ilS5_ilS3_S5_ilPT18_ili26rocblas_geam_ex_operation_,@function
_ZN12_GLOBAL__N_120geam_min_plus_kernelIDF16_Dv2_DF16_S1_Li8ELi32ELi64ELi128ELi4ELi4ELi64ELi64ELi4ELc84ELc84ELb1ELb0ELb0EDF16_KDF16_DF16_EEviiiT16_PT17_ilS5_ilS3_S5_ilPT18_ili26rocblas_geam_ex_operation_: ; @_ZN12_GLOBAL__N_120geam_min_plus_kernelIDF16_Dv2_DF16_S1_Li8ELi32ELi64ELi128ELi4ELi4ELi64ELi64ELi4ELc84ELc84ELb1ELb0ELb0EDF16_KDF16_DF16_EEviiiT16_PT17_ilS5_ilS3_S5_ilPT18_ili26rocblas_geam_ex_operation_
; %bb.0:
	s_load_dwordx2 s[14:15], s[0:1], 0x8
	s_load_dwordx4 s[4:7], s[0:1], 0x20
	s_waitcnt lgkmcnt(0)
	v_cmp_eq_f16_e64 s[8:9], s15, 0
	s_and_b64 vcc, exec, s[8:9]
	s_cbranch_vccnz .LBB301_3
; %bb.1:
	s_load_dwordx2 s[10:11], s[0:1], 0x10
	s_mul_i32 s5, s3, s5
	s_mul_hi_u32 s12, s3, s4
	s_add_i32 s5, s12, s5
	s_mul_i32 s4, s3, s4
	s_lshl_b64 s[4:5], s[4:5], 1
	s_waitcnt lgkmcnt(0)
	s_add_u32 s16, s10, s4
	s_addc_u32 s17, s11, s5
	s_andn2_b64 vcc, exec, s[8:9]
	s_cbranch_vccnz .LBB301_4
.LBB301_2:
	s_mov_b32 s13, 0
	s_mov_b64 s[18:19], 0
	s_cbranch_execz .LBB301_5
	s_branch .LBB301_6
.LBB301_3:
	s_mov_b64 s[16:17], 0
	s_andn2_b64 vcc, exec, s[8:9]
	s_cbranch_vccz .LBB301_2
.LBB301_4:
                                        ; implicit-def: $sgpr18_sgpr19
                                        ; implicit-def: $sgpr12_sgpr13
.LBB301_5:
	s_load_dwordx2 s[4:5], s[0:1], 0x38
	s_mov_b32 s13, 0
	s_waitcnt lgkmcnt(0)
	s_mul_i32 s5, s3, s5
	s_mul_hi_u32 s8, s3, s4
	s_add_i32 s5, s8, s5
	s_mul_i32 s4, s3, s4
	s_lshl_b64 s[4:5], s[4:5], 1
	s_add_u32 s18, s6, s4
	s_addc_u32 s19, s7, s5
.LBB301_6:
	s_load_dword s12, s[0:1], 0x40
	s_load_dwordx4 s[8:11], s[0:1], 0x58
	s_waitcnt lgkmcnt(0)
	v_cmp_eq_f16_e64 s[4:5], s12, 0
	s_and_b64 s[4:5], exec, s[4:5]
	s_mov_b64 vcc, s[4:5]
	s_cbranch_vccnz .LBB301_8
; %bb.7:
	s_load_dwordx2 s[6:7], s[0:1], 0x48
	s_mul_i32 s9, s3, s9
	s_mul_hi_u32 s15, s3, s8
	s_add_i32 s9, s15, s9
	s_mul_i32 s15, s13, s8
	s_add_i32 s9, s9, s15
	s_mul_i32 s8, s3, s8
	s_lshl_b64 s[8:9], s[8:9], 1
	s_waitcnt lgkmcnt(0)
	s_add_u32 s6, s6, s8
	s_addc_u32 s7, s7, s9
	s_branch .LBB301_9
.LBB301_8:
	s_mov_b64 s[6:7], 0
.LBB301_9:
	s_load_dword s8, s[0:1], 0x0
	s_load_dword s9, s[0:1], 0x18
	;; [unrolled: 1-line block ×3, first 2 shown]
	v_and_b32_e32 v33, 0x3ff, v0
	v_bfe_u32 v34, v0, 10, 10
	s_waitcnt lgkmcnt(0)
	s_add_i32 s8, s8, -1
	s_ashr_i32 s15, s8, 31
	s_lshr_b32 s15, s15, 26
	s_add_i32 s8, s8, s15
	s_ashr_i32 s8, s8, 6
	s_add_i32 s15, s8, 1
	v_cvt_f32_u32_e32 v1, s15
	s_not_b32 s8, s8
	v_lshlrev_b32_e32 v32, 3, v34
	v_and_b32_e32 v2, 3, v33
	v_rcp_iflag_f32_e32 v0, v1
	v_add_u32_e32 v1, v32, v33
	v_lshrrev_b32_e32 v11, 2, v1
	v_and_b32_e32 v14, 63, v1
	v_mul_f32_e32 v0, 0x4f7ffffe, v0
	v_cvt_u32_f32_e32 v0, v0
	v_lshrrev_b32_e32 v10, 6, v1
	v_lshlrev_b32_e32 v6, 1, v2
	v_mov_b32_e32 v7, 0
	v_readfirstlane_b32 s21, v0
	s_mul_i32 s8, s8, s21
	s_mul_hi_u32 s8, s21, s8
	s_add_i32 s21, s21, s8
	s_mul_hi_u32 s8, s2, s21
	s_mul_i32 s21, s8, s15
	s_sub_i32 s21, s2, s21
	s_add_i32 s22, s8, 1
	s_sub_i32 s23, s21, s15
	s_cmp_ge_u32 s21, s15
	s_cselect_b32 s8, s22, s8
	s_cselect_b32 s21, s23, s21
	s_add_i32 s22, s8, 1
	s_cmp_ge_u32 s21, s15
	s_cselect_b32 s8, s22, s8
	s_mul_i32 s15, s8, s15
	s_sub_i32 s2, s2, s15
	s_lshl_b32 s2, s2, 6
	s_lshl_b32 s15, s8, 7
	v_add_u32_e32 v0, s2, v11
	v_or_b32_e32 v8, s15, v14
	v_mad_i64_i32 v[4:5], s[8:9], v0, s9, 0
	v_mad_i64_i32 v[2:3], s[8:9], s20, v10, 0
	v_ashrrev_i32_e32 v9, 31, v8
	v_lshl_add_u64 v[2:3], v[2:3], 1, s[18:19]
	v_lshlrev_b64 v[12:13], 1, v[8:9]
	v_lshl_add_u64 v[0:1], v[4:5], 1, s[16:17]
	v_lshl_add_u64 v[2:3], v[2:3], 0, v[12:13]
	;; [unrolled: 1-line block ×3, first 2 shown]
	flat_load_ushort v15, v[2:3]
	flat_load_ushort v16, v[2:3] offset:128
	flat_load_ushort v17, v[0:1]
	v_add_u32_e32 v2, 4, v10
	v_mad_i64_i32 v[2:3], s[8:9], s20, v2, 0
	v_lshl_add_u64 v[2:3], v[2:3], 1, s[18:19]
	v_lshl_add_u64 v[2:3], v[2:3], 0, v[12:13]
	flat_load_ushort v38, v[2:3]
	flat_load_ushort v39, v[2:3] offset:128
	flat_load_ushort v40, v[0:1] offset:8
	v_lshlrev_b32_e32 v35, 3, v33
	v_lshlrev_b32_e32 v18, 1, v10
	v_add_u32_e32 v36, 0x800, v35
	v_lshl_add_u32 v37, v14, 3, v18
	v_lshl_or_b32 v11, v11, 3, v6
	s_cmp_lt_i32 s14, 9
	s_waitcnt vmcnt(0) lgkmcnt(0)
	ds_write_b16 v37, v15
	ds_write_b16 v37, v16 offset:512
	ds_write_b16 v11, v17 offset:2048
	s_waitcnt lgkmcnt(0)
	s_barrier
	ds_read2_b64 v[0:3], v36 offset0:48 offset1:56
	ds_read2_b64 v[12:15], v32 offset1:32
	ds_read2_b64 v[16:19], v32 offset0:64 offset1:96
	ds_read2_b64 v[20:23], v36 offset1:8
	ds_read2_b64 v[24:27], v36 offset0:16 offset1:24
	ds_read2_b64 v[28:31], v36 offset0:32 offset1:40
	s_waitcnt lgkmcnt(4)
	v_pk_max_f16 v12, v12, v12
	v_pk_max_f16 v2, v2, v2
	v_pk_max_f16 v14, v14, v14
	s_waitcnt lgkmcnt(3)
	v_pk_max_f16 v16, v16, v16
	s_waitcnt lgkmcnt(2)
	v_pk_max_f16 v20, v20, v20
	v_pk_max_f16 v18, v18, v18
	;; [unrolled: 1-line block ×3, first 2 shown]
	s_waitcnt lgkmcnt(1)
	v_pk_max_f16 v24, v24, v24
	v_pk_max_f16 v26, v26, v26
	s_waitcnt lgkmcnt(0)
	v_pk_max_f16 v28, v28, v28
	v_pk_max_f16 v30, v30, v30
	;; [unrolled: 1-line block ×4, first 2 shown]
	v_pk_min_f16 v44, v2, v12
	v_pk_max_f16 v3, v3, v3
	v_pk_max_f16 v15, v15, v15
	v_pk_min_f16 v41, v20, v12
	v_pk_min_f16 v42, v20, v14
	;; [unrolled: 1-line block ×31, first 2 shown]
	v_pk_add_f16 v18, v44, 0
	v_pk_min_f16 v44, v3, v13
	v_pk_max_f16 v17, v17, v17
	v_pk_add_f16 v58, v44, v18
	v_pk_add_f16 v18, v46, 0
	v_pk_min_f16 v44, v3, v15
	v_pk_max_f16 v21, v21, v21
	v_pk_add_f16 v51, v44, v18
	;; [unrolled: 4-line block ×9, first 2 shown]
	v_pk_add_f16 v18, v48, 0
	v_pk_min_f16 v20, v23, v17
	v_pk_add_f16 v12, v12, 0
	v_pk_add_f16 v53, v20, v18
	v_pk_add_f16 v18, v22, 0
	v_pk_min_f16 v20, v23, v19
	v_pk_add_f16 v21, v72, 0
	v_pk_add_f16 v45, v20, v18
	;; [unrolled: 4-line block ×5, first 2 shown]
	v_pk_add_f16 v18, v24, 0
	v_pk_min_f16 v20, v25, v19
	v_pk_min_f16 v24, v29, v19
	v_pk_add_f16 v43, v20, v18
	v_pk_add_f16 v18, v55, 0
	v_pk_min_f16 v20, v27, v13
	v_pk_add_f16 v23, v30, 0
	v_pk_add_f16 v67, v20, v18
	v_pk_add_f16 v18, v56, 0
	v_pk_min_f16 v20, v27, v15
	v_pk_add_f16 v16, v16, 0
	;; [unrolled: 4-line block ×3, first 2 shown]
	v_pk_add_f16 v54, v20, v18
	v_pk_add_f16 v18, v26, 0
	v_pk_min_f16 v20, v27, v19
	ds_write_b16 v11, v40 offset:2560
	ds_write_b16 v37, v38 offset:1024
	;; [unrolled: 1-line block ×3, first 2 shown]
	v_pk_add_f16 v47, v20, v18
	v_pk_add_f16 v18, v63, 0
	v_pk_min_f16 v20, v29, v13
	s_waitcnt lgkmcnt(0)
	v_pk_add_f16 v66, v20, v18
	v_pk_add_f16 v18, v69, 0
	v_pk_min_f16 v20, v29, v15
	s_barrier
	v_pk_add_f16 v62, v20, v18
	v_pk_add_f16 v18, v70, 0
	v_pk_min_f16 v20, v29, v17
	s_nop 0
	v_pk_add_f16 v55, v20, v18
	v_pk_add_f16 v18, v28, 0
	;; [unrolled: 1-line block ×4, first 2 shown]
	v_pk_min_f16 v18, v31, v13
	v_pk_min_f16 v13, v1, v13
	v_pk_add_f16 v69, v18, v20
	v_pk_min_f16 v18, v31, v15
	v_pk_add_f16 v77, v13, v12
	;; [unrolled: 2-line block ×4, first 2 shown]
	v_pk_min_f16 v12, v1, v17
	v_pk_min_f16 v1, v1, v19
	v_pk_add_f16 v56, v18, v22
	v_pk_min_f16 v18, v31, v19
	v_pk_add_f16 v71, v1, v0
	;; [unrolled: 2-line block ×3, first 2 shown]
	v_pk_add_f16 v72, v12, v16
	v_pk_add_f16 v70, v0, v2
	s_cbranch_scc1 .LBB301_12
; %bb.10:
	v_mov_b32_e32 v0, 0xa00
	v_lshl_add_u32 v41, v33, 3, v0
	v_add_u32_e32 v0, 12, v10
	v_mad_i64_i32 v[0:1], s[8:9], v0, s20, 0
	v_lshlrev_b64 v[26:27], 1, v[0:1]
	v_lshl_add_u64 v[0:1], v[4:5], 1, v[6:7]
	v_lshl_add_u64 v[0:1], v[0:1], 0, s[16:17]
	;; [unrolled: 1-line block ×3, first 2 shown]
	v_add_u32_e32 v0, 8, v10
	s_ashr_i32 s21, s20, 31
	v_mad_i64_i32 v[0:1], s[16:17], v0, s20, 0
	v_add_u32_e32 v38, 0x800, v11
	v_add_u32_e32 v39, 0xa00, v11
	v_or_b32_e32 v40, 0x400, v37
	s_add_i32 s14, s14, -8
	v_add_u32_e32 v42, 0x400, v32
	v_lshl_add_u64 v[24:25], v[8:9], 1, s[18:19]
	s_lshl_b64 s[8:9], s[20:21], 4
	v_lshlrev_b64 v[30:31], 1, v[0:1]
	s_mov_b32 s16, 0
.LBB301_11:                             ; =>This Inner Loop Header: Depth=1
	v_lshl_add_u64 v[0:1], v[24:25], 0, v[30:31]
	flat_load_ushort v73, v[28:29]
	flat_load_ushort v74, v[0:1]
	flat_load_ushort v75, v[0:1] offset:128
	ds_read2_b64 v[0:3], v41 offset0:48 offset1:56
	ds_read2_b64 v[4:7], v42 offset0:64 offset1:96
	ds_read2_b64 v[20:23], v42 offset1:32
	ds_read2_b64 v[16:19], v41 offset1:8
	ds_read2_b64 v[12:15], v41 offset0:16 offset1:24
	s_waitcnt lgkmcnt(0)
	v_pk_max_f16 v2, v2, v2
	v_pk_max_f16 v4, v4, v4
	;; [unrolled: 1-line block ×4, first 2 shown]
	v_pk_min_f16 v8, v2, v20
	v_pk_max_f16 v6, v6, v6
	v_pk_add_f16 v58, v8, v58
	v_pk_min_f16 v8, v2, v22
	v_pk_max_f16 v0, v0, v0
	v_pk_add_f16 v51, v8, v51
	v_pk_min_f16 v8, v2, v4
	v_pk_min_f16 v2, v2, v6
	v_pk_add_f16 v46, v8, v46
	v_pk_max_f16 v8, v16, v16
	v_pk_max_f16 v3, v3, v3
	v_pk_min_f16 v9, v8, v20
	v_pk_max_f16 v5, v5, v5
	v_pk_add_f16 v16, v9, v64
	v_pk_min_f16 v9, v8, v22
	v_pk_max_f16 v17, v17, v17
	v_pk_add_f16 v57, v9, v57
	v_pk_min_f16 v9, v8, v4
	v_pk_min_f16 v8, v8, v6
	v_pk_add_f16 v50, v9, v50
	v_pk_add_f16 v44, v8, v44
	v_pk_max_f16 v8, v18, v18
	v_pk_max_f16 v7, v7, v7
	v_pk_min_f16 v9, v8, v20
	v_pk_max_f16 v13, v13, v13
	v_pk_add_f16 v18, v9, v68
	v_pk_min_f16 v9, v8, v22
	v_pk_max_f16 v1, v1, v1
	v_pk_add_f16 v60, v9, v60
	v_pk_min_f16 v9, v8, v4
	v_pk_min_f16 v8, v8, v6
	v_pk_add_f16 v53, v9, v53
	v_pk_add_f16 v45, v8, v45
	v_pk_max_f16 v8, v12, v12
	v_pk_add_f16 v2, v2, v70
	v_pk_min_f16 v9, v8, v20
	s_add_i32 s16, s16, 8
	v_pk_add_f16 v12, v9, v65
	v_pk_min_f16 v9, v8, v22
	s_cmp_ge_i32 s16, s14
	v_pk_add_f16 v59, v9, v59
	v_pk_min_f16 v9, v8, v4
	v_pk_min_f16 v8, v8, v6
	v_pk_add_f16 v52, v9, v52
	v_pk_add_f16 v43, v8, v43
	v_pk_max_f16 v8, v14, v14
	s_nop 0
	v_pk_min_f16 v9, v8, v20
	s_nop 0
	v_pk_add_f16 v14, v9, v67
	v_pk_min_f16 v9, v8, v22
	s_nop 0
	v_pk_add_f16 v61, v9, v61
	v_pk_min_f16 v9, v8, v4
	v_pk_min_f16 v8, v8, v6
	v_pk_add_f16 v54, v9, v54
	v_pk_add_f16 v47, v8, v47
	ds_read2_b64 v[8:11], v41 offset0:32 offset1:40
	s_waitcnt vmcnt(0)
	ds_write_b16 v38, v73
	ds_write_b16 v37, v74
	ds_write_b16 v37, v75 offset:512
	s_waitcnt lgkmcnt(3)
	v_pk_max_f16 v8, v8, v8
	v_pk_max_f16 v10, v10, v10
	v_pk_min_f16 v65, v8, v22
	v_pk_min_f16 v64, v8, v20
	v_pk_add_f16 v62, v65, v62
	v_pk_min_f16 v65, v8, v4
	v_pk_min_f16 v8, v8, v6
	v_pk_add_f16 v55, v65, v55
	v_pk_min_f16 v65, v10, v22
	v_pk_add_f16 v8, v8, v48
	;; [unrolled: 2-line block ×3, first 2 shown]
	v_pk_min_f16 v65, v10, v4
	v_pk_min_f16 v10, v10, v6
	;; [unrolled: 1-line block ×6, first 2 shown]
	v_pk_max_f16 v6, v21, v21
	v_pk_add_f16 v10, v10, v49
	v_pk_min_f16 v21, v3, v6
	v_pk_add_f16 v56, v65, v56
	v_pk_add_f16 v49, v21, v58
	v_pk_max_f16 v21, v23, v23
	v_pk_add_f16 v64, v64, v66
	v_pk_min_f16 v23, v3, v21
	v_pk_max_f16 v9, v9, v9
	v_pk_add_f16 v51, v23, v51
	v_pk_min_f16 v23, v3, v5
	v_pk_add_f16 v48, v48, v69
	v_pk_add_f16 v46, v23, v46
	v_pk_min_f16 v23, v17, v6
	v_pk_add_f16 v20, v20, v77
	;; [unrolled: 3-line block ×4, first 2 shown]
	v_pk_add_f16 v50, v16, v50
	v_pk_min_f16 v16, v17, v7
	s_waitcnt lgkmcnt(0)
	v_pk_add_f16 v44, v16, v44
	v_pk_max_f16 v16, v19, v19
	s_barrier
	v_pk_min_f16 v17, v16, v6
	s_nop 0
	v_pk_add_f16 v65, v17, v18
	v_pk_min_f16 v17, v16, v21
	flat_load_ushort v73, v[28:29] offset:8
	v_pk_add_f16 v60, v17, v60
	v_pk_min_f16 v17, v16, v5
	v_pk_min_f16 v16, v16, v7
	v_pk_add_f16 v53, v17, v53
	v_pk_add_f16 v45, v16, v45
	v_pk_min_f16 v16, v13, v6
	v_pk_add_f16 v4, v4, v72
	v_pk_add_f16 v66, v16, v12
	v_pk_min_f16 v12, v13, v21
	v_lshl_add_u64 v[28:29], v[28:29], 0, 16
	v_pk_add_f16 v59, v12, v59
	v_pk_min_f16 v12, v13, v5
	s_nop 0
	v_pk_add_f16 v52, v12, v52
	v_pk_min_f16 v12, v13, v7
	s_nop 0
	v_pk_add_f16 v43, v12, v43
	v_pk_max_f16 v12, v15, v15
	s_nop 0
	v_pk_min_f16 v13, v12, v6
	s_nop 0
	v_pk_add_f16 v67, v13, v14
	v_pk_min_f16 v13, v12, v21
	s_nop 0
	v_pk_add_f16 v61, v13, v61
	v_pk_min_f16 v13, v12, v5
	v_pk_min_f16 v12, v12, v7
	v_pk_add_f16 v54, v13, v54
	v_pk_add_f16 v47, v12, v47
	v_pk_min_f16 v12, v9, v6
	s_nop 0
	v_pk_add_f16 v64, v12, v64
	v_pk_min_f16 v12, v9, v21
	s_nop 0
	v_pk_add_f16 v62, v12, v62
	v_pk_min_f16 v12, v9, v5
	v_pk_min_f16 v9, v9, v7
	v_pk_add_f16 v55, v12, v55
	v_pk_add_f16 v68, v9, v8
	v_pk_max_f16 v8, v11, v11
	s_nop 0
	v_pk_min_f16 v9, v8, v6
	v_pk_min_f16 v6, v1, v6
	v_pk_add_f16 v48, v9, v48
	v_pk_min_f16 v9, v8, v21
	v_pk_add_f16 v70, v6, v20
	v_pk_add_f16 v63, v9, v63
	v_pk_min_f16 v9, v8, v5
	v_pk_min_f16 v6, v1, v21
	;; [unrolled: 1-line block ×4, first 2 shown]
	v_pk_add_f16 v71, v6, v22
	v_pk_add_f16 v76, v1, v0
	v_pk_min_f16 v0, v3, v7
	v_pk_add_f16 v72, v5, v4
	v_pk_add_f16 v77, v0, v2
	v_lshl_add_u64 v[0:1], v[24:25], 0, v[26:27]
	flat_load_ushort v74, v[0:1]
	flat_load_ushort v75, v[0:1] offset:128
	ds_read2_b64 v[0:3], v36 offset0:48 offset1:56
	ds_read2_b64 v[12:15], v32 offset0:64 offset1:96
	ds_read2_b64 v[20:23], v32 offset1:32
	ds_read2_b64 v[16:19], v36 offset1:8
	v_pk_min_f16 v8, v8, v7
	s_waitcnt lgkmcnt(0)
	v_pk_max_f16 v78, v2, v2
	v_pk_max_f16 v12, v12, v12
	;; [unrolled: 1-line block ×4, first 2 shown]
	v_pk_min_f16 v2, v78, v20
	v_pk_add_f16 v56, v9, v56
	v_pk_add_f16 v49, v2, v49
	v_pk_max_f16 v2, v22, v22
	v_pk_add_f16 v69, v8, v10
	v_pk_min_f16 v4, v78, v2
	ds_read2_b64 v[8:11], v36 offset0:16 offset1:24
	v_pk_add_f16 v22, v4, v51
	v_pk_min_f16 v4, v78, v12
	v_pk_max_f16 v0, v0, v0
	v_pk_add_f16 v46, v4, v46
	v_pk_max_f16 v4, v16, v16
	v_pk_max_f16 v3, v3, v3
	v_pk_min_f16 v5, v4, v20
	v_pk_max_f16 v13, v13, v13
	v_pk_add_f16 v16, v5, v58
	v_pk_min_f16 v5, v4, v2
	v_pk_max_f16 v17, v17, v17
	v_pk_add_f16 v57, v5, v57
	v_pk_min_f16 v5, v4, v12
	v_pk_min_f16 v4, v4, v14
	v_pk_add_f16 v50, v5, v50
	v_pk_add_f16 v44, v4, v44
	v_pk_max_f16 v4, v18, v18
	s_waitcnt lgkmcnt(0)
	v_pk_max_f16 v9, v9, v9
	v_pk_min_f16 v5, v4, v20
	v_pk_max_f16 v1, v1, v1
	v_pk_add_f16 v18, v5, v65
	v_pk_min_f16 v5, v4, v2
	v_lshl_add_u64 v[24:25], v[24:25], 0, s[8:9]
	v_pk_add_f16 v60, v5, v60
	v_pk_min_f16 v5, v4, v12
	v_pk_min_f16 v4, v4, v14
	v_pk_add_f16 v53, v5, v53
	v_pk_add_f16 v45, v4, v45
	v_pk_max_f16 v4, v8, v8
	s_nop 0
	v_pk_min_f16 v5, v4, v20
	s_nop 0
	v_pk_add_f16 v65, v5, v66
	v_pk_min_f16 v5, v4, v2
	s_nop 0
	v_pk_add_f16 v59, v5, v59
	v_pk_min_f16 v5, v4, v12
	v_pk_min_f16 v4, v4, v14
	v_pk_add_f16 v52, v5, v52
	v_pk_add_f16 v43, v4, v43
	v_pk_max_f16 v4, v10, v10
	v_pk_max_f16 v10, v21, v21
	v_pk_min_f16 v5, v4, v20
	s_nop 0
	v_pk_add_f16 v66, v5, v67
	v_pk_min_f16 v5, v4, v2
	s_nop 0
	v_pk_add_f16 v61, v5, v61
	v_pk_min_f16 v5, v4, v12
	v_pk_min_f16 v4, v4, v14
	v_pk_add_f16 v54, v5, v54
	v_pk_add_f16 v47, v4, v47
	ds_read2_b64 v[4:7], v36 offset0:32 offset1:40
	s_waitcnt vmcnt(0)
	ds_write_b16 v39, v73
	ds_write_b16 v40, v74
	ds_write_b16 v40, v75 offset:512
	s_waitcnt lgkmcnt(3)
	v_pk_max_f16 v4, v4, v4
	v_pk_max_f16 v5, v5, v5
	v_pk_min_f16 v8, v4, v20
	s_waitcnt lgkmcnt(0)
	v_pk_add_f16 v79, v8, v64
	v_pk_min_f16 v8, v4, v2
	s_barrier
	v_pk_add_f16 v62, v8, v62
	v_pk_min_f16 v8, v4, v12
	v_pk_min_f16 v4, v4, v14
	v_pk_add_f16 v55, v8, v55
	v_pk_add_f16 v80, v4, v68
	v_pk_max_f16 v4, v6, v6
	s_nop 0
	v_pk_min_f16 v6, v4, v20
	s_nop 0
	v_pk_add_f16 v81, v6, v48
	v_pk_min_f16 v6, v4, v2
	v_pk_min_f16 v2, v0, v2
	v_pk_add_f16 v63, v6, v63
	v_pk_min_f16 v6, v4, v12
	v_pk_min_f16 v4, v4, v14
	v_pk_add_f16 v56, v6, v56
	v_pk_add_f16 v6, v2, v71
	v_pk_min_f16 v2, v0, v12
	v_pk_min_f16 v12, v3, v10
	v_pk_add_f16 v82, v4, v69
	v_pk_min_f16 v4, v0, v20
	v_pk_min_f16 v0, v0, v14
	v_pk_add_f16 v58, v12, v49
	v_pk_max_f16 v12, v23, v23
	v_pk_add_f16 v8, v4, v70
	v_pk_add_f16 v4, v2, v72
	;; [unrolled: 1-line block ×3, first 2 shown]
	v_pk_min_f16 v0, v78, v14
	v_pk_min_f16 v14, v3, v12
	v_pk_add_f16 v0, v0, v77
	v_pk_add_f16 v51, v14, v22
	v_pk_min_f16 v14, v3, v13
	s_nop 0
	v_pk_add_f16 v46, v14, v46
	v_pk_min_f16 v14, v17, v10
	s_nop 0
	;; [unrolled: 3-line block ×4, first 2 shown]
	v_pk_add_f16 v50, v14, v50
	v_pk_max_f16 v14, v15, v15
	s_nop 0
	v_pk_min_f16 v15, v17, v14
	s_nop 0
	v_pk_add_f16 v44, v15, v44
	v_pk_max_f16 v15, v19, v19
	s_nop 0
	v_pk_min_f16 v16, v15, v10
	s_nop 0
	v_pk_add_f16 v68, v16, v18
	v_pk_min_f16 v16, v15, v12
	s_nop 0
	v_pk_add_f16 v60, v16, v60
	v_pk_min_f16 v16, v15, v13
	v_pk_min_f16 v15, v15, v14
	v_pk_add_f16 v53, v16, v53
	v_pk_add_f16 v45, v15, v45
	v_pk_min_f16 v15, v9, v10
	s_nop 0
	v_pk_add_f16 v65, v15, v65
	v_pk_min_f16 v15, v9, v12
	s_nop 0
	v_pk_add_f16 v59, v15, v59
	v_pk_min_f16 v15, v9, v13
	v_pk_min_f16 v9, v9, v14
	v_pk_add_f16 v52, v15, v52
	v_pk_add_f16 v43, v9, v43
	v_pk_max_f16 v9, v11, v11
	s_nop 0
	v_pk_min_f16 v11, v9, v10
	s_nop 0
	v_pk_add_f16 v67, v11, v66
	v_pk_min_f16 v11, v9, v12
	s_nop 0
	v_pk_add_f16 v61, v11, v61
	v_pk_min_f16 v11, v9, v13
	v_pk_min_f16 v9, v9, v14
	v_pk_add_f16 v54, v11, v54
	v_pk_add_f16 v47, v9, v47
	v_pk_min_f16 v9, v5, v10
	s_nop 0
	v_pk_add_f16 v66, v9, v79
	v_pk_min_f16 v9, v5, v12
	s_nop 0
	v_pk_add_f16 v62, v9, v62
	v_pk_min_f16 v9, v5, v13
	v_pk_min_f16 v5, v5, v14
	v_pk_add_f16 v55, v9, v55
	;; [unrolled: 22-line block ×3, first 2 shown]
	v_pk_add_f16 v71, v1, v2
	v_pk_min_f16 v1, v3, v14
	s_nop 0
	v_pk_add_f16 v70, v1, v0
	s_cbranch_scc0 .LBB301_11
.LBB301_12:
	s_load_dword s14, s[0:1], 0x50
	ds_read_b64 v[20:21], v32 offset:1024
	ds_read_b64 v[26:27], v35 offset:2560
	v_add_u32_e32 v28, s15, v34
	v_cmp_neq_f16_e64 s[8:9], s12, 0
	v_add_u32_e32 v16, s2, v33
	s_waitcnt lgkmcnt(0)
	v_mad_i64_i32 v[0:1], s[16:17], v28, s14, 0
	v_ashrrev_i32_e32 v17, 31, v16
	v_lshl_add_u64 v[22:23], v[0:1], 1, s[6:7]
	s_and_b64 vcc, exec, s[8:9]
	v_mov_b32_e32 v33, 0
	v_mov_b32_e32 v31, 0
	s_cbranch_vccz .LBB301_14
; %bb.13:
	v_lshl_add_u64 v[0:1], v[16:17], 1, v[22:23]
	flat_load_ushort v0, v[0:1]
	s_waitcnt vmcnt(0) lgkmcnt(0)
	v_mul_f16_e32 v31, s12, v0
.LBB301_14:
	ds_read_b64 v[24:25], v35 offset:3008
	ds_read_b64 v[18:19], v32 offset:1792
	ds_read2_b64 v[0:3], v32 offset0:160 offset1:192
	s_load_dword s15, s[0:1], 0x68
	s_load_dwordx2 s[16:17], s[0:1], 0x70
	v_pk_max_f16 v73, v20, v20
	v_pk_max_f16 v29, v26, v26
	v_add_u32_e32 v4, 0x800, v35
	v_pk_min_f16 v20, v29, v73
	s_waitcnt lgkmcnt(0)
	s_mul_i32 s0, s3, s17
	s_mul_hi_u32 s1, s3, s16
	s_add_i32 s0, s1, s0
	s_mul_i32 s1, s13, s16
	ds_read2_b64 v[12:15], v4 offset0:72 offset1:80
	ds_read2_b64 v[8:11], v4 offset0:88 offset1:96
	;; [unrolled: 1-line block ×3, first 2 shown]
	s_add_i32 s1, s0, s1
	s_mul_i32 s0, s3, s16
	v_pk_add_f16 v20, v20, v64
	v_pk_max_f16 v64, v21, v21
	v_pk_max_f16 v30, v27, v27
	s_lshl_b64 s[0:1], s[0:1], 1
	v_pk_min_f16 v21, v30, v64
	s_add_u32 s2, s10, s0
	v_pk_add_f16 v32, v21, v20
	s_addc_u32 s3, s11, s1
	v_mad_i64_i32 v[26:27], s[0:1], v28, s15, 0
	v_add_f16_sdwa v32, v32, v32 dst_sel:DWORD dst_unused:UNUSED_PAD src0_sel:DWORD src1_sel:WORD_1
	v_add_u32_e32 v20, 8, v16
	v_lshl_add_u64 v[26:27], v[26:27], 1, s[2:3]
	v_add_f16_e32 v31, v32, v31
	v_cndmask_b32_e64 v32, 0, 1, s[8:9]
	v_ashrrev_i32_e32 v21, 31, v20
	v_lshl_add_u64 v[34:35], v[16:17], 1, v[26:27]
	v_cmp_ne_u32_e64 s[0:1], 1, v32
	s_andn2_b64 vcc, exec, s[8:9]
	global_store_short v[34:35], v31, off
	s_cbranch_vccnz .LBB301_16
; %bb.15:
	v_lshl_add_u64 v[32:33], v[20:21], 1, v[22:23]
	flat_load_ushort v31, v[32:33]
	s_waitcnt vmcnt(0) lgkmcnt(0)
	v_mul_f16_e32 v33, s12, v31
.LBB301_16:
	s_waitcnt lgkmcnt(2)
	v_pk_max_f16 v31, v12, v12
	v_pk_max_f16 v32, v13, v13
	v_pk_min_f16 v12, v31, v73
	v_pk_min_f16 v13, v32, v64
	v_pk_add_f16 v12, v12, v68
	s_and_b64 vcc, exec, s[0:1]
	v_pk_add_f16 v12, v13, v12
	v_mov_b32_e32 v37, 0
	v_add_f16_sdwa v34, v12, v12 dst_sel:DWORD dst_unused:UNUSED_PAD src0_sel:DWORD src1_sel:WORD_1
	v_add_u32_e32 v12, 16, v16
	v_add_f16_e32 v33, v34, v33
	v_lshl_add_u64 v[34:35], v[20:21], 1, v[26:27]
	v_ashrrev_i32_e32 v13, 31, v12
	global_store_short v[34:35], v33, off
	v_mov_b32_e32 v35, 0
	s_cbranch_vccnz .LBB301_18
; %bb.17:
	v_lshl_add_u64 v[34:35], v[12:13], 1, v[22:23]
	flat_load_ushort v33, v[34:35]
	s_waitcnt vmcnt(0) lgkmcnt(0)
	v_mul_f16_e32 v35, s12, v33
.LBB301_18:
	v_pk_max_f16 v33, v14, v14
	v_pk_max_f16 v34, v15, v15
	v_pk_min_f16 v14, v33, v73
	v_pk_min_f16 v15, v34, v64
	v_pk_add_f16 v14, v14, v65
	v_lshl_add_u64 v[38:39], v[12:13], 1, v[26:27]
	v_pk_add_f16 v14, v15, v14
	s_and_b64 vcc, exec, s[0:1]
	v_add_f16_sdwa v36, v14, v14 dst_sel:DWORD dst_unused:UNUSED_PAD src0_sel:DWORD src1_sel:WORD_1
	v_add_u32_e32 v14, 24, v16
	v_ashrrev_i32_e32 v15, 31, v14
	v_add_f16_e32 v35, v36, v35
	global_store_short v[38:39], v35, off
	s_cbranch_vccnz .LBB301_20
; %bb.19:
	v_lshl_add_u64 v[36:37], v[14:15], 1, v[22:23]
	flat_load_ushort v35, v[36:37]
	s_waitcnt vmcnt(0) lgkmcnt(0)
	v_mul_f16_e32 v37, s12, v35
.LBB301_20:
	s_waitcnt lgkmcnt(1)
	v_pk_max_f16 v35, v8, v8
	v_pk_max_f16 v36, v9, v9
	v_pk_min_f16 v8, v35, v73
	v_pk_min_f16 v9, v36, v64
	v_pk_add_f16 v8, v8, v67
	s_and_b64 vcc, exec, s[0:1]
	v_pk_add_f16 v8, v9, v8
	v_mov_b32_e32 v41, 0
	v_add_f16_sdwa v38, v8, v8 dst_sel:DWORD dst_unused:UNUSED_PAD src0_sel:DWORD src1_sel:WORD_1
	v_add_u32_e32 v8, 32, v16
	v_add_f16_e32 v37, v38, v37
	v_lshl_add_u64 v[38:39], v[14:15], 1, v[26:27]
	v_ashrrev_i32_e32 v9, 31, v8
	global_store_short v[38:39], v37, off
	v_mov_b32_e32 v39, 0
	s_cbranch_vccnz .LBB301_22
; %bb.21:
	v_lshl_add_u64 v[38:39], v[8:9], 1, v[22:23]
	flat_load_ushort v37, v[38:39]
	s_waitcnt vmcnt(0) lgkmcnt(0)
	v_mul_f16_e32 v39, s12, v37
.LBB301_22:
	v_pk_max_f16 v37, v10, v10
	v_pk_max_f16 v38, v11, v11
	v_pk_min_f16 v10, v37, v73
	v_pk_min_f16 v11, v38, v64
	v_pk_add_f16 v10, v10, v66
	v_lshl_add_u64 v[66:67], v[8:9], 1, v[26:27]
	v_pk_add_f16 v10, v11, v10
	s_and_b64 vcc, exec, s[0:1]
	v_add_f16_sdwa v40, v10, v10 dst_sel:DWORD dst_unused:UNUSED_PAD src0_sel:DWORD src1_sel:WORD_1
	v_add_u32_e32 v10, 40, v16
	v_ashrrev_i32_e32 v11, 31, v10
	v_add_f16_e32 v39, v40, v39
	global_store_short v[66:67], v39, off
	s_cbranch_vccnz .LBB301_24
; %bb.23:
	v_lshl_add_u64 v[40:41], v[10:11], 1, v[22:23]
	flat_load_ushort v39, v[40:41]
	s_waitcnt vmcnt(0) lgkmcnt(0)
	v_mul_f16_e32 v41, s12, v39
.LBB301_24:
	s_waitcnt lgkmcnt(0)
	v_pk_max_f16 v39, v4, v4
	v_pk_max_f16 v40, v5, v5
	v_pk_min_f16 v4, v39, v73
	v_pk_min_f16 v5, v40, v64
	v_pk_add_f16 v4, v4, v69
	v_lshl_add_u64 v[66:67], v[10:11], 1, v[26:27]
	v_pk_add_f16 v4, v5, v4
	s_and_b64 vcc, exec, s[0:1]
	v_add_f16_sdwa v42, v4, v4 dst_sel:DWORD dst_unused:UNUSED_PAD src0_sel:DWORD src1_sel:WORD_1
	v_add_u32_e32 v4, 48, v16
	v_add_f16_e32 v41, v42, v41
	v_ashrrev_i32_e32 v5, 31, v4
	global_store_short v[66:67], v41, off
	v_mov_b32_e32 v65, 0
	v_mov_b32_e32 v66, 0
	s_cbranch_vccnz .LBB301_26
; %bb.25:
	v_lshl_add_u64 v[66:67], v[4:5], 1, v[22:23]
	flat_load_ushort v41, v[66:67]
	s_waitcnt vmcnt(0) lgkmcnt(0)
	v_mul_f16_e32 v66, s12, v41
.LBB301_26:
	v_pk_max_f16 v41, v6, v6
	v_pk_max_f16 v42, v7, v7
	v_pk_min_f16 v6, v41, v73
	v_pk_min_f16 v7, v42, v64
	v_pk_add_f16 v6, v6, v77
	s_and_b64 vcc, exec, s[0:1]
	v_pk_add_f16 v6, v7, v6
	s_nop 0
	v_add_f16_sdwa v67, v6, v6 dst_sel:DWORD dst_unused:UNUSED_PAD src0_sel:DWORD src1_sel:WORD_1
	v_add_u32_e32 v6, 56, v16
	v_ashrrev_i32_e32 v7, 31, v6
	v_add_f16_e32 v68, v67, v66
	v_lshl_add_u64 v[66:67], v[4:5], 1, v[26:27]
	global_store_short v[66:67], v68, off
	s_cbranch_vccnz .LBB301_28
; %bb.27:
	v_lshl_add_u64 v[22:23], v[6:7], 1, v[22:23]
	flat_load_ushort v22, v[22:23]
	s_waitcnt vmcnt(0) lgkmcnt(0)
	v_mul_f16_e32 v65, s12, v22
.LBB301_28:
	v_pk_max_f16 v24, v24, v24
	v_pk_max_f16 v25, v25, v25
	v_pk_min_f16 v22, v24, v73
	v_pk_min_f16 v23, v25, v64
	v_pk_add_f16 v22, v22, v58
	v_add_u32_e32 v64, 32, v28
	v_pk_add_f16 v22, v23, v22
	s_and_b64 vcc, exec, s[0:1]
	v_add_f16_sdwa v22, v22, v22 dst_sel:DWORD dst_unused:UNUSED_PAD src0_sel:DWORD src1_sel:WORD_1
	v_add_f16_e32 v58, v22, v65
	v_lshl_add_u64 v[22:23], v[6:7], 1, v[26:27]
	global_store_short v[22:23], v58, off
	v_mad_i64_i32 v[22:23], s[8:9], v64, s14, 0
	v_lshl_add_u64 v[22:23], v[22:23], 1, s[6:7]
	v_mov_b32_e32 v58, 0
	v_mov_b32_e32 v65, 0
	s_cbranch_vccnz .LBB301_30
; %bb.29:
	v_lshl_add_u64 v[26:27], v[16:17], 1, v[22:23]
	flat_load_ushort v26, v[26:27]
	s_waitcnt vmcnt(0) lgkmcnt(0)
	v_mul_f16_e32 v65, s12, v26
.LBB301_30:
	v_pk_max_f16 v26, v0, v0
	v_pk_max_f16 v27, v1, v1
	v_pk_min_f16 v0, v29, v26
	v_pk_min_f16 v1, v30, v27
	v_pk_add_f16 v0, v0, v57
	s_and_b64 vcc, exec, s[0:1]
	v_pk_add_f16 v57, v1, v0
	v_mad_i64_i32 v[0:1], s[8:9], v64, s15, 0
	v_lshl_add_u64 v[0:1], v[0:1], 1, s[2:3]
	v_add_f16_sdwa v57, v57, v57 dst_sel:DWORD dst_unused:UNUSED_PAD src0_sel:DWORD src1_sel:WORD_1
	v_add_f16_e32 v57, v57, v65
	v_lshl_add_u64 v[64:65], v[16:17], 1, v[0:1]
	global_store_short v[64:65], v57, off
	s_cbranch_vccnz .LBB301_32
; %bb.31:
	v_lshl_add_u64 v[64:65], v[20:21], 1, v[22:23]
	flat_load_ushort v57, v[64:65]
	s_waitcnt vmcnt(0) lgkmcnt(0)
	v_mul_f16_e32 v58, s12, v57
.LBB301_32:
	v_pk_min_f16 v57, v31, v26
	v_lshl_add_u64 v[64:65], v[20:21], 1, v[0:1]
	v_pk_add_f16 v57, v57, v60
	v_pk_min_f16 v60, v32, v27
	s_and_b64 vcc, exec, s[0:1]
	v_pk_add_f16 v57, v60, v57
	s_nop 0
	v_add_f16_sdwa v57, v57, v57 dst_sel:DWORD dst_unused:UNUSED_PAD src0_sel:DWORD src1_sel:WORD_1
	v_add_f16_e32 v57, v57, v58
	global_store_short v[64:65], v57, off
	v_mov_b32_e32 v57, 0
	v_mov_b32_e32 v58, 0
	s_cbranch_vccnz .LBB301_34
; %bb.33:
	v_lshl_add_u64 v[64:65], v[12:13], 1, v[22:23]
	flat_load_ushort v58, v[64:65]
	s_waitcnt vmcnt(0) lgkmcnt(0)
	v_mul_f16_e32 v58, s12, v58
.LBB301_34:
	v_pk_min_f16 v60, v33, v26
	s_and_b64 vcc, exec, s[0:1]
	v_pk_add_f16 v59, v60, v59
	v_pk_min_f16 v60, v34, v27
	s_nop 0
	v_pk_add_f16 v59, v60, v59
	s_nop 0
	v_add_f16_sdwa v59, v59, v59 dst_sel:DWORD dst_unused:UNUSED_PAD src0_sel:DWORD src1_sel:WORD_1
	v_add_f16_e32 v60, v59, v58
	v_lshl_add_u64 v[58:59], v[12:13], 1, v[0:1]
	global_store_short v[58:59], v60, off
	s_cbranch_vccnz .LBB301_36
; %bb.35:
	v_lshl_add_u64 v[58:59], v[14:15], 1, v[22:23]
	flat_load_ushort v57, v[58:59]
	s_waitcnt vmcnt(0) lgkmcnt(0)
	v_mul_f16_e32 v57, s12, v57
.LBB301_36:
	v_pk_min_f16 v58, v35, v26
	v_pk_min_f16 v59, v36, v27
	v_pk_add_f16 v58, v58, v61
	s_and_b64 vcc, exec, s[0:1]
	v_pk_add_f16 v58, v59, v58
	s_nop 0
	v_add_f16_sdwa v58, v58, v58 dst_sel:DWORD dst_unused:UNUSED_PAD src0_sel:DWORD src1_sel:WORD_1
	v_add_f16_e32 v57, v58, v57
	v_lshl_add_u64 v[58:59], v[14:15], 1, v[0:1]
	global_store_short v[58:59], v57, off
	v_mov_b32_e32 v57, 0
	v_mov_b32_e32 v58, 0
	s_cbranch_vccnz .LBB301_38
; %bb.37:
	v_lshl_add_u64 v[58:59], v[8:9], 1, v[22:23]
	flat_load_ushort v58, v[58:59]
	s_waitcnt vmcnt(0) lgkmcnt(0)
	v_mul_f16_e32 v58, s12, v58
.LBB301_38:
	v_pk_min_f16 v59, v37, v26
	v_pk_min_f16 v60, v38, v27
	v_pk_add_f16 v59, v59, v62
	s_and_b64 vcc, exec, s[0:1]
	v_pk_add_f16 v59, v60, v59
	s_nop 0
	v_add_f16_sdwa v59, v59, v59 dst_sel:DWORD dst_unused:UNUSED_PAD src0_sel:DWORD src1_sel:WORD_1
	v_add_f16_e32 v60, v59, v58
	v_lshl_add_u64 v[58:59], v[8:9], 1, v[0:1]
	global_store_short v[58:59], v60, off
	s_cbranch_vccnz .LBB301_40
; %bb.39:
	v_lshl_add_u64 v[58:59], v[10:11], 1, v[22:23]
	flat_load_ushort v57, v[58:59]
	s_waitcnt vmcnt(0) lgkmcnt(0)
	v_mul_f16_e32 v57, s12, v57
.LBB301_40:
	v_pk_min_f16 v58, v39, v26
	v_pk_min_f16 v59, v40, v27
	v_pk_add_f16 v58, v58, v63
	s_and_b64 vcc, exec, s[0:1]
	v_pk_add_f16 v58, v59, v58
	s_nop 0
	v_add_f16_sdwa v58, v58, v58 dst_sel:DWORD dst_unused:UNUSED_PAD src0_sel:DWORD src1_sel:WORD_1
	v_add_f16_e32 v57, v58, v57
	v_lshl_add_u64 v[58:59], v[10:11], 1, v[0:1]
	global_store_short v[58:59], v57, off
	v_mov_b32_e32 v57, 0
	v_mov_b32_e32 v58, 0
	s_cbranch_vccnz .LBB301_42
; %bb.41:
	v_lshl_add_u64 v[58:59], v[4:5], 1, v[22:23]
	flat_load_ushort v58, v[58:59]
	s_waitcnt vmcnt(0) lgkmcnt(0)
	v_mul_f16_e32 v58, s12, v58
.LBB301_42:
	v_pk_min_f16 v59, v41, v26
	v_pk_min_f16 v60, v42, v27
	v_pk_add_f16 v59, v59, v76
	s_and_b64 vcc, exec, s[0:1]
	v_pk_add_f16 v59, v60, v59
	s_nop 0
	v_add_f16_sdwa v59, v59, v59 dst_sel:DWORD dst_unused:UNUSED_PAD src0_sel:DWORD src1_sel:WORD_1
	v_add_f16_e32 v60, v59, v58
	v_lshl_add_u64 v[58:59], v[4:5], 1, v[0:1]
	global_store_short v[58:59], v60, off
	s_cbranch_vccnz .LBB301_44
; %bb.43:
	v_lshl_add_u64 v[22:23], v[6:7], 1, v[22:23]
	flat_load_ushort v22, v[22:23]
	s_waitcnt vmcnt(0) lgkmcnt(0)
	v_mul_f16_e32 v57, s12, v22
.LBB301_44:
	v_pk_min_f16 v22, v24, v26
	v_pk_min_f16 v23, v25, v27
	v_pk_add_f16 v22, v22, v51
	v_lshl_add_u64 v[0:1], v[6:7], 1, v[0:1]
	v_pk_add_f16 v22, v23, v22
	v_add_u32_e32 v27, 64, v28
	v_add_f16_sdwa v22, v22, v22 dst_sel:DWORD dst_unused:UNUSED_PAD src0_sel:DWORD src1_sel:WORD_1
	v_add_f16_e32 v22, v22, v57
	global_store_short v[0:1], v22, off
	v_mad_i64_i32 v[0:1], s[8:9], v27, s14, 0
	v_lshl_add_u64 v[0:1], v[0:1], 1, s[6:7]
	s_and_b64 vcc, exec, s[0:1]
	v_mov_b32_e32 v26, 0
	v_mov_b32_e32 v51, 0
	s_cbranch_vccnz .LBB301_46
; %bb.45:
	v_lshl_add_u64 v[22:23], v[16:17], 1, v[0:1]
	flat_load_ushort v22, v[22:23]
	s_waitcnt vmcnt(0) lgkmcnt(0)
	v_mul_f16_e32 v51, s12, v22
.LBB301_46:
	v_pk_max_f16 v22, v2, v2
	v_pk_max_f16 v23, v3, v3
	v_pk_min_f16 v2, v29, v22
	v_pk_min_f16 v3, v30, v23
	v_pk_add_f16 v2, v2, v50
	s_and_b64 vcc, exec, s[0:1]
	v_pk_add_f16 v50, v3, v2
	v_mad_i64_i32 v[2:3], s[8:9], v27, s15, 0
	v_lshl_add_u64 v[2:3], v[2:3], 1, s[2:3]
	v_add_f16_sdwa v27, v50, v50 dst_sel:DWORD dst_unused:UNUSED_PAD src0_sel:DWORD src1_sel:WORD_1
	v_add_f16_e32 v27, v27, v51
	v_lshl_add_u64 v[50:51], v[16:17], 1, v[2:3]
	global_store_short v[50:51], v27, off
	s_cbranch_vccnz .LBB301_48
; %bb.47:
	v_lshl_add_u64 v[26:27], v[20:21], 1, v[0:1]
	flat_load_ushort v26, v[26:27]
	s_waitcnt vmcnt(0) lgkmcnt(0)
	v_mul_f16_e32 v26, s12, v26
.LBB301_48:
	v_pk_min_f16 v27, v31, v22
	v_pk_min_f16 v50, v32, v23
	v_pk_add_f16 v27, v27, v53
	s_and_b64 vcc, exec, s[0:1]
	v_pk_add_f16 v27, v50, v27
	s_nop 0
	v_add_f16_sdwa v27, v27, v27 dst_sel:DWORD dst_unused:UNUSED_PAD src0_sel:DWORD src1_sel:WORD_1
	v_add_f16_e32 v50, v27, v26
	v_lshl_add_u64 v[26:27], v[20:21], 1, v[2:3]
	global_store_short v[26:27], v50, off
	v_mov_b32_e32 v26, 0
	v_mov_b32_e32 v27, 0
	s_cbranch_vccnz .LBB301_50
; %bb.49:
	v_lshl_add_u64 v[50:51], v[12:13], 1, v[0:1]
	flat_load_ushort v27, v[50:51]
	s_waitcnt vmcnt(0) lgkmcnt(0)
	v_mul_f16_e32 v27, s12, v27
.LBB301_50:
	v_pk_min_f16 v50, v33, v22
	v_pk_min_f16 v51, v34, v23
	v_pk_add_f16 v50, v50, v52
	s_and_b64 vcc, exec, s[0:1]
	v_pk_add_f16 v50, v51, v50
	s_nop 0
	v_add_f16_sdwa v50, v50, v50 dst_sel:DWORD dst_unused:UNUSED_PAD src0_sel:DWORD src1_sel:WORD_1
	v_add_f16_e32 v27, v50, v27
	v_lshl_add_u64 v[50:51], v[12:13], 1, v[2:3]
	global_store_short v[50:51], v27, off
	s_cbranch_vccnz .LBB301_52
; %bb.51:
	v_lshl_add_u64 v[26:27], v[14:15], 1, v[0:1]
	flat_load_ushort v26, v[26:27]
	s_waitcnt vmcnt(0) lgkmcnt(0)
	v_mul_f16_e32 v26, s12, v26
.LBB301_52:
	v_pk_min_f16 v27, v35, v22
	v_pk_min_f16 v50, v36, v23
	v_pk_add_f16 v27, v27, v54
	s_and_b64 vcc, exec, s[0:1]
	v_pk_add_f16 v27, v50, v27
	s_nop 0
	v_add_f16_sdwa v27, v27, v27 dst_sel:DWORD dst_unused:UNUSED_PAD src0_sel:DWORD src1_sel:WORD_1
	v_add_f16_e32 v50, v27, v26
	v_lshl_add_u64 v[26:27], v[14:15], 1, v[2:3]
	global_store_short v[26:27], v50, off
	v_mov_b32_e32 v26, 0
	v_mov_b32_e32 v27, 0
	s_cbranch_vccnz .LBB301_54
; %bb.53:
	v_lshl_add_u64 v[50:51], v[8:9], 1, v[0:1]
	flat_load_ushort v27, v[50:51]
	s_waitcnt vmcnt(0) lgkmcnt(0)
	v_mul_f16_e32 v27, s12, v27
.LBB301_54:
	v_pk_min_f16 v50, v37, v22
	v_pk_min_f16 v51, v38, v23
	v_pk_add_f16 v50, v50, v55
	s_and_b64 vcc, exec, s[0:1]
	v_pk_add_f16 v50, v51, v50
	s_nop 0
	;; [unrolled: 36-line block ×3, first 2 shown]
	v_add_f16_sdwa v50, v50, v50 dst_sel:DWORD dst_unused:UNUSED_PAD src0_sel:DWORD src1_sel:WORD_1
	v_add_f16_e32 v27, v50, v27
	v_lshl_add_u64 v[50:51], v[4:5], 1, v[2:3]
	global_store_short v[50:51], v27, off
	s_cbranch_vccnz .LBB301_60
; %bb.59:
	v_lshl_add_u64 v[0:1], v[6:7], 1, v[0:1]
	flat_load_ushort v0, v[0:1]
	s_waitcnt vmcnt(0) lgkmcnt(0)
	v_mul_f16_e32 v26, s12, v0
.LBB301_60:
	v_pk_min_f16 v0, v24, v22
	v_pk_min_f16 v1, v25, v23
	v_pk_add_f16 v0, v0, v46
	s_and_b64 vcc, exec, s[0:1]
	v_pk_add_f16 v0, v1, v0
	v_mov_b32_e32 v23, 0
	v_add_f16_sdwa v0, v0, v0 dst_sel:DWORD dst_unused:UNUSED_PAD src0_sel:DWORD src1_sel:WORD_1
	v_add_f16_e32 v22, v0, v26
	v_lshl_add_u64 v[0:1], v[6:7], 1, v[2:3]
	v_add_u32_e32 v2, 0x60, v28
	global_store_short v[0:1], v22, off
	v_mad_i64_i32 v[0:1], s[8:9], v2, s14, 0
	v_lshl_add_u64 v[0:1], v[0:1], 1, s[6:7]
	v_mov_b32_e32 v22, 0
	s_cbranch_vccnz .LBB301_62
; %bb.61:
	v_lshl_add_u64 v[26:27], v[16:17], 1, v[0:1]
	flat_load_ushort v3, v[26:27]
	s_waitcnt vmcnt(0) lgkmcnt(0)
	v_mul_f16_e32 v23, s12, v3
.LBB301_62:
	v_pk_max_f16 v18, v18, v18
	v_pk_max_f16 v19, v19, v19
	v_pk_min_f16 v3, v29, v18
	v_pk_min_f16 v26, v30, v19
	v_pk_add_f16 v3, v3, v44
	s_and_b64 vcc, exec, s[0:1]
	v_pk_add_f16 v26, v26, v3
	v_mad_i64_i32 v[2:3], s[6:7], v2, s15, 0
	v_lshl_add_u64 v[2:3], v[2:3], 1, s[2:3]
	v_add_f16_sdwa v26, v26, v26 dst_sel:DWORD dst_unused:UNUSED_PAD src0_sel:DWORD src1_sel:WORD_1
	v_add_f16_e32 v23, v26, v23
	v_lshl_add_u64 v[16:17], v[16:17], 1, v[2:3]
	global_store_short v[16:17], v23, off
	s_cbranch_vccnz .LBB301_64
; %bb.63:
	v_lshl_add_u64 v[16:17], v[20:21], 1, v[0:1]
	flat_load_ushort v16, v[16:17]
	s_waitcnt vmcnt(0) lgkmcnt(0)
	v_mul_f16_e32 v22, s12, v16
.LBB301_64:
	v_pk_min_f16 v16, v31, v18
	v_pk_min_f16 v17, v32, v19
	v_pk_add_f16 v16, v16, v45
	s_and_b64 vcc, exec, s[0:1]
	v_pk_add_f16 v16, v17, v16
	s_nop 0
	v_add_f16_sdwa v16, v16, v16 dst_sel:DWORD dst_unused:UNUSED_PAD src0_sel:DWORD src1_sel:WORD_1
	v_add_f16_e32 v22, v16, v22
	v_lshl_add_u64 v[16:17], v[20:21], 1, v[2:3]
	global_store_short v[16:17], v22, off
	v_mov_b32_e32 v16, 0
	v_mov_b32_e32 v17, 0
	s_cbranch_vccnz .LBB301_66
; %bb.65:
	v_lshl_add_u64 v[20:21], v[12:13], 1, v[0:1]
	flat_load_ushort v17, v[20:21]
	s_waitcnt vmcnt(0) lgkmcnt(0)
	v_mul_f16_e32 v17, s12, v17
.LBB301_66:
	v_pk_min_f16 v20, v33, v18
	v_pk_min_f16 v21, v34, v19
	v_pk_add_f16 v20, v20, v43
	v_lshl_add_u64 v[12:13], v[12:13], 1, v[2:3]
	v_pk_add_f16 v20, v21, v20
	s_and_b64 vcc, exec, s[0:1]
	v_add_f16_sdwa v20, v20, v20 dst_sel:DWORD dst_unused:UNUSED_PAD src0_sel:DWORD src1_sel:WORD_1
	v_add_f16_e32 v17, v20, v17
	global_store_short v[12:13], v17, off
	s_cbranch_vccnz .LBB301_68
; %bb.67:
	v_lshl_add_u64 v[12:13], v[14:15], 1, v[0:1]
	flat_load_ushort v12, v[12:13]
	s_waitcnt vmcnt(0) lgkmcnt(0)
	v_mul_f16_e32 v16, s12, v12
.LBB301_68:
	v_pk_min_f16 v12, v35, v18
	v_pk_min_f16 v13, v36, v19
	v_pk_add_f16 v12, v12, v47
	s_and_b64 vcc, exec, s[0:1]
	v_pk_add_f16 v12, v13, v12
	s_nop 0
	v_add_f16_sdwa v12, v12, v12 dst_sel:DWORD dst_unused:UNUSED_PAD src0_sel:DWORD src1_sel:WORD_1
	v_add_f16_e32 v16, v12, v16
	v_lshl_add_u64 v[12:13], v[14:15], 1, v[2:3]
	global_store_short v[12:13], v16, off
	v_mov_b32_e32 v12, 0
	v_mov_b32_e32 v13, 0
	s_cbranch_vccnz .LBB301_70
; %bb.69:
	v_lshl_add_u64 v[14:15], v[8:9], 1, v[0:1]
	flat_load_ushort v13, v[14:15]
	s_waitcnt vmcnt(0) lgkmcnt(0)
	v_mul_f16_e32 v13, s12, v13
.LBB301_70:
	v_pk_min_f16 v14, v37, v18
	v_pk_min_f16 v15, v38, v19
	v_pk_add_f16 v14, v14, v48
	v_lshl_add_u64 v[8:9], v[8:9], 1, v[2:3]
	v_pk_add_f16 v14, v15, v14
	s_and_b64 vcc, exec, s[0:1]
	v_add_f16_sdwa v14, v14, v14 dst_sel:DWORD dst_unused:UNUSED_PAD src0_sel:DWORD src1_sel:WORD_1
	v_add_f16_e32 v13, v14, v13
	global_store_short v[8:9], v13, off
	s_cbranch_vccnz .LBB301_72
; %bb.71:
	v_lshl_add_u64 v[8:9], v[10:11], 1, v[0:1]
	flat_load_ushort v8, v[8:9]
	s_waitcnt vmcnt(0) lgkmcnt(0)
	v_mul_f16_e32 v12, s12, v8
.LBB301_72:
	v_pk_min_f16 v8, v39, v18
	v_pk_min_f16 v9, v40, v19
	v_pk_add_f16 v8, v8, v49
	v_pk_min_f16 v13, v42, v19
	v_pk_add_f16 v8, v9, v8
	v_pk_min_f16 v9, v41, v18
	v_add_f16_sdwa v8, v8, v8 dst_sel:DWORD dst_unused:UNUSED_PAD src0_sel:DWORD src1_sel:WORD_1
	v_pk_add_f16 v9, v9, v71
	v_add_f16_e32 v12, v8, v12
	v_pk_add_f16 v13, v13, v9
	v_lshl_add_u64 v[8:9], v[10:11], 1, v[2:3]
	global_store_short v[8:9], v12, off
	v_add_f16_sdwa v8, v13, v13 dst_sel:DWORD dst_unused:UNUSED_PAD src0_sel:DWORD src1_sel:WORD_1
	s_mov_b64 vcc, s[4:5]
	s_cbranch_vccz .LBB301_75
; %bb.73:
	v_add_f16_e32 v9, 0, v8
	v_lshl_add_u64 v[10:11], v[4:5], 1, v[2:3]
	s_mov_b32 s2, 0
	global_store_short v[10:11], v9, off
	s_cbranch_execz .LBB301_76
; %bb.74:
	v_mov_b32_e32 v0, s2
	s_branch .LBB301_77
.LBB301_75:
                                        ; implicit-def: $sgpr2
.LBB301_76:
	v_lshlrev_b64 v[4:5], 1, v[4:5]
	v_lshl_add_u64 v[10:11], v[0:1], 0, v[4:5]
	flat_load_ushort v9, v[10:11]
	v_lshl_add_u64 v[4:5], v[2:3], 0, v[4:5]
	v_lshl_add_u64 v[0:1], v[6:7], 1, v[0:1]
	s_waitcnt vmcnt(0) lgkmcnt(0)
	v_fma_f16 v8, v9, s12, v8
	global_store_short v[4:5], v8, off
	flat_load_ushort v0, v[0:1]
	s_waitcnt vmcnt(0) lgkmcnt(0)
	v_mul_f16_e32 v0, s12, v0
.LBB301_77:
	v_pk_min_f16 v4, v24, v18
	v_pk_min_f16 v1, v25, v19
	v_pk_add_f16 v4, v4, v70
	s_nop 0
	v_pk_add_f16 v1, v1, v4
	s_nop 0
	v_add_f16_sdwa v1, v1, v1 dst_sel:DWORD dst_unused:UNUSED_PAD src0_sel:DWORD src1_sel:WORD_1
	v_add_f16_e32 v4, v1, v0
	v_lshl_add_u64 v[0:1], v[6:7], 1, v[2:3]
	global_store_short v[0:1], v4, off
	s_endpgm
	.section	.rodata,"a",@progbits
	.p2align	6, 0x0
	.amdhsa_kernel _ZN12_GLOBAL__N_120geam_min_plus_kernelIDF16_Dv2_DF16_S1_Li8ELi32ELi64ELi128ELi4ELi4ELi64ELi64ELi4ELc84ELc84ELb1ELb0ELb0EDF16_KDF16_DF16_EEviiiT16_PT17_ilS5_ilS3_S5_ilPT18_ili26rocblas_geam_ex_operation_
		.amdhsa_group_segment_fixed_size 3072
		.amdhsa_private_segment_fixed_size 0
		.amdhsa_kernarg_size 128
		.amdhsa_user_sgpr_count 2
		.amdhsa_user_sgpr_dispatch_ptr 0
		.amdhsa_user_sgpr_queue_ptr 0
		.amdhsa_user_sgpr_kernarg_segment_ptr 1
		.amdhsa_user_sgpr_dispatch_id 0
		.amdhsa_user_sgpr_kernarg_preload_length 0
		.amdhsa_user_sgpr_kernarg_preload_offset 0
		.amdhsa_user_sgpr_private_segment_size 0
		.amdhsa_uses_dynamic_stack 0
		.amdhsa_enable_private_segment 0
		.amdhsa_system_sgpr_workgroup_id_x 1
		.amdhsa_system_sgpr_workgroup_id_y 0
		.amdhsa_system_sgpr_workgroup_id_z 1
		.amdhsa_system_sgpr_workgroup_info 0
		.amdhsa_system_vgpr_workitem_id 1
		.amdhsa_next_free_vgpr 83
		.amdhsa_next_free_sgpr 24
		.amdhsa_accum_offset 84
		.amdhsa_reserve_vcc 1
		.amdhsa_float_round_mode_32 0
		.amdhsa_float_round_mode_16_64 0
		.amdhsa_float_denorm_mode_32 3
		.amdhsa_float_denorm_mode_16_64 3
		.amdhsa_dx10_clamp 1
		.amdhsa_ieee_mode 1
		.amdhsa_fp16_overflow 0
		.amdhsa_tg_split 0
		.amdhsa_exception_fp_ieee_invalid_op 0
		.amdhsa_exception_fp_denorm_src 0
		.amdhsa_exception_fp_ieee_div_zero 0
		.amdhsa_exception_fp_ieee_overflow 0
		.amdhsa_exception_fp_ieee_underflow 0
		.amdhsa_exception_fp_ieee_inexact 0
		.amdhsa_exception_int_div_zero 0
	.end_amdhsa_kernel
	.section	.text._ZN12_GLOBAL__N_120geam_min_plus_kernelIDF16_Dv2_DF16_S1_Li8ELi32ELi64ELi128ELi4ELi4ELi64ELi64ELi4ELc84ELc84ELb1ELb0ELb0EDF16_KDF16_DF16_EEviiiT16_PT17_ilS5_ilS3_S5_ilPT18_ili26rocblas_geam_ex_operation_,"axG",@progbits,_ZN12_GLOBAL__N_120geam_min_plus_kernelIDF16_Dv2_DF16_S1_Li8ELi32ELi64ELi128ELi4ELi4ELi64ELi64ELi4ELc84ELc84ELb1ELb0ELb0EDF16_KDF16_DF16_EEviiiT16_PT17_ilS5_ilS3_S5_ilPT18_ili26rocblas_geam_ex_operation_,comdat
.Lfunc_end301:
	.size	_ZN12_GLOBAL__N_120geam_min_plus_kernelIDF16_Dv2_DF16_S1_Li8ELi32ELi64ELi128ELi4ELi4ELi64ELi64ELi4ELc84ELc84ELb1ELb0ELb0EDF16_KDF16_DF16_EEviiiT16_PT17_ilS5_ilS3_S5_ilPT18_ili26rocblas_geam_ex_operation_, .Lfunc_end301-_ZN12_GLOBAL__N_120geam_min_plus_kernelIDF16_Dv2_DF16_S1_Li8ELi32ELi64ELi128ELi4ELi4ELi64ELi64ELi4ELc84ELc84ELb1ELb0ELb0EDF16_KDF16_DF16_EEviiiT16_PT17_ilS5_ilS3_S5_ilPT18_ili26rocblas_geam_ex_operation_
                                        ; -- End function
	.section	.AMDGPU.csdata,"",@progbits
; Kernel info:
; codeLenInByte = 8760
; NumSgprs: 30
; NumVgprs: 83
; NumAgprs: 0
; TotalNumVgprs: 83
; ScratchSize: 0
; MemoryBound: 0
; FloatMode: 240
; IeeeMode: 1
; LDSByteSize: 3072 bytes/workgroup (compile time only)
; SGPRBlocks: 3
; VGPRBlocks: 10
; NumSGPRsForWavesPerEU: 30
; NumVGPRsForWavesPerEU: 83
; AccumOffset: 84
; Occupancy: 5
; WaveLimiterHint : 1
; COMPUTE_PGM_RSRC2:SCRATCH_EN: 0
; COMPUTE_PGM_RSRC2:USER_SGPR: 2
; COMPUTE_PGM_RSRC2:TRAP_HANDLER: 0
; COMPUTE_PGM_RSRC2:TGID_X_EN: 1
; COMPUTE_PGM_RSRC2:TGID_Y_EN: 0
; COMPUTE_PGM_RSRC2:TGID_Z_EN: 1
; COMPUTE_PGM_RSRC2:TIDIG_COMP_CNT: 1
; COMPUTE_PGM_RSRC3_GFX90A:ACCUM_OFFSET: 20
; COMPUTE_PGM_RSRC3_GFX90A:TG_SPLIT: 0
	.section	.text._ZN12_GLOBAL__N_120geam_min_plus_kernelIDF16_Dv2_DF16_S1_Li8ELi32ELi64ELi128ELi4ELi4ELi64ELi64ELi4ELc84ELc84ELb0ELb0ELb0EDF16_KDF16_DF16_EEviiiT16_PT17_ilS5_ilS3_S5_ilPT18_ili26rocblas_geam_ex_operation_,"axG",@progbits,_ZN12_GLOBAL__N_120geam_min_plus_kernelIDF16_Dv2_DF16_S1_Li8ELi32ELi64ELi128ELi4ELi4ELi64ELi64ELi4ELc84ELc84ELb0ELb0ELb0EDF16_KDF16_DF16_EEviiiT16_PT17_ilS5_ilS3_S5_ilPT18_ili26rocblas_geam_ex_operation_,comdat
	.globl	_ZN12_GLOBAL__N_120geam_min_plus_kernelIDF16_Dv2_DF16_S1_Li8ELi32ELi64ELi128ELi4ELi4ELi64ELi64ELi4ELc84ELc84ELb0ELb0ELb0EDF16_KDF16_DF16_EEviiiT16_PT17_ilS5_ilS3_S5_ilPT18_ili26rocblas_geam_ex_operation_ ; -- Begin function _ZN12_GLOBAL__N_120geam_min_plus_kernelIDF16_Dv2_DF16_S1_Li8ELi32ELi64ELi128ELi4ELi4ELi64ELi64ELi4ELc84ELc84ELb0ELb0ELb0EDF16_KDF16_DF16_EEviiiT16_PT17_ilS5_ilS3_S5_ilPT18_ili26rocblas_geam_ex_operation_
	.p2align	8
	.type	_ZN12_GLOBAL__N_120geam_min_plus_kernelIDF16_Dv2_DF16_S1_Li8ELi32ELi64ELi128ELi4ELi4ELi64ELi64ELi4ELc84ELc84ELb0ELb0ELb0EDF16_KDF16_DF16_EEviiiT16_PT17_ilS5_ilS3_S5_ilPT18_ili26rocblas_geam_ex_operation_,@function
_ZN12_GLOBAL__N_120geam_min_plus_kernelIDF16_Dv2_DF16_S1_Li8ELi32ELi64ELi128ELi4ELi4ELi64ELi64ELi4ELc84ELc84ELb0ELb0ELb0EDF16_KDF16_DF16_EEviiiT16_PT17_ilS5_ilS3_S5_ilPT18_ili26rocblas_geam_ex_operation_: ; @_ZN12_GLOBAL__N_120geam_min_plus_kernelIDF16_Dv2_DF16_S1_Li8ELi32ELi64ELi128ELi4ELi4ELi64ELi64ELi4ELc84ELc84ELb0ELb0ELb0EDF16_KDF16_DF16_EEviiiT16_PT17_ilS5_ilS3_S5_ilPT18_ili26rocblas_geam_ex_operation_
; %bb.0:
	s_load_dwordx2 s[14:15], s[0:1], 0x8
	s_load_dwordx4 s[4:7], s[0:1], 0x20
	s_waitcnt lgkmcnt(0)
	v_cmp_eq_f16_e64 s[8:9], s15, 0
	s_and_b64 vcc, exec, s[8:9]
	s_cbranch_vccnz .LBB302_3
; %bb.1:
	s_load_dwordx2 s[10:11], s[0:1], 0x10
	s_mul_i32 s5, s3, s5
	s_mul_hi_u32 s12, s3, s4
	s_add_i32 s5, s12, s5
	s_mul_i32 s4, s3, s4
	s_lshl_b64 s[4:5], s[4:5], 1
	s_waitcnt lgkmcnt(0)
	s_add_u32 s16, s10, s4
	s_addc_u32 s17, s11, s5
	s_andn2_b64 vcc, exec, s[8:9]
	s_cbranch_vccnz .LBB302_4
.LBB302_2:
	s_mov_b32 s13, 0
	s_mov_b64 s[18:19], 0
	s_cbranch_execz .LBB302_5
	s_branch .LBB302_6
.LBB302_3:
	s_mov_b64 s[16:17], 0
	s_andn2_b64 vcc, exec, s[8:9]
	s_cbranch_vccz .LBB302_2
.LBB302_4:
                                        ; implicit-def: $sgpr18_sgpr19
                                        ; implicit-def: $sgpr12_sgpr13
.LBB302_5:
	s_load_dwordx2 s[4:5], s[0:1], 0x38
	s_mov_b32 s13, 0
	s_waitcnt lgkmcnt(0)
	s_mul_i32 s5, s3, s5
	s_mul_hi_u32 s8, s3, s4
	s_add_i32 s5, s8, s5
	s_mul_i32 s4, s3, s4
	s_lshl_b64 s[4:5], s[4:5], 1
	s_add_u32 s18, s6, s4
	s_addc_u32 s19, s7, s5
.LBB302_6:
	s_load_dword s12, s[0:1], 0x40
	s_load_dwordx4 s[8:11], s[0:1], 0x58
	v_cmp_neq_f16_e64 s[20:21], s15, 0
	s_waitcnt lgkmcnt(0)
	v_cmp_eq_f16_e64 s[4:5], s12, 0
	s_and_b64 s[6:7], exec, s[4:5]
	s_mov_b64 vcc, s[6:7]
	s_cbranch_vccnz .LBB302_8
; %bb.7:
	s_load_dwordx2 s[4:5], s[0:1], 0x48
	s_mul_i32 s9, s3, s9
	s_mul_hi_u32 s22, s3, s8
	s_add_i32 s9, s22, s9
	s_mul_i32 s22, s13, s8
	s_add_i32 s9, s9, s22
	s_mul_i32 s8, s3, s8
	s_lshl_b64 s[8:9], s[8:9], 1
	s_waitcnt lgkmcnt(0)
	s_add_u32 s8, s4, s8
	s_addc_u32 s9, s5, s9
	s_branch .LBB302_9
.LBB302_8:
	s_mov_b64 s[8:9], 0
.LBB302_9:
	s_load_dword s4, s[0:1], 0x0
	s_load_dword s23, s[0:1], 0x18
	v_and_b32_e32 v41, 0x3ff, v0
	v_bfe_u32 v42, v0, 10, 10
	v_lshl_add_u32 v2, v42, 3, v41
	s_waitcnt lgkmcnt(0)
	s_add_i32 s4, s4, -1
	s_ashr_i32 s5, s4, 31
	s_lshr_b32 s5, s5, 26
	s_add_i32 s4, s4, s5
	s_ashr_i32 s22, s4, 6
	s_add_i32 s24, s22, 1
	v_cvt_f32_u32_e32 v1, s24
	s_not_b32 s22, s22
	v_and_b32_e32 v3, 3, v41
	v_lshrrev_b32_e32 v8, 2, v2
	v_rcp_iflag_f32_e32 v0, v1
	v_cndmask_b32_e64 v1, 0, 1, s[20:21]
	v_cmp_ne_u32_e64 s[4:5], 1, v1
	v_mul_f32_e32 v0, 0x4f7ffffe, v0
	v_cvt_u32_f32_e32 v0, v0
	s_nop 0
	v_readfirstlane_b32 s25, v0
	s_mul_i32 s22, s22, s25
	s_mul_hi_u32 s22, s25, s22
	s_add_i32 s25, s25, s22
	s_mul_hi_u32 s22, s2, s25
	s_mul_i32 s25, s22, s24
	s_sub_i32 s25, s2, s25
	s_add_i32 s26, s22, 1
	s_sub_i32 s27, s25, s24
	s_cmp_ge_u32 s25, s24
	s_cselect_b32 s22, s26, s22
	s_cselect_b32 s25, s27, s25
	s_add_i32 s26, s22, 1
	s_cmp_ge_u32 s25, s24
	s_cselect_b32 s22, s26, s22
	s_andn2_b64 vcc, exec, s[20:21]
	s_mul_i32 s20, s22, s24
	s_sub_i32 s2, s2, s20
	s_lshl_b32 s2, s2, 6
	v_add_u32_e32 v4, s2, v8
	v_lshlrev_b32_e32 v0, 1, v3
	s_cbranch_vccnz .LBB302_11
; %bb.10:
	v_mad_i64_i32 v[6:7], s[20:21], v4, s23, 0
	v_lshl_add_u64 v[6:7], v[6:7], 1, s[16:17]
	v_mov_b32_e32 v1, 0
	v_lshl_add_u64 v[6:7], v[6:7], 0, v[0:1]
	flat_load_ushort v1, v[6:7]
	s_waitcnt vmcnt(0) lgkmcnt(0)
	v_mul_f16_e32 v9, s15, v1
	s_branch .LBB302_12
.LBB302_11:
	v_mov_b32_e32 v9, 0
.LBB302_12:
	s_load_dword s20, s[0:1], 0x30
	v_and_b32_e32 v6, 63, v2
	s_lshl_b32 s22, s22, 7
	v_lshrrev_b32_e32 v5, 6, v2
	v_or_b32_e32 v2, s22, v6
	s_and_b64 vcc, exec, s[4:5]
	s_waitcnt lgkmcnt(0)
	s_ashr_i32 s21, s20, 31
	v_ashrrev_i32_e32 v3, 31, v2
	s_cbranch_vccnz .LBB302_16
; %bb.13:
	v_mad_i64_i32 v[10:11], s[24:25], s20, v5, 0
	v_lshl_add_u64 v[10:11], v[10:11], 1, s[18:19]
	v_lshl_add_u64 v[10:11], v[2:3], 1, v[10:11]
	flat_load_ushort v1, v[10:11]
	flat_load_ushort v7, v[10:11] offset:128
	s_waitcnt vmcnt(0) lgkmcnt(0)
	v_mul_f16_e32 v10, s15, v1
	v_mul_f16_e32 v11, s15, v7
	s_and_b64 vcc, exec, s[4:5]
	s_cbranch_vccnz .LBB302_17
.LBB302_14:
	v_mad_i64_i32 v[12:13], s[24:25], v4, s23, 0
	v_lshl_add_u64 v[12:13], v[12:13], 1, s[16:17]
	v_mov_b32_e32 v1, 0
	v_lshl_add_u64 v[12:13], v[12:13], 0, v[0:1]
	flat_load_ushort v1, v[12:13] offset:8
	s_waitcnt vmcnt(0) lgkmcnt(0)
	v_mul_f16_e32 v1, s15, v1
	s_and_b64 vcc, exec, s[4:5]
	s_cbranch_vccnz .LBB302_18
.LBB302_15:
	v_add_u32_e32 v7, 4, v5
	v_mad_i64_i32 v[12:13], s[24:25], s20, v7, 0
	v_lshl_add_u64 v[12:13], v[12:13], 1, s[18:19]
	v_lshl_add_u64 v[2:3], v[2:3], 1, v[12:13]
	flat_load_ushort v7, v[2:3]
	flat_load_ushort v12, v[2:3] offset:128
	s_waitcnt vmcnt(0) lgkmcnt(0)
	v_mul_f16_e32 v3, s15, v7
	v_mul_f16_e32 v7, s15, v12
	s_branch .LBB302_19
.LBB302_16:
	v_mov_b32_e32 v10, 0
	v_mov_b32_e32 v11, 0
	s_and_b64 vcc, exec, s[4:5]
	s_cbranch_vccz .LBB302_14
.LBB302_17:
	v_mov_b32_e32 v1, 0
	s_and_b64 vcc, exec, s[4:5]
	s_cbranch_vccz .LBB302_15
.LBB302_18:
	v_mov_b32_e32 v3, 0
	v_mov_b32_e32 v7, 0
.LBB302_19:
	v_lshl_or_b32 v2, v8, 3, v0
	v_lshlrev_b32_e32 v8, 1, v5
	v_lshl_add_u32 v61, v6, 3, v8
	v_lshlrev_b32_e32 v51, 3, v41
	v_lshlrev_b32_e32 v52, 3, v42
	ds_write_b16 v2, v9 offset:2048
	ds_write_b16 v61, v10
	ds_write_b16 v61, v11 offset:512
	s_waitcnt lgkmcnt(0)
	s_barrier
	ds_read2_b64 v[8:11], v52 offset1:32
	v_add_u32_e32 v62, 0x800, v51
	ds_read2_b64 v[12:15], v62 offset0:48 offset1:56
	ds_read2_b64 v[16:19], v52 offset0:64 offset1:96
	ds_read2_b64 v[20:23], v62 offset1:8
	ds_read2_b64 v[24:27], v62 offset0:16 offset1:24
	ds_read2_b64 v[28:31], v62 offset0:32 offset1:40
	s_waitcnt lgkmcnt(5)
	v_pk_max_f16 v8, v8, v8
	s_waitcnt lgkmcnt(4)
	v_pk_max_f16 v14, v14, v14
	v_pk_max_f16 v10, v10, v10
	v_pk_min_f16 v32, v14, v8
	s_waitcnt lgkmcnt(3)
	v_pk_max_f16 v16, v16, v16
	s_waitcnt lgkmcnt(2)
	v_pk_max_f16 v20, v20, v20
	v_pk_max_f16 v18, v18, v18
	v_pk_max_f16 v22, v22, v22
	s_waitcnt lgkmcnt(1)
	v_pk_max_f16 v24, v24, v24
	v_pk_max_f16 v26, v26, v26
	;; [unrolled: 4-line block ×3, first 2 shown]
	v_pk_max_f16 v12, v12, v12
	v_pk_max_f16 v15, v15, v15
	v_pk_min_f16 v33, v20, v8
	v_pk_min_f16 v34, v20, v10
	;; [unrolled: 1-line block ×14, first 2 shown]
	v_pk_max_f16 v11, v11, v11
	v_pk_min_f16 v54, v26, v16
	v_pk_min_f16 v26, v26, v18
	;; [unrolled: 1-line block ×17, first 2 shown]
	v_pk_add_f16 v18, v32, 0
	v_pk_min_f16 v32, v15, v9
	v_pk_max_f16 v17, v17, v17
	v_pk_add_f16 v60, v32, v18
	v_pk_add_f16 v18, v39, 0
	v_pk_min_f16 v32, v15, v11
	v_pk_max_f16 v21, v21, v21
	v_pk_add_f16 v50, v32, v18
	;; [unrolled: 4-line block ×6, first 2 shown]
	v_pk_add_f16 v18, v20, 0
	v_pk_min_f16 v20, v21, v19
	v_pk_min_f16 v21, v27, v19
	v_pk_add_f16 v39, v20, v18
	v_pk_add_f16 v18, v36, 0
	v_pk_min_f16 v20, v23, v9
	v_pk_max_f16 v13, v13, v13
	v_pk_add_f16 v68, v20, v18
	v_pk_add_f16 v18, v37, 0
	v_pk_min_f16 v20, v23, v11
	v_pk_add_f16 v8, v8, 0
	v_pk_add_f16 v58, v20, v18
	v_pk_add_f16 v18, v38, 0
	v_pk_min_f16 v20, v23, v17
	v_pk_add_f16 v10, v10, 0
	;; [unrolled: 4-line block ×8, first 2 shown]
	v_pk_add_f16 v66, v20, v18
	v_pk_add_f16 v18, v53, 0
	v_pk_min_f16 v20, v27, v11
	s_cmp_lt_i32 s14, 9
	v_pk_add_f16 v55, v20, v18
	v_pk_add_f16 v18, v54, 0
	v_pk_min_f16 v20, v27, v17
	ds_write_b16 v2, v1 offset:2560
	ds_write_b16 v61, v3 offset:1024
	ds_write_b16 v61, v7 offset:1536
	v_pk_add_f16 v45, v20, v18
	v_pk_add_f16 v18, v26, 0
	;; [unrolled: 1-line block ×4, first 2 shown]
	v_pk_max_f16 v18, v29, v29
	s_waitcnt lgkmcnt(0)
	v_pk_min_f16 v21, v18, v9
	s_barrier
	v_pk_add_f16 v65, v21, v20
	v_pk_add_f16 v20, v63, 0
	v_pk_min_f16 v21, v18, v11
	s_nop 0
	v_pk_add_f16 v54, v21, v20
	v_pk_add_f16 v20, v64, 0
	v_pk_min_f16 v21, v18, v17
	v_pk_min_f16 v18, v18, v19
	v_pk_add_f16 v44, v21, v20
	v_pk_add_f16 v20, v28, 0
	;; [unrolled: 1-line block ×4, first 2 shown]
	v_pk_max_f16 v18, v31, v31
	s_nop 0
	v_pk_min_f16 v20, v18, v9
	v_pk_min_f16 v9, v13, v9
	v_pk_add_f16 v64, v20, v21
	v_pk_add_f16 v63, v9, v8
	v_pk_min_f16 v8, v13, v11
	v_pk_min_f16 v20, v18, v11
	v_pk_add_f16 v53, v8, v10
	v_pk_min_f16 v8, v13, v17
	v_pk_add_f16 v56, v20, v22
	v_pk_add_f16 v43, v8, v16
	v_pk_min_f16 v8, v13, v19
	v_pk_min_f16 v20, v18, v17
	v_pk_min_f16 v18, v18, v19
	v_pk_add_f16 v38, v8, v12
	v_pk_min_f16 v8, v15, v19
	v_pk_add_f16 v46, v20, v23
	v_pk_add_f16 v33, v18, v24
	;; [unrolled: 1-line block ×3, first 2 shown]
	s_cbranch_scc1 .LBB302_33
; %bb.20:
	v_mov_b32_e32 v1, 0xa00
	v_lshl_add_u32 v73, v41, 3, v1
	v_mov_b32_e32 v1, 0x400
	v_lshl_add_u32 v74, v42, 3, v1
	v_add_u32_e32 v1, 12, v5
	v_add_u32_e32 v70, 0x800, v2
	;; [unrolled: 1-line block ×3, first 2 shown]
	v_mad_i64_i32 v[2:3], s[24:25], v1, s20, 0
	v_lshlrev_b64 v[24:25], 1, v[2:3]
	v_add_u32_e32 v2, s22, v6
	v_ashrrev_i32_e32 v3, 31, v2
	v_lshl_add_u64 v[26:27], v[2:3], 1, s[18:19]
	v_mad_i64_i32 v[2:3], s[24:25], s23, v4, 0
	v_mov_b32_e32 v1, 0
	v_lshl_add_u64 v[0:1], v[2:3], 1, v[0:1]
	v_lshl_add_u64 v[0:1], v[0:1], 0, s[16:17]
	;; [unrolled: 1-line block ×3, first 2 shown]
	v_add_u32_e32 v0, 8, v5
	v_mad_i64_i32 v[0:1], s[16:17], v0, s20, 0
	v_or_b32_e32 v72, 0x400, v61
	s_add_i32 s14, s14, -8
	s_lshl_b64 s[18:19], s[20:21], 4
	v_lshlrev_b64 v[30:31], 1, v[0:1]
	s_mov_b32 s16, 0
	s_branch .LBB302_23
.LBB302_21:                             ;   in Loop: Header=BB302_23 Depth=1
	v_lshl_add_u64 v[0:1], v[26:27], 0, v[24:25]
	flat_load_ushort v118, v[0:1]
	flat_load_ushort v119, v[0:1] offset:128
	s_waitcnt vmcnt(0) lgkmcnt(0)
	v_mul_f16_e32 v0, s15, v118
	v_mul_f16_e32 v1, s15, v119
.LBB302_22:                             ;   in Loop: Header=BB302_23 Depth=1
	v_pk_add_f16 v20, v20, v50
	v_pk_add_f16 v12, v12, v40
	;; [unrolled: 1-line block ×18, first 2 shown]
	ds_read2_b64 v[8:11], v62 offset0:48 offset1:56
	ds_read2_b64 v[12:15], v52 offset1:32
	v_pk_add_f16 v16, v16, v69
	v_pk_add_f16 v4, v4, v65
	;; [unrolled: 1-line block ×3, first 2 shown]
	s_waitcnt lgkmcnt(1)
	v_pk_max_f16 v10, v10, v10
	s_waitcnt lgkmcnt(0)
	v_pk_max_f16 v12, v12, v12
	v_pk_add_f16 v18, v18, v68
	v_pk_add_f16 v39, v77, v58
	;; [unrolled: 1-line block ×9, first 2 shown]
	ds_read2_b64 v[2:5], v52 offset0:64 offset1:96
	v_pk_min_f16 v16, v10, v12
	v_pk_add_f16 v59, v19, v18
	v_pk_add_f16 v7, v7, v32
	;; [unrolled: 1-line block ×3, first 2 shown]
	ds_read2_b64 v[16:19], v62 offset1:8
	v_pk_max_f16 v14, v14, v14
	s_waitcnt lgkmcnt(1)
	v_pk_max_f16 v2, v2, v2
	v_pk_min_f16 v57, v10, v14
	v_pk_add_f16 v39, v98, v39
	v_pk_add_f16 v57, v57, v20
	v_pk_min_f16 v20, v10, v2
	s_waitcnt lgkmcnt(0)
	v_pk_max_f16 v16, v16, v16
	v_pk_add_f16 v65, v20, v21
	v_pk_min_f16 v20, v16, v12
	v_pk_max_f16 v18, v18, v18
	v_pk_add_f16 v58, v20, v58
	v_pk_min_f16 v20, v16, v14
	v_pk_add_f16 v36, v79, v36
	v_pk_add_f16 v66, v20, v22
	v_pk_min_f16 v20, v16, v2
	v_pk_max_f16 v4, v4, v4
	v_pk_add_f16 v67, v20, v23
	v_pk_min_f16 v20, v18, v12
	v_pk_add_f16 v36, v100, v36
	v_pk_add_f16 v68, v20, v59
	v_pk_min_f16 v20, v18, v14
	v_pk_add_f16 v48, v78, v48
	v_pk_add_f16 v80, v20, v39
	ds_read2_b64 v[20:23], v62 offset0:16 offset1:24
	v_pk_min_f16 v39, v18, v2
	v_pk_min_f16 v18, v18, v4
	v_pk_add_f16 v47, v81, v47
	v_pk_add_f16 v18, v18, v36
	s_waitcnt lgkmcnt(0)
	v_pk_max_f16 v20, v20, v20
	v_pk_add_f16 v35, v82, v35
	v_pk_min_f16 v36, v20, v12
	v_pk_add_f16 v49, v101, v49
	v_pk_add_f16 v81, v36, v60
	v_pk_min_f16 v36, v20, v14
	ds_read2_b64 v[76:79], v62 offset0:32 offset1:40
	v_pk_add_f16 v35, v103, v35
	v_pk_add_f16 v82, v36, v49
	v_pk_min_f16 v36, v20, v2
	v_pk_min_f16 v20, v20, v4
	v_pk_max_f16 v22, v22, v22
	v_pk_add_f16 v20, v20, v35
	v_pk_min_f16 v35, v22, v12
	v_pk_add_f16 v34, v85, v34
	v_pk_add_f16 v50, v104, v50
	;; [unrolled: 1-line block ×3, first 2 shown]
	v_pk_min_f16 v35, v22, v14
	v_pk_add_f16 v45, v84, v45
	v_pk_add_f16 v34, v106, v34
	;; [unrolled: 1-line block ×3, first 2 shown]
	v_pk_min_f16 v35, v22, v2
	v_pk_min_f16 v22, v22, v4
	v_pk_add_f16 v45, v105, v45
	v_pk_add_f16 v22, v22, v34
	s_waitcnt lgkmcnt(0)
	v_pk_max_f16 v34, v76, v76
	v_pk_add_f16 v54, v86, v54
	v_pk_add_f16 v45, v35, v45
	v_pk_min_f16 v35, v34, v12
	v_pk_add_f16 v37, v88, v37
	v_pk_add_f16 v54, v108, v54
	;; [unrolled: 1-line block ×3, first 2 shown]
	v_pk_min_f16 v35, v34, v14
	v_pk_add_f16 v44, v87, v44
	v_pk_add_f16 v37, v110, v37
	;; [unrolled: 1-line block ×3, first 2 shown]
	v_pk_min_f16 v35, v34, v2
	v_pk_min_f16 v34, v34, v4
	v_pk_add_f16 v44, v109, v44
	v_pk_add_f16 v37, v34, v37
	v_pk_max_f16 v34, v78, v78
	v_pk_add_f16 v6, v111, v6
	v_pk_add_f16 v44, v35, v44
	v_pk_min_f16 v35, v34, v12
	v_pk_add_f16 v55, v112, v55
	v_pk_add_f16 v6, v35, v6
	v_pk_min_f16 v35, v34, v14
	v_pk_max_f16 v8, v8, v8
	v_pk_min_f16 v16, v16, v4
	v_pk_add_f16 v76, v35, v55
	v_pk_min_f16 v35, v34, v2
	v_pk_min_f16 v34, v34, v4
	v_pk_min_f16 v12, v8, v12
	v_pk_min_f16 v14, v8, v14
	v_pk_min_f16 v2, v8, v2
	v_pk_min_f16 v8, v8, v4
	v_pk_min_f16 v4, v10, v4
	v_pk_max_f16 v10, v13, v13
	v_pk_add_f16 v4, v4, v7
	v_pk_max_f16 v7, v11, v11
	v_pk_max_f16 v3, v3, v3
	v_pk_min_f16 v11, v7, v10
	v_pk_add_f16 v16, v16, v40
	v_pk_add_f16 v60, v11, v32
	v_pk_max_f16 v11, v15, v15
	v_pk_max_f16 v5, v5, v5
	v_pk_min_f16 v13, v7, v11
	v_pk_add_f16 v48, v99, v48
	v_pk_add_f16 v50, v13, v57
	v_pk_min_f16 v13, v7, v3
	v_pk_add_f16 v48, v39, v48
	v_pk_add_f16 v40, v13, v65
	v_pk_max_f16 v13, v17, v17
	v_pk_add_f16 v47, v102, v47
	v_pk_min_f16 v15, v13, v10
	v_pk_add_f16 v47, v36, v47
	v_pk_add_f16 v69, v15, v58
	v_pk_min_f16 v15, v13, v11
	v_pk_add_f16 v46, v90, v46
	v_pk_add_f16 v59, v15, v66
	v_pk_min_f16 v15, v13, v3
	v_pk_min_f16 v13, v13, v5
	v_pk_add_f16 v49, v15, v67
	v_pk_add_f16 v39, v13, v16
	v_pk_max_f16 v13, v19, v19
	v_pk_add_f16 v46, v113, v46
	v_pk_min_f16 v15, v13, v10
	v_pk_add_f16 v46, v35, v46
	v_pk_add_f16 v68, v15, v68
	v_pk_min_f16 v15, v13, v11
	v_pk_add_f16 v33, v91, v33
	v_pk_add_f16 v58, v15, v80
	v_pk_min_f16 v15, v13, v3
	;; [unrolled: 12-line block ×5, first 2 shown]
	v_pk_min_f16 v13, v13, v5
	v_pk_add_f16 v44, v15, v44
	v_pk_add_f16 v37, v13, v37
	v_pk_max_f16 v13, v79, v79
	v_pk_add_f16 v8, v8, v38
	v_pk_min_f16 v15, v13, v10
	v_pk_add_f16 v14, v14, v53
	v_pk_add_f16 v64, v15, v6
	v_pk_min_f16 v6, v13, v11
	s_add_i32 s16, s16, 8
	v_pk_add_f16 v56, v6, v76
	v_pk_min_f16 v6, v13, v3
	v_lshl_add_u64 v[26:27], v[26:27], 0, s[18:19]
	v_pk_add_f16 v46, v6, v46
	v_pk_min_f16 v6, v13, v5
	s_cmp_ge_i32 s16, s14
	v_pk_add_f16 v33, v6, v33
	v_pk_max_f16 v6, v9, v9
	v_lshl_add_u64 v[28:29], v[28:29], 0, 16
	v_pk_min_f16 v3, v6, v3
	v_pk_min_f16 v9, v6, v10
	v_pk_add_f16 v43, v3, v2
	v_pk_min_f16 v2, v6, v5
	v_pk_add_f16 v63, v9, v12
	;; [unrolled: 2-line block ×4, first 2 shown]
	v_pk_add_f16 v32, v2, v4
	ds_write_b16 v71, v75
	ds_write_b16 v72, v0
	ds_write_b16 v72, v1 offset:512
	s_waitcnt lgkmcnt(0)
	s_barrier
	s_cbranch_scc1 .LBB302_33
.LBB302_23:                             ; =>This Inner Loop Header: Depth=1
	s_and_b64 vcc, exec, s[4:5]
	v_mov_b32_e32 v75, 0
	s_cbranch_vccnz .LBB302_25
; %bb.24:                               ;   in Loop: Header=BB302_23 Depth=1
	flat_load_ushort v0, v[28:29]
	s_waitcnt vmcnt(0) lgkmcnt(0)
	v_mul_f16_e32 v75, s15, v0
.LBB302_25:                             ;   in Loop: Header=BB302_23 Depth=1
	s_and_b64 vcc, exec, s[4:5]
	s_cbranch_vccnz .LBB302_27
; %bb.26:                               ;   in Loop: Header=BB302_23 Depth=1
	v_lshl_add_u64 v[0:1], v[26:27], 0, v[30:31]
	flat_load_ushort v2, v[0:1]
	flat_load_ushort v3, v[0:1] offset:128
	s_waitcnt vmcnt(0) lgkmcnt(0)
	v_mul_f16_e32 v76, s15, v2
	v_mul_f16_e32 v77, s15, v3
	s_branch .LBB302_28
.LBB302_27:                             ;   in Loop: Header=BB302_23 Depth=1
	v_mov_b32_e32 v76, 0
	v_mov_b32_e32 v77, 0
.LBB302_28:                             ;   in Loop: Header=BB302_23 Depth=1
	ds_read2_b64 v[0:3], v73 offset0:48 offset1:56
	ds_read2_b64 v[12:15], v74 offset0:64 offset1:96
	ds_read2_b64 v[20:23], v74 offset1:32
	ds_read2_b64 v[16:19], v73 offset1:8
	ds_read2_b64 v[8:11], v73 offset0:16 offset1:24
	ds_read2_b64 v[4:7], v73 offset0:32 offset1:40
	s_and_b64 vcc, exec, s[4:5]
	ds_write_b16 v70, v75
	ds_write_b16 v61, v76
	ds_write_b16 v61, v77 offset:512
	s_waitcnt lgkmcnt(0)
	s_barrier
	s_cbranch_vccnz .LBB302_30
; %bb.29:                               ;   in Loop: Header=BB302_23 Depth=1
	flat_load_ushort v75, v[28:29] offset:8
	s_waitcnt vmcnt(0) lgkmcnt(0)
	v_mul_f16_e32 v75, s15, v75
	s_branch .LBB302_31
.LBB302_30:                             ;   in Loop: Header=BB302_23 Depth=1
	v_mov_b32_e32 v75, 0
.LBB302_31:                             ;   in Loop: Header=BB302_23 Depth=1
	v_pk_max_f16 v96, v2, v2
	v_pk_max_f16 v92, v20, v20
	;; [unrolled: 1-line block ×17, first 2 shown]
	v_pk_min_f16 v2, v96, v92
	v_pk_min_f16 v20, v96, v93
	;; [unrolled: 1-line block ×26, first 2 shown]
	v_pk_max_f16 v0, v3, v3
	v_pk_max_f16 v98, v17, v17
	;; [unrolled: 1-line block ×5, first 2 shown]
	v_pk_min_f16 v107, v5, v115
	v_pk_min_f16 v108, v5, v116
	;; [unrolled: 1-line block ×4, first 2 shown]
	v_pk_max_f16 v5, v7, v7
	v_pk_max_f16 v1, v1, v1
	v_pk_min_f16 v79, v79, v97
	v_pk_min_f16 v82, v82, v97
	v_pk_min_f16 v85, v85, v97
	v_pk_min_f16 v88, v88, v97
	v_pk_min_f16 v91, v91, v97
	v_pk_min_f16 v96, v96, v97
	v_pk_min_f16 v3, v0, v115
	v_pk_min_f16 v21, v0, v116
	v_pk_min_f16 v13, v0, v117
	v_pk_min_f16 v17, v98, v115
	v_pk_min_f16 v23, v98, v116
	v_pk_min_f16 v97, v98, v117
	v_pk_min_f16 v15, v98, v118
	v_pk_min_f16 v19, v100, v115
	v_pk_min_f16 v98, v100, v116
	v_pk_min_f16 v99, v100, v117
	v_pk_min_f16 v100, v100, v118
	v_pk_min_f16 v9, v103, v115
	v_pk_min_f16 v101, v103, v116
	v_pk_min_f16 v102, v103, v117
	v_pk_min_f16 v103, v103, v118
	v_pk_min_f16 v11, v106, v115
	v_pk_min_f16 v104, v106, v116
	v_pk_min_f16 v105, v106, v117
	v_pk_min_f16 v106, v106, v118
	v_pk_min_f16 v111, v5, v115
	v_pk_min_f16 v112, v5, v116
	v_pk_min_f16 v113, v5, v117
	v_pk_min_f16 v114, v5, v118
	v_pk_min_f16 v115, v1, v115
	v_pk_min_f16 v116, v1, v116
	v_pk_min_f16 v117, v1, v117
	v_pk_min_f16 v5, v1, v118
	s_and_b64 vcc, exec, s[4:5]
	v_pk_min_f16 v7, v0, v118
	s_cbranch_vccz .LBB302_21
; %bb.32:                               ;   in Loop: Header=BB302_23 Depth=1
	v_mov_b32_e32 v0, 0
	v_mov_b32_e32 v1, 0
	s_branch .LBB302_22
.LBB302_33:
	s_load_dword s14, s[0:1], 0x50
	ds_read_b64 v[20:21], v52 offset:1024
	ds_read_b64 v[26:27], v51 offset:2560
	v_add_u32_e32 v28, s22, v42
	v_cmp_neq_f16_e64 s[4:5], s12, 0
	v_add_u32_e32 v16, s2, v41
	s_waitcnt lgkmcnt(0)
	v_mad_i64_i32 v[0:1], s[16:17], v28, s14, 0
	v_ashrrev_i32_e32 v17, 31, v16
	v_lshl_add_u64 v[22:23], v[0:1], 1, s[8:9]
	s_and_b64 vcc, exec, s[4:5]
	v_mov_b32_e32 v42, 0
	v_mov_b32_e32 v31, 0
	s_cbranch_vccz .LBB302_35
; %bb.34:
	v_lshl_add_u64 v[0:1], v[16:17], 1, v[22:23]
	flat_load_ushort v0, v[0:1]
	s_waitcnt vmcnt(0) lgkmcnt(0)
	v_mul_f16_e32 v31, s12, v0
.LBB302_35:
	ds_read_b64 v[24:25], v51 offset:3008
	ds_read_b64 v[18:19], v52 offset:1792
	ds_read2_b64 v[0:3], v52 offset0:160 offset1:192
	s_load_dword s15, s[0:1], 0x68
	s_load_dwordx2 s[16:17], s[0:1], 0x70
	v_pk_max_f16 v70, v20, v20
	v_pk_max_f16 v29, v26, v26
	v_add_u32_e32 v4, 0x800, v51
	v_pk_min_f16 v20, v29, v70
	s_waitcnt lgkmcnt(0)
	s_mul_i32 s0, s3, s17
	s_mul_hi_u32 s1, s3, s16
	s_add_i32 s0, s1, s0
	s_mul_i32 s1, s13, s16
	ds_read2_b64 v[12:15], v4 offset0:72 offset1:80
	ds_read2_b64 v[8:11], v4 offset0:88 offset1:96
	ds_read2_b64 v[4:7], v4 offset0:104 offset1:112
	s_add_i32 s1, s0, s1
	s_mul_i32 s0, s3, s16
	v_pk_add_f16 v20, v20, v69
	v_pk_max_f16 v69, v21, v21
	v_pk_max_f16 v30, v27, v27
	s_lshl_b64 s[0:1], s[0:1], 1
	v_pk_min_f16 v21, v30, v69
	s_add_u32 s2, s10, s0
	v_pk_add_f16 v41, v21, v20
	s_addc_u32 s3, s11, s1
	v_mad_i64_i32 v[26:27], s[0:1], v28, s15, 0
	v_add_f16_sdwa v41, v41, v41 dst_sel:DWORD dst_unused:UNUSED_PAD src0_sel:DWORD src1_sel:WORD_1
	v_add_u32_e32 v20, 8, v16
	v_lshl_add_u64 v[26:27], v[26:27], 1, s[2:3]
	v_add_f16_e32 v31, v41, v31
	v_cndmask_b32_e64 v41, 0, 1, s[4:5]
	v_ashrrev_i32_e32 v21, 31, v20
	v_lshl_add_u64 v[72:73], v[16:17], 1, v[26:27]
	v_cmp_ne_u32_e64 s[0:1], 1, v41
	s_andn2_b64 vcc, exec, s[4:5]
	global_store_short v[72:73], v31, off
	s_cbranch_vccnz .LBB302_37
; %bb.36:
	v_lshl_add_u64 v[72:73], v[20:21], 1, v[22:23]
	flat_load_ushort v31, v[72:73]
	s_waitcnt vmcnt(0) lgkmcnt(0)
	v_mul_f16_e32 v42, s12, v31
.LBB302_37:
	s_waitcnt lgkmcnt(2)
	v_pk_max_f16 v31, v12, v12
	v_pk_max_f16 v41, v13, v13
	v_pk_min_f16 v12, v31, v70
	v_pk_min_f16 v13, v41, v69
	v_pk_add_f16 v12, v12, v68
	v_lshl_add_u64 v[72:73], v[20:21], 1, v[26:27]
	v_pk_add_f16 v12, v13, v12
	s_and_b64 vcc, exec, s[0:1]
	v_add_f16_sdwa v51, v12, v12 dst_sel:DWORD dst_unused:UNUSED_PAD src0_sel:DWORD src1_sel:WORD_1
	v_add_u32_e32 v12, 16, v16
	v_ashrrev_i32_e32 v13, 31, v12
	v_add_f16_e32 v42, v51, v42
	v_mov_b32_e32 v62, 0
	v_mov_b32_e32 v52, 0
	global_store_short v[72:73], v42, off
	s_cbranch_vccnz .LBB302_39
; %bb.38:
	v_lshl_add_u64 v[72:73], v[12:13], 1, v[22:23]
	flat_load_ushort v42, v[72:73]
	s_waitcnt vmcnt(0) lgkmcnt(0)
	v_mul_f16_e32 v52, s12, v42
.LBB302_39:
	v_pk_max_f16 v42, v14, v14
	v_pk_max_f16 v51, v15, v15
	v_pk_min_f16 v14, v42, v70
	v_pk_min_f16 v15, v51, v69
	v_pk_add_f16 v14, v14, v67
	v_lshl_add_u64 v[72:73], v[12:13], 1, v[26:27]
	v_pk_add_f16 v14, v15, v14
	s_and_b64 vcc, exec, s[0:1]
	v_add_f16_sdwa v61, v14, v14 dst_sel:DWORD dst_unused:UNUSED_PAD src0_sel:DWORD src1_sel:WORD_1
	v_add_u32_e32 v14, 24, v16
	v_ashrrev_i32_e32 v15, 31, v14
	v_add_f16_e32 v52, v61, v52
	global_store_short v[72:73], v52, off
	s_cbranch_vccnz .LBB302_41
; %bb.40:
	v_lshl_add_u64 v[72:73], v[14:15], 1, v[22:23]
	flat_load_ushort v52, v[72:73]
	s_waitcnt vmcnt(0) lgkmcnt(0)
	v_mul_f16_e32 v62, s12, v52
.LBB302_41:
	s_waitcnt lgkmcnt(1)
	v_pk_max_f16 v52, v8, v8
	v_pk_max_f16 v61, v9, v9
	v_pk_min_f16 v8, v52, v70
	v_pk_min_f16 v9, v61, v69
	v_pk_add_f16 v8, v8, v66
	s_and_b64 vcc, exec, s[0:1]
	v_pk_add_f16 v8, v9, v8
	s_nop 0
	v_add_f16_sdwa v66, v8, v8 dst_sel:DWORD dst_unused:UNUSED_PAD src0_sel:DWORD src1_sel:WORD_1
	v_add_u32_e32 v8, 32, v16
	v_add_f16_e32 v62, v66, v62
	v_lshl_add_u64 v[66:67], v[14:15], 1, v[26:27]
	v_ashrrev_i32_e32 v9, 31, v8
	global_store_short v[66:67], v62, off
	v_mov_b32_e32 v67, 0
	v_mov_b32_e32 v66, 0
	s_cbranch_vccnz .LBB302_43
; %bb.42:
	v_lshl_add_u64 v[72:73], v[8:9], 1, v[22:23]
	flat_load_ushort v62, v[72:73]
	s_waitcnt vmcnt(0) lgkmcnt(0)
	v_mul_f16_e32 v66, s12, v62
.LBB302_43:
	v_pk_max_f16 v62, v10, v10
	v_lshl_add_u64 v[72:73], v[8:9], 1, v[26:27]
	v_pk_min_f16 v10, v62, v70
	s_and_b64 vcc, exec, s[0:1]
	v_pk_add_f16 v10, v10, v65
	v_pk_max_f16 v65, v11, v11
	s_nop 0
	v_pk_min_f16 v11, v65, v69
	s_nop 0
	v_pk_add_f16 v10, v11, v10
	s_nop 0
	v_add_f16_sdwa v68, v10, v10 dst_sel:DWORD dst_unused:UNUSED_PAD src0_sel:DWORD src1_sel:WORD_1
	v_add_u32_e32 v10, 40, v16
	v_ashrrev_i32_e32 v11, 31, v10
	v_add_f16_e32 v66, v68, v66
	global_store_short v[72:73], v66, off
	s_cbranch_vccnz .LBB302_45
; %bb.44:
	v_lshl_add_u64 v[66:67], v[10:11], 1, v[22:23]
	flat_load_ushort v66, v[66:67]
	s_waitcnt vmcnt(0) lgkmcnt(0)
	v_mul_f16_e32 v67, s12, v66
.LBB302_45:
	s_waitcnt lgkmcnt(0)
	v_pk_max_f16 v66, v4, v4
	v_lshl_add_u64 v[72:73], v[10:11], 1, v[26:27]
	v_pk_min_f16 v4, v66, v70
	s_and_b64 vcc, exec, s[0:1]
	v_pk_add_f16 v4, v4, v64
	v_pk_max_f16 v64, v5, v5
	v_mov_b32_e32 v71, 0
	v_pk_min_f16 v5, v64, v69
	s_nop 0
	v_pk_add_f16 v4, v5, v4
	s_nop 0
	v_add_f16_sdwa v68, v4, v4 dst_sel:DWORD dst_unused:UNUSED_PAD src0_sel:DWORD src1_sel:WORD_1
	v_add_u32_e32 v4, 48, v16
	v_ashrrev_i32_e32 v5, 31, v4
	v_add_f16_e32 v67, v68, v67
	v_mov_b32_e32 v68, 0
	global_store_short v[72:73], v67, off
	s_cbranch_vccnz .LBB302_47
; %bb.46:
	v_lshl_add_u64 v[72:73], v[4:5], 1, v[22:23]
	flat_load_ushort v67, v[72:73]
	s_waitcnt vmcnt(0) lgkmcnt(0)
	v_mul_f16_e32 v71, s12, v67
.LBB302_47:
	v_pk_max_f16 v67, v6, v6
	s_and_b64 vcc, exec, s[0:1]
	v_pk_min_f16 v6, v67, v70
	s_nop 0
	v_pk_add_f16 v6, v6, v63
	v_pk_max_f16 v63, v7, v7
	s_nop 0
	v_pk_min_f16 v7, v63, v69
	s_nop 0
	v_pk_add_f16 v6, v7, v6
	s_nop 0
	v_add_f16_sdwa v72, v6, v6 dst_sel:DWORD dst_unused:UNUSED_PAD src0_sel:DWORD src1_sel:WORD_1
	v_add_u32_e32 v6, 56, v16
	v_ashrrev_i32_e32 v7, 31, v6
	v_add_f16_e32 v71, v72, v71
	v_lshl_add_u64 v[72:73], v[4:5], 1, v[26:27]
	global_store_short v[72:73], v71, off
	s_cbranch_vccnz .LBB302_49
; %bb.48:
	v_lshl_add_u64 v[22:23], v[6:7], 1, v[22:23]
	flat_load_ushort v22, v[22:23]
	s_waitcnt vmcnt(0) lgkmcnt(0)
	v_mul_f16_e32 v68, s12, v22
.LBB302_49:
	v_pk_max_f16 v24, v24, v24
	v_pk_max_f16 v25, v25, v25
	v_pk_min_f16 v22, v24, v70
	v_pk_min_f16 v23, v25, v69
	v_pk_add_f16 v22, v22, v60
	s_and_b64 vcc, exec, s[0:1]
	v_pk_add_f16 v22, v23, v22
	v_mov_b32_e32 v69, 0
	v_add_f16_sdwa v22, v22, v22 dst_sel:DWORD dst_unused:UNUSED_PAD src0_sel:DWORD src1_sel:WORD_1
	v_add_f16_e32 v60, v22, v68
	v_lshl_add_u64 v[22:23], v[6:7], 1, v[26:27]
	v_add_u32_e32 v68, 32, v28
	global_store_short v[22:23], v60, off
	v_mad_i64_i32 v[22:23], s[4:5], v68, s14, 0
	v_lshl_add_u64 v[22:23], v[22:23], 1, s[8:9]
	v_mov_b32_e32 v60, 0
	s_cbranch_vccnz .LBB302_51
; %bb.50:
	v_lshl_add_u64 v[26:27], v[16:17], 1, v[22:23]
	flat_load_ushort v26, v[26:27]
	s_waitcnt vmcnt(0) lgkmcnt(0)
	v_mul_f16_e32 v69, s12, v26
.LBB302_51:
	v_pk_max_f16 v26, v0, v0
	v_pk_max_f16 v27, v1, v1
	v_pk_min_f16 v0, v29, v26
	v_pk_min_f16 v1, v30, v27
	v_pk_add_f16 v0, v0, v59
	s_and_b64 vcc, exec, s[0:1]
	v_pk_add_f16 v59, v1, v0
	v_mad_i64_i32 v[0:1], s[4:5], v68, s15, 0
	v_lshl_add_u64 v[0:1], v[0:1], 1, s[2:3]
	v_add_f16_sdwa v59, v59, v59 dst_sel:DWORD dst_unused:UNUSED_PAD src0_sel:DWORD src1_sel:WORD_1
	v_add_f16_e32 v59, v59, v69
	v_lshl_add_u64 v[68:69], v[16:17], 1, v[0:1]
	global_store_short v[68:69], v59, off
	s_cbranch_vccnz .LBB302_53
; %bb.52:
	v_lshl_add_u64 v[68:69], v[20:21], 1, v[22:23]
	flat_load_ushort v59, v[68:69]
	s_waitcnt vmcnt(0) lgkmcnt(0)
	v_mul_f16_e32 v60, s12, v59
.LBB302_53:
	v_pk_min_f16 v59, v31, v26
	s_and_b64 vcc, exec, s[0:1]
	v_pk_add_f16 v58, v59, v58
	v_pk_min_f16 v59, v41, v27
	s_nop 0
	v_pk_add_f16 v58, v59, v58
	s_nop 0
	v_add_f16_sdwa v58, v58, v58 dst_sel:DWORD dst_unused:UNUSED_PAD src0_sel:DWORD src1_sel:WORD_1
	v_add_f16_e32 v60, v58, v60
	v_lshl_add_u64 v[58:59], v[20:21], 1, v[0:1]
	global_store_short v[58:59], v60, off
	v_mov_b32_e32 v58, 0
	v_mov_b32_e32 v59, 0
	s_cbranch_vccnz .LBB302_55
; %bb.54:
	v_lshl_add_u64 v[68:69], v[12:13], 1, v[22:23]
	flat_load_ushort v59, v[68:69]
	s_waitcnt vmcnt(0) lgkmcnt(0)
	v_mul_f16_e32 v59, s12, v59
.LBB302_55:
	v_pk_min_f16 v60, v42, v26
	v_lshl_add_u64 v[68:69], v[12:13], 1, v[0:1]
	v_pk_add_f16 v57, v60, v57
	v_pk_min_f16 v60, v51, v27
	s_and_b64 vcc, exec, s[0:1]
	v_pk_add_f16 v57, v60, v57
	s_nop 0
	v_add_f16_sdwa v57, v57, v57 dst_sel:DWORD dst_unused:UNUSED_PAD src0_sel:DWORD src1_sel:WORD_1
	v_add_f16_e32 v57, v57, v59
	global_store_short v[68:69], v57, off
	s_cbranch_vccnz .LBB302_57
; %bb.56:
	v_lshl_add_u64 v[58:59], v[14:15], 1, v[22:23]
	flat_load_ushort v57, v[58:59]
	s_waitcnt vmcnt(0) lgkmcnt(0)
	v_mul_f16_e32 v58, s12, v57
.LBB302_57:
	v_pk_min_f16 v57, v52, v26
	s_and_b64 vcc, exec, s[0:1]
	v_pk_add_f16 v55, v57, v55
	v_pk_min_f16 v57, v61, v27
	s_nop 0
	v_pk_add_f16 v55, v57, v55
	v_mov_b32_e32 v57, 0
	v_add_f16_sdwa v55, v55, v55 dst_sel:DWORD dst_unused:UNUSED_PAD src0_sel:DWORD src1_sel:WORD_1
	v_add_f16_e32 v55, v55, v58
	v_lshl_add_u64 v[58:59], v[14:15], 1, v[0:1]
	global_store_short v[58:59], v55, off
	v_mov_b32_e32 v55, 0
	s_cbranch_vccnz .LBB302_59
; %bb.58:
	v_lshl_add_u64 v[58:59], v[8:9], 1, v[22:23]
	flat_load_ushort v57, v[58:59]
	s_waitcnt vmcnt(0) lgkmcnt(0)
	v_mul_f16_e32 v57, s12, v57
.LBB302_59:
	v_pk_min_f16 v58, v62, v26
	s_and_b64 vcc, exec, s[0:1]
	v_pk_add_f16 v54, v58, v54
	v_pk_min_f16 v58, v65, v27
	s_nop 0
	v_pk_add_f16 v54, v58, v54
	v_lshl_add_u64 v[58:59], v[8:9], 1, v[0:1]
	v_add_f16_sdwa v54, v54, v54 dst_sel:DWORD dst_unused:UNUSED_PAD src0_sel:DWORD src1_sel:WORD_1
	v_add_f16_e32 v54, v54, v57
	global_store_short v[58:59], v54, off
	s_cbranch_vccnz .LBB302_61
; %bb.60:
	v_lshl_add_u64 v[54:55], v[10:11], 1, v[22:23]
	flat_load_ushort v54, v[54:55]
	s_waitcnt vmcnt(0) lgkmcnt(0)
	v_mul_f16_e32 v55, s12, v54
.LBB302_61:
	v_pk_min_f16 v54, v66, v26
	s_and_b64 vcc, exec, s[0:1]
	v_pk_add_f16 v54, v54, v56
	v_pk_min_f16 v56, v64, v27
	s_nop 0
	v_pk_add_f16 v54, v56, v54
	s_nop 0
	v_add_f16_sdwa v54, v54, v54 dst_sel:DWORD dst_unused:UNUSED_PAD src0_sel:DWORD src1_sel:WORD_1
	v_add_f16_e32 v56, v54, v55
	v_lshl_add_u64 v[54:55], v[10:11], 1, v[0:1]
	global_store_short v[54:55], v56, off
	v_mov_b32_e32 v54, 0
	v_mov_b32_e32 v55, 0
	s_cbranch_vccnz .LBB302_63
; %bb.62:
	v_lshl_add_u64 v[56:57], v[4:5], 1, v[22:23]
	flat_load_ushort v55, v[56:57]
	s_waitcnt vmcnt(0) lgkmcnt(0)
	v_mul_f16_e32 v55, s12, v55
.LBB302_63:
	v_pk_min_f16 v56, v67, v26
	s_and_b64 vcc, exec, s[0:1]
	v_pk_add_f16 v53, v56, v53
	v_pk_min_f16 v56, v63, v27
	s_nop 0
	v_pk_add_f16 v53, v56, v53
	v_lshl_add_u64 v[56:57], v[4:5], 1, v[0:1]
	v_add_f16_sdwa v53, v53, v53 dst_sel:DWORD dst_unused:UNUSED_PAD src0_sel:DWORD src1_sel:WORD_1
	v_add_f16_e32 v53, v53, v55
	global_store_short v[56:57], v53, off
	s_cbranch_vccnz .LBB302_65
; %bb.64:
	v_lshl_add_u64 v[22:23], v[6:7], 1, v[22:23]
	flat_load_ushort v22, v[22:23]
	s_waitcnt vmcnt(0) lgkmcnt(0)
	v_mul_f16_e32 v54, s12, v22
.LBB302_65:
	v_pk_min_f16 v22, v24, v26
	v_pk_min_f16 v23, v25, v27
	v_pk_add_f16 v22, v22, v50
	v_lshl_add_u64 v[0:1], v[6:7], 1, v[0:1]
	v_pk_add_f16 v22, v23, v22
	v_add_u32_e32 v27, 64, v28
	v_add_f16_sdwa v22, v22, v22 dst_sel:DWORD dst_unused:UNUSED_PAD src0_sel:DWORD src1_sel:WORD_1
	v_add_f16_e32 v22, v22, v54
	global_store_short v[0:1], v22, off
	v_mad_i64_i32 v[0:1], s[4:5], v27, s14, 0
	v_lshl_add_u64 v[0:1], v[0:1], 1, s[8:9]
	s_and_b64 vcc, exec, s[0:1]
	v_mov_b32_e32 v26, 0
	v_mov_b32_e32 v50, 0
	s_cbranch_vccnz .LBB302_67
; %bb.66:
	v_lshl_add_u64 v[22:23], v[16:17], 1, v[0:1]
	flat_load_ushort v22, v[22:23]
	s_waitcnt vmcnt(0) lgkmcnt(0)
	v_mul_f16_e32 v50, s12, v22
.LBB302_67:
	v_pk_max_f16 v22, v2, v2
	v_pk_max_f16 v23, v3, v3
	v_pk_min_f16 v2, v29, v22
	v_pk_min_f16 v3, v30, v23
	v_pk_add_f16 v2, v2, v49
	s_and_b64 vcc, exec, s[0:1]
	v_pk_add_f16 v49, v3, v2
	v_mad_i64_i32 v[2:3], s[4:5], v27, s15, 0
	v_lshl_add_u64 v[2:3], v[2:3], 1, s[2:3]
	v_add_f16_sdwa v27, v49, v49 dst_sel:DWORD dst_unused:UNUSED_PAD src0_sel:DWORD src1_sel:WORD_1
	v_add_f16_e32 v27, v27, v50
	v_lshl_add_u64 v[54:55], v[16:17], 1, v[2:3]
	global_store_short v[54:55], v27, off
	s_cbranch_vccnz .LBB302_69
; %bb.68:
	v_lshl_add_u64 v[26:27], v[20:21], 1, v[0:1]
	flat_load_ushort v26, v[26:27]
	s_waitcnt vmcnt(0) lgkmcnt(0)
	v_mul_f16_e32 v26, s12, v26
.LBB302_69:
	v_pk_min_f16 v27, v31, v22
	s_and_b64 vcc, exec, s[0:1]
	v_pk_add_f16 v27, v27, v48
	v_pk_min_f16 v48, v41, v23
	s_nop 0
	v_pk_add_f16 v27, v48, v27
	s_nop 0
	v_add_f16_sdwa v27, v27, v27 dst_sel:DWORD dst_unused:UNUSED_PAD src0_sel:DWORD src1_sel:WORD_1
	v_add_f16_e32 v48, v27, v26
	v_lshl_add_u64 v[26:27], v[20:21], 1, v[2:3]
	global_store_short v[26:27], v48, off
	v_mov_b32_e32 v26, 0
	v_mov_b32_e32 v27, 0
	s_cbranch_vccnz .LBB302_71
; %bb.70:
	v_lshl_add_u64 v[48:49], v[12:13], 1, v[0:1]
	flat_load_ushort v27, v[48:49]
	s_waitcnt vmcnt(0) lgkmcnt(0)
	v_mul_f16_e32 v27, s12, v27
.LBB302_71:
	v_pk_min_f16 v48, v42, v22
	s_and_b64 vcc, exec, s[0:1]
	v_pk_add_f16 v47, v48, v47
	v_pk_min_f16 v48, v51, v23
	s_nop 0
	v_pk_add_f16 v47, v48, v47
	v_lshl_add_u64 v[48:49], v[12:13], 1, v[2:3]
	v_add_f16_sdwa v47, v47, v47 dst_sel:DWORD dst_unused:UNUSED_PAD src0_sel:DWORD src1_sel:WORD_1
	v_add_f16_e32 v27, v47, v27
	global_store_short v[48:49], v27, off
	s_cbranch_vccnz .LBB302_73
; %bb.72:
	v_lshl_add_u64 v[26:27], v[14:15], 1, v[0:1]
	flat_load_ushort v26, v[26:27]
	s_waitcnt vmcnt(0) lgkmcnt(0)
	v_mul_f16_e32 v26, s12, v26
.LBB302_73:
	v_pk_min_f16 v27, v52, v22
	s_and_b64 vcc, exec, s[0:1]
	v_pk_add_f16 v27, v27, v45
	v_pk_min_f16 v45, v61, v23
	s_nop 0
	v_pk_add_f16 v27, v45, v27
	s_nop 0
	v_add_f16_sdwa v27, v27, v27 dst_sel:DWORD dst_unused:UNUSED_PAD src0_sel:DWORD src1_sel:WORD_1
	v_add_f16_e32 v45, v27, v26
	v_lshl_add_u64 v[26:27], v[14:15], 1, v[2:3]
	global_store_short v[26:27], v45, off
	v_mov_b32_e32 v26, 0
	v_mov_b32_e32 v27, 0
	s_cbranch_vccnz .LBB302_75
; %bb.74:
	v_lshl_add_u64 v[48:49], v[8:9], 1, v[0:1]
	flat_load_ushort v27, v[48:49]
	s_waitcnt vmcnt(0) lgkmcnt(0)
	v_mul_f16_e32 v27, s12, v27
.LBB302_75:
	v_pk_min_f16 v45, v62, v22
	s_and_b64 vcc, exec, s[0:1]
	v_pk_add_f16 v44, v45, v44
	v_pk_min_f16 v45, v65, v23
	s_nop 0
	v_pk_add_f16 v44, v45, v44
	s_nop 0
	v_add_f16_sdwa v44, v44, v44 dst_sel:DWORD dst_unused:UNUSED_PAD src0_sel:DWORD src1_sel:WORD_1
	v_add_f16_e32 v27, v44, v27
	v_lshl_add_u64 v[44:45], v[8:9], 1, v[2:3]
	global_store_short v[44:45], v27, off
	s_cbranch_vccnz .LBB302_77
; %bb.76:
	v_lshl_add_u64 v[26:27], v[10:11], 1, v[0:1]
	flat_load_ushort v26, v[26:27]
	s_waitcnt vmcnt(0) lgkmcnt(0)
	v_mul_f16_e32 v26, s12, v26
.LBB302_77:
	v_pk_min_f16 v27, v66, v22
	v_pk_min_f16 v44, v64, v23
	v_pk_add_f16 v27, v27, v46
	s_and_b64 vcc, exec, s[0:1]
	v_pk_add_f16 v27, v44, v27
	s_nop 0
	v_add_f16_sdwa v27, v27, v27 dst_sel:DWORD dst_unused:UNUSED_PAD src0_sel:DWORD src1_sel:WORD_1
	v_add_f16_e32 v44, v27, v26
	v_lshl_add_u64 v[26:27], v[10:11], 1, v[2:3]
	global_store_short v[26:27], v44, off
	v_mov_b32_e32 v26, 0
	v_mov_b32_e32 v27, 0
	s_cbranch_vccnz .LBB302_79
; %bb.78:
	v_lshl_add_u64 v[44:45], v[4:5], 1, v[0:1]
	flat_load_ushort v27, v[44:45]
	s_waitcnt vmcnt(0) lgkmcnt(0)
	v_mul_f16_e32 v27, s12, v27
.LBB302_79:
	v_pk_min_f16 v44, v67, v22
	s_and_b64 vcc, exec, s[0:1]
	v_pk_add_f16 v43, v44, v43
	v_pk_min_f16 v44, v63, v23
	s_nop 0
	v_pk_add_f16 v43, v44, v43
	v_lshl_add_u64 v[44:45], v[4:5], 1, v[2:3]
	v_add_f16_sdwa v43, v43, v43 dst_sel:DWORD dst_unused:UNUSED_PAD src0_sel:DWORD src1_sel:WORD_1
	v_add_f16_e32 v27, v43, v27
	global_store_short v[44:45], v27, off
	s_cbranch_vccnz .LBB302_81
; %bb.80:
	v_lshl_add_u64 v[0:1], v[6:7], 1, v[0:1]
	flat_load_ushort v0, v[0:1]
	s_waitcnt vmcnt(0) lgkmcnt(0)
	v_mul_f16_e32 v26, s12, v0
.LBB302_81:
	v_pk_min_f16 v0, v24, v22
	v_pk_min_f16 v1, v25, v23
	v_pk_add_f16 v0, v0, v40
	s_and_b64 vcc, exec, s[0:1]
	v_pk_add_f16 v0, v1, v0
	v_mov_b32_e32 v23, 0
	v_add_f16_sdwa v0, v0, v0 dst_sel:DWORD dst_unused:UNUSED_PAD src0_sel:DWORD src1_sel:WORD_1
	v_add_f16_e32 v22, v0, v26
	v_lshl_add_u64 v[0:1], v[6:7], 1, v[2:3]
	v_add_u32_e32 v2, 0x60, v28
	global_store_short v[0:1], v22, off
	v_mad_i64_i32 v[0:1], s[4:5], v2, s14, 0
	v_lshl_add_u64 v[0:1], v[0:1], 1, s[8:9]
	v_mov_b32_e32 v22, 0
	s_cbranch_vccnz .LBB302_83
; %bb.82:
	v_lshl_add_u64 v[26:27], v[16:17], 1, v[0:1]
	flat_load_ushort v3, v[26:27]
	s_waitcnt vmcnt(0) lgkmcnt(0)
	v_mul_f16_e32 v23, s12, v3
.LBB302_83:
	v_pk_max_f16 v18, v18, v18
	v_pk_max_f16 v19, v19, v19
	v_pk_min_f16 v3, v29, v18
	v_pk_min_f16 v26, v30, v19
	v_pk_add_f16 v3, v3, v39
	s_and_b64 vcc, exec, s[0:1]
	v_pk_add_f16 v26, v26, v3
	v_mad_i64_i32 v[2:3], s[4:5], v2, s15, 0
	v_lshl_add_u64 v[2:3], v[2:3], 1, s[2:3]
	v_add_f16_sdwa v26, v26, v26 dst_sel:DWORD dst_unused:UNUSED_PAD src0_sel:DWORD src1_sel:WORD_1
	v_add_f16_e32 v23, v26, v23
	v_lshl_add_u64 v[16:17], v[16:17], 1, v[2:3]
	global_store_short v[16:17], v23, off
	s_cbranch_vccnz .LBB302_85
; %bb.84:
	v_lshl_add_u64 v[16:17], v[20:21], 1, v[0:1]
	flat_load_ushort v16, v[16:17]
	s_waitcnt vmcnt(0) lgkmcnt(0)
	v_mul_f16_e32 v22, s12, v16
.LBB302_85:
	v_pk_min_f16 v16, v31, v18
	v_pk_min_f16 v17, v41, v19
	v_pk_add_f16 v16, v16, v36
	s_and_b64 vcc, exec, s[0:1]
	v_pk_add_f16 v16, v17, v16
	s_nop 0
	v_add_f16_sdwa v16, v16, v16 dst_sel:DWORD dst_unused:UNUSED_PAD src0_sel:DWORD src1_sel:WORD_1
	v_add_f16_e32 v22, v16, v22
	v_lshl_add_u64 v[16:17], v[20:21], 1, v[2:3]
	global_store_short v[16:17], v22, off
	v_mov_b32_e32 v16, 0
	v_mov_b32_e32 v17, 0
	s_cbranch_vccnz .LBB302_87
; %bb.86:
	v_lshl_add_u64 v[20:21], v[12:13], 1, v[0:1]
	flat_load_ushort v17, v[20:21]
	s_waitcnt vmcnt(0) lgkmcnt(0)
	v_mul_f16_e32 v17, s12, v17
.LBB302_87:
	v_pk_min_f16 v20, v42, v18
	v_pk_min_f16 v21, v51, v19
	v_pk_add_f16 v20, v20, v35
	v_lshl_add_u64 v[12:13], v[12:13], 1, v[2:3]
	v_pk_add_f16 v20, v21, v20
	s_and_b64 vcc, exec, s[0:1]
	v_add_f16_sdwa v20, v20, v20 dst_sel:DWORD dst_unused:UNUSED_PAD src0_sel:DWORD src1_sel:WORD_1
	v_add_f16_e32 v17, v20, v17
	global_store_short v[12:13], v17, off
	s_cbranch_vccnz .LBB302_89
; %bb.88:
	v_lshl_add_u64 v[12:13], v[14:15], 1, v[0:1]
	flat_load_ushort v12, v[12:13]
	s_waitcnt vmcnt(0) lgkmcnt(0)
	v_mul_f16_e32 v16, s12, v12
.LBB302_89:
	v_pk_min_f16 v12, v52, v18
	v_pk_min_f16 v13, v61, v19
	v_pk_add_f16 v12, v12, v34
	s_and_b64 vcc, exec, s[0:1]
	v_pk_add_f16 v12, v13, v12
	s_nop 0
	v_add_f16_sdwa v12, v12, v12 dst_sel:DWORD dst_unused:UNUSED_PAD src0_sel:DWORD src1_sel:WORD_1
	v_add_f16_e32 v16, v12, v16
	v_lshl_add_u64 v[12:13], v[14:15], 1, v[2:3]
	global_store_short v[12:13], v16, off
	v_mov_b32_e32 v12, 0
	v_mov_b32_e32 v13, 0
	s_cbranch_vccnz .LBB302_91
; %bb.90:
	v_lshl_add_u64 v[14:15], v[8:9], 1, v[0:1]
	flat_load_ushort v13, v[14:15]
	s_waitcnt vmcnt(0) lgkmcnt(0)
	v_mul_f16_e32 v13, s12, v13
.LBB302_91:
	v_pk_min_f16 v14, v62, v18
	v_pk_min_f16 v15, v65, v19
	v_pk_add_f16 v14, v14, v37
	v_lshl_add_u64 v[8:9], v[8:9], 1, v[2:3]
	v_pk_add_f16 v14, v15, v14
	s_and_b64 vcc, exec, s[0:1]
	v_add_f16_sdwa v14, v14, v14 dst_sel:DWORD dst_unused:UNUSED_PAD src0_sel:DWORD src1_sel:WORD_1
	v_add_f16_e32 v13, v14, v13
	global_store_short v[8:9], v13, off
	s_cbranch_vccnz .LBB302_93
; %bb.92:
	v_lshl_add_u64 v[8:9], v[10:11], 1, v[0:1]
	flat_load_ushort v8, v[8:9]
	s_waitcnt vmcnt(0) lgkmcnt(0)
	v_mul_f16_e32 v12, s12, v8
.LBB302_93:
	v_pk_min_f16 v8, v66, v18
	v_pk_min_f16 v9, v64, v19
	v_pk_add_f16 v8, v8, v33
	v_pk_min_f16 v13, v63, v19
	v_pk_add_f16 v8, v9, v8
	v_pk_min_f16 v9, v67, v18
	v_add_f16_sdwa v8, v8, v8 dst_sel:DWORD dst_unused:UNUSED_PAD src0_sel:DWORD src1_sel:WORD_1
	v_pk_add_f16 v9, v9, v38
	v_add_f16_e32 v12, v8, v12
	v_pk_add_f16 v13, v13, v9
	v_lshl_add_u64 v[8:9], v[10:11], 1, v[2:3]
	global_store_short v[8:9], v12, off
	v_add_f16_sdwa v8, v13, v13 dst_sel:DWORD dst_unused:UNUSED_PAD src0_sel:DWORD src1_sel:WORD_1
	s_mov_b64 vcc, s[6:7]
	s_cbranch_vccz .LBB302_96
; %bb.94:
	v_add_f16_e32 v9, 0, v8
	v_lshl_add_u64 v[10:11], v[4:5], 1, v[2:3]
	s_mov_b32 s2, 0
	global_store_short v[10:11], v9, off
	s_cbranch_execz .LBB302_97
; %bb.95:
	v_mov_b32_e32 v0, s2
	s_branch .LBB302_98
.LBB302_96:
                                        ; implicit-def: $sgpr2
.LBB302_97:
	v_lshlrev_b64 v[4:5], 1, v[4:5]
	v_lshl_add_u64 v[10:11], v[0:1], 0, v[4:5]
	flat_load_ushort v9, v[10:11]
	v_lshl_add_u64 v[4:5], v[2:3], 0, v[4:5]
	v_lshl_add_u64 v[0:1], v[6:7], 1, v[0:1]
	s_waitcnt vmcnt(0) lgkmcnt(0)
	v_fma_f16 v8, v9, s12, v8
	global_store_short v[4:5], v8, off
	flat_load_ushort v0, v[0:1]
	s_waitcnt vmcnt(0) lgkmcnt(0)
	v_mul_f16_e32 v0, s12, v0
.LBB302_98:
	v_pk_min_f16 v4, v24, v18
	v_pk_min_f16 v1, v25, v19
	v_pk_add_f16 v4, v4, v32
	s_nop 0
	v_pk_add_f16 v1, v1, v4
	s_nop 0
	v_add_f16_sdwa v1, v1, v1 dst_sel:DWORD dst_unused:UNUSED_PAD src0_sel:DWORD src1_sel:WORD_1
	v_add_f16_e32 v4, v1, v0
	v_lshl_add_u64 v[0:1], v[6:7], 1, v[2:3]
	global_store_short v[0:1], v4, off
	s_endpgm
	.section	.rodata,"a",@progbits
	.p2align	6, 0x0
	.amdhsa_kernel _ZN12_GLOBAL__N_120geam_min_plus_kernelIDF16_Dv2_DF16_S1_Li8ELi32ELi64ELi128ELi4ELi4ELi64ELi64ELi4ELc84ELc84ELb0ELb0ELb0EDF16_KDF16_DF16_EEviiiT16_PT17_ilS5_ilS3_S5_ilPT18_ili26rocblas_geam_ex_operation_
		.amdhsa_group_segment_fixed_size 3072
		.amdhsa_private_segment_fixed_size 0
		.amdhsa_kernarg_size 128
		.amdhsa_user_sgpr_count 2
		.amdhsa_user_sgpr_dispatch_ptr 0
		.amdhsa_user_sgpr_queue_ptr 0
		.amdhsa_user_sgpr_kernarg_segment_ptr 1
		.amdhsa_user_sgpr_dispatch_id 0
		.amdhsa_user_sgpr_kernarg_preload_length 0
		.amdhsa_user_sgpr_kernarg_preload_offset 0
		.amdhsa_user_sgpr_private_segment_size 0
		.amdhsa_uses_dynamic_stack 0
		.amdhsa_enable_private_segment 0
		.amdhsa_system_sgpr_workgroup_id_x 1
		.amdhsa_system_sgpr_workgroup_id_y 0
		.amdhsa_system_sgpr_workgroup_id_z 1
		.amdhsa_system_sgpr_workgroup_info 0
		.amdhsa_system_vgpr_workitem_id 1
		.amdhsa_next_free_vgpr 120
		.amdhsa_next_free_sgpr 28
		.amdhsa_accum_offset 120
		.amdhsa_reserve_vcc 1
		.amdhsa_float_round_mode_32 0
		.amdhsa_float_round_mode_16_64 0
		.amdhsa_float_denorm_mode_32 3
		.amdhsa_float_denorm_mode_16_64 3
		.amdhsa_dx10_clamp 1
		.amdhsa_ieee_mode 1
		.amdhsa_fp16_overflow 0
		.amdhsa_tg_split 0
		.amdhsa_exception_fp_ieee_invalid_op 0
		.amdhsa_exception_fp_denorm_src 0
		.amdhsa_exception_fp_ieee_div_zero 0
		.amdhsa_exception_fp_ieee_overflow 0
		.amdhsa_exception_fp_ieee_underflow 0
		.amdhsa_exception_fp_ieee_inexact 0
		.amdhsa_exception_int_div_zero 0
	.end_amdhsa_kernel
	.section	.text._ZN12_GLOBAL__N_120geam_min_plus_kernelIDF16_Dv2_DF16_S1_Li8ELi32ELi64ELi128ELi4ELi4ELi64ELi64ELi4ELc84ELc84ELb0ELb0ELb0EDF16_KDF16_DF16_EEviiiT16_PT17_ilS5_ilS3_S5_ilPT18_ili26rocblas_geam_ex_operation_,"axG",@progbits,_ZN12_GLOBAL__N_120geam_min_plus_kernelIDF16_Dv2_DF16_S1_Li8ELi32ELi64ELi128ELi4ELi4ELi64ELi64ELi4ELc84ELc84ELb0ELb0ELb0EDF16_KDF16_DF16_EEviiiT16_PT17_ilS5_ilS3_S5_ilPT18_ili26rocblas_geam_ex_operation_,comdat
.Lfunc_end302:
	.size	_ZN12_GLOBAL__N_120geam_min_plus_kernelIDF16_Dv2_DF16_S1_Li8ELi32ELi64ELi128ELi4ELi4ELi64ELi64ELi4ELc84ELc84ELb0ELb0ELb0EDF16_KDF16_DF16_EEviiiT16_PT17_ilS5_ilS3_S5_ilPT18_ili26rocblas_geam_ex_operation_, .Lfunc_end302-_ZN12_GLOBAL__N_120geam_min_plus_kernelIDF16_Dv2_DF16_S1_Li8ELi32ELi64ELi128ELi4ELi4ELi64ELi64ELi4ELc84ELc84ELb0ELb0ELb0EDF16_KDF16_DF16_EEviiiT16_PT17_ilS5_ilS3_S5_ilPT18_ili26rocblas_geam_ex_operation_
                                        ; -- End function
	.section	.AMDGPU.csdata,"",@progbits
; Kernel info:
; codeLenInByte = 8964
; NumSgprs: 34
; NumVgprs: 120
; NumAgprs: 0
; TotalNumVgprs: 120
; ScratchSize: 0
; MemoryBound: 0
; FloatMode: 240
; IeeeMode: 1
; LDSByteSize: 3072 bytes/workgroup (compile time only)
; SGPRBlocks: 4
; VGPRBlocks: 14
; NumSGPRsForWavesPerEU: 34
; NumVGPRsForWavesPerEU: 120
; AccumOffset: 120
; Occupancy: 4
; WaveLimiterHint : 1
; COMPUTE_PGM_RSRC2:SCRATCH_EN: 0
; COMPUTE_PGM_RSRC2:USER_SGPR: 2
; COMPUTE_PGM_RSRC2:TRAP_HANDLER: 0
; COMPUTE_PGM_RSRC2:TGID_X_EN: 1
; COMPUTE_PGM_RSRC2:TGID_Y_EN: 0
; COMPUTE_PGM_RSRC2:TGID_Z_EN: 1
; COMPUTE_PGM_RSRC2:TIDIG_COMP_CNT: 1
; COMPUTE_PGM_RSRC3_GFX90A:ACCUM_OFFSET: 29
; COMPUTE_PGM_RSRC3_GFX90A:TG_SPLIT: 0
	.section	.text._ZN12_GLOBAL__N_120geam_min_plus_kernelIDF16_Dv2_DF16_S1_Li8ELi32ELi64ELi128ELi4ELi4ELi64ELi64ELi4ELc84ELc84ELb0ELb1ELb0EPKDF16_S2_DF16_EEviiiT16_PT17_ilS6_ilS4_S6_ilPT18_ili26rocblas_geam_ex_operation_,"axG",@progbits,_ZN12_GLOBAL__N_120geam_min_plus_kernelIDF16_Dv2_DF16_S1_Li8ELi32ELi64ELi128ELi4ELi4ELi64ELi64ELi4ELc84ELc84ELb0ELb1ELb0EPKDF16_S2_DF16_EEviiiT16_PT17_ilS6_ilS4_S6_ilPT18_ili26rocblas_geam_ex_operation_,comdat
	.globl	_ZN12_GLOBAL__N_120geam_min_plus_kernelIDF16_Dv2_DF16_S1_Li8ELi32ELi64ELi128ELi4ELi4ELi64ELi64ELi4ELc84ELc84ELb0ELb1ELb0EPKDF16_S2_DF16_EEviiiT16_PT17_ilS6_ilS4_S6_ilPT18_ili26rocblas_geam_ex_operation_ ; -- Begin function _ZN12_GLOBAL__N_120geam_min_plus_kernelIDF16_Dv2_DF16_S1_Li8ELi32ELi64ELi128ELi4ELi4ELi64ELi64ELi4ELc84ELc84ELb0ELb1ELb0EPKDF16_S2_DF16_EEviiiT16_PT17_ilS6_ilS4_S6_ilPT18_ili26rocblas_geam_ex_operation_
	.p2align	8
	.type	_ZN12_GLOBAL__N_120geam_min_plus_kernelIDF16_Dv2_DF16_S1_Li8ELi32ELi64ELi128ELi4ELi4ELi64ELi64ELi4ELc84ELc84ELb0ELb1ELb0EPKDF16_S2_DF16_EEviiiT16_PT17_ilS6_ilS4_S6_ilPT18_ili26rocblas_geam_ex_operation_,@function
_ZN12_GLOBAL__N_120geam_min_plus_kernelIDF16_Dv2_DF16_S1_Li8ELi32ELi64ELi128ELi4ELi4ELi64ELi64ELi4ELc84ELc84ELb0ELb1ELb0EPKDF16_S2_DF16_EEviiiT16_PT17_ilS6_ilS4_S6_ilPT18_ili26rocblas_geam_ex_operation_: ; @_ZN12_GLOBAL__N_120geam_min_plus_kernelIDF16_Dv2_DF16_S1_Li8ELi32ELi64ELi128ELi4ELi4ELi64ELi64ELi4ELc84ELc84ELb0ELb1ELb0EPKDF16_S2_DF16_EEviiiT16_PT17_ilS6_ilS4_S6_ilPT18_ili26rocblas_geam_ex_operation_
; %bb.0:
	s_load_dwordx4 s[4:7], s[0:1], 0x10
	s_load_dwordx4 s[8:11], s[0:1], 0x28
	;; [unrolled: 1-line block ×3, first 2 shown]
	s_load_dwordx2 s[20:21], s[0:1], 0x50
	s_mov_b32 s26, s3
	s_mov_b32 s27, 0
	s_lshl_b64 s[16:17], s[26:27], 1
	s_waitcnt lgkmcnt(0)
	s_add_u32 s4, s4, s16
	s_addc_u32 s5, s5, s17
	v_mov_b32_e32 v1, 0
	global_load_ushort v32, v1, s[4:5]
	s_add_u32 s4, s14, s16
	s_addc_u32 s5, s15, s17
	global_load_ushort v44, v1, s[4:5]
	s_mov_b64 s[14:15], 0
	s_mov_b64 s[28:29], 0
	s_waitcnt vmcnt(1)
	v_cmp_eq_f16_e32 vcc, 0, v32
	v_cmp_neq_f16_e64 s[4:5], 0, v32
	s_cbranch_vccnz .LBB303_2
; %bb.1:
	s_mul_i32 s3, s26, s9
	s_mul_hi_u32 s9, s26, s8
	s_add_i32 s9, s9, s3
	s_mul_i32 s8, s26, s8
	s_lshl_b64 s[8:9], s[8:9], 1
	s_add_u32 s28, s6, s8
	s_addc_u32 s29, s7, s9
.LBB303_2:
	s_andn2_b64 vcc, exec, s[4:5]
	s_cbranch_vccnz .LBB303_4
; %bb.3:
	s_mul_i32 s3, s26, s13
	s_mul_hi_u32 s6, s26, s12
	s_add_i32 s7, s6, s3
	s_mul_i32 s6, s26, s12
	s_lshl_b64 s[6:7], s[6:7], 1
	s_add_u32 s14, s10, s6
	s_addc_u32 s15, s11, s7
.LBB303_4:
	s_load_dwordx4 s[16:19], s[0:1], 0x60
	s_waitcnt vmcnt(0)
	v_cmp_eq_f16_e32 vcc, 0, v44
	v_cmp_neq_f16_e64 s[12:13], 0, v44
	s_cbranch_vccnz .LBB303_6
; %bb.5:
	s_waitcnt lgkmcnt(0)
	s_mul_i32 s3, s26, s17
	s_mul_hi_u32 s6, s26, s16
	s_add_i32 s7, s6, s3
	s_mul_i32 s6, s26, s16
	s_lshl_b64 s[6:7], s[6:7], 1
	s_add_u32 s24, s20, s6
	s_addc_u32 s25, s21, s7
	s_branch .LBB303_7
.LBB303_6:
	s_mov_b64 s[24:25], 0
.LBB303_7:
	s_load_dwordx4 s[20:23], s[0:1], 0x0
	s_load_dword s35, s[0:1], 0x20
	v_and_b32_e32 v30, 0x3ff, v0
	v_bfe_u32 v31, v0, 10, 10
	v_lshl_add_u32 v2, v31, 3, v30
	s_waitcnt lgkmcnt(0)
	s_add_i32 s3, s20, -1
	s_ashr_i32 s6, s3, 31
	s_lshr_b32 s6, s6, 26
	s_add_i32 s3, s3, s6
	s_ashr_i32 s3, s3, 6
	s_add_i32 s9, s3, 1
	v_cvt_f32_u32_e32 v1, s9
	s_not_b32 s3, s3
	v_lshrrev_b32_e32 v8, 2, v2
	v_and_b32_e32 v33, 3, v30
	v_rcp_iflag_f32_e32 v0, v1
	v_cmp_gt_i32_e64 s[6:7], s22, v33
	v_mov_b32_e32 v7, 0
	v_mov_b32_e32 v9, 0
	v_mul_f32_e32 v0, 0x4f7ffffe, v0
	v_cvt_u32_f32_e32 v1, v0
	v_lshlrev_b32_e32 v0, 1, v33
	v_readfirstlane_b32 s8, v1
	s_mul_i32 s3, s3, s8
	s_mul_hi_u32 s3, s8, s3
	s_add_i32 s8, s8, s3
	s_mul_hi_u32 s3, s2, s8
	s_mul_i32 s8, s3, s9
	s_sub_i32 s8, s2, s8
	s_add_i32 s10, s3, 1
	s_sub_i32 s11, s8, s9
	s_cmp_ge_u32 s8, s9
	s_cselect_b32 s3, s10, s3
	s_cselect_b32 s8, s11, s8
	s_add_i32 s10, s3, 1
	s_cmp_ge_u32 s8, s9
	s_cselect_b32 s8, s10, s3
	s_mul_i32 s3, s8, s9
	s_sub_i32 s2, s2, s3
	s_lshl_b32 s27, s2, 6
	v_add_u32_e32 v4, s27, v8
	v_cmp_gt_i32_e32 vcc, s20, v4
	s_and_b64 s[2:3], s[6:7], vcc
	s_and_b64 s[6:7], s[4:5], s[2:3]
	s_and_saveexec_b64 s[2:3], s[6:7]
	s_cbranch_execz .LBB303_9
; %bb.8:
	v_mad_i64_i32 v[10:11], s[6:7], v4, s35, 0
	v_lshl_add_u64 v[10:11], v[10:11], 1, s[28:29]
	v_mov_b32_e32 v1, 0
	v_lshl_add_u64 v[10:11], v[10:11], 0, v[0:1]
	flat_load_ushort v1, v[10:11]
	s_waitcnt vmcnt(0) lgkmcnt(0)
	v_mul_f16_e32 v9, v32, v1
.LBB303_9:
	s_or_b64 exec, exec, s[2:3]
	s_load_dword s23, s[0:1], 0x38
	v_and_b32_e32 v10, 63, v2
	v_lshrrev_b32_e32 v34, 6, v2
	s_lshl_b32 s30, s8, 7
	s_add_i32 s31, s22, -1
	v_or_b32_e32 v24, s30, v10
	v_min_i32_e32 v1, s31, v34
	v_cmp_le_i32_e64 s[10:11], s22, v34
	s_waitcnt lgkmcnt(0)
	v_mad_i64_i32 v[2:3], s[2:3], s23, v1, 0
	v_cmp_le_i32_e64 s[6:7], s21, v24
	s_or_b64 s[2:3], s[6:7], s[10:11]
	s_xor_b64 s[16:17], s[4:5], -1
	s_or_b64 s[2:3], s[2:3], s[16:17]
	v_lshl_add_u64 v[2:3], v[2:3], 1, s[14:15]
	s_xor_b64 s[8:9], s[2:3], -1
	v_ashrrev_i32_e32 v25, 31, v24
	s_and_saveexec_b64 s[2:3], s[8:9]
	s_cbranch_execz .LBB303_11
; %bb.10:
	v_lshl_add_u64 v[6:7], v[24:25], 1, v[2:3]
	flat_load_ushort v1, v[6:7]
	s_waitcnt vmcnt(0) lgkmcnt(0)
	v_mul_f16_e32 v7, v32, v1
.LBB303_11:
	s_or_b64 exec, exec, s[2:3]
	v_or_b32_e32 v1, 64, v24
	v_cmp_le_i32_e64 s[8:9], s21, v1
	s_or_b64 s[2:3], s[8:9], s[10:11]
	s_or_b64 s[2:3], s[2:3], s[16:17]
	s_xor_b64 s[10:11], s[2:3], -1
	v_mov_b32_e32 v1, 0
	v_mov_b32_e32 v11, 0
	s_and_saveexec_b64 s[2:3], s[10:11]
	s_cbranch_execz .LBB303_13
; %bb.12:
	v_lshl_add_u64 v[2:3], v[24:25], 1, v[2:3]
	flat_load_ushort v2, v[2:3] offset:128
	s_waitcnt vmcnt(0) lgkmcnt(0)
	v_mul_f16_e32 v11, v32, v2
.LBB303_13:
	s_or_b64 exec, exec, s[2:3]
	v_or_b32_e32 v2, 4, v33
	v_cmp_gt_i32_e64 s[2:3], s22, v2
	s_and_b64 s[2:3], s[2:3], vcc
	s_and_b64 s[10:11], s[4:5], s[2:3]
	s_and_saveexec_b64 s[2:3], s[10:11]
	s_cbranch_execz .LBB303_15
; %bb.14:
	v_mad_i64_i32 v[2:3], s[10:11], v4, s35, 0
	v_lshl_add_u64 v[2:3], v[2:3], 1, s[28:29]
	v_mov_b32_e32 v1, 0
	v_lshl_add_u64 v[2:3], v[2:3], 0, v[0:1]
	flat_load_ushort v1, v[2:3] offset:8
	s_waitcnt vmcnt(0) lgkmcnt(0)
	v_mul_f16_e32 v1, v32, v1
.LBB303_15:
	s_or_b64 exec, exec, s[2:3]
	v_add_u32_e32 v2, 4, v34
	v_cmp_le_i32_e64 s[10:11], s22, v2
	v_min_i32_e32 v2, s31, v2
	v_mad_i64_i32 v[2:3], s[2:3], s23, v2, 0
	s_or_b64 s[2:3], s[6:7], s[10:11]
	s_or_b64 s[2:3], s[2:3], s[16:17]
	v_lshl_add_u64 v[2:3], v[2:3], 1, s[14:15]
	s_xor_b64 s[36:37], s[2:3], -1
	v_mov_b32_e32 v5, 0
	v_mov_b32_e32 v6, 0
	s_and_saveexec_b64 s[2:3], s[36:37]
	s_cbranch_execz .LBB303_17
; %bb.16:
	v_lshl_add_u64 v[12:13], v[24:25], 1, v[2:3]
	flat_load_ushort v6, v[12:13]
	s_waitcnt vmcnt(0) lgkmcnt(0)
	v_mul_f16_e32 v6, v32, v6
.LBB303_17:
	s_or_b64 exec, exec, s[2:3]
	s_or_b64 s[2:3], s[8:9], s[10:11]
	s_or_b64 s[2:3], s[2:3], s[16:17]
	s_xor_b64 s[10:11], s[2:3], -1
	s_and_saveexec_b64 s[2:3], s[10:11]
	s_cbranch_execz .LBB303_19
; %bb.18:
	v_lshl_add_u64 v[2:3], v[24:25], 1, v[2:3]
	flat_load_ushort v2, v[2:3] offset:128
	s_waitcnt vmcnt(0) lgkmcnt(0)
	v_mul_f16_e32 v5, v32, v2
.LBB303_19:
	s_or_b64 exec, exec, s[2:3]
	v_lshlrev_b32_e32 v3, 1, v34
	v_lshl_or_b32 v2, v8, 3, v0
	v_lshl_add_u32 v37, v10, 3, v3
	v_lshlrev_b32_e32 v36, 3, v30
	v_lshlrev_b32_e32 v35, 3, v31
	ds_write_b16 v2, v9 offset:2048
	ds_write_b16 v37, v7
	ds_write_b16 v37, v11 offset:512
	s_waitcnt lgkmcnt(0)
	s_barrier
	ds_read2_b64 v[8:11], v35 offset1:32
	v_add_u32_e32 v38, 0x800, v36
	ds_read2_b64 v[12:15], v38 offset0:48 offset1:56
	ds_read2_b64 v[16:19], v35 offset0:64 offset1:96
	ds_read2_b64 v[20:23], v38 offset1:8
	ds_read2_b64 v[26:29], v38 offset0:16 offset1:24
	ds_read2_b64 v[40:43], v38 offset0:32 offset1:40
	s_waitcnt lgkmcnt(5)
	v_pk_max_f16 v3, v8, v8
	s_waitcnt lgkmcnt(4)
	v_pk_max_f16 v7, v14, v14
	v_pk_max_f16 v10, v10, v10
	v_pk_min_f16 v8, v7, v3
	s_waitcnt lgkmcnt(3)
	v_pk_max_f16 v14, v16, v16
	s_waitcnt lgkmcnt(2)
	v_pk_max_f16 v16, v20, v20
	v_pk_max_f16 v18, v18, v18
	v_pk_max_f16 v22, v22, v22
	s_waitcnt lgkmcnt(1)
	v_pk_max_f16 v26, v26, v26
	v_pk_max_f16 v28, v28, v28
	;; [unrolled: 4-line block ×3, first 2 shown]
	v_pk_max_f16 v12, v12, v12
	v_pk_max_f16 v15, v15, v15
	v_pk_min_f16 v20, v16, v3
	v_pk_min_f16 v39, v16, v10
	v_pk_min_f16 v45, v16, v14
	v_pk_min_f16 v16, v16, v18
	v_pk_min_f16 v46, v22, v3
	v_pk_min_f16 v47, v22, v10
	v_pk_min_f16 v48, v22, v14
	v_pk_min_f16 v22, v22, v18
	v_pk_min_f16 v49, v26, v3
	v_pk_min_f16 v50, v26, v10
	v_pk_min_f16 v54, v26, v14
	v_pk_min_f16 v26, v26, v18
	v_pk_min_f16 v55, v28, v3
	v_pk_min_f16 v56, v28, v10
	v_pk_min_f16 v57, v28, v14
	v_pk_min_f16 v28, v28, v18
	v_pk_max_f16 v11, v11, v11
	v_pk_min_f16 v62, v40, v3
	v_pk_min_f16 v63, v40, v10
	;; [unrolled: 1-line block ×15, first 2 shown]
	v_pk_add_f16 v8, v8, 0
	v_pk_min_f16 v18, v15, v9
	v_pk_max_f16 v17, v17, v17
	v_pk_add_f16 v69, v8, v18
	v_pk_add_f16 v8, v51, 0
	v_pk_min_f16 v18, v15, v11
	v_pk_max_f16 v21, v21, v21
	v_pk_add_f16 v61, v8, v18
	;; [unrolled: 4-line block ×6, first 2 shown]
	v_pk_add_f16 v8, v16, 0
	v_pk_min_f16 v16, v21, v19
	v_pk_add_f16 v18, v56, 0
	v_pk_add_f16 v52, v8, v16
	v_pk_add_f16 v8, v46, 0
	v_pk_min_f16 v16, v23, v9
	v_pk_add_f16 v20, v57, 0
	v_pk_add_f16 v75, v8, v16
	;; [unrolled: 4-line block ×7, first 2 shown]
	v_pk_add_f16 v8, v54, 0
	v_pk_min_f16 v16, v27, v17
	v_pk_min_f16 v27, v27, v19
	v_pk_add_f16 v58, v8, v16
	v_pk_add_f16 v8, v26, 0
	;; [unrolled: 1-line block ×4, first 2 shown]
	v_pk_min_f16 v8, v29, v9
	v_pk_add_f16 v26, v64, 0
	v_pk_add_f16 v73, v16, v8
	v_pk_min_f16 v8, v29, v11
	v_pk_add_f16 v40, v70, 0
	v_pk_add_f16 v65, v18, v8
	v_pk_min_f16 v8, v29, v17
	v_pk_add_f16 v45, v71, 0
	v_pk_add_f16 v57, v20, v8
	v_pk_min_f16 v8, v29, v19
	v_pk_add_f16 v42, v42, 0
	v_pk_add_f16 v49, v21, v8
	v_pk_max_f16 v8, v41, v41
	v_pk_add_f16 v3, v3, 0
	v_pk_min_f16 v16, v8, v9
	v_pk_add_f16 v10, v10, 0
	v_pk_add_f16 v72, v22, v16
	v_pk_min_f16 v16, v8, v11
	v_pk_add_f16 v14, v14, 0
	v_pk_add_f16 v64, v23, v16
	v_pk_min_f16 v16, v8, v17
	v_pk_min_f16 v8, v8, v19
	v_pk_add_f16 v56, v26, v16
	v_pk_add_f16 v48, v28, v8
	v_pk_max_f16 v8, v43, v43
	v_pk_add_f16 v12, v12, 0
	v_pk_min_f16 v16, v8, v9
	v_pk_add_f16 v7, v7, 0
	v_pk_add_f16 v71, v39, v16
	v_pk_min_f16 v16, v8, v11
	s_mov_b32 s33, 0
	v_pk_add_f16 v63, v40, v16
	v_pk_min_f16 v16, v8, v17
	v_pk_min_f16 v8, v8, v19
	v_pk_add_f16 v55, v45, v16
	v_pk_add_f16 v47, v42, v8
	v_pk_max_f16 v8, v13, v13
	s_cmp_lt_i32 s22, 9
	v_pk_min_f16 v9, v8, v9
	ds_write_b16 v2, v1 offset:2560
	ds_write_b16 v37, v6 offset:1024
	;; [unrolled: 1-line block ×3, first 2 shown]
	v_pk_add_f16 v39, v3, v9
	v_pk_min_f16 v3, v8, v11
	s_waitcnt lgkmcnt(0)
	v_pk_add_f16 v62, v10, v3
	v_pk_min_f16 v3, v8, v17
	s_barrier
	v_pk_add_f16 v54, v14, v3
	v_pk_min_f16 v3, v8, v19
	s_nop 0
	v_pk_add_f16 v46, v12, v3
	v_pk_min_f16 v3, v15, v19
	s_nop 0
	v_pk_add_f16 v45, v7, v3
	s_cbranch_scc1 .LBB303_34
; %bb.20:
	v_mov_b32_e32 v1, 0xa00
	v_lshl_add_u32 v43, v30, 3, v1
	v_mov_b32_e32 v1, 0x400
	v_add_u32_e32 v40, 0x800, v2
	v_add_u32_e32 v41, 0xa00, v2
	v_lshl_add_u32 v70, v31, 3, v1
	v_mad_i64_i32 v[2:3], s[2:3], s35, v4, 0
	v_mov_b32_e32 v1, 0
	v_lshl_add_u64 v[0:1], v[2:3], 1, v[0:1]
	v_lshl_add_u64 v[0:1], v[0:1], 0, s[28:29]
	v_or_b32_e32 v42, 0x400, v37
	s_add_i32 s34, s22, -8
	v_lshl_add_u64 v[26:27], v[0:1], 0, 24
	s_branch .LBB303_22
.LBB303_21:                             ;   in Loop: Header=BB303_22 Depth=1
	s_or_b64 exec, exec, s[2:3]
	v_pk_add_f16 v20, v61, v20
	v_pk_add_f16 v12, v53, v12
	;; [unrolled: 1-line block ×18, first 2 shown]
	ds_read2_b64 v[6:9], v38 offset0:48 offset1:56
	ds_read2_b64 v[10:13], v35 offset1:32
	v_pk_add_f16 v2, v69, v2
	v_pk_add_f16 v22, v68, v22
	;; [unrolled: 1-line block ×5, first 2 shown]
	s_waitcnt lgkmcnt(1)
	v_pk_max_f16 v8, v8, v8
	s_waitcnt lgkmcnt(0)
	v_pk_max_f16 v10, v10, v10
	v_pk_add_f16 v16, v76, v16
	v_pk_add_f16 v53, v66, v83
	;; [unrolled: 1-line block ×10, first 2 shown]
	ds_read2_b64 v[2:5], v35 offset0:64 offset1:96
	v_pk_min_f16 v14, v8, v10
	v_pk_add_f16 v60, v64, v89
	v_pk_add_f16 v64, v16, v17
	;; [unrolled: 1-line block ×4, first 2 shown]
	ds_read2_b64 v[14:17], v38 offset1:8
	v_pk_max_f16 v12, v12, v12
	s_waitcnt lgkmcnt(1)
	v_pk_max_f16 v2, v2, v2
	v_pk_min_f16 v63, v8, v12
	v_pk_max_f16 v4, v4, v4
	v_pk_add_f16 v63, v20, v63
	v_pk_min_f16 v20, v8, v2
	s_waitcnt lgkmcnt(0)
	v_pk_max_f16 v14, v14, v14
	v_pk_add_f16 v68, v21, v20
	v_pk_min_f16 v20, v14, v10
	v_pk_max_f16 v16, v16, v16
	v_pk_add_f16 v64, v64, v20
	v_pk_min_f16 v20, v14, v12
	v_pk_add_f16 v51, v51, v82
	v_pk_add_f16 v22, v22, v20
	v_pk_min_f16 v20, v14, v2
	v_pk_min_f16 v14, v14, v4
	v_pk_add_f16 v23, v23, v20
	v_pk_min_f16 v20, v16, v10
	v_pk_add_f16 v14, v28, v14
	v_pk_add_f16 v28, v18, v20
	v_pk_min_f16 v18, v16, v12
	v_pk_add_f16 v51, v51, v103
	v_pk_add_f16 v71, v19, v18
	ds_read2_b64 v[18:21], v38 offset0:16 offset1:24
	v_pk_min_f16 v69, v16, v2
	v_pk_min_f16 v16, v16, v4
	v_pk_add_f16 v50, v50, v85
	v_pk_add_f16 v16, v51, v16
	s_waitcnt lgkmcnt(0)
	v_pk_max_f16 v18, v18, v18
	v_pk_add_f16 v53, v53, v104
	v_pk_min_f16 v51, v18, v10
	ds_read2_b64 v[80:83], v38 offset0:32 offset1:40
	v_pk_add_f16 v72, v52, v51
	v_pk_min_f16 v51, v18, v12
	v_pk_add_f16 v50, v50, v106
	v_pk_add_f16 v73, v53, v51
	v_pk_min_f16 v51, v18, v2
	v_pk_min_f16 v18, v18, v4
	v_pk_max_f16 v20, v20, v20
	v_pk_add_f16 v18, v50, v18
	v_pk_min_f16 v50, v20, v10
	v_pk_add_f16 v49, v49, v88
	v_pk_add_f16 v59, v59, v107
	;; [unrolled: 1-line block ×3, first 2 shown]
	v_pk_min_f16 v50, v20, v12
	v_pk_add_f16 v57, v57, v87
	v_pk_add_f16 v49, v49, v109
	v_pk_add_f16 v79, v59, v50
	v_pk_min_f16 v50, v20, v2
	v_pk_min_f16 v20, v20, v4
	v_pk_add_f16 v57, v57, v108
	v_pk_add_f16 v20, v49, v20
	s_waitcnt lgkmcnt(0)
	v_pk_max_f16 v49, v80, v80
	v_pk_add_f16 v57, v57, v50
	v_pk_min_f16 v50, v49, v10
	v_pk_add_f16 v48, v48, v91
	v_pk_add_f16 v60, v60, v111
	;; [unrolled: 1-line block ×3, first 2 shown]
	v_pk_min_f16 v50, v49, v12
	v_pk_add_f16 v58, v58, v84
	v_pk_add_f16 v56, v56, v90
	;; [unrolled: 1-line block ×4, first 2 shown]
	v_pk_min_f16 v50, v49, v2
	v_pk_min_f16 v49, v49, v4
	v_pk_add_f16 v56, v56, v112
	v_pk_add_f16 v48, v48, v49
	v_pk_max_f16 v49, v82, v82
	v_pk_add_f16 v56, v56, v50
	v_pk_min_f16 v50, v49, v10
	v_pk_add_f16 v61, v61, v114
	v_pk_add_f16 v82, v67, v50
	v_pk_min_f16 v50, v49, v12
	v_pk_max_f16 v6, v6, v6
	v_pk_add_f16 v85, v61, v50
	v_pk_min_f16 v50, v49, v2
	v_pk_min_f16 v10, v6, v10
	;; [unrolled: 1-line block ×6, first 2 shown]
	v_pk_add_f16 v1, v1, v6
	v_pk_min_f16 v4, v8, v4
	v_pk_max_f16 v6, v9, v9
	v_pk_max_f16 v8, v11, v11
	v_pk_add_f16 v29, v29, v69
	v_pk_min_f16 v9, v6, v8
	v_pk_max_f16 v3, v3, v3
	v_pk_add_f16 v69, v46, v9
	v_pk_max_f16 v9, v13, v13
	v_pk_max_f16 v5, v5, v5
	v_pk_min_f16 v11, v6, v9
	v_pk_add_f16 v58, v58, v105
	v_pk_add_f16 v61, v63, v11
	v_pk_min_f16 v11, v6, v3
	v_pk_add_f16 v58, v58, v51
	v_pk_add_f16 v53, v68, v11
	v_pk_max_f16 v11, v15, v15
	v_pk_add_f16 v55, v55, v93
	v_pk_min_f16 v13, v11, v8
	v_pk_add_f16 v55, v55, v115
	v_pk_add_f16 v76, v64, v13
	v_pk_min_f16 v13, v11, v9
	v_pk_add_f16 v55, v55, v50
	v_pk_add_f16 v68, v22, v13
	v_pk_min_f16 v13, v11, v3
	v_pk_min_f16 v11, v11, v5
	v_pk_add_f16 v60, v23, v13
	v_pk_add_f16 v52, v14, v11
	v_pk_max_f16 v11, v17, v17
	v_pk_add_f16 v47, v47, v94
	v_pk_min_f16 v13, v11, v8
	v_pk_add_f16 v47, v47, v116
	v_pk_add_f16 v75, v28, v13
	v_pk_min_f16 v13, v11, v9
	v_pk_add_f16 v47, v47, v49
	v_pk_add_f16 v67, v71, v13
	v_pk_min_f16 v13, v11, v3
	;; [unrolled: 12-line block ×3, first 2 shown]
	v_pk_min_f16 v11, v11, v5
	v_pk_add_f16 v58, v58, v13
	v_pk_add_f16 v50, v18, v11
	v_pk_max_f16 v11, v21, v21
	v_pk_max_f16 v7, v7, v7
	v_pk_min_f16 v13, v11, v8
	v_pk_add_f16 v62, v62, v96
	v_pk_add_f16 v73, v65, v13
	v_pk_min_f16 v13, v11, v9
	v_pk_add_f16 v39, v39, v117
	v_pk_add_f16 v65, v79, v13
	v_pk_min_f16 v13, v11, v3
	v_pk_min_f16 v11, v11, v5
	v_pk_add_f16 v57, v57, v13
	v_pk_add_f16 v49, v20, v11
	v_pk_max_f16 v11, v81, v81
	v_pk_add_f16 v2, v54, v2
	v_pk_min_f16 v13, v11, v8
	v_pk_add_f16 v62, v62, v118
	v_pk_add_f16 v72, v80, v13
	v_pk_min_f16 v13, v11, v9
	v_pk_add_f16 v10, v39, v10
	v_pk_add_f16 v64, v84, v13
	v_pk_min_f16 v13, v11, v3
	v_pk_min_f16 v11, v11, v5
	v_pk_add_f16 v56, v56, v13
	v_pk_add_f16 v48, v48, v11
	v_pk_max_f16 v11, v83, v83
	v_pk_add_f16 v12, v62, v12
	v_pk_min_f16 v13, v11, v8
	v_pk_min_f16 v8, v7, v8
	v_pk_add_f16 v71, v82, v13
	v_pk_min_f16 v13, v11, v9
	v_pk_add_f16 v4, v45, v4
	v_pk_add_f16 v63, v85, v13
	v_pk_min_f16 v13, v11, v3
	v_pk_min_f16 v3, v7, v3
	;; [unrolled: 1-line block ×3, first 2 shown]
	v_pk_add_f16 v54, v2, v3
	v_pk_min_f16 v2, v7, v5
	v_pk_add_f16 v39, v10, v8
	v_pk_min_f16 v8, v7, v9
	;; [unrolled: 2-line block ×3, first 2 shown]
	s_add_i32 s33, s33, 8
	v_pk_add_f16 v55, v55, v13
	v_pk_add_f16 v47, v47, v11
	;; [unrolled: 1-line block ×4, first 2 shown]
	s_cmp_ge_i32 s33, s34
	v_lshl_add_u64 v[26:27], v[26:27], 0, 16
	ds_write_b16 v41, v78
	ds_write_b16 v42, v77
	ds_write_b16 v42, v0 offset:512
	s_waitcnt lgkmcnt(0)
	s_barrier
	s_cbranch_scc1 .LBB303_34
.LBB303_22:                             ; =>This Inner Loop Header: Depth=1
	v_add_u32_e32 v28, s33, v33
	v_add_u32_e32 v0, 8, v28
	v_cmp_gt_i32_e64 s[2:3], s22, v0
	s_and_b64 s[2:3], s[2:3], vcc
	s_and_b64 s[2:3], s[4:5], s[2:3]
	v_mov_b32_e32 v77, 0
	s_and_saveexec_b64 s[10:11], s[2:3]
	s_cbranch_execz .LBB303_24
; %bb.23:                               ;   in Loop: Header=BB303_22 Depth=1
	v_add_co_u32_e64 v0, s[2:3], -8, v26
	s_nop 1
	v_addc_co_u32_e64 v1, s[2:3], -1, v27, s[2:3]
	flat_load_ushort v0, v[0:1]
	s_waitcnt vmcnt(0) lgkmcnt(0)
	v_mul_f16_e32 v77, v32, v0
.LBB303_24:                             ;   in Loop: Header=BB303_22 Depth=1
	s_or_b64 exec, exec, s[10:11]
	v_add_u32_e32 v29, s33, v34
	v_add_u32_e32 v0, 8, v29
	v_cmp_le_i32_e64 s[10:11], s22, v0
	v_min_i32_e32 v0, s31, v0
	v_mad_i64_i32 v[0:1], s[2:3], v0, s23, 0
	s_or_b64 s[2:3], s[6:7], s[10:11]
	v_lshl_add_u64 v[0:1], v[0:1], 1, s[14:15]
	s_or_b64 s[2:3], s[2:3], s[16:17]
	s_xor_b64 s[28:29], s[2:3], -1
	v_mov_b32_e32 v78, 0
	v_lshl_add_u64 v[0:1], v[24:25], 1, v[0:1]
	v_mov_b32_e32 v79, 0
	s_and_saveexec_b64 s[2:3], s[28:29]
	s_cbranch_execz .LBB303_26
; %bb.25:                               ;   in Loop: Header=BB303_22 Depth=1
	flat_load_ushort v2, v[0:1]
	s_waitcnt vmcnt(0) lgkmcnt(0)
	v_mul_f16_e32 v79, v32, v2
.LBB303_26:                             ;   in Loop: Header=BB303_22 Depth=1
	s_or_b64 exec, exec, s[2:3]
	s_or_b64 s[2:3], s[8:9], s[10:11]
	s_or_b64 s[2:3], s[2:3], s[16:17]
	s_xor_b64 s[10:11], s[2:3], -1
	s_and_saveexec_b64 s[2:3], s[10:11]
	s_cbranch_execz .LBB303_28
; %bb.27:                               ;   in Loop: Header=BB303_22 Depth=1
	flat_load_ushort v0, v[0:1] offset:128
	s_waitcnt vmcnt(0) lgkmcnt(0)
	v_mul_f16_e32 v78, v32, v0
.LBB303_28:                             ;   in Loop: Header=BB303_22 Depth=1
	s_or_b64 exec, exec, s[2:3]
	ds_read2_b64 v[0:3], v43 offset0:48 offset1:56
	ds_read2_b64 v[12:15], v70 offset0:64 offset1:96
	ds_read2_b64 v[20:23], v70 offset1:32
	ds_read2_b64 v[16:19], v43 offset1:8
	ds_read2_b64 v[8:11], v43 offset0:16 offset1:24
	ds_read2_b64 v[4:7], v43 offset0:32 offset1:40
	v_add_u32_e32 v28, 12, v28
	v_cmp_gt_i32_e64 s[2:3], s22, v28
	s_and_b64 s[2:3], s[2:3], vcc
	ds_write_b16 v40, v77
	ds_write_b16 v37, v79
	ds_write_b16 v37, v78 offset:512
	s_and_b64 s[10:11], s[4:5], s[2:3]
	v_mov_b32_e32 v77, 0
	v_mov_b32_e32 v78, 0
	s_waitcnt lgkmcnt(0)
	s_barrier
	s_and_saveexec_b64 s[2:3], s[10:11]
	s_cbranch_execz .LBB303_30
; %bb.29:                               ;   in Loop: Header=BB303_22 Depth=1
	flat_load_ushort v28, v[26:27]
	s_waitcnt vmcnt(0) lgkmcnt(0)
	v_mul_f16_e32 v78, v32, v28
.LBB303_30:                             ;   in Loop: Header=BB303_22 Depth=1
	s_or_b64 exec, exec, s[2:3]
	v_add_u32_e32 v28, 12, v29
	v_cmp_le_i32_e64 s[10:11], s22, v28
	v_min_i32_e32 v28, s31, v28
	v_mad_i64_i32 v[28:29], s[2:3], v28, s23, 0
	s_or_b64 s[2:3], s[6:7], s[10:11]
	v_lshl_add_u64 v[28:29], v[28:29], 1, s[14:15]
	s_or_b64 s[2:3], s[2:3], s[16:17]
	s_xor_b64 s[28:29], s[2:3], -1
	v_lshl_add_u64 v[28:29], v[24:25], 1, v[28:29]
	s_and_saveexec_b64 s[2:3], s[28:29]
	s_cbranch_execz .LBB303_32
; %bb.31:                               ;   in Loop: Header=BB303_22 Depth=1
	flat_load_ushort v77, v[28:29]
	s_waitcnt vmcnt(0) lgkmcnt(0)
	v_mul_f16_e32 v77, v32, v77
.LBB303_32:                             ;   in Loop: Header=BB303_22 Depth=1
	s_or_b64 exec, exec, s[2:3]
	v_pk_max_f16 v99, v2, v2
	v_pk_max_f16 v95, v20, v20
	v_pk_max_f16 v96, v22, v22
	v_pk_max_f16 v97, v12, v12
	v_pk_max_f16 v80, v16, v16
	v_pk_max_f16 v100, v14, v14
	v_pk_max_f16 v82, v18, v18
	v_pk_max_f16 v85, v8, v8
	v_pk_max_f16 v88, v10, v10
	v_pk_max_f16 v91, v4, v4
	v_pk_max_f16 v94, v6, v6
	v_pk_max_f16 v0, v0, v0
	v_pk_max_f16 v117, v21, v21
	v_pk_max_f16 v118, v23, v23
	v_pk_max_f16 v119, v13, v13
	v_pk_max_f16 v120, v15, v15
	v_pk_max_f16 v5, v5, v5
	s_or_b64 s[2:3], s[8:9], s[10:11]
	v_pk_min_f16 v2, v99, v95
	v_pk_min_f16 v20, v99, v96
	;; [unrolled: 1-line block ×26, first 2 shown]
	v_pk_max_f16 v0, v3, v3
	v_pk_max_f16 v101, v17, v17
	;; [unrolled: 1-line block ×5, first 2 shown]
	v_pk_min_f16 v110, v5, v117
	v_pk_min_f16 v111, v5, v118
	;; [unrolled: 1-line block ×4, first 2 shown]
	v_pk_max_f16 v5, v7, v7
	v_pk_max_f16 v1, v1, v1
	s_or_b64 s[2:3], s[2:3], s[16:17]
	v_pk_min_f16 v82, v82, v100
	v_pk_min_f16 v85, v85, v100
	;; [unrolled: 1-line block ×34, first 2 shown]
	s_xor_b64 s[10:11], s[2:3], -1
	v_mov_b32_e32 v0, 0
	s_and_saveexec_b64 s[2:3], s[10:11]
	s_cbranch_execz .LBB303_21
; %bb.33:                               ;   in Loop: Header=BB303_22 Depth=1
	flat_load_ushort v0, v[28:29] offset:128
	s_waitcnt vmcnt(0) lgkmcnt(0)
	v_mul_f16_e32 v0, v32, v0
	s_branch .LBB303_21
.LBB303_34:
	s_load_dwordx2 s[2:3], s[0:1], 0x78
	s_load_dword s29, s[0:1], 0x58
	s_load_dword s28, s[0:1], 0x70
	v_add_u32_e32 v8, 0x800, v36
	ds_read2_b64 v[0:3], v8 offset0:112 offset1:120
	ds_read2_b64 v[4:7], v35 offset0:192 offset1:224
	;; [unrolled: 1-line block ×6, first 2 shown]
	s_waitcnt lgkmcnt(0)
	s_mul_i32 s1, s26, s3
	s_mul_hi_u32 s3, s26, s2
	s_mul_i32 s0, s26, s2
	s_add_i32 s1, s3, s1
	s_lshl_b64 s[0:1], s[0:1], 1
	s_add_u32 s22, s18, s0
	v_add_u32_e32 v70, s30, v31
	s_addc_u32 s23, s19, s1
	v_mad_i64_i32 v[26:27], s[0:1], v70, s29, 0
	v_add_u32_e32 v24, s27, v30
	v_lshl_add_u64 v[42:43], v[26:27], 1, s[24:25]
	v_mad_i64_i32 v[26:27], s[0:1], v70, s28, 0
	v_cmp_gt_i32_e64 s[18:19], s21, v70
	v_lshl_add_u64 v[40:41], v[26:27], 1, s[22:23]
	v_cmp_gt_i32_e64 s[4:5], s20, v24
	v_cndmask_b32_e64 v26, 0, 1, s[12:13]
	s_and_b64 s[6:7], s[4:5], s[18:19]
	v_ashrrev_i32_e32 v25, 31, v24
	v_cmp_ne_u32_e64 s[0:1], 1, v26
	s_and_saveexec_b64 s[2:3], s[6:7]
	s_cbranch_execz .LBB303_39
; %bb.35:
	s_and_b64 vcc, exec, s[0:1]
	s_cbranch_vccnz .LBB303_37
; %bb.36:
	v_lshl_add_u64 v[26:27], v[24:25], 1, v[42:43]
	flat_load_ushort v26, v[26:27]
	s_waitcnt vmcnt(0) lgkmcnt(0)
	v_mul_f16_e32 v26, v44, v26
	s_branch .LBB303_38
.LBB303_37:
	v_mov_b32_e32 v26, 0
.LBB303_38:
	v_pk_max_f16 v27, v20, v20
	v_pk_max_f16 v28, v16, v16
	v_pk_max_f16 v29, v17, v17
	v_pk_min_f16 v27, v28, v27
	v_pk_max_f16 v28, v21, v21
	v_pk_add_f16 v27, v76, v27
	v_pk_min_f16 v28, v29, v28
	s_nop 0
	v_pk_add_f16 v27, v27, v28
	s_nop 0
	v_add_f16_sdwa v27, v27, v27 dst_sel:DWORD dst_unused:UNUSED_PAD src0_sel:DWORD src1_sel:WORD_1
	v_add_f16_e32 v28, v27, v26
	v_lshl_add_u64 v[26:27], v[24:25], 1, v[40:41]
	global_store_short v[26:27], v28, off
.LBB303_39:
	s_or_b64 exec, exec, s[2:3]
	v_add_u32_e32 v26, 8, v24
	v_cmp_gt_i32_e64 s[2:3], s20, v26
	s_and_b64 s[8:9], s[2:3], s[18:19]
	v_ashrrev_i32_e32 v27, 31, v26
	s_and_saveexec_b64 s[6:7], s[8:9]
	s_cbranch_execz .LBB303_44
; %bb.40:
	s_and_b64 vcc, exec, s[0:1]
	s_cbranch_vccnz .LBB303_42
; %bb.41:
	v_lshl_add_u64 v[28:29], v[26:27], 1, v[42:43]
	flat_load_ushort v28, v[28:29]
	s_waitcnt vmcnt(0) lgkmcnt(0)
	v_mul_f16_e32 v28, v44, v28
	s_branch .LBB303_43
.LBB303_42:
	v_mov_b32_e32 v28, 0
.LBB303_43:
	v_pk_max_f16 v29, v20, v20
	v_pk_max_f16 v30, v18, v18
	v_pk_max_f16 v31, v19, v19
	v_pk_min_f16 v29, v30, v29
	v_pk_max_f16 v30, v21, v21
	v_pk_add_f16 v29, v75, v29
	v_pk_min_f16 v30, v31, v30
	s_nop 0
	v_pk_add_f16 v29, v29, v30
	s_nop 0
	v_add_f16_sdwa v29, v29, v29 dst_sel:DWORD dst_unused:UNUSED_PAD src0_sel:DWORD src1_sel:WORD_1
	v_add_f16_e32 v30, v29, v28
	v_lshl_add_u64 v[28:29], v[26:27], 1, v[40:41]
	global_store_short v[28:29], v30, off
.LBB303_44:
	s_or_b64 exec, exec, s[6:7]
	v_add_u32_e32 v28, 16, v24
	v_cmp_gt_i32_e64 s[6:7], s20, v28
	s_and_b64 s[10:11], s[6:7], s[18:19]
	v_ashrrev_i32_e32 v29, 31, v28
	;; [unrolled: 34-line block ×5, first 2 shown]
	s_and_saveexec_b64 s[14:15], s[16:17]
	s_cbranch_execz .LBB303_64
; %bb.60:
	s_and_b64 vcc, exec, s[0:1]
	s_cbranch_vccnz .LBB303_62
; %bb.61:
	v_lshl_add_u64 v[36:37], v[34:35], 1, v[42:43]
	flat_load_ushort v36, v[36:37]
	s_waitcnt vmcnt(0) lgkmcnt(0)
	v_mul_f16_e32 v36, v44, v36
	s_branch .LBB303_63
.LBB303_62:
	v_mov_b32_e32 v36, 0
.LBB303_63:
	v_pk_max_f16 v37, v20, v20
	v_pk_max_f16 v38, v10, v10
	s_nop 0
	v_pk_min_f16 v37, v38, v37
	v_pk_max_f16 v38, v21, v21
	v_pk_add_f16 v37, v71, v37
	v_pk_max_f16 v71, v11, v11
	s_nop 0
	v_pk_min_f16 v38, v71, v38
	s_nop 0
	v_pk_add_f16 v37, v37, v38
	s_nop 0
	v_add_f16_sdwa v37, v37, v37 dst_sel:DWORD dst_unused:UNUSED_PAD src0_sel:DWORD src1_sel:WORD_1
	v_add_f16_e32 v38, v37, v36
	v_lshl_add_u64 v[36:37], v[34:35], 1, v[40:41]
	global_store_short v[36:37], v38, off
.LBB303_64:
	s_or_b64 exec, exec, s[14:15]
	v_add_u32_e32 v36, 48, v24
	v_cmp_gt_i32_e64 s[14:15], s20, v36
	s_and_b64 s[26:27], s[14:15], s[18:19]
	v_ashrrev_i32_e32 v37, 31, v36
	s_and_saveexec_b64 s[16:17], s[26:27]
	s_cbranch_execz .LBB303_69
; %bb.65:
	s_and_b64 vcc, exec, s[0:1]
	s_cbranch_vccnz .LBB303_67
; %bb.66:
	v_lshl_add_u64 v[72:73], v[36:37], 1, v[42:43]
	flat_load_ushort v38, v[72:73]
	s_waitcnt vmcnt(0) lgkmcnt(0)
	v_mul_f16_e32 v38, v44, v38
	s_branch .LBB303_68
.LBB303_67:
	v_mov_b32_e32 v38, 0
.LBB303_68:
	v_pk_max_f16 v71, v20, v20
	v_pk_max_f16 v72, v0, v0
	s_nop 0
	v_pk_min_f16 v71, v72, v71
	v_pk_max_f16 v72, v1, v1
	v_pk_add_f16 v39, v39, v71
	v_pk_max_f16 v71, v21, v21
	s_nop 0
	v_pk_min_f16 v71, v72, v71
	s_nop 0
	v_pk_add_f16 v39, v39, v71
	s_nop 0
	v_add_f16_sdwa v39, v39, v39 dst_sel:DWORD dst_unused:UNUSED_PAD src0_sel:DWORD src1_sel:WORD_1
	v_add_f16_e32 v71, v39, v38
	v_lshl_add_u64 v[38:39], v[36:37], 1, v[40:41]
	global_store_short v[38:39], v71, off
.LBB303_69:
	s_or_b64 exec, exec, s[16:17]
	v_add_u32_e32 v38, 56, v24
	v_cmp_gt_i32_e64 s[16:17], s20, v38
	s_and_b64 s[26:27], s[16:17], s[18:19]
	v_ashrrev_i32_e32 v39, 31, v38
	s_and_saveexec_b64 s[18:19], s[26:27]
	s_cbranch_execz .LBB303_74
; %bb.70:
	s_and_b64 vcc, exec, s[0:1]
	s_cbranch_vccnz .LBB303_72
; %bb.71:
	v_lshl_add_u64 v[42:43], v[38:39], 1, v[42:43]
	flat_load_ushort v42, v[42:43]
	s_waitcnt vmcnt(0) lgkmcnt(0)
	v_mul_f16_e32 v42, v44, v42
	s_branch .LBB303_73
.LBB303_72:
	v_mov_b32_e32 v42, 0
.LBB303_73:
	v_pk_max_f16 v20, v20, v20
	v_pk_max_f16 v43, v2, v2
	;; [unrolled: 1-line block ×3, first 2 shown]
	v_pk_min_f16 v20, v43, v20
	v_pk_max_f16 v43, v3, v3
	v_pk_add_f16 v20, v69, v20
	v_pk_min_f16 v21, v43, v21
	s_nop 0
	v_pk_add_f16 v20, v20, v21
	s_nop 0
	v_add_f16_sdwa v20, v20, v20 dst_sel:DWORD dst_unused:UNUSED_PAD src0_sel:DWORD src1_sel:WORD_1
	v_add_f16_e32 v42, v20, v42
	v_lshl_add_u64 v[20:21], v[38:39], 1, v[40:41]
	global_store_short v[20:21], v42, off
.LBB303_74:
	s_or_b64 exec, exec, s[18:19]
	v_add_u32_e32 v42, 32, v70
	v_mad_i64_i32 v[20:21], s[26:27], v42, s29, 0
	v_cmp_gt_i32_e64 s[18:19], s21, v42
	v_lshl_add_u64 v[40:41], v[20:21], 1, s[24:25]
	v_mad_i64_i32 v[20:21], s[26:27], v42, s28, 0
	v_lshl_add_u64 v[20:21], v[20:21], 1, s[22:23]
	s_and_b64 s[30:31], s[4:5], s[18:19]
	s_and_saveexec_b64 s[26:27], s[30:31]
	s_cbranch_execnz .LBB303_82
; %bb.75:
	s_or_b64 exec, exec, s[26:27]
	s_and_b64 s[30:31], s[2:3], s[18:19]
	s_and_saveexec_b64 s[26:27], s[30:31]
	s_cbranch_execnz .LBB303_86
.LBB303_76:
	s_or_b64 exec, exec, s[26:27]
	s_and_b64 s[30:31], s[6:7], s[18:19]
	s_and_saveexec_b64 s[26:27], s[30:31]
	s_cbranch_execnz .LBB303_90
.LBB303_77:
	s_or_b64 exec, exec, s[26:27]
	s_and_b64 s[30:31], s[8:9], s[18:19]
	s_and_saveexec_b64 s[26:27], s[30:31]
	s_cbranch_execnz .LBB303_94
.LBB303_78:
	s_or_b64 exec, exec, s[26:27]
	s_and_b64 s[30:31], s[10:11], s[18:19]
	s_and_saveexec_b64 s[26:27], s[30:31]
	s_cbranch_execnz .LBB303_98
.LBB303_79:
	s_or_b64 exec, exec, s[26:27]
	s_and_b64 s[30:31], s[12:13], s[18:19]
	s_and_saveexec_b64 s[26:27], s[30:31]
	s_cbranch_execnz .LBB303_102
.LBB303_80:
	s_or_b64 exec, exec, s[26:27]
	s_and_b64 s[30:31], s[14:15], s[18:19]
	s_and_saveexec_b64 s[26:27], s[30:31]
	s_cbranch_execnz .LBB303_106
.LBB303_81:
	s_or_b64 exec, exec, s[26:27]
	s_and_b64 s[26:27], s[16:17], s[18:19]
	s_and_saveexec_b64 s[18:19], s[26:27]
	s_cbranch_execnz .LBB303_110
	s_branch .LBB303_114
.LBB303_82:
	s_and_b64 vcc, exec, s[0:1]
	s_cbranch_vccnz .LBB303_84
; %bb.83:
	v_lshl_add_u64 v[42:43], v[24:25], 1, v[40:41]
	flat_load_ushort v42, v[42:43]
	s_waitcnt vmcnt(0) lgkmcnt(0)
	v_mul_f16_e32 v42, v44, v42
	s_branch .LBB303_85
.LBB303_84:
	v_mov_b32_e32 v42, 0
.LBB303_85:
	v_pk_max_f16 v43, v22, v22
	v_pk_max_f16 v69, v16, v16
	s_nop 0
	v_pk_min_f16 v43, v69, v43
	v_pk_max_f16 v69, v17, v17
	v_pk_add_f16 v43, v68, v43
	v_pk_max_f16 v68, v23, v23
	s_nop 0
	v_pk_min_f16 v68, v69, v68
	s_nop 0
	v_pk_add_f16 v43, v43, v68
	s_nop 0
	v_add_f16_sdwa v43, v43, v43 dst_sel:DWORD dst_unused:UNUSED_PAD src0_sel:DWORD src1_sel:WORD_1
	v_add_f16_e32 v68, v43, v42
	v_lshl_add_u64 v[42:43], v[24:25], 1, v[20:21]
	global_store_short v[42:43], v68, off
	s_or_b64 exec, exec, s[26:27]
	s_and_b64 s[30:31], s[2:3], s[18:19]
	s_and_saveexec_b64 s[26:27], s[30:31]
	s_cbranch_execz .LBB303_76
.LBB303_86:
	s_and_b64 vcc, exec, s[0:1]
	s_cbranch_vccnz .LBB303_88
; %bb.87:
	v_lshl_add_u64 v[42:43], v[26:27], 1, v[40:41]
	flat_load_ushort v42, v[42:43]
	s_waitcnt vmcnt(0) lgkmcnt(0)
	v_mul_f16_e32 v42, v44, v42
	s_branch .LBB303_89
.LBB303_88:
	v_mov_b32_e32 v42, 0
.LBB303_89:
	v_pk_max_f16 v43, v22, v22
	v_pk_max_f16 v68, v18, v18
	s_nop 0
	v_pk_min_f16 v43, v68, v43
	v_pk_max_f16 v68, v19, v19
	v_pk_add_f16 v43, v67, v43
	v_pk_max_f16 v67, v23, v23
	s_nop 0
	v_pk_min_f16 v67, v68, v67
	s_nop 0
	v_pk_add_f16 v43, v43, v67
	s_nop 0
	v_add_f16_sdwa v43, v43, v43 dst_sel:DWORD dst_unused:UNUSED_PAD src0_sel:DWORD src1_sel:WORD_1
	v_add_f16_e32 v67, v43, v42
	v_lshl_add_u64 v[42:43], v[26:27], 1, v[20:21]
	global_store_short v[42:43], v67, off
	s_or_b64 exec, exec, s[26:27]
	s_and_b64 s[30:31], s[6:7], s[18:19]
	s_and_saveexec_b64 s[26:27], s[30:31]
	s_cbranch_execz .LBB303_77
.LBB303_90:
	s_and_b64 vcc, exec, s[0:1]
	s_cbranch_vccnz .LBB303_92
; %bb.91:
	v_lshl_add_u64 v[42:43], v[28:29], 1, v[40:41]
	flat_load_ushort v42, v[42:43]
	s_waitcnt vmcnt(0) lgkmcnt(0)
	v_mul_f16_e32 v42, v44, v42
	s_branch .LBB303_93
.LBB303_92:
	v_mov_b32_e32 v42, 0
.LBB303_93:
	v_pk_max_f16 v43, v22, v22
	v_pk_max_f16 v67, v12, v12
	s_nop 0
	v_pk_min_f16 v43, v67, v43
	v_pk_max_f16 v67, v13, v13
	v_pk_add_f16 v43, v66, v43
	v_pk_max_f16 v66, v23, v23
	s_nop 0
	v_pk_min_f16 v66, v67, v66
	s_nop 0
	v_pk_add_f16 v43, v43, v66
	s_nop 0
	v_add_f16_sdwa v43, v43, v43 dst_sel:DWORD dst_unused:UNUSED_PAD src0_sel:DWORD src1_sel:WORD_1
	v_add_f16_e32 v66, v43, v42
	v_lshl_add_u64 v[42:43], v[28:29], 1, v[20:21]
	global_store_short v[42:43], v66, off
	s_or_b64 exec, exec, s[26:27]
	s_and_b64 s[30:31], s[8:9], s[18:19]
	s_and_saveexec_b64 s[26:27], s[30:31]
	s_cbranch_execz .LBB303_78
.LBB303_94:
	s_and_b64 vcc, exec, s[0:1]
	s_cbranch_vccnz .LBB303_96
; %bb.95:
	v_lshl_add_u64 v[42:43], v[30:31], 1, v[40:41]
	flat_load_ushort v42, v[42:43]
	s_waitcnt vmcnt(0) lgkmcnt(0)
	v_mul_f16_e32 v42, v44, v42
	s_branch .LBB303_97
.LBB303_96:
	v_mov_b32_e32 v42, 0
.LBB303_97:
	v_pk_max_f16 v43, v22, v22
	v_pk_max_f16 v66, v14, v14
	s_nop 0
	v_pk_min_f16 v43, v66, v43
	v_pk_max_f16 v66, v15, v15
	v_pk_add_f16 v43, v65, v43
	v_pk_max_f16 v65, v23, v23
	s_nop 0
	v_pk_min_f16 v65, v66, v65
	s_nop 0
	v_pk_add_f16 v43, v43, v65
	s_nop 0
	v_add_f16_sdwa v43, v43, v43 dst_sel:DWORD dst_unused:UNUSED_PAD src0_sel:DWORD src1_sel:WORD_1
	v_add_f16_e32 v65, v43, v42
	v_lshl_add_u64 v[42:43], v[30:31], 1, v[20:21]
	global_store_short v[42:43], v65, off
	s_or_b64 exec, exec, s[26:27]
	s_and_b64 s[30:31], s[10:11], s[18:19]
	s_and_saveexec_b64 s[26:27], s[30:31]
	s_cbranch_execz .LBB303_79
.LBB303_98:
	s_and_b64 vcc, exec, s[0:1]
	s_cbranch_vccnz .LBB303_100
; %bb.99:
	v_lshl_add_u64 v[42:43], v[32:33], 1, v[40:41]
	flat_load_ushort v42, v[42:43]
	s_waitcnt vmcnt(0) lgkmcnt(0)
	v_mul_f16_e32 v42, v44, v42
	s_branch .LBB303_101
.LBB303_100:
	v_mov_b32_e32 v42, 0
.LBB303_101:
	v_pk_max_f16 v43, v22, v22
	v_pk_max_f16 v65, v8, v8
	s_nop 0
	v_pk_min_f16 v43, v65, v43
	v_pk_max_f16 v65, v9, v9
	v_pk_add_f16 v43, v64, v43
	v_pk_max_f16 v64, v23, v23
	s_nop 0
	v_pk_min_f16 v64, v65, v64
	s_nop 0
	v_pk_add_f16 v43, v43, v64
	s_nop 0
	v_add_f16_sdwa v43, v43, v43 dst_sel:DWORD dst_unused:UNUSED_PAD src0_sel:DWORD src1_sel:WORD_1
	v_add_f16_e32 v64, v43, v42
	v_lshl_add_u64 v[42:43], v[32:33], 1, v[20:21]
	global_store_short v[42:43], v64, off
	s_or_b64 exec, exec, s[26:27]
	s_and_b64 s[30:31], s[12:13], s[18:19]
	s_and_saveexec_b64 s[26:27], s[30:31]
	s_cbranch_execz .LBB303_80
.LBB303_102:
	s_and_b64 vcc, exec, s[0:1]
	s_cbranch_vccnz .LBB303_104
; %bb.103:
	v_lshl_add_u64 v[42:43], v[34:35], 1, v[40:41]
	flat_load_ushort v42, v[42:43]
	s_waitcnt vmcnt(0) lgkmcnt(0)
	v_mul_f16_e32 v42, v44, v42
	s_branch .LBB303_105
.LBB303_104:
	v_mov_b32_e32 v42, 0
.LBB303_105:
	v_pk_max_f16 v43, v22, v22
	v_pk_max_f16 v64, v10, v10
	s_nop 0
	v_pk_min_f16 v43, v64, v43
	v_pk_max_f16 v64, v11, v11
	v_pk_add_f16 v43, v63, v43
	v_pk_max_f16 v63, v23, v23
	s_nop 0
	v_pk_min_f16 v63, v64, v63
	s_nop 0
	v_pk_add_f16 v43, v43, v63
	s_nop 0
	v_add_f16_sdwa v43, v43, v43 dst_sel:DWORD dst_unused:UNUSED_PAD src0_sel:DWORD src1_sel:WORD_1
	v_add_f16_e32 v63, v43, v42
	v_lshl_add_u64 v[42:43], v[34:35], 1, v[20:21]
	global_store_short v[42:43], v63, off
	s_or_b64 exec, exec, s[26:27]
	s_and_b64 s[30:31], s[14:15], s[18:19]
	s_and_saveexec_b64 s[26:27], s[30:31]
	s_cbranch_execz .LBB303_81
.LBB303_106:
	s_and_b64 vcc, exec, s[0:1]
	s_cbranch_vccnz .LBB303_108
; %bb.107:
	v_lshl_add_u64 v[42:43], v[36:37], 1, v[40:41]
	flat_load_ushort v42, v[42:43]
	s_waitcnt vmcnt(0) lgkmcnt(0)
	v_mul_f16_e32 v42, v44, v42
	s_branch .LBB303_109
.LBB303_108:
	v_mov_b32_e32 v42, 0
.LBB303_109:
	v_pk_max_f16 v43, v22, v22
	v_pk_max_f16 v63, v0, v0
	s_nop 0
	v_pk_min_f16 v43, v63, v43
	v_pk_max_f16 v63, v1, v1
	v_pk_add_f16 v43, v62, v43
	v_pk_max_f16 v62, v23, v23
	s_nop 0
	v_pk_min_f16 v62, v63, v62
	s_nop 0
	v_pk_add_f16 v43, v43, v62
	s_nop 0
	v_add_f16_sdwa v43, v43, v43 dst_sel:DWORD dst_unused:UNUSED_PAD src0_sel:DWORD src1_sel:WORD_1
	v_add_f16_e32 v62, v43, v42
	v_lshl_add_u64 v[42:43], v[36:37], 1, v[20:21]
	global_store_short v[42:43], v62, off
	s_or_b64 exec, exec, s[26:27]
	s_and_b64 s[26:27], s[16:17], s[18:19]
	s_and_saveexec_b64 s[18:19], s[26:27]
	s_cbranch_execz .LBB303_114
.LBB303_110:
	s_and_b64 vcc, exec, s[0:1]
	s_cbranch_vccnz .LBB303_112
; %bb.111:
	v_lshl_add_u64 v[40:41], v[38:39], 1, v[40:41]
	flat_load_ushort v40, v[40:41]
	s_waitcnt vmcnt(0) lgkmcnt(0)
	v_mul_f16_e32 v40, v44, v40
	s_branch .LBB303_113
.LBB303_112:
	v_mov_b32_e32 v40, 0
.LBB303_113:
	v_pk_max_f16 v22, v22, v22
	v_pk_max_f16 v41, v2, v2
	;; [unrolled: 1-line block ×3, first 2 shown]
	v_pk_min_f16 v22, v41, v22
	v_pk_max_f16 v41, v3, v3
	v_pk_add_f16 v22, v61, v22
	v_pk_min_f16 v23, v41, v23
	v_lshl_add_u64 v[20:21], v[38:39], 1, v[20:21]
	v_pk_add_f16 v22, v22, v23
	s_nop 0
	v_add_f16_sdwa v22, v22, v22 dst_sel:DWORD dst_unused:UNUSED_PAD src0_sel:DWORD src1_sel:WORD_1
	v_add_f16_e32 v22, v22, v40
	global_store_short v[20:21], v22, off
.LBB303_114:
	s_or_b64 exec, exec, s[18:19]
	v_add_u32_e32 v40, 64, v70
	v_mad_i64_i32 v[20:21], s[26:27], v40, s29, 0
	v_cmp_gt_i32_e64 s[18:19], s21, v40
	v_lshl_add_u64 v[22:23], v[20:21], 1, s[24:25]
	v_mad_i64_i32 v[20:21], s[26:27], v40, s28, 0
	v_lshl_add_u64 v[20:21], v[20:21], 1, s[22:23]
	s_and_b64 s[30:31], s[4:5], s[18:19]
	s_and_saveexec_b64 s[26:27], s[30:31]
	s_cbranch_execnz .LBB303_122
; %bb.115:
	s_or_b64 exec, exec, s[26:27]
	s_and_b64 s[30:31], s[2:3], s[18:19]
	s_and_saveexec_b64 s[26:27], s[30:31]
	s_cbranch_execnz .LBB303_126
.LBB303_116:
	s_or_b64 exec, exec, s[26:27]
	s_and_b64 s[30:31], s[6:7], s[18:19]
	s_and_saveexec_b64 s[26:27], s[30:31]
	s_cbranch_execnz .LBB303_130
.LBB303_117:
	s_or_b64 exec, exec, s[26:27]
	s_and_b64 s[30:31], s[8:9], s[18:19]
	s_and_saveexec_b64 s[26:27], s[30:31]
	s_cbranch_execnz .LBB303_134
.LBB303_118:
	s_or_b64 exec, exec, s[26:27]
	s_and_b64 s[30:31], s[10:11], s[18:19]
	s_and_saveexec_b64 s[26:27], s[30:31]
	s_cbranch_execnz .LBB303_138
.LBB303_119:
	s_or_b64 exec, exec, s[26:27]
	s_and_b64 s[30:31], s[12:13], s[18:19]
	s_and_saveexec_b64 s[26:27], s[30:31]
	s_cbranch_execnz .LBB303_142
.LBB303_120:
	s_or_b64 exec, exec, s[26:27]
	s_and_b64 s[30:31], s[14:15], s[18:19]
	s_and_saveexec_b64 s[26:27], s[30:31]
	s_cbranch_execnz .LBB303_146
.LBB303_121:
	s_or_b64 exec, exec, s[26:27]
	s_and_b64 s[26:27], s[16:17], s[18:19]
	s_and_saveexec_b64 s[18:19], s[26:27]
	s_cbranch_execnz .LBB303_150
	s_branch .LBB303_154
.LBB303_122:
	s_and_b64 vcc, exec, s[0:1]
	s_cbranch_vccnz .LBB303_124
; %bb.123:
	v_lshl_add_u64 v[40:41], v[24:25], 1, v[22:23]
	flat_load_ushort v40, v[40:41]
	s_waitcnt vmcnt(0) lgkmcnt(0)
	v_mul_f16_e32 v40, v44, v40
	s_branch .LBB303_125
.LBB303_124:
	v_mov_b32_e32 v40, 0
.LBB303_125:
	v_pk_max_f16 v41, v4, v4
	v_pk_max_f16 v42, v16, v16
	;; [unrolled: 1-line block ×3, first 2 shown]
	v_pk_min_f16 v41, v42, v41
	v_pk_max_f16 v42, v5, v5
	v_pk_add_f16 v41, v60, v41
	v_pk_min_f16 v42, v43, v42
	s_nop 0
	v_pk_add_f16 v41, v41, v42
	s_nop 0
	v_add_f16_sdwa v41, v41, v41 dst_sel:DWORD dst_unused:UNUSED_PAD src0_sel:DWORD src1_sel:WORD_1
	v_add_f16_e32 v42, v41, v40
	v_lshl_add_u64 v[40:41], v[24:25], 1, v[20:21]
	global_store_short v[40:41], v42, off
	s_or_b64 exec, exec, s[26:27]
	s_and_b64 s[30:31], s[2:3], s[18:19]
	s_and_saveexec_b64 s[26:27], s[30:31]
	s_cbranch_execz .LBB303_116
.LBB303_126:
	s_and_b64 vcc, exec, s[0:1]
	s_cbranch_vccnz .LBB303_128
; %bb.127:
	v_lshl_add_u64 v[40:41], v[26:27], 1, v[22:23]
	flat_load_ushort v40, v[40:41]
	s_waitcnt vmcnt(0) lgkmcnt(0)
	v_mul_f16_e32 v40, v44, v40
	s_branch .LBB303_129
.LBB303_128:
	v_mov_b32_e32 v40, 0
.LBB303_129:
	v_pk_max_f16 v41, v4, v4
	v_pk_max_f16 v42, v18, v18
	;; [unrolled: 1-line block ×3, first 2 shown]
	v_pk_min_f16 v41, v42, v41
	v_pk_max_f16 v42, v5, v5
	v_pk_add_f16 v41, v59, v41
	v_pk_min_f16 v42, v43, v42
	s_nop 0
	v_pk_add_f16 v41, v41, v42
	s_nop 0
	v_add_f16_sdwa v41, v41, v41 dst_sel:DWORD dst_unused:UNUSED_PAD src0_sel:DWORD src1_sel:WORD_1
	v_add_f16_e32 v42, v41, v40
	v_lshl_add_u64 v[40:41], v[26:27], 1, v[20:21]
	global_store_short v[40:41], v42, off
	s_or_b64 exec, exec, s[26:27]
	s_and_b64 s[30:31], s[6:7], s[18:19]
	s_and_saveexec_b64 s[26:27], s[30:31]
	s_cbranch_execz .LBB303_117
.LBB303_130:
	s_and_b64 vcc, exec, s[0:1]
	s_cbranch_vccnz .LBB303_132
; %bb.131:
	v_lshl_add_u64 v[40:41], v[28:29], 1, v[22:23]
	flat_load_ushort v40, v[40:41]
	s_waitcnt vmcnt(0) lgkmcnt(0)
	v_mul_f16_e32 v40, v44, v40
	s_branch .LBB303_133
.LBB303_132:
	v_mov_b32_e32 v40, 0
.LBB303_133:
	v_pk_max_f16 v41, v4, v4
	v_pk_max_f16 v42, v12, v12
	v_pk_max_f16 v43, v13, v13
	v_pk_min_f16 v41, v42, v41
	v_pk_max_f16 v42, v5, v5
	v_pk_add_f16 v41, v58, v41
	v_pk_min_f16 v42, v43, v42
	s_nop 0
	v_pk_add_f16 v41, v41, v42
	s_nop 0
	v_add_f16_sdwa v41, v41, v41 dst_sel:DWORD dst_unused:UNUSED_PAD src0_sel:DWORD src1_sel:WORD_1
	v_add_f16_e32 v42, v41, v40
	v_lshl_add_u64 v[40:41], v[28:29], 1, v[20:21]
	global_store_short v[40:41], v42, off
	s_or_b64 exec, exec, s[26:27]
	s_and_b64 s[30:31], s[8:9], s[18:19]
	s_and_saveexec_b64 s[26:27], s[30:31]
	s_cbranch_execz .LBB303_118
.LBB303_134:
	s_and_b64 vcc, exec, s[0:1]
	s_cbranch_vccnz .LBB303_136
; %bb.135:
	v_lshl_add_u64 v[40:41], v[30:31], 1, v[22:23]
	flat_load_ushort v40, v[40:41]
	s_waitcnt vmcnt(0) lgkmcnt(0)
	v_mul_f16_e32 v40, v44, v40
	s_branch .LBB303_137
.LBB303_136:
	v_mov_b32_e32 v40, 0
.LBB303_137:
	v_pk_max_f16 v41, v4, v4
	v_pk_max_f16 v42, v14, v14
	;; [unrolled: 1-line block ×3, first 2 shown]
	v_pk_min_f16 v41, v42, v41
	v_pk_max_f16 v42, v5, v5
	v_pk_add_f16 v41, v57, v41
	v_pk_min_f16 v42, v43, v42
	s_nop 0
	v_pk_add_f16 v41, v41, v42
	s_nop 0
	v_add_f16_sdwa v41, v41, v41 dst_sel:DWORD dst_unused:UNUSED_PAD src0_sel:DWORD src1_sel:WORD_1
	v_add_f16_e32 v42, v41, v40
	v_lshl_add_u64 v[40:41], v[30:31], 1, v[20:21]
	global_store_short v[40:41], v42, off
	s_or_b64 exec, exec, s[26:27]
	s_and_b64 s[30:31], s[10:11], s[18:19]
	s_and_saveexec_b64 s[26:27], s[30:31]
	s_cbranch_execz .LBB303_119
.LBB303_138:
	s_and_b64 vcc, exec, s[0:1]
	s_cbranch_vccnz .LBB303_140
; %bb.139:
	v_lshl_add_u64 v[40:41], v[32:33], 1, v[22:23]
	flat_load_ushort v40, v[40:41]
	s_waitcnt vmcnt(0) lgkmcnt(0)
	v_mul_f16_e32 v40, v44, v40
	s_branch .LBB303_141
.LBB303_140:
	v_mov_b32_e32 v40, 0
.LBB303_141:
	v_pk_max_f16 v41, v4, v4
	v_pk_max_f16 v42, v8, v8
	;; [unrolled: 1-line block ×3, first 2 shown]
	v_pk_min_f16 v41, v42, v41
	v_pk_max_f16 v42, v5, v5
	v_pk_add_f16 v41, v56, v41
	v_pk_min_f16 v42, v43, v42
	s_nop 0
	v_pk_add_f16 v41, v41, v42
	s_nop 0
	v_add_f16_sdwa v41, v41, v41 dst_sel:DWORD dst_unused:UNUSED_PAD src0_sel:DWORD src1_sel:WORD_1
	v_add_f16_e32 v42, v41, v40
	v_lshl_add_u64 v[40:41], v[32:33], 1, v[20:21]
	global_store_short v[40:41], v42, off
	s_or_b64 exec, exec, s[26:27]
	s_and_b64 s[30:31], s[12:13], s[18:19]
	s_and_saveexec_b64 s[26:27], s[30:31]
	s_cbranch_execz .LBB303_120
.LBB303_142:
	s_and_b64 vcc, exec, s[0:1]
	s_cbranch_vccnz .LBB303_144
; %bb.143:
	v_lshl_add_u64 v[40:41], v[34:35], 1, v[22:23]
	flat_load_ushort v40, v[40:41]
	s_waitcnt vmcnt(0) lgkmcnt(0)
	v_mul_f16_e32 v40, v44, v40
	s_branch .LBB303_145
.LBB303_144:
	v_mov_b32_e32 v40, 0
.LBB303_145:
	v_pk_max_f16 v41, v4, v4
	v_pk_max_f16 v42, v10, v10
	;; [unrolled: 1-line block ×3, first 2 shown]
	v_pk_min_f16 v41, v42, v41
	v_pk_max_f16 v42, v5, v5
	v_pk_add_f16 v41, v55, v41
	v_pk_min_f16 v42, v43, v42
	s_nop 0
	v_pk_add_f16 v41, v41, v42
	s_nop 0
	v_add_f16_sdwa v41, v41, v41 dst_sel:DWORD dst_unused:UNUSED_PAD src0_sel:DWORD src1_sel:WORD_1
	v_add_f16_e32 v42, v41, v40
	v_lshl_add_u64 v[40:41], v[34:35], 1, v[20:21]
	global_store_short v[40:41], v42, off
	s_or_b64 exec, exec, s[26:27]
	s_and_b64 s[30:31], s[14:15], s[18:19]
	s_and_saveexec_b64 s[26:27], s[30:31]
	s_cbranch_execz .LBB303_121
.LBB303_146:
	s_and_b64 vcc, exec, s[0:1]
	s_cbranch_vccnz .LBB303_148
; %bb.147:
	v_lshl_add_u64 v[40:41], v[36:37], 1, v[22:23]
	flat_load_ushort v40, v[40:41]
	s_waitcnt vmcnt(0) lgkmcnt(0)
	v_mul_f16_e32 v40, v44, v40
	s_branch .LBB303_149
.LBB303_148:
	v_mov_b32_e32 v40, 0
.LBB303_149:
	v_pk_max_f16 v41, v4, v4
	v_pk_max_f16 v42, v0, v0
	;; [unrolled: 1-line block ×3, first 2 shown]
	v_pk_min_f16 v41, v42, v41
	v_pk_max_f16 v42, v5, v5
	v_pk_add_f16 v41, v54, v41
	v_pk_min_f16 v42, v43, v42
	s_nop 0
	v_pk_add_f16 v41, v41, v42
	s_nop 0
	v_add_f16_sdwa v41, v41, v41 dst_sel:DWORD dst_unused:UNUSED_PAD src0_sel:DWORD src1_sel:WORD_1
	v_add_f16_e32 v42, v41, v40
	v_lshl_add_u64 v[40:41], v[36:37], 1, v[20:21]
	global_store_short v[40:41], v42, off
	s_or_b64 exec, exec, s[26:27]
	s_and_b64 s[26:27], s[16:17], s[18:19]
	s_and_saveexec_b64 s[18:19], s[26:27]
	s_cbranch_execz .LBB303_154
.LBB303_150:
	s_and_b64 vcc, exec, s[0:1]
	s_cbranch_vccnz .LBB303_152
; %bb.151:
	v_lshl_add_u64 v[22:23], v[38:39], 1, v[22:23]
	flat_load_ushort v22, v[22:23]
	s_waitcnt vmcnt(0) lgkmcnt(0)
	v_mul_f16_e32 v22, v44, v22
	s_branch .LBB303_153
.LBB303_152:
	v_mov_b32_e32 v22, 0
.LBB303_153:
	v_pk_max_f16 v4, v4, v4
	v_pk_max_f16 v23, v2, v2
	;; [unrolled: 1-line block ×3, first 2 shown]
	v_pk_min_f16 v4, v23, v4
	v_pk_max_f16 v23, v3, v3
	v_pk_add_f16 v4, v53, v4
	v_pk_min_f16 v5, v23, v5
	s_nop 0
	v_pk_add_f16 v4, v4, v5
	s_nop 0
	v_add_f16_sdwa v4, v4, v4 dst_sel:DWORD dst_unused:UNUSED_PAD src0_sel:DWORD src1_sel:WORD_1
	v_add_f16_e32 v22, v4, v22
	v_lshl_add_u64 v[4:5], v[38:39], 1, v[20:21]
	global_store_short v[4:5], v22, off
.LBB303_154:
	s_or_b64 exec, exec, s[18:19]
	v_add_u32_e32 v22, 0x60, v70
	v_cmp_gt_i32_e64 s[18:19], s21, v22
	v_mad_i64_i32 v[4:5], s[20:21], v22, s29, 0
	v_lshl_add_u64 v[20:21], v[4:5], 1, s[24:25]
	v_mad_i64_i32 v[4:5], s[20:21], v22, s28, 0
	v_lshl_add_u64 v[4:5], v[4:5], 1, s[22:23]
	s_and_b64 s[20:21], s[4:5], s[18:19]
	s_and_saveexec_b64 s[4:5], s[20:21]
	s_cbranch_execnz .LBB303_163
; %bb.155:
	s_or_b64 exec, exec, s[4:5]
	s_and_b64 s[4:5], s[2:3], s[18:19]
	s_and_saveexec_b64 s[2:3], s[4:5]
	s_cbranch_execnz .LBB303_167
.LBB303_156:
	s_or_b64 exec, exec, s[2:3]
	s_and_b64 s[4:5], s[6:7], s[18:19]
	s_and_saveexec_b64 s[2:3], s[4:5]
	s_cbranch_execnz .LBB303_171
.LBB303_157:
	s_or_b64 exec, exec, s[2:3]
	s_and_b64 s[4:5], s[8:9], s[18:19]
	s_and_saveexec_b64 s[2:3], s[4:5]
	s_cbranch_execnz .LBB303_175
.LBB303_158:
	s_or_b64 exec, exec, s[2:3]
	s_and_b64 s[4:5], s[10:11], s[18:19]
	s_and_saveexec_b64 s[2:3], s[4:5]
	s_cbranch_execnz .LBB303_179
.LBB303_159:
	s_or_b64 exec, exec, s[2:3]
	s_and_b64 s[4:5], s[12:13], s[18:19]
	s_and_saveexec_b64 s[2:3], s[4:5]
	s_cbranch_execnz .LBB303_183
.LBB303_160:
	s_or_b64 exec, exec, s[2:3]
	s_and_b64 s[4:5], s[14:15], s[18:19]
	s_and_saveexec_b64 s[2:3], s[4:5]
	s_cbranch_execnz .LBB303_187
.LBB303_161:
	s_or_b64 exec, exec, s[2:3]
	s_and_b64 s[2:3], s[16:17], s[18:19]
	s_and_saveexec_b64 s[4:5], s[2:3]
	s_cbranch_execnz .LBB303_191
.LBB303_162:
	s_endpgm
.LBB303_163:
	s_and_b64 vcc, exec, s[0:1]
	s_cbranch_vccnz .LBB303_165
; %bb.164:
	v_lshl_add_u64 v[22:23], v[24:25], 1, v[20:21]
	flat_load_ushort v22, v[22:23]
	s_waitcnt vmcnt(0) lgkmcnt(0)
	v_mul_f16_e32 v22, v44, v22
	s_branch .LBB303_166
.LBB303_165:
	v_mov_b32_e32 v22, 0
.LBB303_166:
	v_pk_max_f16 v23, v6, v6
	v_pk_max_f16 v16, v16, v16
	;; [unrolled: 1-line block ×3, first 2 shown]
	v_pk_min_f16 v16, v16, v23
	v_pk_max_f16 v23, v7, v7
	v_pk_add_f16 v16, v52, v16
	v_pk_min_f16 v17, v17, v23
	s_nop 0
	v_pk_add_f16 v16, v16, v17
	s_nop 0
	v_add_f16_sdwa v16, v16, v16 dst_sel:DWORD dst_unused:UNUSED_PAD src0_sel:DWORD src1_sel:WORD_1
	v_add_f16_e32 v22, v16, v22
	v_lshl_add_u64 v[16:17], v[24:25], 1, v[4:5]
	global_store_short v[16:17], v22, off
	s_or_b64 exec, exec, s[4:5]
	s_and_b64 s[4:5], s[2:3], s[18:19]
	s_and_saveexec_b64 s[2:3], s[4:5]
	s_cbranch_execz .LBB303_156
.LBB303_167:
	s_and_b64 vcc, exec, s[0:1]
	s_cbranch_vccnz .LBB303_169
; %bb.168:
	v_lshl_add_u64 v[16:17], v[26:27], 1, v[20:21]
	flat_load_ushort v16, v[16:17]
	s_waitcnt vmcnt(0) lgkmcnt(0)
	v_mul_f16_e32 v16, v44, v16
	s_branch .LBB303_170
.LBB303_169:
	v_mov_b32_e32 v16, 0
.LBB303_170:
	v_pk_max_f16 v17, v6, v6
	v_pk_max_f16 v18, v18, v18
	;; [unrolled: 1-line block ×3, first 2 shown]
	v_pk_min_f16 v17, v18, v17
	v_pk_max_f16 v18, v7, v7
	v_pk_add_f16 v17, v51, v17
	v_pk_min_f16 v18, v19, v18
	s_nop 0
	v_pk_add_f16 v17, v17, v18
	s_nop 0
	v_add_f16_sdwa v17, v17, v17 dst_sel:DWORD dst_unused:UNUSED_PAD src0_sel:DWORD src1_sel:WORD_1
	v_add_f16_e32 v18, v17, v16
	v_lshl_add_u64 v[16:17], v[26:27], 1, v[4:5]
	global_store_short v[16:17], v18, off
	s_or_b64 exec, exec, s[2:3]
	s_and_b64 s[4:5], s[6:7], s[18:19]
	s_and_saveexec_b64 s[2:3], s[4:5]
	s_cbranch_execz .LBB303_157
.LBB303_171:
	s_and_b64 vcc, exec, s[0:1]
	s_cbranch_vccnz .LBB303_173
; %bb.172:
	v_lshl_add_u64 v[16:17], v[28:29], 1, v[20:21]
	flat_load_ushort v16, v[16:17]
	s_waitcnt vmcnt(0) lgkmcnt(0)
	v_mul_f16_e32 v16, v44, v16
	s_branch .LBB303_174
.LBB303_173:
	v_mov_b32_e32 v16, 0
.LBB303_174:
	v_pk_max_f16 v17, v6, v6
	v_pk_max_f16 v12, v12, v12
	;; [unrolled: 1-line block ×3, first 2 shown]
	v_pk_min_f16 v12, v12, v17
	v_pk_max_f16 v17, v7, v7
	v_pk_add_f16 v12, v50, v12
	v_pk_min_f16 v13, v13, v17
	s_nop 0
	v_pk_add_f16 v12, v12, v13
	s_nop 0
	v_add_f16_sdwa v12, v12, v12 dst_sel:DWORD dst_unused:UNUSED_PAD src0_sel:DWORD src1_sel:WORD_1
	v_add_f16_e32 v16, v12, v16
	v_lshl_add_u64 v[12:13], v[28:29], 1, v[4:5]
	global_store_short v[12:13], v16, off
	s_or_b64 exec, exec, s[2:3]
	s_and_b64 s[4:5], s[8:9], s[18:19]
	s_and_saveexec_b64 s[2:3], s[4:5]
	s_cbranch_execz .LBB303_158
.LBB303_175:
	s_and_b64 vcc, exec, s[0:1]
	s_cbranch_vccnz .LBB303_177
; %bb.176:
	v_lshl_add_u64 v[12:13], v[30:31], 1, v[20:21]
	flat_load_ushort v12, v[12:13]
	s_waitcnt vmcnt(0) lgkmcnt(0)
	v_mul_f16_e32 v12, v44, v12
	s_branch .LBB303_178
.LBB303_177:
	v_mov_b32_e32 v12, 0
.LBB303_178:
	v_pk_max_f16 v13, v6, v6
	v_pk_max_f16 v14, v14, v14
	;; [unrolled: 1-line block ×3, first 2 shown]
	v_pk_min_f16 v13, v14, v13
	v_pk_max_f16 v14, v7, v7
	v_pk_add_f16 v13, v49, v13
	v_pk_min_f16 v14, v15, v14
	s_nop 0
	v_pk_add_f16 v13, v13, v14
	s_nop 0
	v_add_f16_sdwa v13, v13, v13 dst_sel:DWORD dst_unused:UNUSED_PAD src0_sel:DWORD src1_sel:WORD_1
	v_add_f16_e32 v14, v13, v12
	v_lshl_add_u64 v[12:13], v[30:31], 1, v[4:5]
	global_store_short v[12:13], v14, off
	s_or_b64 exec, exec, s[2:3]
	s_and_b64 s[4:5], s[10:11], s[18:19]
	s_and_saveexec_b64 s[2:3], s[4:5]
	s_cbranch_execz .LBB303_159
.LBB303_179:
	s_and_b64 vcc, exec, s[0:1]
	s_cbranch_vccnz .LBB303_181
; %bb.180:
	v_lshl_add_u64 v[12:13], v[32:33], 1, v[20:21]
	flat_load_ushort v12, v[12:13]
	s_waitcnt vmcnt(0) lgkmcnt(0)
	v_mul_f16_e32 v12, v44, v12
	s_branch .LBB303_182
.LBB303_181:
	v_mov_b32_e32 v12, 0
.LBB303_182:
	v_pk_max_f16 v13, v6, v6
	v_pk_max_f16 v8, v8, v8
	;; [unrolled: 1-line block ×3, first 2 shown]
	v_pk_min_f16 v8, v8, v13
	v_pk_max_f16 v13, v7, v7
	v_pk_add_f16 v8, v48, v8
	v_pk_min_f16 v9, v9, v13
	s_nop 0
	v_pk_add_f16 v8, v8, v9
	s_nop 0
	v_add_f16_sdwa v8, v8, v8 dst_sel:DWORD dst_unused:UNUSED_PAD src0_sel:DWORD src1_sel:WORD_1
	v_add_f16_e32 v12, v8, v12
	v_lshl_add_u64 v[8:9], v[32:33], 1, v[4:5]
	global_store_short v[8:9], v12, off
	s_or_b64 exec, exec, s[2:3]
	s_and_b64 s[4:5], s[12:13], s[18:19]
	s_and_saveexec_b64 s[2:3], s[4:5]
	s_cbranch_execz .LBB303_160
.LBB303_183:
	s_and_b64 vcc, exec, s[0:1]
	s_cbranch_vccnz .LBB303_185
; %bb.184:
	v_lshl_add_u64 v[8:9], v[34:35], 1, v[20:21]
	flat_load_ushort v8, v[8:9]
	s_waitcnt vmcnt(0) lgkmcnt(0)
	v_mul_f16_e32 v8, v44, v8
	s_branch .LBB303_186
.LBB303_185:
	v_mov_b32_e32 v8, 0
.LBB303_186:
	v_pk_max_f16 v9, v6, v6
	v_pk_max_f16 v10, v10, v10
	;; [unrolled: 1-line block ×3, first 2 shown]
	v_pk_min_f16 v9, v10, v9
	v_pk_max_f16 v10, v7, v7
	v_pk_add_f16 v9, v47, v9
	v_pk_min_f16 v10, v11, v10
	s_nop 0
	v_pk_add_f16 v9, v9, v10
	s_nop 0
	v_add_f16_sdwa v9, v9, v9 dst_sel:DWORD dst_unused:UNUSED_PAD src0_sel:DWORD src1_sel:WORD_1
	v_add_f16_e32 v10, v9, v8
	v_lshl_add_u64 v[8:9], v[34:35], 1, v[4:5]
	global_store_short v[8:9], v10, off
	s_or_b64 exec, exec, s[2:3]
	s_and_b64 s[4:5], s[14:15], s[18:19]
	s_and_saveexec_b64 s[2:3], s[4:5]
	s_cbranch_execz .LBB303_161
.LBB303_187:
	s_and_b64 vcc, exec, s[0:1]
	s_cbranch_vccnz .LBB303_189
; %bb.188:
	v_lshl_add_u64 v[8:9], v[36:37], 1, v[20:21]
	flat_load_ushort v8, v[8:9]
	s_waitcnt vmcnt(0) lgkmcnt(0)
	v_mul_f16_e32 v8, v44, v8
	s_branch .LBB303_190
.LBB303_189:
	v_mov_b32_e32 v8, 0
.LBB303_190:
	v_pk_max_f16 v9, v6, v6
	v_pk_max_f16 v0, v0, v0
	;; [unrolled: 1-line block ×3, first 2 shown]
	v_pk_min_f16 v0, v0, v9
	v_pk_max_f16 v9, v7, v7
	v_pk_add_f16 v0, v46, v0
	v_pk_min_f16 v1, v1, v9
	s_nop 0
	v_pk_add_f16 v0, v0, v1
	s_nop 0
	v_add_f16_sdwa v0, v0, v0 dst_sel:DWORD dst_unused:UNUSED_PAD src0_sel:DWORD src1_sel:WORD_1
	v_add_f16_e32 v8, v0, v8
	v_lshl_add_u64 v[0:1], v[36:37], 1, v[4:5]
	global_store_short v[0:1], v8, off
	s_or_b64 exec, exec, s[2:3]
	s_and_b64 s[2:3], s[16:17], s[18:19]
	s_and_saveexec_b64 s[4:5], s[2:3]
	s_cbranch_execz .LBB303_162
.LBB303_191:
	s_and_b64 vcc, exec, s[0:1]
	s_cbranch_vccnz .LBB303_193
; %bb.192:
	v_lshl_add_u64 v[0:1], v[38:39], 1, v[20:21]
	flat_load_ushort v0, v[0:1]
	s_waitcnt vmcnt(0) lgkmcnt(0)
	v_mul_f16_e32 v0, v44, v0
	s_branch .LBB303_194
.LBB303_193:
	v_mov_b32_e32 v0, 0
.LBB303_194:
	v_pk_max_f16 v1, v6, v6
	v_pk_max_f16 v2, v2, v2
	;; [unrolled: 1-line block ×3, first 2 shown]
	v_pk_min_f16 v1, v2, v1
	v_pk_max_f16 v2, v7, v7
	v_pk_add_f16 v1, v45, v1
	v_pk_min_f16 v2, v3, v2
	s_nop 0
	v_pk_add_f16 v1, v1, v2
	s_nop 0
	v_add_f16_sdwa v1, v1, v1 dst_sel:DWORD dst_unused:UNUSED_PAD src0_sel:DWORD src1_sel:WORD_1
	v_add_f16_e32 v2, v1, v0
	v_lshl_add_u64 v[0:1], v[38:39], 1, v[4:5]
	global_store_short v[0:1], v2, off
	s_endpgm
	.section	.rodata,"a",@progbits
	.p2align	6, 0x0
	.amdhsa_kernel _ZN12_GLOBAL__N_120geam_min_plus_kernelIDF16_Dv2_DF16_S1_Li8ELi32ELi64ELi128ELi4ELi4ELi64ELi64ELi4ELc84ELc84ELb0ELb1ELb0EPKDF16_S2_DF16_EEviiiT16_PT17_ilS6_ilS4_S6_ilPT18_ili26rocblas_geam_ex_operation_
		.amdhsa_group_segment_fixed_size 3072
		.amdhsa_private_segment_fixed_size 0
		.amdhsa_kernarg_size 136
		.amdhsa_user_sgpr_count 2
		.amdhsa_user_sgpr_dispatch_ptr 0
		.amdhsa_user_sgpr_queue_ptr 0
		.amdhsa_user_sgpr_kernarg_segment_ptr 1
		.amdhsa_user_sgpr_dispatch_id 0
		.amdhsa_user_sgpr_kernarg_preload_length 0
		.amdhsa_user_sgpr_kernarg_preload_offset 0
		.amdhsa_user_sgpr_private_segment_size 0
		.amdhsa_uses_dynamic_stack 0
		.amdhsa_enable_private_segment 0
		.amdhsa_system_sgpr_workgroup_id_x 1
		.amdhsa_system_sgpr_workgroup_id_y 0
		.amdhsa_system_sgpr_workgroup_id_z 1
		.amdhsa_system_sgpr_workgroup_info 0
		.amdhsa_system_vgpr_workitem_id 1
		.amdhsa_next_free_vgpr 121
		.amdhsa_next_free_sgpr 38
		.amdhsa_accum_offset 124
		.amdhsa_reserve_vcc 1
		.amdhsa_float_round_mode_32 0
		.amdhsa_float_round_mode_16_64 0
		.amdhsa_float_denorm_mode_32 3
		.amdhsa_float_denorm_mode_16_64 3
		.amdhsa_dx10_clamp 1
		.amdhsa_ieee_mode 1
		.amdhsa_fp16_overflow 0
		.amdhsa_tg_split 0
		.amdhsa_exception_fp_ieee_invalid_op 0
		.amdhsa_exception_fp_denorm_src 0
		.amdhsa_exception_fp_ieee_div_zero 0
		.amdhsa_exception_fp_ieee_overflow 0
		.amdhsa_exception_fp_ieee_underflow 0
		.amdhsa_exception_fp_ieee_inexact 0
		.amdhsa_exception_int_div_zero 0
	.end_amdhsa_kernel
	.section	.text._ZN12_GLOBAL__N_120geam_min_plus_kernelIDF16_Dv2_DF16_S1_Li8ELi32ELi64ELi128ELi4ELi4ELi64ELi64ELi4ELc84ELc84ELb0ELb1ELb0EPKDF16_S2_DF16_EEviiiT16_PT17_ilS6_ilS4_S6_ilPT18_ili26rocblas_geam_ex_operation_,"axG",@progbits,_ZN12_GLOBAL__N_120geam_min_plus_kernelIDF16_Dv2_DF16_S1_Li8ELi32ELi64ELi128ELi4ELi4ELi64ELi64ELi4ELc84ELc84ELb0ELb1ELb0EPKDF16_S2_DF16_EEviiiT16_PT17_ilS6_ilS4_S6_ilPT18_ili26rocblas_geam_ex_operation_,comdat
.Lfunc_end303:
	.size	_ZN12_GLOBAL__N_120geam_min_plus_kernelIDF16_Dv2_DF16_S1_Li8ELi32ELi64ELi128ELi4ELi4ELi64ELi64ELi4ELc84ELc84ELb0ELb1ELb0EPKDF16_S2_DF16_EEviiiT16_PT17_ilS6_ilS4_S6_ilPT18_ili26rocblas_geam_ex_operation_, .Lfunc_end303-_ZN12_GLOBAL__N_120geam_min_plus_kernelIDF16_Dv2_DF16_S1_Li8ELi32ELi64ELi128ELi4ELi4ELi64ELi64ELi4ELc84ELc84ELb0ELb1ELb0EPKDF16_S2_DF16_EEviiiT16_PT17_ilS6_ilS4_S6_ilPT18_ili26rocblas_geam_ex_operation_
                                        ; -- End function
	.section	.AMDGPU.csdata,"",@progbits
; Kernel info:
; codeLenInByte = 11292
; NumSgprs: 44
; NumVgprs: 121
; NumAgprs: 0
; TotalNumVgprs: 121
; ScratchSize: 0
; MemoryBound: 0
; FloatMode: 240
; IeeeMode: 1
; LDSByteSize: 3072 bytes/workgroup (compile time only)
; SGPRBlocks: 5
; VGPRBlocks: 15
; NumSGPRsForWavesPerEU: 44
; NumVGPRsForWavesPerEU: 121
; AccumOffset: 124
; Occupancy: 4
; WaveLimiterHint : 0
; COMPUTE_PGM_RSRC2:SCRATCH_EN: 0
; COMPUTE_PGM_RSRC2:USER_SGPR: 2
; COMPUTE_PGM_RSRC2:TRAP_HANDLER: 0
; COMPUTE_PGM_RSRC2:TGID_X_EN: 1
; COMPUTE_PGM_RSRC2:TGID_Y_EN: 0
; COMPUTE_PGM_RSRC2:TGID_Z_EN: 1
; COMPUTE_PGM_RSRC2:TIDIG_COMP_CNT: 1
; COMPUTE_PGM_RSRC3_GFX90A:ACCUM_OFFSET: 30
; COMPUTE_PGM_RSRC3_GFX90A:TG_SPLIT: 0
	.section	.text._ZN12_GLOBAL__N_120geam_min_plus_kernelIDF16_Dv2_DF16_S1_Li8ELi32ELi64ELi128ELi4ELi4ELi64ELi64ELi4ELc84ELc84ELb1ELb1ELb0EDF16_KDF16_DF16_EEviiiT16_PT17_ilS5_ilS3_S5_ilPT18_ili26rocblas_geam_ex_operation_,"axG",@progbits,_ZN12_GLOBAL__N_120geam_min_plus_kernelIDF16_Dv2_DF16_S1_Li8ELi32ELi64ELi128ELi4ELi4ELi64ELi64ELi4ELc84ELc84ELb1ELb1ELb0EDF16_KDF16_DF16_EEviiiT16_PT17_ilS5_ilS3_S5_ilPT18_ili26rocblas_geam_ex_operation_,comdat
	.globl	_ZN12_GLOBAL__N_120geam_min_plus_kernelIDF16_Dv2_DF16_S1_Li8ELi32ELi64ELi128ELi4ELi4ELi64ELi64ELi4ELc84ELc84ELb1ELb1ELb0EDF16_KDF16_DF16_EEviiiT16_PT17_ilS5_ilS3_S5_ilPT18_ili26rocblas_geam_ex_operation_ ; -- Begin function _ZN12_GLOBAL__N_120geam_min_plus_kernelIDF16_Dv2_DF16_S1_Li8ELi32ELi64ELi128ELi4ELi4ELi64ELi64ELi4ELc84ELc84ELb1ELb1ELb0EDF16_KDF16_DF16_EEviiiT16_PT17_ilS5_ilS3_S5_ilPT18_ili26rocblas_geam_ex_operation_
	.p2align	8
	.type	_ZN12_GLOBAL__N_120geam_min_plus_kernelIDF16_Dv2_DF16_S1_Li8ELi32ELi64ELi128ELi4ELi4ELi64ELi64ELi4ELc84ELc84ELb1ELb1ELb0EDF16_KDF16_DF16_EEviiiT16_PT17_ilS5_ilS3_S5_ilPT18_ili26rocblas_geam_ex_operation_,@function
_ZN12_GLOBAL__N_120geam_min_plus_kernelIDF16_Dv2_DF16_S1_Li8ELi32ELi64ELi128ELi4ELi4ELi64ELi64ELi4ELc84ELc84ELb1ELb1ELb0EDF16_KDF16_DF16_EEviiiT16_PT17_ilS5_ilS3_S5_ilPT18_ili26rocblas_geam_ex_operation_: ; @_ZN12_GLOBAL__N_120geam_min_plus_kernelIDF16_Dv2_DF16_S1_Li8ELi32ELi64ELi128ELi4ELi4ELi64ELi64ELi4ELc84ELc84ELb1ELb1ELb0EDF16_KDF16_DF16_EEviiiT16_PT17_ilS5_ilS3_S5_ilPT18_ili26rocblas_geam_ex_operation_
; %bb.0:
	s_load_dwordx4 s[20:23], s[0:1], 0x0
	s_load_dwordx4 s[4:7], s[0:1], 0x20
	s_waitcnt lgkmcnt(0)
	v_cmp_eq_f16_e64 s[8:9], s23, 0
	s_and_b64 vcc, exec, s[8:9]
	s_cbranch_vccnz .LBB304_3
; %bb.1:
	s_load_dwordx2 s[10:11], s[0:1], 0x10
	s_mul_i32 s5, s3, s5
	s_mul_hi_u32 s12, s3, s4
	s_add_i32 s5, s12, s5
	s_mul_i32 s4, s3, s4
	s_lshl_b64 s[4:5], s[4:5], 1
	s_waitcnt lgkmcnt(0)
	s_add_u32 s16, s10, s4
	s_addc_u32 s17, s11, s5
	s_andn2_b64 vcc, exec, s[8:9]
	s_cbranch_vccnz .LBB304_4
.LBB304_2:
	s_mov_b32 s15, 0
	s_mov_b64 s[18:19], 0
	s_cbranch_execz .LBB304_5
	s_branch .LBB304_6
.LBB304_3:
	s_mov_b64 s[16:17], 0
	s_andn2_b64 vcc, exec, s[8:9]
	s_cbranch_vccz .LBB304_2
.LBB304_4:
                                        ; implicit-def: $sgpr18_sgpr19
                                        ; implicit-def: $sgpr14_sgpr15
.LBB304_5:
	s_load_dwordx2 s[4:5], s[0:1], 0x38
	s_mov_b32 s15, 0
	s_waitcnt lgkmcnt(0)
	s_mul_i32 s5, s3, s5
	s_mul_hi_u32 s8, s3, s4
	s_add_i32 s5, s8, s5
	s_mul_i32 s4, s3, s4
	s_lshl_b64 s[4:5], s[4:5], 1
	s_add_u32 s18, s6, s4
	s_addc_u32 s19, s7, s5
.LBB304_6:
	s_load_dword s30, s[0:1], 0x40
	s_load_dwordx4 s[8:11], s[0:1], 0x58
	s_waitcnt lgkmcnt(0)
	v_cmp_eq_f16_e64 s[4:5], s30, 0
	v_cmp_neq_f16_e64 s[12:13], s30, 0
	s_and_b64 vcc, exec, s[4:5]
	s_cbranch_vccnz .LBB304_8
; %bb.7:
	s_load_dwordx2 s[4:5], s[0:1], 0x48
	s_mul_i32 s6, s3, s9
	s_mul_hi_u32 s7, s3, s8
	s_add_i32 s6, s7, s6
	s_mul_i32 s7, s15, s8
	s_add_i32 s7, s6, s7
	s_mul_i32 s6, s3, s8
	s_lshl_b64 s[6:7], s[6:7], 1
	s_waitcnt lgkmcnt(0)
	s_add_u32 s24, s4, s6
	s_addc_u32 s25, s5, s7
	s_branch .LBB304_9
.LBB304_8:
	s_mov_b64 s[24:25], 0
.LBB304_9:
	s_add_i32 s4, s20, -1
	s_ashr_i32 s5, s4, 31
	s_lshr_b32 s5, s5, 26
	s_add_i32 s4, s4, s5
	s_ashr_i32 s4, s4, 6
	s_add_i32 s5, s4, 1
	v_cvt_f32_u32_e32 v1, s5
	v_and_b32_e32 v34, 0x3ff, v0
	v_bfe_u32 v35, v0, 10, 10
	s_not_b32 s4, s4
	v_rcp_iflag_f32_e32 v1, v1
	v_lshl_add_u32 v2, v35, 3, v34
	s_load_dword s31, s[0:1], 0x18
	v_lshrrev_b32_e32 v9, 2, v2
	v_mul_f32_e32 v0, 0x4f7ffffe, v1
	v_cvt_u32_f32_e32 v0, v0
	v_and_b32_e32 v36, 3, v34
	v_cmp_gt_i32_e32 vcc, s22, v36
	v_mov_b32_e32 v10, 0
	v_readfirstlane_b32 s6, v0
	s_mul_i32 s4, s4, s6
	s_mul_hi_u32 s4, s6, s4
	s_add_i32 s6, s6, s4
	s_mul_hi_u32 s4, s2, s6
	s_mul_i32 s6, s4, s5
	s_sub_i32 s6, s2, s6
	s_add_i32 s7, s4, 1
	s_sub_i32 s8, s6, s5
	s_cmp_ge_u32 s6, s5
	s_cselect_b32 s4, s7, s4
	s_cselect_b32 s6, s8, s6
	s_add_i32 s7, s4, 1
	s_cmp_ge_u32 s6, s5
	s_cselect_b32 s6, s7, s4
	s_mul_i32 s4, s6, s5
	s_sub_i32 s2, s2, s4
	s_lshl_b32 s2, s2, 6
	v_add_u32_e32 v6, s2, v9
	v_cmp_le_i32_e64 s[4:5], s20, v6
	s_xor_b64 s[8:9], s[4:5], -1
	s_and_b64 s[26:27], vcc, s[8:9]
	v_lshlrev_b32_e32 v0, 1, v36
	v_mov_b32_e32 v11, 0
	s_and_saveexec_b64 s[4:5], s[26:27]
	s_cbranch_execz .LBB304_11
; %bb.10:
	s_waitcnt lgkmcnt(0)
	v_mad_i64_i32 v[4:5], s[26:27], v6, s31, 0
	v_lshl_add_u64 v[4:5], v[4:5], 1, s[16:17]
	v_mov_b32_e32 v1, 0
	v_lshl_add_u64 v[4:5], v[4:5], 0, v[0:1]
	flat_load_ushort v11, v[4:5]
.LBB304_11:
	s_or_b64 exec, exec, s[4:5]
	s_load_dword s26, s[0:1], 0x30
	v_and_b32_e32 v12, 63, v2
	s_lshl_b32 s14, s6, 7
	v_lshrrev_b32_e32 v39, 6, v2
	v_or_b32_e32 v2, s14, v12
	v_cmp_le_i32_e64 s[4:5], s22, v39
	s_waitcnt lgkmcnt(0)
	v_mad_i64_i32 v[4:5], s[6:7], s26, v39, 0
	v_cmp_le_i32_e32 vcc, s21, v2
	s_or_b64 s[6:7], vcc, s[4:5]
	s_ashr_i32 s27, s26, 31
	v_lshl_add_u64 v[4:5], v[4:5], 1, s[18:19]
	s_xor_b64 s[28:29], s[6:7], -1
	v_ashrrev_i32_e32 v3, 31, v2
	s_and_saveexec_b64 s[6:7], s[28:29]
	s_cbranch_execz .LBB304_13
; %bb.12:
	v_lshl_add_u64 v[14:15], v[2:3], 1, v[4:5]
	flat_load_ushort v10, v[14:15]
.LBB304_13:
	s_or_b64 exec, exec, s[6:7]
	v_or_b32_e32 v1, 64, v2
	v_cmp_le_i32_e64 s[6:7], s21, v1
	s_or_b64 s[4:5], s[6:7], s[4:5]
	s_xor_b64 s[28:29], s[4:5], -1
	v_mov_b32_e32 v1, 0
	v_mov_b32_e32 v13, 0
	s_and_saveexec_b64 s[4:5], s[28:29]
	s_cbranch_execz .LBB304_15
; %bb.14:
	v_lshl_add_u64 v[4:5], v[2:3], 1, v[4:5]
	flat_load_ushort v13, v[4:5] offset:128
.LBB304_15:
	s_or_b64 exec, exec, s[4:5]
	v_or_b32_e32 v4, 4, v36
	v_cmp_gt_i32_e64 s[4:5], s22, v4
	s_and_b64 s[28:29], s[4:5], s[8:9]
	s_and_saveexec_b64 s[4:5], s[28:29]
	s_cbranch_execz .LBB304_17
; %bb.16:
	v_mad_i64_i32 v[4:5], s[28:29], v6, s31, 0
	v_lshl_add_u64 v[4:5], v[4:5], 1, s[16:17]
	v_mov_b32_e32 v1, 0
	v_lshl_add_u64 v[4:5], v[4:5], 0, v[0:1]
	flat_load_ushort v1, v[4:5] offset:8
.LBB304_17:
	s_or_b64 exec, exec, s[4:5]
	v_add_u32_e32 v4, 4, v39
	v_cmp_le_i32_e64 s[4:5], s22, v4
	v_mad_i64_i32 v[4:5], s[28:29], s26, v4, 0
	s_or_b64 s[28:29], vcc, s[4:5]
	v_lshl_add_u64 v[4:5], v[4:5], 1, s[18:19]
	s_xor_b64 s[34:35], s[28:29], -1
	v_mov_b32_e32 v7, 0
	v_mov_b32_e32 v8, 0
	s_and_saveexec_b64 s[28:29], s[34:35]
	s_cbranch_execz .LBB304_19
; %bb.18:
	v_lshl_add_u64 v[14:15], v[2:3], 1, v[4:5]
	flat_load_ushort v8, v[14:15]
.LBB304_19:
	s_or_b64 exec, exec, s[28:29]
	s_or_b64 s[4:5], s[6:7], s[4:5]
	s_xor_b64 s[28:29], s[4:5], -1
	s_and_saveexec_b64 s[4:5], s[28:29]
	s_cbranch_execz .LBB304_21
; %bb.20:
	v_lshl_add_u64 v[4:5], v[2:3], 1, v[4:5]
	flat_load_ushort v7, v[4:5] offset:128
.LBB304_21:
	s_or_b64 exec, exec, s[4:5]
	v_lshlrev_b32_e32 v5, 1, v39
	v_lshl_or_b32 v4, v9, 3, v0
	v_lshl_add_u32 v40, v12, 3, v5
	v_lshlrev_b32_e32 v38, 3, v34
	v_lshlrev_b32_e32 v37, 3, v35
	s_waitcnt vmcnt(0)
	ds_write_b16 v4, v11 offset:2048
	s_waitcnt lgkmcnt(0)
	ds_write_b16 v40, v10
	ds_write_b16 v40, v13 offset:512
	s_waitcnt lgkmcnt(0)
	s_barrier
	ds_read2_b64 v[10:13], v37 offset1:32
	v_add_u32_e32 v41, 0x800, v38
	ds_read2_b64 v[14:17], v41 offset0:48 offset1:56
	ds_read2_b64 v[18:21], v37 offset0:64 offset1:96
	ds_read2_b64 v[22:25], v41 offset1:8
	ds_read2_b64 v[26:29], v41 offset0:16 offset1:24
	ds_read2_b64 v[30:33], v41 offset0:32 offset1:40
	s_waitcnt lgkmcnt(5)
	v_pk_max_f16 v5, v10, v10
	s_waitcnt lgkmcnt(4)
	v_pk_max_f16 v9, v16, v16
	v_pk_max_f16 v12, v12, v12
	v_pk_min_f16 v10, v9, v5
	s_waitcnt lgkmcnt(3)
	v_pk_max_f16 v16, v18, v18
	s_waitcnt lgkmcnt(2)
	v_pk_max_f16 v18, v22, v22
	v_pk_max_f16 v20, v20, v20
	v_pk_max_f16 v24, v24, v24
	s_waitcnt lgkmcnt(1)
	v_pk_max_f16 v26, v26, v26
	v_pk_max_f16 v28, v28, v28
	;; [unrolled: 4-line block ×3, first 2 shown]
	v_pk_max_f16 v14, v14, v14
	v_pk_max_f16 v17, v17, v17
	v_pk_min_f16 v22, v18, v5
	v_pk_min_f16 v42, v18, v12
	;; [unrolled: 1-line block ×16, first 2 shown]
	v_pk_max_f16 v13, v13, v13
	v_pk_min_f16 v56, v30, v5
	v_pk_min_f16 v61, v30, v12
	;; [unrolled: 1-line block ×15, first 2 shown]
	v_pk_add_f16 v10, v10, 0
	v_pk_min_f16 v20, v17, v11
	v_pk_max_f16 v19, v19, v19
	v_pk_add_f16 v68, v10, v20
	v_pk_add_f16 v10, v50, 0
	v_pk_min_f16 v20, v17, v13
	v_pk_max_f16 v23, v23, v23
	v_pk_add_f16 v60, v10, v20
	;; [unrolled: 4-line block ×6, first 2 shown]
	v_pk_add_f16 v10, v18, 0
	v_pk_min_f16 v18, v23, v21
	v_pk_add_f16 v20, v54, 0
	v_pk_add_f16 v51, v10, v18
	v_pk_add_f16 v10, v44, 0
	v_pk_min_f16 v18, v25, v11
	v_pk_add_f16 v22, v55, 0
	v_pk_add_f16 v75, v10, v18
	;; [unrolled: 4-line block ×7, first 2 shown]
	v_pk_add_f16 v10, v49, 0
	v_pk_min_f16 v18, v27, v19
	v_pk_min_f16 v27, v27, v21
	v_pk_add_f16 v57, v10, v18
	v_pk_add_f16 v10, v26, 0
	;; [unrolled: 1-line block ×4, first 2 shown]
	v_pk_min_f16 v10, v29, v11
	v_pk_add_f16 v30, v63, 0
	v_pk_add_f16 v73, v18, v10
	v_pk_min_f16 v10, v29, v13
	v_pk_add_f16 v26, v62, 0
	v_pk_add_f16 v64, v20, v10
	;; [unrolled: 3-line block ×4, first 2 shown]
	v_pk_max_f16 v10, v31, v31
	v_pk_add_f16 v12, v12, 0
	v_pk_min_f16 v18, v10, v11
	v_pk_add_f16 v16, v16, 0
	v_pk_add_f16 v72, v24, v18
	v_pk_min_f16 v18, v10, v13
	v_pk_add_f16 v14, v14, 0
	v_pk_add_f16 v63, v25, v18
	v_pk_min_f16 v18, v10, v19
	v_pk_min_f16 v10, v10, v21
	v_pk_add_f16 v55, v26, v18
	v_pk_add_f16 v47, v28, v10
	v_pk_max_f16 v10, v33, v33
	v_pk_add_f16 v43, v69, 0
	v_pk_min_f16 v18, v10, v11
	v_pk_add_f16 v9, v9, 0
	v_pk_add_f16 v71, v30, v18
	v_pk_min_f16 v18, v10, v13
	s_mov_b32 s23, 0
	v_pk_add_f16 v62, v42, v18
	v_pk_min_f16 v18, v10, v19
	v_pk_min_f16 v10, v10, v21
	v_pk_add_f16 v54, v43, v18
	v_pk_add_f16 v46, v32, v10
	v_pk_max_f16 v10, v15, v15
	s_cmp_lt_i32 s22, 9
	v_pk_min_f16 v11, v10, v11
	ds_write_b16 v4, v1 offset:2560
	ds_write_b16 v40, v8 offset:1024
	ds_write_b16 v40, v7 offset:1536
	v_pk_add_f16 v70, v5, v11
	v_pk_min_f16 v5, v10, v13
	s_waitcnt lgkmcnt(0)
	v_pk_add_f16 v61, v12, v5
	v_pk_min_f16 v5, v10, v19
	s_barrier
	v_pk_add_f16 v53, v16, v5
	v_pk_min_f16 v5, v10, v21
	s_nop 0
	v_pk_add_f16 v45, v14, v5
	v_pk_min_f16 v5, v17, v21
	s_nop 0
	v_pk_add_f16 v44, v9, v5
	s_cbranch_scc1 .LBB304_36
; %bb.22:
	v_mov_b32_e32 v1, 0xa00
	v_lshl_add_u32 v77, v34, 3, v1
	v_mov_b32_e32 v1, 0x400
	v_lshl_add_u32 v78, v35, 3, v1
	v_add_u32_e32 v1, 8, v39
	v_add_u32_e32 v42, 0x800, v4
	;; [unrolled: 1-line block ×3, first 2 shown]
	v_mad_i64_i32 v[4:5], s[4:5], v1, s26, 0
	v_lshl_add_u64 v[26:27], v[2:3], 1, s[18:19]
	v_mad_i64_i32 v[2:3], s[4:5], s31, v6, 0
	v_mov_b32_e32 v1, 0
	v_lshl_add_u64 v[0:1], v[2:3], 1, v[0:1]
	v_lshl_add_u64 v[0:1], v[0:1], 0, s[16:17]
	;; [unrolled: 1-line block ×3, first 2 shown]
	v_add_u32_e32 v0, 12, v39
	v_mad_i64_i32 v[0:1], s[4:5], v0, s26, 0
	v_or_b32_e32 v69, 0x400, v40
	s_add_i32 s28, s22, -8
	v_lshlrev_b64 v[24:25], 1, v[4:5]
	s_lshl_b64 s[18:19], s[26:27], 4
	v_lshlrev_b64 v[30:31], 1, v[0:1]
	s_branch .LBB304_24
.LBB304_23:                             ;   in Loop: Header=BB304_24 Depth=1
	s_or_b64 exec, exec, s[4:5]
	v_pk_add_f16 v20, v60, v20
	v_pk_add_f16 v12, v52, v12
	;; [unrolled: 1-line block ×19, first 2 shown]
	ds_read2_b64 v[6:9], v41 offset0:48 offset1:56
	ds_read2_b64 v[10:13], v37 offset1:32
	v_pk_add_f16 v2, v68, v2
	v_pk_add_f16 v32, v59, v81
	;; [unrolled: 1-line block ×4, first 2 shown]
	s_waitcnt lgkmcnt(0)
	v_pk_max_f16 v8, v8, v8
	v_pk_max_f16 v10, v10, v10
	v_pk_add_f16 v16, v76, v16
	v_pk_add_f16 v59, v63, v91
	;; [unrolled: 1-line block ×9, first 2 shown]
	ds_read2_b64 v[2:5], v37 offset0:64 offset1:96
	v_pk_min_f16 v14, v8, v10
	v_pk_add_f16 v58, v64, v88
	v_pk_add_f16 v64, v16, v17
	v_pk_add_f16 v1, v45, v1
	v_pk_add_f16 v45, v63, v14
	ds_read2_b64 v[14:17], v41 offset1:8
	v_pk_max_f16 v12, v12, v12
	s_waitcnt lgkmcnt(0)
	v_pk_max_f16 v2, v2, v2
	v_pk_min_f16 v63, v8, v12
	v_pk_add_f16 v60, v62, v94
	v_pk_add_f16 v63, v20, v63
	v_pk_min_f16 v20, v8, v2
	v_pk_max_f16 v14, v14, v14
	v_pk_add_f16 v62, v70, v97
	v_pk_add_f16 v70, v21, v20
	v_pk_min_f16 v20, v14, v10
	v_pk_max_f16 v4, v4, v4
	v_pk_add_f16 v64, v64, v20
	v_pk_min_f16 v20, v14, v12
	v_pk_max_f16 v16, v16, v16
	v_pk_add_f16 v22, v22, v20
	v_pk_min_f16 v20, v14, v2
	v_pk_min_f16 v14, v14, v4
	v_pk_add_f16 v23, v23, v20
	v_pk_min_f16 v20, v16, v10
	v_pk_add_f16 v14, v32, v14
	v_pk_add_f16 v32, v18, v20
	v_pk_min_f16 v18, v16, v12
	v_pk_add_f16 v50, v50, v84
	v_pk_add_f16 v71, v19, v18
	ds_read2_b64 v[18:21], v41 offset0:16 offset1:24
	v_pk_add_f16 v50, v50, v105
	v_pk_min_f16 v68, v16, v2
	v_pk_min_f16 v16, v16, v4
	v_pk_add_f16 v49, v49, v87
	s_waitcnt lgkmcnt(0)
	v_pk_max_f16 v18, v18, v18
	v_pk_add_f16 v16, v50, v16
	v_pk_min_f16 v50, v18, v10
	v_pk_add_f16 v52, v52, v106
	v_pk_add_f16 v72, v51, v50
	v_pk_min_f16 v50, v18, v12
	ds_read2_b64 v[82:85], v41 offset0:32 offset1:40
	v_pk_add_f16 v49, v49, v108
	v_pk_add_f16 v73, v52, v50
	v_pk_min_f16 v50, v18, v2
	v_pk_min_f16 v18, v18, v4
	v_pk_max_f16 v20, v20, v20
	v_pk_add_f16 v18, v49, v18
	v_pk_min_f16 v49, v20, v10
	v_pk_add_f16 v48, v48, v90
	v_pk_add_f16 v58, v58, v109
	v_pk_add_f16 v81, v65, v49
	v_pk_min_f16 v49, v20, v12
	v_pk_add_f16 v57, v57, v86
	v_pk_add_f16 v56, v56, v89
	;; [unrolled: 1-line block ×4, first 2 shown]
	v_pk_min_f16 v49, v20, v2
	v_pk_min_f16 v20, v20, v4
	v_pk_add_f16 v56, v56, v110
	v_pk_add_f16 v20, v48, v20
	s_waitcnt lgkmcnt(0)
	v_pk_max_f16 v48, v82, v82
	v_pk_add_f16 v56, v56, v49
	v_pk_min_f16 v49, v48, v10
	v_pk_add_f16 v47, v47, v93
	v_pk_add_f16 v59, v59, v113
	;; [unrolled: 1-line block ×3, first 2 shown]
	v_pk_min_f16 v49, v48, v12
	v_pk_add_f16 v55, v55, v92
	v_pk_add_f16 v47, v47, v115
	;; [unrolled: 1-line block ×3, first 2 shown]
	v_pk_min_f16 v49, v48, v2
	v_pk_min_f16 v48, v48, v4
	v_pk_add_f16 v55, v55, v114
	v_pk_add_f16 v47, v47, v48
	v_pk_max_f16 v48, v84, v84
	v_pk_add_f16 v55, v55, v49
	v_pk_min_f16 v49, v48, v10
	v_pk_add_f16 v60, v60, v116
	v_pk_add_f16 v84, v67, v49
	v_pk_min_f16 v49, v48, v12
	v_pk_max_f16 v6, v6, v6
	v_pk_add_f16 v88, v60, v49
	v_pk_min_f16 v49, v48, v2
	v_pk_min_f16 v10, v6, v10
	;; [unrolled: 1-line block ×6, first 2 shown]
	v_pk_add_f16 v1, v1, v6
	v_pk_min_f16 v4, v8, v4
	v_pk_max_f16 v6, v9, v9
	v_pk_max_f16 v8, v11, v11
	v_pk_add_f16 v33, v33, v68
	v_pk_min_f16 v9, v6, v8
	v_pk_max_f16 v3, v3, v3
	v_pk_add_f16 v68, v45, v9
	v_pk_max_f16 v9, v13, v13
	v_pk_max_f16 v5, v5, v5
	v_pk_min_f16 v11, v6, v9
	v_pk_add_f16 v57, v57, v107
	v_pk_add_f16 v60, v63, v11
	v_pk_min_f16 v11, v6, v3
	v_pk_add_f16 v57, v57, v50
	v_pk_add_f16 v52, v70, v11
	v_pk_max_f16 v11, v15, v15
	v_pk_add_f16 v54, v54, v95
	v_pk_min_f16 v13, v11, v8
	v_pk_add_f16 v54, v54, v117
	v_pk_add_f16 v76, v64, v13
	v_pk_min_f16 v13, v11, v9
	v_pk_add_f16 v54, v54, v49
	v_pk_add_f16 v67, v22, v13
	v_pk_min_f16 v13, v11, v3
	v_pk_min_f16 v11, v11, v5
	v_pk_add_f16 v59, v23, v13
	v_pk_add_f16 v51, v14, v11
	v_pk_max_f16 v11, v17, v17
	v_pk_add_f16 v46, v46, v96
	v_pk_min_f16 v13, v11, v8
	v_pk_add_f16 v46, v46, v118
	v_pk_add_f16 v75, v32, v13
	v_pk_min_f16 v13, v11, v9
	v_pk_add_f16 v46, v46, v48
	v_pk_add_f16 v66, v71, v13
	v_pk_min_f16 v13, v11, v3
	;; [unrolled: 12-line block ×3, first 2 shown]
	v_pk_min_f16 v11, v11, v5
	v_pk_add_f16 v57, v57, v13
	v_pk_add_f16 v49, v18, v11
	v_pk_max_f16 v11, v21, v21
	v_pk_max_f16 v7, v7, v7
	v_pk_min_f16 v13, v11, v8
	v_pk_add_f16 v61, v61, v98
	v_pk_add_f16 v73, v81, v13
	v_pk_min_f16 v13, v11, v9
	v_pk_add_f16 v10, v62, v10
	v_pk_add_f16 v64, v86, v13
	v_pk_min_f16 v13, v11, v3
	v_pk_min_f16 v11, v11, v5
	v_pk_add_f16 v56, v56, v13
	v_pk_add_f16 v48, v20, v11
	v_pk_max_f16 v11, v83, v83
	v_pk_add_f16 v2, v53, v2
	v_pk_min_f16 v13, v11, v8
	v_pk_add_f16 v61, v61, v120
	v_pk_add_f16 v72, v82, v13
	v_pk_min_f16 v13, v11, v9
	v_pk_add_f16 v12, v61, v12
	v_pk_add_f16 v63, v87, v13
	v_pk_min_f16 v13, v11, v3
	v_pk_min_f16 v11, v11, v5
	v_pk_add_f16 v55, v55, v13
	v_pk_add_f16 v47, v47, v11
	v_pk_max_f16 v11, v85, v85
	v_pk_add_f16 v4, v44, v4
	v_pk_min_f16 v13, v11, v8
	v_pk_min_f16 v8, v7, v8
	v_pk_add_f16 v71, v84, v13
	v_pk_min_f16 v13, v11, v9
	v_pk_add_f16 v70, v10, v8
	v_pk_add_f16 v62, v88, v13
	v_pk_min_f16 v13, v11, v3
	v_pk_min_f16 v3, v7, v3
	;; [unrolled: 1-line block ×3, first 2 shown]
	v_pk_add_f16 v53, v2, v3
	v_pk_min_f16 v2, v7, v5
	v_pk_min_f16 v8, v7, v9
	v_pk_add_f16 v45, v1, v2
	v_pk_min_f16 v1, v6, v5
	s_add_i32 s23, s23, 8
	v_pk_add_f16 v54, v54, v13
	v_pk_add_f16 v46, v46, v11
	;; [unrolled: 1-line block ×4, first 2 shown]
	v_lshl_add_u64 v[26:27], v[26:27], 0, s[18:19]
	s_cmp_ge_i32 s23, s28
	v_lshl_add_u64 v[28:29], v[28:29], 0, 16
	s_waitcnt vmcnt(0)
	ds_write_b16 v43, v80
	ds_write_b16 v69, v79
	ds_write_b16 v69, v0 offset:512
	s_waitcnt lgkmcnt(0)
	s_barrier
	s_cbranch_scc1 .LBB304_36
.LBB304_24:                             ; =>This Inner Loop Header: Depth=1
	v_add_u32_e32 v32, s23, v36
	v_add_u32_e32 v0, 8, v32
	v_cmp_gt_i32_e64 s[4:5], s22, v0
	s_and_b64 s[16:17], s[4:5], s[8:9]
	v_mov_b32_e32 v79, 0
	s_and_saveexec_b64 s[4:5], s[16:17]
	s_cbranch_execz .LBB304_26
; %bb.25:                               ;   in Loop: Header=BB304_24 Depth=1
	flat_load_ushort v79, v[28:29]
.LBB304_26:                             ;   in Loop: Header=BB304_24 Depth=1
	s_or_b64 exec, exec, s[4:5]
	v_add_u32_e32 v33, s23, v39
	v_add_u32_e32 v0, 8, v33
	v_cmp_le_i32_e64 s[4:5], s22, v0
	s_or_b64 s[16:17], vcc, s[4:5]
	s_xor_b64 s[26:27], s[16:17], -1
	v_mov_b32_e32 v80, 0
	v_lshl_add_u64 v[0:1], v[26:27], 0, v[24:25]
	v_mov_b32_e32 v81, 0
	s_and_saveexec_b64 s[16:17], s[26:27]
	s_cbranch_execz .LBB304_28
; %bb.27:                               ;   in Loop: Header=BB304_24 Depth=1
	flat_load_ushort v81, v[0:1]
.LBB304_28:                             ;   in Loop: Header=BB304_24 Depth=1
	s_or_b64 exec, exec, s[16:17]
	s_or_b64 s[4:5], s[6:7], s[4:5]
	s_xor_b64 s[16:17], s[4:5], -1
	s_and_saveexec_b64 s[4:5], s[16:17]
	s_cbranch_execz .LBB304_30
; %bb.29:                               ;   in Loop: Header=BB304_24 Depth=1
	flat_load_ushort v80, v[0:1] offset:128
.LBB304_30:                             ;   in Loop: Header=BB304_24 Depth=1
	s_or_b64 exec, exec, s[4:5]
	ds_read2_b64 v[0:3], v77 offset0:48 offset1:56
	ds_read2_b64 v[12:15], v78 offset0:64 offset1:96
	ds_read2_b64 v[20:23], v78 offset1:32
	ds_read2_b64 v[16:19], v77 offset1:8
	ds_read2_b64 v[8:11], v77 offset0:16 offset1:24
	ds_read2_b64 v[4:7], v77 offset0:32 offset1:40
	v_add_u32_e32 v32, 12, v32
	v_cmp_gt_i32_e64 s[4:5], s22, v32
	s_waitcnt vmcnt(0) lgkmcnt(0)
	ds_write_b16 v42, v79
	ds_write_b16 v40, v81
	ds_write_b16 v40, v80 offset:512
	s_and_b64 s[16:17], s[4:5], s[8:9]
	v_mov_b32_e32 v79, 0
	v_mov_b32_e32 v80, 0
	s_waitcnt lgkmcnt(0)
	s_barrier
	s_and_saveexec_b64 s[4:5], s[16:17]
	s_cbranch_execz .LBB304_32
; %bb.31:                               ;   in Loop: Header=BB304_24 Depth=1
	flat_load_ushort v80, v[28:29] offset:8
.LBB304_32:                             ;   in Loop: Header=BB304_24 Depth=1
	s_or_b64 exec, exec, s[4:5]
	v_add_u32_e32 v32, 12, v33
	v_cmp_le_i32_e64 s[4:5], s22, v32
	s_or_b64 s[16:17], vcc, s[4:5]
	s_xor_b64 s[26:27], s[16:17], -1
	v_lshl_add_u64 v[32:33], v[26:27], 0, v[30:31]
	s_and_saveexec_b64 s[16:17], s[26:27]
	s_cbranch_execz .LBB304_34
; %bb.33:                               ;   in Loop: Header=BB304_24 Depth=1
	flat_load_ushort v79, v[32:33]
.LBB304_34:                             ;   in Loop: Header=BB304_24 Depth=1
	s_or_b64 exec, exec, s[16:17]
	v_pk_max_f16 v101, v2, v2
	v_pk_max_f16 v97, v20, v20
	;; [unrolled: 1-line block ×17, first 2 shown]
	v_pk_min_f16 v2, v101, v97
	v_pk_min_f16 v20, v101, v98
	;; [unrolled: 1-line block ×26, first 2 shown]
	v_pk_max_f16 v0, v3, v3
	v_pk_max_f16 v103, v17, v17
	;; [unrolled: 1-line block ×5, first 2 shown]
	v_pk_min_f16 v112, v5, v119
	v_pk_min_f16 v113, v5, v120
	;; [unrolled: 1-line block ×4, first 2 shown]
	v_pk_max_f16 v5, v7, v7
	v_pk_max_f16 v1, v1, v1
	s_or_b64 s[4:5], s[6:7], s[4:5]
	v_pk_min_f16 v84, v84, v102
	v_pk_min_f16 v87, v87, v102
	;; [unrolled: 1-line block ×34, first 2 shown]
	s_xor_b64 s[16:17], s[4:5], -1
	v_mov_b32_e32 v0, 0
	s_and_saveexec_b64 s[4:5], s[16:17]
	s_cbranch_execz .LBB304_23
; %bb.35:                               ;   in Loop: Header=BB304_24 Depth=1
	flat_load_ushort v0, v[32:33] offset:128
	s_branch .LBB304_23
.LBB304_36:
	s_load_dwordx2 s[4:5], s[0:1], 0x70
	s_load_dword s29, s[0:1], 0x50
	s_load_dword s28, s[0:1], 0x68
	v_add_u32_e32 v8, 0x800, v38
	ds_read2_b64 v[0:3], v8 offset0:112 offset1:120
	ds_read2_b64 v[4:7], v37 offset0:192 offset1:224
	;; [unrolled: 1-line block ×6, first 2 shown]
	s_waitcnt lgkmcnt(0)
	s_mul_i32 s0, s3, s5
	s_mul_hi_u32 s1, s3, s4
	s_mul_i32 s5, s15, s4
	s_add_i32 s0, s1, s0
	s_add_i32 s1, s0, s5
	s_mul_i32 s0, s3, s4
	s_lshl_b64 s[0:1], s[0:1], 1
	s_add_u32 s22, s10, s0
	v_add_u32_e32 v69, s14, v35
	s_addc_u32 s23, s11, s1
	v_mad_i64_i32 v[26:27], s[0:1], v69, s29, 0
	v_add_u32_e32 v24, s2, v34
	v_lshl_add_u64 v[42:43], v[26:27], 1, s[24:25]
	v_mad_i64_i32 v[26:27], s[0:1], v69, s28, 0
	v_cmp_gt_i32_e64 s[18:19], s21, v69
	v_lshl_add_u64 v[40:41], v[26:27], 1, s[22:23]
	v_cmp_gt_i32_e64 s[2:3], s20, v24
	v_cndmask_b32_e64 v26, 0, 1, s[12:13]
	s_and_b64 s[6:7], s[2:3], s[18:19]
	v_ashrrev_i32_e32 v25, 31, v24
	v_cmp_ne_u32_e64 s[0:1], 1, v26
	s_and_saveexec_b64 s[4:5], s[6:7]
	s_cbranch_execz .LBB304_41
; %bb.37:
	s_and_b64 vcc, exec, s[0:1]
	s_cbranch_vccnz .LBB304_39
; %bb.38:
	v_lshl_add_u64 v[26:27], v[24:25], 1, v[42:43]
	flat_load_ushort v26, v[26:27]
	s_waitcnt vmcnt(0) lgkmcnt(0)
	v_mul_f16_e32 v26, s30, v26
	s_branch .LBB304_40
.LBB304_39:
	v_mov_b32_e32 v26, 0
.LBB304_40:
	v_pk_max_f16 v27, v20, v20
	v_pk_max_f16 v28, v16, v16
	v_pk_max_f16 v29, v17, v17
	v_pk_min_f16 v27, v28, v27
	v_pk_max_f16 v28, v21, v21
	v_pk_add_f16 v27, v76, v27
	v_pk_min_f16 v28, v29, v28
	s_nop 0
	v_pk_add_f16 v27, v27, v28
	s_nop 0
	v_add_f16_sdwa v27, v27, v27 dst_sel:DWORD dst_unused:UNUSED_PAD src0_sel:DWORD src1_sel:WORD_1
	v_add_f16_e32 v28, v27, v26
	v_lshl_add_u64 v[26:27], v[24:25], 1, v[40:41]
	global_store_short v[26:27], v28, off
.LBB304_41:
	s_or_b64 exec, exec, s[4:5]
	v_add_u32_e32 v26, 8, v24
	v_cmp_gt_i32_e64 s[4:5], s20, v26
	s_and_b64 s[8:9], s[4:5], s[18:19]
	v_ashrrev_i32_e32 v27, 31, v26
	s_and_saveexec_b64 s[6:7], s[8:9]
	s_cbranch_execz .LBB304_46
; %bb.42:
	s_and_b64 vcc, exec, s[0:1]
	s_cbranch_vccnz .LBB304_44
; %bb.43:
	v_lshl_add_u64 v[28:29], v[26:27], 1, v[42:43]
	flat_load_ushort v28, v[28:29]
	s_waitcnt vmcnt(0) lgkmcnt(0)
	v_mul_f16_e32 v28, s30, v28
	s_branch .LBB304_45
.LBB304_44:
	v_mov_b32_e32 v28, 0
.LBB304_45:
	v_pk_max_f16 v29, v20, v20
	v_pk_max_f16 v30, v18, v18
	v_pk_max_f16 v31, v19, v19
	v_pk_min_f16 v29, v30, v29
	v_pk_max_f16 v30, v21, v21
	v_pk_add_f16 v29, v75, v29
	v_pk_min_f16 v30, v31, v30
	s_nop 0
	v_pk_add_f16 v29, v29, v30
	s_nop 0
	v_add_f16_sdwa v29, v29, v29 dst_sel:DWORD dst_unused:UNUSED_PAD src0_sel:DWORD src1_sel:WORD_1
	v_add_f16_e32 v30, v29, v28
	v_lshl_add_u64 v[28:29], v[26:27], 1, v[40:41]
	global_store_short v[28:29], v30, off
.LBB304_46:
	s_or_b64 exec, exec, s[6:7]
	v_add_u32_e32 v28, 16, v24
	v_cmp_gt_i32_e64 s[6:7], s20, v28
	s_and_b64 s[10:11], s[6:7], s[18:19]
	v_ashrrev_i32_e32 v29, 31, v28
	;; [unrolled: 34-line block ×6, first 2 shown]
	s_and_saveexec_b64 s[16:17], s[26:27]
	s_cbranch_execz .LBB304_71
; %bb.67:
	s_and_b64 vcc, exec, s[0:1]
	s_cbranch_vccnz .LBB304_69
; %bb.68:
	v_lshl_add_u64 v[38:39], v[36:37], 1, v[42:43]
	flat_load_ushort v38, v[38:39]
	s_waitcnt vmcnt(0) lgkmcnt(0)
	v_mul_f16_e32 v38, s30, v38
	s_branch .LBB304_70
.LBB304_69:
	v_mov_b32_e32 v38, 0
.LBB304_70:
	v_pk_max_f16 v39, v20, v20
	v_pk_max_f16 v71, v0, v0
	s_nop 0
	v_pk_min_f16 v39, v71, v39
	v_pk_max_f16 v71, v1, v1
	v_pk_add_f16 v39, v70, v39
	v_pk_max_f16 v70, v21, v21
	s_nop 0
	v_pk_min_f16 v70, v71, v70
	s_nop 0
	v_pk_add_f16 v39, v39, v70
	s_nop 0
	v_add_f16_sdwa v39, v39, v39 dst_sel:DWORD dst_unused:UNUSED_PAD src0_sel:DWORD src1_sel:WORD_1
	v_add_f16_e32 v70, v39, v38
	v_lshl_add_u64 v[38:39], v[36:37], 1, v[40:41]
	global_store_short v[38:39], v70, off
.LBB304_71:
	s_or_b64 exec, exec, s[16:17]
	v_add_u32_e32 v38, 56, v24
	v_cmp_gt_i32_e64 s[16:17], s20, v38
	s_and_b64 s[26:27], s[16:17], s[18:19]
	v_ashrrev_i32_e32 v39, 31, v38
	s_and_saveexec_b64 s[18:19], s[26:27]
	s_cbranch_execz .LBB304_76
; %bb.72:
	s_and_b64 vcc, exec, s[0:1]
	s_cbranch_vccnz .LBB304_74
; %bb.73:
	v_lshl_add_u64 v[42:43], v[38:39], 1, v[42:43]
	flat_load_ushort v42, v[42:43]
	s_waitcnt vmcnt(0) lgkmcnt(0)
	v_mul_f16_e32 v42, s30, v42
	s_branch .LBB304_75
.LBB304_74:
	v_mov_b32_e32 v42, 0
.LBB304_75:
	v_pk_max_f16 v20, v20, v20
	v_pk_max_f16 v43, v2, v2
	;; [unrolled: 1-line block ×3, first 2 shown]
	v_pk_min_f16 v20, v43, v20
	v_pk_max_f16 v43, v3, v3
	v_pk_add_f16 v20, v68, v20
	v_pk_min_f16 v21, v43, v21
	s_nop 0
	v_pk_add_f16 v20, v20, v21
	s_nop 0
	v_add_f16_sdwa v20, v20, v20 dst_sel:DWORD dst_unused:UNUSED_PAD src0_sel:DWORD src1_sel:WORD_1
	v_add_f16_e32 v42, v20, v42
	v_lshl_add_u64 v[20:21], v[38:39], 1, v[40:41]
	global_store_short v[20:21], v42, off
.LBB304_76:
	s_or_b64 exec, exec, s[18:19]
	v_add_u32_e32 v42, 32, v69
	v_mad_i64_i32 v[20:21], s[26:27], v42, s29, 0
	v_cmp_gt_i32_e64 s[18:19], s21, v42
	v_lshl_add_u64 v[40:41], v[20:21], 1, s[24:25]
	v_mad_i64_i32 v[20:21], s[26:27], v42, s28, 0
	v_lshl_add_u64 v[20:21], v[20:21], 1, s[22:23]
	s_and_b64 s[34:35], s[2:3], s[18:19]
	s_and_saveexec_b64 s[26:27], s[34:35]
	s_cbranch_execnz .LBB304_84
; %bb.77:
	s_or_b64 exec, exec, s[26:27]
	s_and_b64 s[34:35], s[4:5], s[18:19]
	s_and_saveexec_b64 s[26:27], s[34:35]
	s_cbranch_execnz .LBB304_88
.LBB304_78:
	s_or_b64 exec, exec, s[26:27]
	s_and_b64 s[34:35], s[6:7], s[18:19]
	s_and_saveexec_b64 s[26:27], s[34:35]
	s_cbranch_execnz .LBB304_92
.LBB304_79:
	s_or_b64 exec, exec, s[26:27]
	s_and_b64 s[34:35], s[8:9], s[18:19]
	s_and_saveexec_b64 s[26:27], s[34:35]
	s_cbranch_execnz .LBB304_96
.LBB304_80:
	s_or_b64 exec, exec, s[26:27]
	s_and_b64 s[34:35], s[10:11], s[18:19]
	s_and_saveexec_b64 s[26:27], s[34:35]
	s_cbranch_execnz .LBB304_100
.LBB304_81:
	s_or_b64 exec, exec, s[26:27]
	s_and_b64 s[34:35], s[12:13], s[18:19]
	s_and_saveexec_b64 s[26:27], s[34:35]
	s_cbranch_execnz .LBB304_104
.LBB304_82:
	s_or_b64 exec, exec, s[26:27]
	s_and_b64 s[34:35], s[14:15], s[18:19]
	s_and_saveexec_b64 s[26:27], s[34:35]
	s_cbranch_execnz .LBB304_108
.LBB304_83:
	s_or_b64 exec, exec, s[26:27]
	s_and_b64 s[26:27], s[16:17], s[18:19]
	s_and_saveexec_b64 s[18:19], s[26:27]
	s_cbranch_execnz .LBB304_112
	s_branch .LBB304_116
.LBB304_84:
	s_and_b64 vcc, exec, s[0:1]
	s_cbranch_vccnz .LBB304_86
; %bb.85:
	v_lshl_add_u64 v[42:43], v[24:25], 1, v[40:41]
	flat_load_ushort v42, v[42:43]
	s_waitcnt vmcnt(0) lgkmcnt(0)
	v_mul_f16_e32 v42, s30, v42
	s_branch .LBB304_87
.LBB304_86:
	v_mov_b32_e32 v42, 0
.LBB304_87:
	v_pk_max_f16 v43, v22, v22
	v_pk_max_f16 v68, v16, v16
	s_nop 0
	v_pk_min_f16 v43, v68, v43
	v_pk_max_f16 v68, v17, v17
	v_pk_add_f16 v43, v67, v43
	v_pk_max_f16 v67, v23, v23
	s_nop 0
	v_pk_min_f16 v67, v68, v67
	s_nop 0
	v_pk_add_f16 v43, v43, v67
	s_nop 0
	v_add_f16_sdwa v43, v43, v43 dst_sel:DWORD dst_unused:UNUSED_PAD src0_sel:DWORD src1_sel:WORD_1
	v_add_f16_e32 v67, v43, v42
	v_lshl_add_u64 v[42:43], v[24:25], 1, v[20:21]
	global_store_short v[42:43], v67, off
	s_or_b64 exec, exec, s[26:27]
	s_and_b64 s[34:35], s[4:5], s[18:19]
	s_and_saveexec_b64 s[26:27], s[34:35]
	s_cbranch_execz .LBB304_78
.LBB304_88:
	s_and_b64 vcc, exec, s[0:1]
	s_cbranch_vccnz .LBB304_90
; %bb.89:
	v_lshl_add_u64 v[42:43], v[26:27], 1, v[40:41]
	flat_load_ushort v42, v[42:43]
	s_waitcnt vmcnt(0) lgkmcnt(0)
	v_mul_f16_e32 v42, s30, v42
	s_branch .LBB304_91
.LBB304_90:
	v_mov_b32_e32 v42, 0
.LBB304_91:
	v_pk_max_f16 v43, v22, v22
	v_pk_max_f16 v67, v18, v18
	s_nop 0
	v_pk_min_f16 v43, v67, v43
	v_pk_max_f16 v67, v19, v19
	v_pk_add_f16 v43, v66, v43
	v_pk_max_f16 v66, v23, v23
	s_nop 0
	v_pk_min_f16 v66, v67, v66
	s_nop 0
	v_pk_add_f16 v43, v43, v66
	s_nop 0
	v_add_f16_sdwa v43, v43, v43 dst_sel:DWORD dst_unused:UNUSED_PAD src0_sel:DWORD src1_sel:WORD_1
	v_add_f16_e32 v66, v43, v42
	v_lshl_add_u64 v[42:43], v[26:27], 1, v[20:21]
	global_store_short v[42:43], v66, off
	s_or_b64 exec, exec, s[26:27]
	s_and_b64 s[34:35], s[6:7], s[18:19]
	s_and_saveexec_b64 s[26:27], s[34:35]
	s_cbranch_execz .LBB304_79
.LBB304_92:
	s_and_b64 vcc, exec, s[0:1]
	s_cbranch_vccnz .LBB304_94
; %bb.93:
	v_lshl_add_u64 v[42:43], v[28:29], 1, v[40:41]
	flat_load_ushort v42, v[42:43]
	s_waitcnt vmcnt(0) lgkmcnt(0)
	v_mul_f16_e32 v42, s30, v42
	s_branch .LBB304_95
.LBB304_94:
	v_mov_b32_e32 v42, 0
.LBB304_95:
	v_pk_max_f16 v43, v22, v22
	v_pk_max_f16 v66, v12, v12
	s_nop 0
	v_pk_min_f16 v43, v66, v43
	v_pk_max_f16 v66, v13, v13
	v_pk_add_f16 v43, v65, v43
	v_pk_max_f16 v65, v23, v23
	s_nop 0
	v_pk_min_f16 v65, v66, v65
	s_nop 0
	v_pk_add_f16 v43, v43, v65
	s_nop 0
	v_add_f16_sdwa v43, v43, v43 dst_sel:DWORD dst_unused:UNUSED_PAD src0_sel:DWORD src1_sel:WORD_1
	v_add_f16_e32 v65, v43, v42
	v_lshl_add_u64 v[42:43], v[28:29], 1, v[20:21]
	global_store_short v[42:43], v65, off
	s_or_b64 exec, exec, s[26:27]
	s_and_b64 s[34:35], s[8:9], s[18:19]
	s_and_saveexec_b64 s[26:27], s[34:35]
	s_cbranch_execz .LBB304_80
.LBB304_96:
	s_and_b64 vcc, exec, s[0:1]
	s_cbranch_vccnz .LBB304_98
; %bb.97:
	v_lshl_add_u64 v[42:43], v[30:31], 1, v[40:41]
	flat_load_ushort v42, v[42:43]
	s_waitcnt vmcnt(0) lgkmcnt(0)
	v_mul_f16_e32 v42, s30, v42
	s_branch .LBB304_99
.LBB304_98:
	v_mov_b32_e32 v42, 0
.LBB304_99:
	v_pk_max_f16 v43, v22, v22
	v_pk_max_f16 v65, v14, v14
	s_nop 0
	v_pk_min_f16 v43, v65, v43
	v_pk_max_f16 v65, v15, v15
	v_pk_add_f16 v43, v64, v43
	v_pk_max_f16 v64, v23, v23
	s_nop 0
	v_pk_min_f16 v64, v65, v64
	s_nop 0
	v_pk_add_f16 v43, v43, v64
	s_nop 0
	v_add_f16_sdwa v43, v43, v43 dst_sel:DWORD dst_unused:UNUSED_PAD src0_sel:DWORD src1_sel:WORD_1
	v_add_f16_e32 v64, v43, v42
	v_lshl_add_u64 v[42:43], v[30:31], 1, v[20:21]
	global_store_short v[42:43], v64, off
	s_or_b64 exec, exec, s[26:27]
	s_and_b64 s[34:35], s[10:11], s[18:19]
	s_and_saveexec_b64 s[26:27], s[34:35]
	s_cbranch_execz .LBB304_81
.LBB304_100:
	s_and_b64 vcc, exec, s[0:1]
	s_cbranch_vccnz .LBB304_102
; %bb.101:
	v_lshl_add_u64 v[42:43], v[32:33], 1, v[40:41]
	flat_load_ushort v42, v[42:43]
	s_waitcnt vmcnt(0) lgkmcnt(0)
	v_mul_f16_e32 v42, s30, v42
	s_branch .LBB304_103
.LBB304_102:
	v_mov_b32_e32 v42, 0
.LBB304_103:
	v_pk_max_f16 v43, v22, v22
	v_pk_max_f16 v64, v8, v8
	s_nop 0
	v_pk_min_f16 v43, v64, v43
	v_pk_max_f16 v64, v9, v9
	v_pk_add_f16 v43, v63, v43
	v_pk_max_f16 v63, v23, v23
	s_nop 0
	v_pk_min_f16 v63, v64, v63
	s_nop 0
	v_pk_add_f16 v43, v43, v63
	s_nop 0
	v_add_f16_sdwa v43, v43, v43 dst_sel:DWORD dst_unused:UNUSED_PAD src0_sel:DWORD src1_sel:WORD_1
	v_add_f16_e32 v63, v43, v42
	v_lshl_add_u64 v[42:43], v[32:33], 1, v[20:21]
	global_store_short v[42:43], v63, off
	s_or_b64 exec, exec, s[26:27]
	s_and_b64 s[34:35], s[12:13], s[18:19]
	s_and_saveexec_b64 s[26:27], s[34:35]
	s_cbranch_execz .LBB304_82
.LBB304_104:
	s_and_b64 vcc, exec, s[0:1]
	s_cbranch_vccnz .LBB304_106
; %bb.105:
	v_lshl_add_u64 v[42:43], v[34:35], 1, v[40:41]
	flat_load_ushort v42, v[42:43]
	s_waitcnt vmcnt(0) lgkmcnt(0)
	v_mul_f16_e32 v42, s30, v42
	s_branch .LBB304_107
.LBB304_106:
	v_mov_b32_e32 v42, 0
.LBB304_107:
	v_pk_max_f16 v43, v22, v22
	v_pk_max_f16 v63, v10, v10
	s_nop 0
	v_pk_min_f16 v43, v63, v43
	v_pk_max_f16 v63, v11, v11
	v_pk_add_f16 v43, v62, v43
	v_pk_max_f16 v62, v23, v23
	s_nop 0
	v_pk_min_f16 v62, v63, v62
	s_nop 0
	v_pk_add_f16 v43, v43, v62
	s_nop 0
	v_add_f16_sdwa v43, v43, v43 dst_sel:DWORD dst_unused:UNUSED_PAD src0_sel:DWORD src1_sel:WORD_1
	v_add_f16_e32 v62, v43, v42
	v_lshl_add_u64 v[42:43], v[34:35], 1, v[20:21]
	global_store_short v[42:43], v62, off
	s_or_b64 exec, exec, s[26:27]
	s_and_b64 s[34:35], s[14:15], s[18:19]
	s_and_saveexec_b64 s[26:27], s[34:35]
	s_cbranch_execz .LBB304_83
.LBB304_108:
	s_and_b64 vcc, exec, s[0:1]
	s_cbranch_vccnz .LBB304_110
; %bb.109:
	v_lshl_add_u64 v[42:43], v[36:37], 1, v[40:41]
	flat_load_ushort v42, v[42:43]
	s_waitcnt vmcnt(0) lgkmcnt(0)
	v_mul_f16_e32 v42, s30, v42
	s_branch .LBB304_111
.LBB304_110:
	v_mov_b32_e32 v42, 0
.LBB304_111:
	v_pk_max_f16 v43, v22, v22
	v_pk_max_f16 v62, v0, v0
	s_nop 0
	v_pk_min_f16 v43, v62, v43
	v_pk_max_f16 v62, v1, v1
	v_pk_add_f16 v43, v61, v43
	v_pk_max_f16 v61, v23, v23
	s_nop 0
	v_pk_min_f16 v61, v62, v61
	s_nop 0
	v_pk_add_f16 v43, v43, v61
	s_nop 0
	v_add_f16_sdwa v43, v43, v43 dst_sel:DWORD dst_unused:UNUSED_PAD src0_sel:DWORD src1_sel:WORD_1
	v_add_f16_e32 v61, v43, v42
	v_lshl_add_u64 v[42:43], v[36:37], 1, v[20:21]
	global_store_short v[42:43], v61, off
	s_or_b64 exec, exec, s[26:27]
	s_and_b64 s[26:27], s[16:17], s[18:19]
	s_and_saveexec_b64 s[18:19], s[26:27]
	s_cbranch_execz .LBB304_116
.LBB304_112:
	s_and_b64 vcc, exec, s[0:1]
	s_cbranch_vccnz .LBB304_114
; %bb.113:
	v_lshl_add_u64 v[40:41], v[38:39], 1, v[40:41]
	flat_load_ushort v40, v[40:41]
	s_waitcnt vmcnt(0) lgkmcnt(0)
	v_mul_f16_e32 v40, s30, v40
	s_branch .LBB304_115
.LBB304_114:
	v_mov_b32_e32 v40, 0
.LBB304_115:
	v_pk_max_f16 v22, v22, v22
	v_pk_max_f16 v41, v2, v2
	;; [unrolled: 1-line block ×3, first 2 shown]
	v_pk_min_f16 v22, v41, v22
	v_pk_max_f16 v41, v3, v3
	v_pk_add_f16 v22, v60, v22
	v_pk_min_f16 v23, v41, v23
	v_lshl_add_u64 v[20:21], v[38:39], 1, v[20:21]
	v_pk_add_f16 v22, v22, v23
	s_nop 0
	v_add_f16_sdwa v22, v22, v22 dst_sel:DWORD dst_unused:UNUSED_PAD src0_sel:DWORD src1_sel:WORD_1
	v_add_f16_e32 v22, v22, v40
	global_store_short v[20:21], v22, off
.LBB304_116:
	s_or_b64 exec, exec, s[18:19]
	v_add_u32_e32 v40, 64, v69
	v_mad_i64_i32 v[20:21], s[26:27], v40, s29, 0
	v_cmp_gt_i32_e64 s[18:19], s21, v40
	v_lshl_add_u64 v[22:23], v[20:21], 1, s[24:25]
	v_mad_i64_i32 v[20:21], s[26:27], v40, s28, 0
	v_lshl_add_u64 v[20:21], v[20:21], 1, s[22:23]
	s_and_b64 s[34:35], s[2:3], s[18:19]
	s_and_saveexec_b64 s[26:27], s[34:35]
	s_cbranch_execnz .LBB304_124
; %bb.117:
	s_or_b64 exec, exec, s[26:27]
	s_and_b64 s[34:35], s[4:5], s[18:19]
	s_and_saveexec_b64 s[26:27], s[34:35]
	s_cbranch_execnz .LBB304_128
.LBB304_118:
	s_or_b64 exec, exec, s[26:27]
	s_and_b64 s[34:35], s[6:7], s[18:19]
	s_and_saveexec_b64 s[26:27], s[34:35]
	s_cbranch_execnz .LBB304_132
.LBB304_119:
	s_or_b64 exec, exec, s[26:27]
	s_and_b64 s[34:35], s[8:9], s[18:19]
	s_and_saveexec_b64 s[26:27], s[34:35]
	s_cbranch_execnz .LBB304_136
.LBB304_120:
	s_or_b64 exec, exec, s[26:27]
	s_and_b64 s[34:35], s[10:11], s[18:19]
	s_and_saveexec_b64 s[26:27], s[34:35]
	s_cbranch_execnz .LBB304_140
.LBB304_121:
	s_or_b64 exec, exec, s[26:27]
	s_and_b64 s[34:35], s[12:13], s[18:19]
	s_and_saveexec_b64 s[26:27], s[34:35]
	s_cbranch_execnz .LBB304_144
.LBB304_122:
	s_or_b64 exec, exec, s[26:27]
	s_and_b64 s[34:35], s[14:15], s[18:19]
	s_and_saveexec_b64 s[26:27], s[34:35]
	s_cbranch_execnz .LBB304_148
.LBB304_123:
	s_or_b64 exec, exec, s[26:27]
	s_and_b64 s[26:27], s[16:17], s[18:19]
	s_and_saveexec_b64 s[18:19], s[26:27]
	s_cbranch_execnz .LBB304_152
	s_branch .LBB304_156
.LBB304_124:
	s_and_b64 vcc, exec, s[0:1]
	s_cbranch_vccnz .LBB304_126
; %bb.125:
	v_lshl_add_u64 v[40:41], v[24:25], 1, v[22:23]
	flat_load_ushort v40, v[40:41]
	s_waitcnt vmcnt(0) lgkmcnt(0)
	v_mul_f16_e32 v40, s30, v40
	s_branch .LBB304_127
.LBB304_126:
	v_mov_b32_e32 v40, 0
.LBB304_127:
	v_pk_max_f16 v41, v4, v4
	v_pk_max_f16 v42, v16, v16
	;; [unrolled: 1-line block ×3, first 2 shown]
	v_pk_min_f16 v41, v42, v41
	v_pk_max_f16 v42, v5, v5
	v_pk_add_f16 v41, v59, v41
	v_pk_min_f16 v42, v43, v42
	s_nop 0
	v_pk_add_f16 v41, v41, v42
	s_nop 0
	v_add_f16_sdwa v41, v41, v41 dst_sel:DWORD dst_unused:UNUSED_PAD src0_sel:DWORD src1_sel:WORD_1
	v_add_f16_e32 v42, v41, v40
	v_lshl_add_u64 v[40:41], v[24:25], 1, v[20:21]
	global_store_short v[40:41], v42, off
	s_or_b64 exec, exec, s[26:27]
	s_and_b64 s[34:35], s[4:5], s[18:19]
	s_and_saveexec_b64 s[26:27], s[34:35]
	s_cbranch_execz .LBB304_118
.LBB304_128:
	s_and_b64 vcc, exec, s[0:1]
	s_cbranch_vccnz .LBB304_130
; %bb.129:
	v_lshl_add_u64 v[40:41], v[26:27], 1, v[22:23]
	flat_load_ushort v40, v[40:41]
	s_waitcnt vmcnt(0) lgkmcnt(0)
	v_mul_f16_e32 v40, s30, v40
	s_branch .LBB304_131
.LBB304_130:
	v_mov_b32_e32 v40, 0
.LBB304_131:
	v_pk_max_f16 v41, v4, v4
	v_pk_max_f16 v42, v18, v18
	;; [unrolled: 1-line block ×3, first 2 shown]
	v_pk_min_f16 v41, v42, v41
	v_pk_max_f16 v42, v5, v5
	v_pk_add_f16 v41, v58, v41
	v_pk_min_f16 v42, v43, v42
	s_nop 0
	v_pk_add_f16 v41, v41, v42
	s_nop 0
	v_add_f16_sdwa v41, v41, v41 dst_sel:DWORD dst_unused:UNUSED_PAD src0_sel:DWORD src1_sel:WORD_1
	v_add_f16_e32 v42, v41, v40
	v_lshl_add_u64 v[40:41], v[26:27], 1, v[20:21]
	global_store_short v[40:41], v42, off
	s_or_b64 exec, exec, s[26:27]
	s_and_b64 s[34:35], s[6:7], s[18:19]
	s_and_saveexec_b64 s[26:27], s[34:35]
	s_cbranch_execz .LBB304_119
.LBB304_132:
	s_and_b64 vcc, exec, s[0:1]
	s_cbranch_vccnz .LBB304_134
; %bb.133:
	v_lshl_add_u64 v[40:41], v[28:29], 1, v[22:23]
	flat_load_ushort v40, v[40:41]
	s_waitcnt vmcnt(0) lgkmcnt(0)
	v_mul_f16_e32 v40, s30, v40
	s_branch .LBB304_135
.LBB304_134:
	v_mov_b32_e32 v40, 0
.LBB304_135:
	v_pk_max_f16 v41, v4, v4
	v_pk_max_f16 v42, v12, v12
	;; [unrolled: 1-line block ×3, first 2 shown]
	v_pk_min_f16 v41, v42, v41
	v_pk_max_f16 v42, v5, v5
	v_pk_add_f16 v41, v57, v41
	v_pk_min_f16 v42, v43, v42
	s_nop 0
	v_pk_add_f16 v41, v41, v42
	s_nop 0
	v_add_f16_sdwa v41, v41, v41 dst_sel:DWORD dst_unused:UNUSED_PAD src0_sel:DWORD src1_sel:WORD_1
	v_add_f16_e32 v42, v41, v40
	v_lshl_add_u64 v[40:41], v[28:29], 1, v[20:21]
	global_store_short v[40:41], v42, off
	s_or_b64 exec, exec, s[26:27]
	s_and_b64 s[34:35], s[8:9], s[18:19]
	s_and_saveexec_b64 s[26:27], s[34:35]
	s_cbranch_execz .LBB304_120
.LBB304_136:
	s_and_b64 vcc, exec, s[0:1]
	s_cbranch_vccnz .LBB304_138
; %bb.137:
	v_lshl_add_u64 v[40:41], v[30:31], 1, v[22:23]
	flat_load_ushort v40, v[40:41]
	s_waitcnt vmcnt(0) lgkmcnt(0)
	v_mul_f16_e32 v40, s30, v40
	s_branch .LBB304_139
.LBB304_138:
	v_mov_b32_e32 v40, 0
.LBB304_139:
	v_pk_max_f16 v41, v4, v4
	v_pk_max_f16 v42, v14, v14
	;; [unrolled: 1-line block ×3, first 2 shown]
	v_pk_min_f16 v41, v42, v41
	v_pk_max_f16 v42, v5, v5
	v_pk_add_f16 v41, v56, v41
	v_pk_min_f16 v42, v43, v42
	s_nop 0
	v_pk_add_f16 v41, v41, v42
	s_nop 0
	v_add_f16_sdwa v41, v41, v41 dst_sel:DWORD dst_unused:UNUSED_PAD src0_sel:DWORD src1_sel:WORD_1
	v_add_f16_e32 v42, v41, v40
	v_lshl_add_u64 v[40:41], v[30:31], 1, v[20:21]
	global_store_short v[40:41], v42, off
	s_or_b64 exec, exec, s[26:27]
	s_and_b64 s[34:35], s[10:11], s[18:19]
	s_and_saveexec_b64 s[26:27], s[34:35]
	s_cbranch_execz .LBB304_121
.LBB304_140:
	s_and_b64 vcc, exec, s[0:1]
	s_cbranch_vccnz .LBB304_142
; %bb.141:
	v_lshl_add_u64 v[40:41], v[32:33], 1, v[22:23]
	flat_load_ushort v40, v[40:41]
	s_waitcnt vmcnt(0) lgkmcnt(0)
	v_mul_f16_e32 v40, s30, v40
	s_branch .LBB304_143
.LBB304_142:
	v_mov_b32_e32 v40, 0
.LBB304_143:
	v_pk_max_f16 v41, v4, v4
	v_pk_max_f16 v42, v8, v8
	;; [unrolled: 1-line block ×3, first 2 shown]
	v_pk_min_f16 v41, v42, v41
	v_pk_max_f16 v42, v5, v5
	v_pk_add_f16 v41, v55, v41
	v_pk_min_f16 v42, v43, v42
	s_nop 0
	v_pk_add_f16 v41, v41, v42
	s_nop 0
	v_add_f16_sdwa v41, v41, v41 dst_sel:DWORD dst_unused:UNUSED_PAD src0_sel:DWORD src1_sel:WORD_1
	v_add_f16_e32 v42, v41, v40
	v_lshl_add_u64 v[40:41], v[32:33], 1, v[20:21]
	global_store_short v[40:41], v42, off
	s_or_b64 exec, exec, s[26:27]
	s_and_b64 s[34:35], s[12:13], s[18:19]
	s_and_saveexec_b64 s[26:27], s[34:35]
	s_cbranch_execz .LBB304_122
.LBB304_144:
	s_and_b64 vcc, exec, s[0:1]
	s_cbranch_vccnz .LBB304_146
; %bb.145:
	v_lshl_add_u64 v[40:41], v[34:35], 1, v[22:23]
	flat_load_ushort v40, v[40:41]
	s_waitcnt vmcnt(0) lgkmcnt(0)
	v_mul_f16_e32 v40, s30, v40
	s_branch .LBB304_147
.LBB304_146:
	v_mov_b32_e32 v40, 0
.LBB304_147:
	v_pk_max_f16 v41, v4, v4
	v_pk_max_f16 v42, v10, v10
	;; [unrolled: 1-line block ×3, first 2 shown]
	v_pk_min_f16 v41, v42, v41
	v_pk_max_f16 v42, v5, v5
	v_pk_add_f16 v41, v54, v41
	v_pk_min_f16 v42, v43, v42
	s_nop 0
	v_pk_add_f16 v41, v41, v42
	s_nop 0
	v_add_f16_sdwa v41, v41, v41 dst_sel:DWORD dst_unused:UNUSED_PAD src0_sel:DWORD src1_sel:WORD_1
	v_add_f16_e32 v42, v41, v40
	v_lshl_add_u64 v[40:41], v[34:35], 1, v[20:21]
	global_store_short v[40:41], v42, off
	s_or_b64 exec, exec, s[26:27]
	s_and_b64 s[34:35], s[14:15], s[18:19]
	s_and_saveexec_b64 s[26:27], s[34:35]
	s_cbranch_execz .LBB304_123
.LBB304_148:
	s_and_b64 vcc, exec, s[0:1]
	s_cbranch_vccnz .LBB304_150
; %bb.149:
	v_lshl_add_u64 v[40:41], v[36:37], 1, v[22:23]
	flat_load_ushort v40, v[40:41]
	s_waitcnt vmcnt(0) lgkmcnt(0)
	v_mul_f16_e32 v40, s30, v40
	s_branch .LBB304_151
.LBB304_150:
	v_mov_b32_e32 v40, 0
.LBB304_151:
	v_pk_max_f16 v41, v4, v4
	v_pk_max_f16 v42, v0, v0
	;; [unrolled: 1-line block ×3, first 2 shown]
	v_pk_min_f16 v41, v42, v41
	v_pk_max_f16 v42, v5, v5
	v_pk_add_f16 v41, v53, v41
	v_pk_min_f16 v42, v43, v42
	s_nop 0
	v_pk_add_f16 v41, v41, v42
	s_nop 0
	v_add_f16_sdwa v41, v41, v41 dst_sel:DWORD dst_unused:UNUSED_PAD src0_sel:DWORD src1_sel:WORD_1
	v_add_f16_e32 v42, v41, v40
	v_lshl_add_u64 v[40:41], v[36:37], 1, v[20:21]
	global_store_short v[40:41], v42, off
	s_or_b64 exec, exec, s[26:27]
	s_and_b64 s[26:27], s[16:17], s[18:19]
	s_and_saveexec_b64 s[18:19], s[26:27]
	s_cbranch_execz .LBB304_156
.LBB304_152:
	s_and_b64 vcc, exec, s[0:1]
	s_cbranch_vccnz .LBB304_154
; %bb.153:
	v_lshl_add_u64 v[22:23], v[38:39], 1, v[22:23]
	flat_load_ushort v22, v[22:23]
	s_waitcnt vmcnt(0) lgkmcnt(0)
	v_mul_f16_e32 v22, s30, v22
	s_branch .LBB304_155
.LBB304_154:
	v_mov_b32_e32 v22, 0
.LBB304_155:
	v_pk_max_f16 v4, v4, v4
	v_pk_max_f16 v23, v2, v2
	;; [unrolled: 1-line block ×3, first 2 shown]
	v_pk_min_f16 v4, v23, v4
	v_pk_max_f16 v23, v3, v3
	v_pk_add_f16 v4, v52, v4
	v_pk_min_f16 v5, v23, v5
	s_nop 0
	v_pk_add_f16 v4, v4, v5
	s_nop 0
	v_add_f16_sdwa v4, v4, v4 dst_sel:DWORD dst_unused:UNUSED_PAD src0_sel:DWORD src1_sel:WORD_1
	v_add_f16_e32 v22, v4, v22
	v_lshl_add_u64 v[4:5], v[38:39], 1, v[20:21]
	global_store_short v[4:5], v22, off
.LBB304_156:
	s_or_b64 exec, exec, s[18:19]
	v_add_u32_e32 v22, 0x60, v69
	v_cmp_gt_i32_e64 s[18:19], s21, v22
	v_mad_i64_i32 v[4:5], s[20:21], v22, s29, 0
	v_lshl_add_u64 v[20:21], v[4:5], 1, s[24:25]
	v_mad_i64_i32 v[4:5], s[20:21], v22, s28, 0
	v_lshl_add_u64 v[4:5], v[4:5], 1, s[22:23]
	s_and_b64 s[20:21], s[2:3], s[18:19]
	s_and_saveexec_b64 s[2:3], s[20:21]
	s_cbranch_execnz .LBB304_165
; %bb.157:
	s_or_b64 exec, exec, s[2:3]
	s_and_b64 s[4:5], s[4:5], s[18:19]
	s_and_saveexec_b64 s[2:3], s[4:5]
	s_cbranch_execnz .LBB304_169
.LBB304_158:
	s_or_b64 exec, exec, s[2:3]
	s_and_b64 s[4:5], s[6:7], s[18:19]
	s_and_saveexec_b64 s[2:3], s[4:5]
	s_cbranch_execnz .LBB304_173
.LBB304_159:
	s_or_b64 exec, exec, s[2:3]
	s_and_b64 s[4:5], s[8:9], s[18:19]
	s_and_saveexec_b64 s[2:3], s[4:5]
	s_cbranch_execnz .LBB304_177
.LBB304_160:
	s_or_b64 exec, exec, s[2:3]
	s_and_b64 s[4:5], s[10:11], s[18:19]
	s_and_saveexec_b64 s[2:3], s[4:5]
	s_cbranch_execnz .LBB304_181
.LBB304_161:
	s_or_b64 exec, exec, s[2:3]
	s_and_b64 s[4:5], s[12:13], s[18:19]
	s_and_saveexec_b64 s[2:3], s[4:5]
	s_cbranch_execnz .LBB304_185
.LBB304_162:
	s_or_b64 exec, exec, s[2:3]
	s_and_b64 s[4:5], s[14:15], s[18:19]
	s_and_saveexec_b64 s[2:3], s[4:5]
	s_cbranch_execnz .LBB304_189
.LBB304_163:
	s_or_b64 exec, exec, s[2:3]
	s_and_b64 s[2:3], s[16:17], s[18:19]
	s_and_saveexec_b64 s[4:5], s[2:3]
	s_cbranch_execnz .LBB304_193
.LBB304_164:
	s_endpgm
.LBB304_165:
	s_and_b64 vcc, exec, s[0:1]
	s_cbranch_vccnz .LBB304_167
; %bb.166:
	v_lshl_add_u64 v[22:23], v[24:25], 1, v[20:21]
	flat_load_ushort v22, v[22:23]
	s_waitcnt vmcnt(0) lgkmcnt(0)
	v_mul_f16_e32 v22, s30, v22
	s_branch .LBB304_168
.LBB304_167:
	v_mov_b32_e32 v22, 0
.LBB304_168:
	v_pk_max_f16 v23, v6, v6
	v_pk_max_f16 v16, v16, v16
	v_pk_max_f16 v17, v17, v17
	v_pk_min_f16 v16, v16, v23
	v_pk_max_f16 v23, v7, v7
	v_pk_add_f16 v16, v51, v16
	v_pk_min_f16 v17, v17, v23
	s_nop 0
	v_pk_add_f16 v16, v16, v17
	s_nop 0
	v_add_f16_sdwa v16, v16, v16 dst_sel:DWORD dst_unused:UNUSED_PAD src0_sel:DWORD src1_sel:WORD_1
	v_add_f16_e32 v22, v16, v22
	v_lshl_add_u64 v[16:17], v[24:25], 1, v[4:5]
	global_store_short v[16:17], v22, off
	s_or_b64 exec, exec, s[2:3]
	s_and_b64 s[4:5], s[4:5], s[18:19]
	s_and_saveexec_b64 s[2:3], s[4:5]
	s_cbranch_execz .LBB304_158
.LBB304_169:
	s_and_b64 vcc, exec, s[0:1]
	s_cbranch_vccnz .LBB304_171
; %bb.170:
	v_lshl_add_u64 v[16:17], v[26:27], 1, v[20:21]
	flat_load_ushort v16, v[16:17]
	s_waitcnt vmcnt(0) lgkmcnt(0)
	v_mul_f16_e32 v16, s30, v16
	s_branch .LBB304_172
.LBB304_171:
	v_mov_b32_e32 v16, 0
.LBB304_172:
	v_pk_max_f16 v17, v6, v6
	v_pk_max_f16 v18, v18, v18
	;; [unrolled: 1-line block ×3, first 2 shown]
	v_pk_min_f16 v17, v18, v17
	v_pk_max_f16 v18, v7, v7
	v_pk_add_f16 v17, v50, v17
	v_pk_min_f16 v18, v19, v18
	s_nop 0
	v_pk_add_f16 v17, v17, v18
	s_nop 0
	v_add_f16_sdwa v17, v17, v17 dst_sel:DWORD dst_unused:UNUSED_PAD src0_sel:DWORD src1_sel:WORD_1
	v_add_f16_e32 v18, v17, v16
	v_lshl_add_u64 v[16:17], v[26:27], 1, v[4:5]
	global_store_short v[16:17], v18, off
	s_or_b64 exec, exec, s[2:3]
	s_and_b64 s[4:5], s[6:7], s[18:19]
	s_and_saveexec_b64 s[2:3], s[4:5]
	s_cbranch_execz .LBB304_159
.LBB304_173:
	s_and_b64 vcc, exec, s[0:1]
	s_cbranch_vccnz .LBB304_175
; %bb.174:
	v_lshl_add_u64 v[16:17], v[28:29], 1, v[20:21]
	flat_load_ushort v16, v[16:17]
	s_waitcnt vmcnt(0) lgkmcnt(0)
	v_mul_f16_e32 v16, s30, v16
	s_branch .LBB304_176
.LBB304_175:
	v_mov_b32_e32 v16, 0
.LBB304_176:
	v_pk_max_f16 v17, v6, v6
	v_pk_max_f16 v12, v12, v12
	;; [unrolled: 1-line block ×3, first 2 shown]
	v_pk_min_f16 v12, v12, v17
	v_pk_max_f16 v17, v7, v7
	v_pk_add_f16 v12, v49, v12
	v_pk_min_f16 v13, v13, v17
	s_nop 0
	v_pk_add_f16 v12, v12, v13
	s_nop 0
	v_add_f16_sdwa v12, v12, v12 dst_sel:DWORD dst_unused:UNUSED_PAD src0_sel:DWORD src1_sel:WORD_1
	v_add_f16_e32 v16, v12, v16
	v_lshl_add_u64 v[12:13], v[28:29], 1, v[4:5]
	global_store_short v[12:13], v16, off
	s_or_b64 exec, exec, s[2:3]
	s_and_b64 s[4:5], s[8:9], s[18:19]
	s_and_saveexec_b64 s[2:3], s[4:5]
	s_cbranch_execz .LBB304_160
.LBB304_177:
	s_and_b64 vcc, exec, s[0:1]
	s_cbranch_vccnz .LBB304_179
; %bb.178:
	v_lshl_add_u64 v[12:13], v[30:31], 1, v[20:21]
	flat_load_ushort v12, v[12:13]
	s_waitcnt vmcnt(0) lgkmcnt(0)
	v_mul_f16_e32 v12, s30, v12
	s_branch .LBB304_180
.LBB304_179:
	v_mov_b32_e32 v12, 0
.LBB304_180:
	v_pk_max_f16 v13, v6, v6
	v_pk_max_f16 v14, v14, v14
	;; [unrolled: 1-line block ×3, first 2 shown]
	v_pk_min_f16 v13, v14, v13
	v_pk_max_f16 v14, v7, v7
	v_pk_add_f16 v13, v48, v13
	v_pk_min_f16 v14, v15, v14
	s_nop 0
	v_pk_add_f16 v13, v13, v14
	s_nop 0
	v_add_f16_sdwa v13, v13, v13 dst_sel:DWORD dst_unused:UNUSED_PAD src0_sel:DWORD src1_sel:WORD_1
	v_add_f16_e32 v14, v13, v12
	v_lshl_add_u64 v[12:13], v[30:31], 1, v[4:5]
	global_store_short v[12:13], v14, off
	s_or_b64 exec, exec, s[2:3]
	s_and_b64 s[4:5], s[10:11], s[18:19]
	s_and_saveexec_b64 s[2:3], s[4:5]
	s_cbranch_execz .LBB304_161
.LBB304_181:
	s_and_b64 vcc, exec, s[0:1]
	s_cbranch_vccnz .LBB304_183
; %bb.182:
	v_lshl_add_u64 v[12:13], v[32:33], 1, v[20:21]
	flat_load_ushort v12, v[12:13]
	s_waitcnt vmcnt(0) lgkmcnt(0)
	v_mul_f16_e32 v12, s30, v12
	s_branch .LBB304_184
.LBB304_183:
	v_mov_b32_e32 v12, 0
.LBB304_184:
	v_pk_max_f16 v13, v6, v6
	v_pk_max_f16 v8, v8, v8
	;; [unrolled: 1-line block ×3, first 2 shown]
	v_pk_min_f16 v8, v8, v13
	v_pk_max_f16 v13, v7, v7
	v_pk_add_f16 v8, v47, v8
	v_pk_min_f16 v9, v9, v13
	s_nop 0
	v_pk_add_f16 v8, v8, v9
	s_nop 0
	v_add_f16_sdwa v8, v8, v8 dst_sel:DWORD dst_unused:UNUSED_PAD src0_sel:DWORD src1_sel:WORD_1
	v_add_f16_e32 v12, v8, v12
	v_lshl_add_u64 v[8:9], v[32:33], 1, v[4:5]
	global_store_short v[8:9], v12, off
	s_or_b64 exec, exec, s[2:3]
	s_and_b64 s[4:5], s[12:13], s[18:19]
	s_and_saveexec_b64 s[2:3], s[4:5]
	s_cbranch_execz .LBB304_162
.LBB304_185:
	s_and_b64 vcc, exec, s[0:1]
	s_cbranch_vccnz .LBB304_187
; %bb.186:
	v_lshl_add_u64 v[8:9], v[34:35], 1, v[20:21]
	flat_load_ushort v8, v[8:9]
	s_waitcnt vmcnt(0) lgkmcnt(0)
	v_mul_f16_e32 v8, s30, v8
	s_branch .LBB304_188
.LBB304_187:
	v_mov_b32_e32 v8, 0
.LBB304_188:
	v_pk_max_f16 v9, v6, v6
	v_pk_max_f16 v10, v10, v10
	;; [unrolled: 1-line block ×3, first 2 shown]
	v_pk_min_f16 v9, v10, v9
	v_pk_max_f16 v10, v7, v7
	v_pk_add_f16 v9, v46, v9
	v_pk_min_f16 v10, v11, v10
	s_nop 0
	v_pk_add_f16 v9, v9, v10
	s_nop 0
	v_add_f16_sdwa v9, v9, v9 dst_sel:DWORD dst_unused:UNUSED_PAD src0_sel:DWORD src1_sel:WORD_1
	v_add_f16_e32 v10, v9, v8
	v_lshl_add_u64 v[8:9], v[34:35], 1, v[4:5]
	global_store_short v[8:9], v10, off
	s_or_b64 exec, exec, s[2:3]
	s_and_b64 s[4:5], s[14:15], s[18:19]
	s_and_saveexec_b64 s[2:3], s[4:5]
	s_cbranch_execz .LBB304_163
.LBB304_189:
	s_and_b64 vcc, exec, s[0:1]
	s_cbranch_vccnz .LBB304_191
; %bb.190:
	v_lshl_add_u64 v[8:9], v[36:37], 1, v[20:21]
	flat_load_ushort v8, v[8:9]
	s_waitcnt vmcnt(0) lgkmcnt(0)
	v_mul_f16_e32 v8, s30, v8
	s_branch .LBB304_192
.LBB304_191:
	v_mov_b32_e32 v8, 0
.LBB304_192:
	v_pk_max_f16 v9, v6, v6
	v_pk_max_f16 v0, v0, v0
	;; [unrolled: 1-line block ×3, first 2 shown]
	v_pk_min_f16 v0, v0, v9
	v_pk_max_f16 v9, v7, v7
	v_pk_add_f16 v0, v45, v0
	v_pk_min_f16 v1, v1, v9
	s_nop 0
	v_pk_add_f16 v0, v0, v1
	s_nop 0
	v_add_f16_sdwa v0, v0, v0 dst_sel:DWORD dst_unused:UNUSED_PAD src0_sel:DWORD src1_sel:WORD_1
	v_add_f16_e32 v8, v0, v8
	v_lshl_add_u64 v[0:1], v[36:37], 1, v[4:5]
	global_store_short v[0:1], v8, off
	s_or_b64 exec, exec, s[2:3]
	s_and_b64 s[2:3], s[16:17], s[18:19]
	s_and_saveexec_b64 s[4:5], s[2:3]
	s_cbranch_execz .LBB304_164
.LBB304_193:
	s_and_b64 vcc, exec, s[0:1]
	s_cbranch_vccnz .LBB304_195
; %bb.194:
	v_lshl_add_u64 v[0:1], v[38:39], 1, v[20:21]
	flat_load_ushort v0, v[0:1]
	s_waitcnt vmcnt(0) lgkmcnt(0)
	v_mul_f16_e32 v0, s30, v0
	s_branch .LBB304_196
.LBB304_195:
	v_mov_b32_e32 v0, 0
.LBB304_196:
	v_pk_max_f16 v1, v6, v6
	v_pk_max_f16 v2, v2, v2
	;; [unrolled: 1-line block ×3, first 2 shown]
	v_pk_min_f16 v1, v2, v1
	v_pk_max_f16 v2, v7, v7
	v_pk_add_f16 v1, v44, v1
	v_pk_min_f16 v2, v3, v2
	s_nop 0
	v_pk_add_f16 v1, v1, v2
	s_nop 0
	v_add_f16_sdwa v1, v1, v1 dst_sel:DWORD dst_unused:UNUSED_PAD src0_sel:DWORD src1_sel:WORD_1
	v_add_f16_e32 v2, v1, v0
	v_lshl_add_u64 v[0:1], v[38:39], 1, v[4:5]
	global_store_short v[0:1], v2, off
	s_endpgm
	.section	.rodata,"a",@progbits
	.p2align	6, 0x0
	.amdhsa_kernel _ZN12_GLOBAL__N_120geam_min_plus_kernelIDF16_Dv2_DF16_S1_Li8ELi32ELi64ELi128ELi4ELi4ELi64ELi64ELi4ELc84ELc84ELb1ELb1ELb0EDF16_KDF16_DF16_EEviiiT16_PT17_ilS5_ilS3_S5_ilPT18_ili26rocblas_geam_ex_operation_
		.amdhsa_group_segment_fixed_size 3072
		.amdhsa_private_segment_fixed_size 0
		.amdhsa_kernarg_size 128
		.amdhsa_user_sgpr_count 2
		.amdhsa_user_sgpr_dispatch_ptr 0
		.amdhsa_user_sgpr_queue_ptr 0
		.amdhsa_user_sgpr_kernarg_segment_ptr 1
		.amdhsa_user_sgpr_dispatch_id 0
		.amdhsa_user_sgpr_kernarg_preload_length 0
		.amdhsa_user_sgpr_kernarg_preload_offset 0
		.amdhsa_user_sgpr_private_segment_size 0
		.amdhsa_uses_dynamic_stack 0
		.amdhsa_enable_private_segment 0
		.amdhsa_system_sgpr_workgroup_id_x 1
		.amdhsa_system_sgpr_workgroup_id_y 0
		.amdhsa_system_sgpr_workgroup_id_z 1
		.amdhsa_system_sgpr_workgroup_info 0
		.amdhsa_system_vgpr_workitem_id 1
		.amdhsa_next_free_vgpr 123
		.amdhsa_next_free_sgpr 36
		.amdhsa_accum_offset 124
		.amdhsa_reserve_vcc 1
		.amdhsa_float_round_mode_32 0
		.amdhsa_float_round_mode_16_64 0
		.amdhsa_float_denorm_mode_32 3
		.amdhsa_float_denorm_mode_16_64 3
		.amdhsa_dx10_clamp 1
		.amdhsa_ieee_mode 1
		.amdhsa_fp16_overflow 0
		.amdhsa_tg_split 0
		.amdhsa_exception_fp_ieee_invalid_op 0
		.amdhsa_exception_fp_denorm_src 0
		.amdhsa_exception_fp_ieee_div_zero 0
		.amdhsa_exception_fp_ieee_overflow 0
		.amdhsa_exception_fp_ieee_underflow 0
		.amdhsa_exception_fp_ieee_inexact 0
		.amdhsa_exception_int_div_zero 0
	.end_amdhsa_kernel
	.section	.text._ZN12_GLOBAL__N_120geam_min_plus_kernelIDF16_Dv2_DF16_S1_Li8ELi32ELi64ELi128ELi4ELi4ELi64ELi64ELi4ELc84ELc84ELb1ELb1ELb0EDF16_KDF16_DF16_EEviiiT16_PT17_ilS5_ilS3_S5_ilPT18_ili26rocblas_geam_ex_operation_,"axG",@progbits,_ZN12_GLOBAL__N_120geam_min_plus_kernelIDF16_Dv2_DF16_S1_Li8ELi32ELi64ELi128ELi4ELi4ELi64ELi64ELi4ELc84ELc84ELb1ELb1ELb0EDF16_KDF16_DF16_EEviiiT16_PT17_ilS5_ilS3_S5_ilPT18_ili26rocblas_geam_ex_operation_,comdat
.Lfunc_end304:
	.size	_ZN12_GLOBAL__N_120geam_min_plus_kernelIDF16_Dv2_DF16_S1_Li8ELi32ELi64ELi128ELi4ELi4ELi64ELi64ELi4ELc84ELc84ELb1ELb1ELb0EDF16_KDF16_DF16_EEviiiT16_PT17_ilS5_ilS3_S5_ilPT18_ili26rocblas_geam_ex_operation_, .Lfunc_end304-_ZN12_GLOBAL__N_120geam_min_plus_kernelIDF16_Dv2_DF16_S1_Li8ELi32ELi64ELi128ELi4ELi4ELi64ELi64ELi4ELc84ELc84ELb1ELb1ELb0EDF16_KDF16_DF16_EEviiiT16_PT17_ilS5_ilS3_S5_ilPT18_ili26rocblas_geam_ex_operation_
                                        ; -- End function
	.section	.AMDGPU.csdata,"",@progbits
; Kernel info:
; codeLenInByte = 11148
; NumSgprs: 42
; NumVgprs: 123
; NumAgprs: 0
; TotalNumVgprs: 123
; ScratchSize: 0
; MemoryBound: 0
; FloatMode: 240
; IeeeMode: 1
; LDSByteSize: 3072 bytes/workgroup (compile time only)
; SGPRBlocks: 5
; VGPRBlocks: 15
; NumSGPRsForWavesPerEU: 42
; NumVGPRsForWavesPerEU: 123
; AccumOffset: 124
; Occupancy: 4
; WaveLimiterHint : 0
; COMPUTE_PGM_RSRC2:SCRATCH_EN: 0
; COMPUTE_PGM_RSRC2:USER_SGPR: 2
; COMPUTE_PGM_RSRC2:TRAP_HANDLER: 0
; COMPUTE_PGM_RSRC2:TGID_X_EN: 1
; COMPUTE_PGM_RSRC2:TGID_Y_EN: 0
; COMPUTE_PGM_RSRC2:TGID_Z_EN: 1
; COMPUTE_PGM_RSRC2:TIDIG_COMP_CNT: 1
; COMPUTE_PGM_RSRC3_GFX90A:ACCUM_OFFSET: 30
; COMPUTE_PGM_RSRC3_GFX90A:TG_SPLIT: 0
	.section	.text._ZN12_GLOBAL__N_120geam_min_plus_kernelIDF16_Dv2_DF16_S1_Li8ELi32ELi64ELi128ELi4ELi4ELi64ELi64ELi4ELc84ELc84ELb0ELb1ELb0EDF16_KDF16_DF16_EEviiiT16_PT17_ilS5_ilS3_S5_ilPT18_ili26rocblas_geam_ex_operation_,"axG",@progbits,_ZN12_GLOBAL__N_120geam_min_plus_kernelIDF16_Dv2_DF16_S1_Li8ELi32ELi64ELi128ELi4ELi4ELi64ELi64ELi4ELc84ELc84ELb0ELb1ELb0EDF16_KDF16_DF16_EEviiiT16_PT17_ilS5_ilS3_S5_ilPT18_ili26rocblas_geam_ex_operation_,comdat
	.globl	_ZN12_GLOBAL__N_120geam_min_plus_kernelIDF16_Dv2_DF16_S1_Li8ELi32ELi64ELi128ELi4ELi4ELi64ELi64ELi4ELc84ELc84ELb0ELb1ELb0EDF16_KDF16_DF16_EEviiiT16_PT17_ilS5_ilS3_S5_ilPT18_ili26rocblas_geam_ex_operation_ ; -- Begin function _ZN12_GLOBAL__N_120geam_min_plus_kernelIDF16_Dv2_DF16_S1_Li8ELi32ELi64ELi128ELi4ELi4ELi64ELi64ELi4ELc84ELc84ELb0ELb1ELb0EDF16_KDF16_DF16_EEviiiT16_PT17_ilS5_ilS3_S5_ilPT18_ili26rocblas_geam_ex_operation_
	.p2align	8
	.type	_ZN12_GLOBAL__N_120geam_min_plus_kernelIDF16_Dv2_DF16_S1_Li8ELi32ELi64ELi128ELi4ELi4ELi64ELi64ELi4ELc84ELc84ELb0ELb1ELb0EDF16_KDF16_DF16_EEviiiT16_PT17_ilS5_ilS3_S5_ilPT18_ili26rocblas_geam_ex_operation_,@function
_ZN12_GLOBAL__N_120geam_min_plus_kernelIDF16_Dv2_DF16_S1_Li8ELi32ELi64ELi128ELi4ELi4ELi64ELi64ELi4ELc84ELc84ELb0ELb1ELb0EDF16_KDF16_DF16_EEviiiT16_PT17_ilS5_ilS3_S5_ilPT18_ili26rocblas_geam_ex_operation_: ; @_ZN12_GLOBAL__N_120geam_min_plus_kernelIDF16_Dv2_DF16_S1_Li8ELi32ELi64ELi128ELi4ELi4ELi64ELi64ELi4ELc84ELc84ELb0ELb1ELb0EDF16_KDF16_DF16_EEviiiT16_PT17_ilS5_ilS3_S5_ilPT18_ili26rocblas_geam_ex_operation_
; %bb.0:
	s_load_dwordx4 s[20:23], s[0:1], 0x0
	s_load_dwordx4 s[4:7], s[0:1], 0x20
	s_waitcnt lgkmcnt(0)
	v_cmp_eq_f16_e64 s[8:9], s23, 0
	v_cmp_neq_f16_e64 s[16:17], s23, 0
	s_and_b64 vcc, exec, s[8:9]
	s_cbranch_vccnz .LBB305_3
; %bb.1:
	s_load_dwordx2 s[10:11], s[0:1], 0x10
	s_mul_i32 s5, s3, s5
	s_mul_hi_u32 s12, s3, s4
	s_add_i32 s5, s12, s5
	s_mul_i32 s4, s3, s4
	s_lshl_b64 s[4:5], s[4:5], 1
	s_waitcnt lgkmcnt(0)
	s_add_u32 s28, s10, s4
	s_addc_u32 s29, s11, s5
	s_andn2_b64 vcc, exec, s[8:9]
	s_cbranch_vccnz .LBB305_4
.LBB305_2:
	s_mov_b32 s15, 0
	s_mov_b64 s[18:19], 0
	s_cbranch_execz .LBB305_5
	s_branch .LBB305_6
.LBB305_3:
	s_mov_b64 s[28:29], 0
	s_andn2_b64 vcc, exec, s[8:9]
	s_cbranch_vccz .LBB305_2
.LBB305_4:
                                        ; implicit-def: $sgpr18_sgpr19
                                        ; implicit-def: $sgpr14_sgpr15
.LBB305_5:
	s_load_dwordx2 s[4:5], s[0:1], 0x38
	s_mov_b32 s15, 0
	s_waitcnt lgkmcnt(0)
	s_mul_i32 s5, s3, s5
	s_mul_hi_u32 s8, s3, s4
	s_add_i32 s5, s8, s5
	s_mul_i32 s4, s3, s4
	s_lshl_b64 s[4:5], s[4:5], 1
	s_add_u32 s18, s6, s4
	s_addc_u32 s19, s7, s5
.LBB305_6:
	s_load_dword s33, s[0:1], 0x40
	s_load_dwordx4 s[8:11], s[0:1], 0x58
	s_waitcnt lgkmcnt(0)
	v_cmp_eq_f16_e64 s[4:5], s33, 0
	v_cmp_neq_f16_e64 s[12:13], s33, 0
	s_and_b64 vcc, exec, s[4:5]
	s_cbranch_vccnz .LBB305_8
; %bb.7:
	s_load_dwordx2 s[4:5], s[0:1], 0x48
	s_mul_i32 s6, s3, s9
	s_mul_hi_u32 s7, s3, s8
	s_add_i32 s6, s7, s6
	s_mul_i32 s7, s15, s8
	s_add_i32 s7, s6, s7
	s_mul_i32 s6, s3, s8
	s_lshl_b64 s[6:7], s[6:7], 1
	s_waitcnt lgkmcnt(0)
	s_add_u32 s24, s4, s6
	s_addc_u32 s25, s5, s7
	s_branch .LBB305_9
.LBB305_8:
	s_mov_b64 s[24:25], 0
.LBB305_9:
	s_add_i32 s4, s20, -1
	s_ashr_i32 s5, s4, 31
	s_lshr_b32 s5, s5, 26
	s_add_i32 s4, s4, s5
	s_ashr_i32 s4, s4, 6
	s_add_i32 s5, s4, 1
	v_cvt_f32_u32_e32 v1, s5
	v_and_b32_e32 v30, 0x3ff, v0
	v_bfe_u32 v31, v0, 10, 10
	s_not_b32 s4, s4
	v_rcp_iflag_f32_e32 v1, v1
	v_lshl_add_u32 v2, v31, 3, v30
	s_load_dword s36, s[0:1], 0x18
	v_lshrrev_b32_e32 v7, 2, v2
	v_mul_f32_e32 v0, 0x4f7ffffe, v1
	v_cvt_u32_f32_e32 v0, v0
	v_and_b32_e32 v32, 3, v30
	v_mov_b32_e32 v8, 0
	v_mov_b32_e32 v9, 0
	v_readfirstlane_b32 s6, v0
	s_mul_i32 s4, s4, s6
	s_mul_hi_u32 s4, s6, s4
	s_add_i32 s6, s6, s4
	s_mul_hi_u32 s4, s2, s6
	s_mul_i32 s6, s4, s5
	s_sub_i32 s6, s2, s6
	s_add_i32 s7, s4, 1
	s_sub_i32 s8, s6, s5
	s_cmp_ge_u32 s6, s5
	s_cselect_b32 s4, s7, s4
	s_cselect_b32 s6, s8, s6
	s_add_i32 s7, s4, 1
	s_cmp_ge_u32 s6, s5
	s_cselect_b32 s6, s7, s4
	s_mul_i32 s4, s6, s5
	s_sub_i32 s2, s2, s4
	s_lshl_b32 s2, s2, 6
	v_add_u32_e32 v4, s2, v7
	v_cmp_gt_i32_e64 s[4:5], s22, v32
	v_cmp_gt_i32_e32 vcc, s20, v4
	s_and_b64 s[4:5], s[4:5], vcc
	s_and_b64 s[8:9], s[16:17], s[4:5]
	v_lshlrev_b32_e32 v0, 1, v32
	s_and_saveexec_b64 s[4:5], s[8:9]
	s_cbranch_execz .LBB305_11
; %bb.10:
	s_waitcnt lgkmcnt(0)
	v_mad_i64_i32 v[10:11], s[8:9], v4, s36, 0
	v_lshl_add_u64 v[10:11], v[10:11], 1, s[28:29]
	v_mov_b32_e32 v1, 0
	v_lshl_add_u64 v[10:11], v[10:11], 0, v[0:1]
	flat_load_ushort v1, v[10:11]
	s_waitcnt vmcnt(0) lgkmcnt(0)
	v_mul_f16_e32 v9, s23, v1
.LBB305_11:
	s_or_b64 exec, exec, s[4:5]
	s_load_dword s34, s[0:1], 0x30
	v_and_b32_e32 v10, 63, v2
	v_lshrrev_b32_e32 v33, 6, v2
	s_lshl_b32 s14, s6, 7
	s_add_i32 s35, s22, -1
	v_or_b32_e32 v24, s14, v10
	v_min_i32_e32 v1, s35, v33
	v_cmp_le_i32_e64 s[6:7], s22, v33
	s_waitcnt lgkmcnt(0)
	v_mad_i64_i32 v[2:3], s[4:5], s34, v1, 0
	v_cmp_le_i32_e64 s[8:9], s21, v24
	s_or_b64 s[4:5], s[8:9], s[6:7]
	s_xor_b64 s[26:27], s[16:17], -1
	s_or_b64 s[4:5], s[4:5], s[26:27]
	v_lshl_add_u64 v[2:3], v[2:3], 1, s[18:19]
	s_xor_b64 s[30:31], s[4:5], -1
	v_ashrrev_i32_e32 v25, 31, v24
	s_and_saveexec_b64 s[4:5], s[30:31]
	s_cbranch_execz .LBB305_13
; %bb.12:
	v_lshl_add_u64 v[12:13], v[24:25], 1, v[2:3]
	flat_load_ushort v1, v[12:13]
	s_waitcnt vmcnt(0) lgkmcnt(0)
	v_mul_f16_e32 v8, s23, v1
.LBB305_13:
	s_or_b64 exec, exec, s[4:5]
	v_or_b32_e32 v1, 64, v24
	v_cmp_le_i32_e64 s[4:5], s21, v1
	s_or_b64 s[6:7], s[4:5], s[6:7]
	s_or_b64 s[6:7], s[6:7], s[26:27]
	s_xor_b64 s[30:31], s[6:7], -1
	v_mov_b32_e32 v1, 0
	v_mov_b32_e32 v11, 0
	s_and_saveexec_b64 s[6:7], s[30:31]
	s_cbranch_execz .LBB305_15
; %bb.14:
	v_lshl_add_u64 v[2:3], v[24:25], 1, v[2:3]
	flat_load_ushort v2, v[2:3] offset:128
	s_waitcnt vmcnt(0) lgkmcnt(0)
	v_mul_f16_e32 v11, s23, v2
.LBB305_15:
	s_or_b64 exec, exec, s[6:7]
	v_or_b32_e32 v2, 4, v32
	v_cmp_gt_i32_e64 s[6:7], s22, v2
	s_and_b64 s[6:7], s[6:7], vcc
	s_and_b64 s[30:31], s[16:17], s[6:7]
	s_and_saveexec_b64 s[6:7], s[30:31]
	s_cbranch_execz .LBB305_17
; %bb.16:
	v_mad_i64_i32 v[2:3], s[30:31], v4, s36, 0
	v_lshl_add_u64 v[2:3], v[2:3], 1, s[28:29]
	v_mov_b32_e32 v1, 0
	v_lshl_add_u64 v[2:3], v[2:3], 0, v[0:1]
	flat_load_ushort v1, v[2:3] offset:8
	s_waitcnt vmcnt(0) lgkmcnt(0)
	v_mul_f16_e32 v1, s23, v1
.LBB305_17:
	s_or_b64 exec, exec, s[6:7]
	v_add_u32_e32 v2, 4, v33
	v_cmp_le_i32_e64 s[6:7], s22, v2
	v_min_i32_e32 v2, s35, v2
	v_mad_i64_i32 v[2:3], s[30:31], s34, v2, 0
	s_or_b64 s[30:31], s[8:9], s[6:7]
	s_or_b64 s[30:31], s[30:31], s[26:27]
	v_lshl_add_u64 v[2:3], v[2:3], 1, s[18:19]
	s_xor_b64 s[38:39], s[30:31], -1
	v_mov_b32_e32 v5, 0
	v_mov_b32_e32 v6, 0
	s_and_saveexec_b64 s[30:31], s[38:39]
	s_cbranch_execz .LBB305_19
; %bb.18:
	v_lshl_add_u64 v[12:13], v[24:25], 1, v[2:3]
	flat_load_ushort v6, v[12:13]
	s_waitcnt vmcnt(0) lgkmcnt(0)
	v_mul_f16_e32 v6, s23, v6
.LBB305_19:
	s_or_b64 exec, exec, s[30:31]
	s_or_b64 s[6:7], s[4:5], s[6:7]
	s_or_b64 s[6:7], s[6:7], s[26:27]
	s_xor_b64 s[30:31], s[6:7], -1
	s_and_saveexec_b64 s[6:7], s[30:31]
	s_cbranch_execz .LBB305_21
; %bb.20:
	v_lshl_add_u64 v[2:3], v[24:25], 1, v[2:3]
	flat_load_ushort v2, v[2:3] offset:128
	s_waitcnt vmcnt(0) lgkmcnt(0)
	v_mul_f16_e32 v5, s23, v2
.LBB305_21:
	s_or_b64 exec, exec, s[6:7]
	v_lshlrev_b32_e32 v3, 1, v33
	v_lshl_or_b32 v2, v7, 3, v0
	v_lshl_add_u32 v36, v10, 3, v3
	v_lshlrev_b32_e32 v35, 3, v30
	v_lshlrev_b32_e32 v34, 3, v31
	ds_write_b16 v2, v9 offset:2048
	ds_write_b16 v36, v8
	ds_write_b16 v36, v11 offset:512
	s_waitcnt lgkmcnt(0)
	s_barrier
	ds_read2_b64 v[8:11], v34 offset1:32
	v_add_u32_e32 v37, 0x800, v35
	ds_read2_b64 v[12:15], v37 offset0:48 offset1:56
	ds_read2_b64 v[16:19], v34 offset0:64 offset1:96
	ds_read2_b64 v[20:23], v37 offset1:8
	ds_read2_b64 v[26:29], v37 offset0:16 offset1:24
	ds_read2_b64 v[38:41], v37 offset0:32 offset1:40
	s_waitcnt lgkmcnt(5)
	v_pk_max_f16 v3, v8, v8
	s_waitcnt lgkmcnt(4)
	v_pk_max_f16 v7, v14, v14
	v_pk_max_f16 v10, v10, v10
	v_pk_min_f16 v8, v7, v3
	s_waitcnt lgkmcnt(3)
	v_pk_max_f16 v14, v16, v16
	s_waitcnt lgkmcnt(2)
	v_pk_max_f16 v16, v20, v20
	v_pk_max_f16 v18, v18, v18
	v_pk_max_f16 v22, v22, v22
	s_waitcnt lgkmcnt(1)
	v_pk_max_f16 v26, v26, v26
	v_pk_max_f16 v28, v28, v28
	;; [unrolled: 4-line block ×3, first 2 shown]
	v_pk_max_f16 v12, v12, v12
	v_pk_max_f16 v15, v15, v15
	v_pk_min_f16 v20, v16, v3
	v_pk_min_f16 v42, v16, v10
	;; [unrolled: 1-line block ×16, first 2 shown]
	v_pk_max_f16 v11, v11, v11
	v_pk_min_f16 v56, v38, v3
	v_pk_min_f16 v61, v38, v10
	v_pk_min_f16 v62, v38, v14
	v_pk_min_f16 v38, v38, v18
	v_pk_min_f16 v63, v40, v3
	v_pk_min_f16 v64, v40, v10
	v_pk_min_f16 v69, v40, v14
	v_pk_min_f16 v40, v40, v18
	v_pk_min_f16 v3, v12, v3
	v_pk_min_f16 v50, v7, v10
	v_pk_min_f16 v10, v12, v10
	v_pk_min_f16 v51, v7, v14
	v_pk_min_f16 v14, v12, v14
	v_pk_min_f16 v12, v12, v18
	v_pk_min_f16 v7, v7, v18
	v_pk_add_f16 v8, v8, 0
	v_pk_min_f16 v18, v15, v9
	v_pk_max_f16 v17, v17, v17
	v_pk_add_f16 v68, v8, v18
	v_pk_add_f16 v8, v50, 0
	v_pk_min_f16 v18, v15, v11
	v_pk_max_f16 v21, v21, v21
	v_pk_add_f16 v60, v8, v18
	;; [unrolled: 4-line block ×6, first 2 shown]
	v_pk_add_f16 v8, v16, 0
	v_pk_min_f16 v16, v21, v19
	v_pk_add_f16 v18, v54, 0
	v_pk_add_f16 v51, v8, v16
	v_pk_add_f16 v8, v44, 0
	v_pk_min_f16 v16, v23, v9
	v_pk_add_f16 v20, v55, 0
	v_pk_add_f16 v73, v8, v16
	;; [unrolled: 4-line block ×7, first 2 shown]
	v_pk_add_f16 v8, v49, 0
	v_pk_min_f16 v16, v27, v17
	v_pk_min_f16 v27, v27, v19
	v_pk_add_f16 v57, v8, v16
	v_pk_add_f16 v8, v26, 0
	;; [unrolled: 1-line block ×4, first 2 shown]
	v_pk_min_f16 v8, v29, v9
	v_pk_add_f16 v38, v63, 0
	v_pk_add_f16 v71, v16, v8
	v_pk_min_f16 v8, v29, v11
	v_pk_add_f16 v26, v62, 0
	v_pk_add_f16 v64, v18, v8
	v_pk_min_f16 v8, v29, v17
	v_pk_add_f16 v40, v40, 0
	v_pk_add_f16 v56, v20, v8
	v_pk_min_f16 v8, v29, v19
	v_pk_add_f16 v3, v3, 0
	v_pk_add_f16 v48, v21, v8
	v_pk_max_f16 v8, v39, v39
	v_pk_add_f16 v10, v10, 0
	v_pk_min_f16 v16, v8, v9
	v_pk_add_f16 v14, v14, 0
	v_pk_add_f16 v70, v22, v16
	v_pk_min_f16 v16, v8, v11
	v_pk_add_f16 v12, v12, 0
	v_pk_add_f16 v63, v23, v16
	v_pk_min_f16 v16, v8, v17
	v_pk_min_f16 v8, v8, v19
	v_pk_add_f16 v55, v26, v16
	v_pk_add_f16 v47, v28, v8
	v_pk_max_f16 v8, v41, v41
	v_pk_add_f16 v43, v69, 0
	v_pk_min_f16 v16, v8, v9
	v_pk_add_f16 v7, v7, 0
	v_pk_add_f16 v39, v38, v16
	v_pk_min_f16 v16, v8, v11
	s_mov_b32 s30, 0
	v_pk_add_f16 v62, v42, v16
	v_pk_min_f16 v16, v8, v17
	v_pk_min_f16 v8, v8, v19
	v_pk_add_f16 v54, v43, v16
	v_pk_add_f16 v46, v40, v8
	v_pk_max_f16 v8, v13, v13
	s_cmp_lt_i32 s22, 9
	v_pk_min_f16 v9, v8, v9
	ds_write_b16 v2, v1 offset:2560
	ds_write_b16 v36, v6 offset:1024
	;; [unrolled: 1-line block ×3, first 2 shown]
	v_pk_add_f16 v38, v3, v9
	v_pk_min_f16 v3, v8, v11
	s_waitcnt lgkmcnt(0)
	v_pk_add_f16 v61, v10, v3
	v_pk_min_f16 v3, v8, v17
	s_barrier
	v_pk_add_f16 v53, v14, v3
	v_pk_min_f16 v3, v8, v19
	s_nop 0
	v_pk_add_f16 v45, v12, v3
	v_pk_min_f16 v3, v15, v19
	s_nop 0
	v_pk_add_f16 v44, v7, v3
	s_cbranch_scc1 .LBB305_36
; %bb.22:
	v_mov_b32_e32 v1, 0xa00
	v_lshl_add_u32 v43, v30, 3, v1
	v_mov_b32_e32 v1, 0x400
	v_add_u32_e32 v40, 0x800, v2
	v_add_u32_e32 v41, 0xa00, v2
	v_lshl_add_u32 v69, v31, 3, v1
	v_mad_i64_i32 v[2:3], s[6:7], s36, v4, 0
	v_mov_b32_e32 v1, 0
	v_lshl_add_u64 v[0:1], v[2:3], 1, v[0:1]
	v_lshl_add_u64 v[0:1], v[0:1], 0, s[28:29]
	v_or_b32_e32 v42, 0x400, v36
	s_add_i32 s31, s22, -8
	v_lshl_add_u64 v[26:27], v[0:1], 0, 24
	s_branch .LBB305_24
.LBB305_23:                             ;   in Loop: Header=BB305_24 Depth=1
	s_or_b64 exec, exec, s[6:7]
	v_pk_add_f16 v20, v60, v20
	v_pk_add_f16 v12, v52, v12
	;; [unrolled: 1-line block ×20, first 2 shown]
	ds_read2_b64 v[6:9], v37 offset0:48 offset1:56
	ds_read2_b64 v[10:13], v34 offset1:32
	v_pk_add_f16 v2, v68, v2
	v_pk_add_f16 v22, v67, v22
	;; [unrolled: 1-line block ×4, first 2 shown]
	s_waitcnt lgkmcnt(1)
	v_pk_max_f16 v8, v8, v8
	s_waitcnt lgkmcnt(0)
	v_pk_max_f16 v10, v10, v10
	v_pk_add_f16 v16, v74, v16
	v_pk_add_f16 v58, v64, v84
	;; [unrolled: 1-line block ×10, first 2 shown]
	ds_read2_b64 v[2:5], v34 offset0:64 offset1:96
	v_pk_min_f16 v14, v8, v10
	v_pk_add_f16 v39, v62, v90
	v_pk_add_f16 v62, v16, v17
	;; [unrolled: 1-line block ×4, first 2 shown]
	ds_read2_b64 v[14:17], v37 offset1:8
	v_pk_max_f16 v12, v12, v12
	s_waitcnt lgkmcnt(1)
	v_pk_max_f16 v2, v2, v2
	v_pk_min_f16 v61, v8, v12
	v_pk_max_f16 v4, v4, v4
	v_pk_add_f16 v61, v20, v61
	v_pk_min_f16 v20, v8, v2
	s_waitcnt lgkmcnt(0)
	v_pk_max_f16 v14, v14, v14
	v_pk_add_f16 v66, v21, v20
	v_pk_min_f16 v20, v14, v10
	v_pk_max_f16 v16, v16, v16
	v_pk_add_f16 v62, v62, v20
	v_pk_min_f16 v20, v14, v12
	v_pk_add_f16 v50, v50, v80
	v_pk_add_f16 v22, v22, v20
	v_pk_min_f16 v20, v14, v2
	v_pk_min_f16 v14, v14, v4
	v_pk_add_f16 v23, v23, v20
	v_pk_min_f16 v20, v16, v10
	v_pk_add_f16 v14, v28, v14
	v_pk_add_f16 v28, v18, v20
	v_pk_min_f16 v18, v16, v12
	v_pk_add_f16 v50, v50, v101
	v_pk_add_f16 v70, v19, v18
	ds_read2_b64 v[18:21], v37 offset0:16 offset1:24
	v_pk_min_f16 v67, v16, v2
	v_pk_min_f16 v16, v16, v4
	v_pk_add_f16 v49, v49, v83
	v_pk_add_f16 v16, v50, v16
	s_waitcnt lgkmcnt(0)
	v_pk_max_f16 v18, v18, v18
	v_pk_add_f16 v52, v52, v102
	v_pk_min_f16 v50, v18, v10
	ds_read2_b64 v[78:81], v37 offset0:32 offset1:40
	v_pk_add_f16 v71, v51, v50
	v_pk_min_f16 v50, v18, v12
	v_pk_add_f16 v49, v49, v104
	v_pk_add_f16 v77, v52, v50
	v_pk_min_f16 v50, v18, v2
	v_pk_min_f16 v18, v18, v4
	v_pk_max_f16 v20, v20, v20
	v_pk_add_f16 v18, v49, v18
	v_pk_min_f16 v49, v20, v10
	v_pk_add_f16 v48, v48, v86
	v_pk_add_f16 v58, v58, v105
	;; [unrolled: 1-line block ×3, first 2 shown]
	v_pk_min_f16 v49, v20, v12
	v_pk_add_f16 v57, v57, v82
	v_pk_add_f16 v56, v56, v85
	;; [unrolled: 1-line block ×4, first 2 shown]
	v_pk_min_f16 v49, v20, v2
	v_pk_min_f16 v20, v20, v4
	v_pk_add_f16 v56, v56, v106
	v_pk_add_f16 v20, v48, v20
	s_waitcnt lgkmcnt(0)
	v_pk_max_f16 v48, v78, v78
	v_pk_add_f16 v56, v56, v49
	v_pk_min_f16 v49, v48, v10
	v_pk_add_f16 v47, v47, v89
	v_pk_add_f16 v59, v59, v109
	;; [unrolled: 1-line block ×3, first 2 shown]
	v_pk_min_f16 v49, v48, v12
	v_pk_add_f16 v55, v55, v88
	v_pk_add_f16 v47, v47, v111
	;; [unrolled: 1-line block ×3, first 2 shown]
	v_pk_min_f16 v49, v48, v2
	v_pk_min_f16 v48, v48, v4
	v_pk_add_f16 v55, v55, v110
	v_pk_add_f16 v47, v47, v48
	v_pk_max_f16 v48, v80, v80
	v_pk_add_f16 v55, v55, v49
	v_pk_min_f16 v49, v48, v10
	v_pk_add_f16 v54, v54, v91
	v_pk_add_f16 v39, v39, v112
	;; [unrolled: 1-line block ×3, first 2 shown]
	v_pk_min_f16 v49, v48, v12
	v_pk_max_f16 v6, v6, v6
	v_pk_add_f16 v54, v54, v113
	v_pk_add_f16 v84, v39, v49
	v_pk_min_f16 v39, v48, v2
	v_pk_min_f16 v10, v6, v10
	;; [unrolled: 1-line block ×5, first 2 shown]
	v_pk_add_f16 v54, v54, v39
	v_pk_min_f16 v39, v48, v4
	v_pk_add_f16 v1, v1, v6
	v_pk_min_f16 v4, v8, v4
	v_pk_max_f16 v6, v9, v9
	v_pk_max_f16 v8, v11, v11
	v_pk_add_f16 v60, v60, v116
	v_pk_min_f16 v9, v6, v8
	v_pk_max_f16 v3, v3, v3
	v_pk_add_f16 v68, v45, v9
	v_pk_max_f16 v9, v13, v13
	v_pk_add_f16 v12, v60, v12
	v_pk_min_f16 v11, v6, v9
	v_pk_max_f16 v5, v5, v5
	v_pk_add_f16 v60, v61, v11
	v_pk_min_f16 v11, v6, v3
	v_pk_add_f16 v29, v29, v67
	v_pk_add_f16 v52, v66, v11
	v_pk_max_f16 v11, v15, v15
	v_pk_add_f16 v57, v57, v103
	v_pk_min_f16 v13, v11, v8
	v_pk_add_f16 v57, v57, v50
	v_pk_add_f16 v74, v62, v13
	v_pk_min_f16 v13, v11, v9
	v_pk_add_f16 v46, v46, v92
	v_pk_add_f16 v67, v22, v13
	v_pk_min_f16 v13, v11, v3
	v_pk_min_f16 v11, v11, v5
	v_pk_add_f16 v59, v23, v13
	v_pk_add_f16 v51, v14, v11
	v_pk_max_f16 v11, v17, v17
	v_pk_add_f16 v53, v53, v95
	v_pk_min_f16 v13, v11, v8
	v_pk_add_f16 v46, v46, v114
	v_pk_add_f16 v73, v28, v13
	v_pk_min_f16 v13, v11, v9
	v_pk_add_f16 v38, v38, v93
	v_pk_add_f16 v66, v70, v13
	v_pk_min_f16 v13, v11, v3
	v_pk_min_f16 v11, v11, v5
	v_pk_add_f16 v58, v29, v13
	v_pk_add_f16 v50, v16, v11
	v_pk_max_f16 v11, v19, v19
	v_pk_add_f16 v53, v53, v117
	v_pk_min_f16 v13, v11, v8
	v_pk_add_f16 v46, v46, v39
	v_pk_add_f16 v72, v71, v13
	v_pk_min_f16 v13, v11, v9
	v_pk_max_f16 v7, v7, v7
	v_pk_add_f16 v65, v77, v13
	v_pk_min_f16 v13, v11, v3
	v_pk_min_f16 v11, v11, v5
	v_pk_add_f16 v57, v57, v13
	v_pk_add_f16 v49, v18, v11
	v_pk_max_f16 v11, v21, v21
	v_pk_add_f16 v38, v38, v115
	v_pk_min_f16 v13, v11, v8
	v_pk_add_f16 v2, v53, v2
	v_pk_add_f16 v71, v63, v13
	v_pk_min_f16 v13, v11, v9
	v_pk_add_f16 v10, v38, v10
	v_pk_add_f16 v64, v82, v13
	v_pk_min_f16 v13, v11, v3
	v_pk_min_f16 v11, v11, v5
	v_pk_add_f16 v56, v56, v13
	v_pk_add_f16 v48, v20, v11
	v_pk_max_f16 v11, v79, v79
	v_pk_add_f16 v4, v44, v4
	v_pk_min_f16 v13, v11, v8
	s_add_i32 s30, s30, 8
	v_pk_add_f16 v70, v78, v13
	v_pk_min_f16 v13, v11, v9
	s_cmp_ge_i32 s30, s31
	v_pk_add_f16 v63, v83, v13
	v_pk_min_f16 v13, v11, v3
	v_pk_min_f16 v11, v11, v5
	v_pk_add_f16 v55, v55, v13
	v_pk_add_f16 v47, v47, v11
	v_pk_max_f16 v11, v81, v81
	v_lshl_add_u64 v[26:27], v[26:27], 0, 16
	v_pk_min_f16 v13, v11, v8
	v_pk_min_f16 v8, v7, v8
	v_pk_add_f16 v39, v80, v13
	v_pk_min_f16 v13, v11, v9
	v_pk_add_f16 v38, v10, v8
	v_pk_add_f16 v62, v84, v13
	v_pk_min_f16 v13, v11, v3
	v_pk_min_f16 v3, v7, v3
	;; [unrolled: 1-line block ×3, first 2 shown]
	v_pk_add_f16 v53, v2, v3
	v_pk_min_f16 v2, v7, v5
	v_pk_min_f16 v8, v7, v9
	v_pk_add_f16 v45, v1, v2
	v_pk_min_f16 v1, v6, v5
	v_pk_add_f16 v54, v54, v13
	v_pk_add_f16 v46, v46, v11
	;; [unrolled: 1-line block ×4, first 2 shown]
	ds_write_b16 v41, v76
	ds_write_b16 v42, v75
	ds_write_b16 v42, v0 offset:512
	s_waitcnt lgkmcnt(0)
	s_barrier
	s_cbranch_scc1 .LBB305_36
.LBB305_24:                             ; =>This Inner Loop Header: Depth=1
	v_add_u32_e32 v28, s30, v32
	v_add_u32_e32 v0, 8, v28
	v_cmp_gt_i32_e64 s[6:7], s22, v0
	s_and_b64 s[6:7], s[6:7], vcc
	s_and_b64 s[6:7], s[16:17], s[6:7]
	v_mov_b32_e32 v75, 0
	s_and_saveexec_b64 s[28:29], s[6:7]
	s_cbranch_execz .LBB305_26
; %bb.25:                               ;   in Loop: Header=BB305_24 Depth=1
	v_add_co_u32_e64 v0, s[6:7], -8, v26
	s_nop 1
	v_addc_co_u32_e64 v1, s[6:7], -1, v27, s[6:7]
	flat_load_ushort v0, v[0:1]
	s_waitcnt vmcnt(0) lgkmcnt(0)
	v_mul_f16_e32 v75, s23, v0
.LBB305_26:                             ;   in Loop: Header=BB305_24 Depth=1
	s_or_b64 exec, exec, s[28:29]
	v_add_u32_e32 v29, s30, v33
	v_add_u32_e32 v0, 8, v29
	v_cmp_le_i32_e64 s[6:7], s22, v0
	v_min_i32_e32 v0, s35, v0
	v_mad_i64_i32 v[0:1], s[28:29], v0, s34, 0
	s_or_b64 s[28:29], s[8:9], s[6:7]
	v_lshl_add_u64 v[0:1], v[0:1], 1, s[18:19]
	s_or_b64 s[28:29], s[28:29], s[26:27]
	s_xor_b64 s[36:37], s[28:29], -1
	v_mov_b32_e32 v76, 0
	v_lshl_add_u64 v[0:1], v[24:25], 1, v[0:1]
	v_mov_b32_e32 v77, 0
	s_and_saveexec_b64 s[28:29], s[36:37]
	s_cbranch_execz .LBB305_28
; %bb.27:                               ;   in Loop: Header=BB305_24 Depth=1
	flat_load_ushort v2, v[0:1]
	s_waitcnt vmcnt(0) lgkmcnt(0)
	v_mul_f16_e32 v77, s23, v2
.LBB305_28:                             ;   in Loop: Header=BB305_24 Depth=1
	s_or_b64 exec, exec, s[28:29]
	s_or_b64 s[6:7], s[4:5], s[6:7]
	s_or_b64 s[6:7], s[6:7], s[26:27]
	s_xor_b64 s[28:29], s[6:7], -1
	s_and_saveexec_b64 s[6:7], s[28:29]
	s_cbranch_execz .LBB305_30
; %bb.29:                               ;   in Loop: Header=BB305_24 Depth=1
	flat_load_ushort v0, v[0:1] offset:128
	s_waitcnt vmcnt(0) lgkmcnt(0)
	v_mul_f16_e32 v76, s23, v0
.LBB305_30:                             ;   in Loop: Header=BB305_24 Depth=1
	s_or_b64 exec, exec, s[6:7]
	ds_read2_b64 v[0:3], v43 offset0:48 offset1:56
	ds_read2_b64 v[12:15], v69 offset0:64 offset1:96
	ds_read2_b64 v[20:23], v69 offset1:32
	ds_read2_b64 v[16:19], v43 offset1:8
	ds_read2_b64 v[8:11], v43 offset0:16 offset1:24
	ds_read2_b64 v[4:7], v43 offset0:32 offset1:40
	v_add_u32_e32 v28, 12, v28
	v_cmp_gt_i32_e64 s[6:7], s22, v28
	s_and_b64 s[6:7], s[6:7], vcc
	ds_write_b16 v40, v75
	ds_write_b16 v36, v77
	ds_write_b16 v36, v76 offset:512
	s_and_b64 s[28:29], s[16:17], s[6:7]
	v_mov_b32_e32 v75, 0
	v_mov_b32_e32 v76, 0
	s_waitcnt lgkmcnt(0)
	s_barrier
	s_and_saveexec_b64 s[6:7], s[28:29]
	s_cbranch_execz .LBB305_32
; %bb.31:                               ;   in Loop: Header=BB305_24 Depth=1
	flat_load_ushort v28, v[26:27]
	s_waitcnt vmcnt(0) lgkmcnt(0)
	v_mul_f16_e32 v76, s23, v28
.LBB305_32:                             ;   in Loop: Header=BB305_24 Depth=1
	s_or_b64 exec, exec, s[6:7]
	v_add_u32_e32 v28, 12, v29
	v_cmp_le_i32_e64 s[6:7], s22, v28
	v_min_i32_e32 v28, s35, v28
	v_mad_i64_i32 v[28:29], s[28:29], v28, s34, 0
	s_or_b64 s[28:29], s[8:9], s[6:7]
	v_lshl_add_u64 v[28:29], v[28:29], 1, s[18:19]
	s_or_b64 s[28:29], s[28:29], s[26:27]
	s_xor_b64 s[36:37], s[28:29], -1
	v_lshl_add_u64 v[28:29], v[24:25], 1, v[28:29]
	s_and_saveexec_b64 s[28:29], s[36:37]
	s_cbranch_execz .LBB305_34
; %bb.33:                               ;   in Loop: Header=BB305_24 Depth=1
	flat_load_ushort v75, v[28:29]
	s_waitcnt vmcnt(0) lgkmcnt(0)
	v_mul_f16_e32 v75, s23, v75
.LBB305_34:                             ;   in Loop: Header=BB305_24 Depth=1
	s_or_b64 exec, exec, s[28:29]
	v_pk_max_f16 v97, v2, v2
	v_pk_max_f16 v93, v20, v20
	;; [unrolled: 1-line block ×17, first 2 shown]
	s_or_b64 s[6:7], s[4:5], s[6:7]
	v_pk_min_f16 v2, v97, v93
	v_pk_min_f16 v20, v97, v94
	;; [unrolled: 1-line block ×26, first 2 shown]
	v_pk_max_f16 v0, v3, v3
	v_pk_max_f16 v99, v17, v17
	;; [unrolled: 1-line block ×5, first 2 shown]
	v_pk_min_f16 v108, v5, v115
	v_pk_min_f16 v109, v5, v116
	;; [unrolled: 1-line block ×4, first 2 shown]
	v_pk_max_f16 v5, v7, v7
	v_pk_max_f16 v1, v1, v1
	s_or_b64 s[6:7], s[6:7], s[26:27]
	v_pk_min_f16 v80, v80, v98
	v_pk_min_f16 v83, v83, v98
	v_pk_min_f16 v86, v86, v98
	v_pk_min_f16 v89, v89, v98
	v_pk_min_f16 v92, v92, v98
	v_pk_min_f16 v97, v97, v98
	v_pk_min_f16 v3, v0, v115
	v_pk_min_f16 v21, v0, v116
	v_pk_min_f16 v13, v0, v117
	v_pk_min_f16 v17, v99, v115
	v_pk_min_f16 v23, v99, v116
	v_pk_min_f16 v98, v99, v117
	v_pk_min_f16 v15, v99, v118
	v_pk_min_f16 v19, v101, v115
	v_pk_min_f16 v99, v101, v116
	v_pk_min_f16 v100, v101, v117
	v_pk_min_f16 v101, v101, v118
	v_pk_min_f16 v9, v104, v115
	v_pk_min_f16 v102, v104, v116
	v_pk_min_f16 v103, v104, v117
	v_pk_min_f16 v104, v104, v118
	v_pk_min_f16 v11, v107, v115
	v_pk_min_f16 v105, v107, v116
	v_pk_min_f16 v106, v107, v117
	v_pk_min_f16 v107, v107, v118
	v_pk_min_f16 v7, v5, v115
	v_pk_min_f16 v112, v5, v116
	v_pk_min_f16 v113, v5, v117
	v_pk_min_f16 v114, v5, v118
	v_pk_min_f16 v115, v1, v115
	v_pk_min_f16 v116, v1, v116
	v_pk_min_f16 v117, v1, v117
	v_pk_min_f16 v1, v1, v118
	v_pk_min_f16 v5, v0, v118
	s_xor_b64 s[28:29], s[6:7], -1
	v_mov_b32_e32 v0, 0
	s_and_saveexec_b64 s[6:7], s[28:29]
	s_cbranch_execz .LBB305_23
; %bb.35:                               ;   in Loop: Header=BB305_24 Depth=1
	flat_load_ushort v0, v[28:29] offset:128
	s_waitcnt vmcnt(0) lgkmcnt(0)
	v_mul_f16_e32 v0, s23, v0
	s_branch .LBB305_23
.LBB305_36:
	s_load_dwordx2 s[4:5], s[0:1], 0x70
	s_load_dword s29, s[0:1], 0x50
	s_load_dword s28, s[0:1], 0x68
	v_add_u32_e32 v8, 0x800, v35
	ds_read2_b64 v[0:3], v8 offset0:112 offset1:120
	ds_read2_b64 v[4:7], v34 offset0:192 offset1:224
	;; [unrolled: 1-line block ×6, first 2 shown]
	s_waitcnt lgkmcnt(0)
	s_mul_i32 s0, s3, s5
	s_mul_hi_u32 s1, s3, s4
	s_mul_i32 s5, s15, s4
	s_add_i32 s0, s1, s0
	s_add_i32 s1, s0, s5
	s_mul_i32 s0, s3, s4
	s_lshl_b64 s[0:1], s[0:1], 1
	s_add_u32 s22, s10, s0
	v_add_u32_e32 v69, s14, v31
	s_addc_u32 s23, s11, s1
	v_mad_i64_i32 v[26:27], s[0:1], v69, s29, 0
	v_add_u32_e32 v24, s2, v30
	v_lshl_add_u64 v[42:43], v[26:27], 1, s[24:25]
	v_mad_i64_i32 v[26:27], s[0:1], v69, s28, 0
	v_cmp_gt_i32_e64 s[18:19], s21, v69
	v_lshl_add_u64 v[40:41], v[26:27], 1, s[22:23]
	v_cmp_gt_i32_e64 s[2:3], s20, v24
	v_cndmask_b32_e64 v26, 0, 1, s[12:13]
	s_and_b64 s[6:7], s[2:3], s[18:19]
	v_ashrrev_i32_e32 v25, 31, v24
	v_cmp_ne_u32_e64 s[0:1], 1, v26
	s_and_saveexec_b64 s[4:5], s[6:7]
	s_cbranch_execz .LBB305_41
; %bb.37:
	s_and_b64 vcc, exec, s[0:1]
	s_cbranch_vccnz .LBB305_39
; %bb.38:
	v_lshl_add_u64 v[26:27], v[24:25], 1, v[42:43]
	flat_load_ushort v26, v[26:27]
	s_waitcnt vmcnt(0) lgkmcnt(0)
	v_mul_f16_e32 v26, s33, v26
	s_branch .LBB305_40
.LBB305_39:
	v_mov_b32_e32 v26, 0
.LBB305_40:
	v_pk_max_f16 v27, v20, v20
	v_pk_max_f16 v28, v16, v16
	v_pk_max_f16 v29, v17, v17
	v_pk_min_f16 v27, v28, v27
	v_pk_max_f16 v28, v21, v21
	v_pk_add_f16 v27, v74, v27
	v_pk_min_f16 v28, v29, v28
	s_nop 0
	v_pk_add_f16 v27, v27, v28
	s_nop 0
	v_add_f16_sdwa v27, v27, v27 dst_sel:DWORD dst_unused:UNUSED_PAD src0_sel:DWORD src1_sel:WORD_1
	v_add_f16_e32 v28, v27, v26
	v_lshl_add_u64 v[26:27], v[24:25], 1, v[40:41]
	global_store_short v[26:27], v28, off
.LBB305_41:
	s_or_b64 exec, exec, s[4:5]
	v_add_u32_e32 v26, 8, v24
	v_cmp_gt_i32_e64 s[4:5], s20, v26
	s_and_b64 s[8:9], s[4:5], s[18:19]
	v_ashrrev_i32_e32 v27, 31, v26
	s_and_saveexec_b64 s[6:7], s[8:9]
	s_cbranch_execz .LBB305_46
; %bb.42:
	s_and_b64 vcc, exec, s[0:1]
	s_cbranch_vccnz .LBB305_44
; %bb.43:
	v_lshl_add_u64 v[28:29], v[26:27], 1, v[42:43]
	flat_load_ushort v28, v[28:29]
	s_waitcnt vmcnt(0) lgkmcnt(0)
	v_mul_f16_e32 v28, s33, v28
	s_branch .LBB305_45
.LBB305_44:
	v_mov_b32_e32 v28, 0
.LBB305_45:
	v_pk_max_f16 v29, v20, v20
	v_pk_max_f16 v30, v18, v18
	v_pk_max_f16 v31, v19, v19
	v_pk_min_f16 v29, v30, v29
	v_pk_max_f16 v30, v21, v21
	v_pk_add_f16 v29, v73, v29
	v_pk_min_f16 v30, v31, v30
	s_nop 0
	v_pk_add_f16 v29, v29, v30
	s_nop 0
	v_add_f16_sdwa v29, v29, v29 dst_sel:DWORD dst_unused:UNUSED_PAD src0_sel:DWORD src1_sel:WORD_1
	v_add_f16_e32 v30, v29, v28
	v_lshl_add_u64 v[28:29], v[26:27], 1, v[40:41]
	global_store_short v[28:29], v30, off
.LBB305_46:
	s_or_b64 exec, exec, s[6:7]
	v_add_u32_e32 v28, 16, v24
	v_cmp_gt_i32_e64 s[6:7], s20, v28
	s_and_b64 s[10:11], s[6:7], s[18:19]
	v_ashrrev_i32_e32 v29, 31, v28
	;; [unrolled: 34-line block ×5, first 2 shown]
	s_and_saveexec_b64 s[14:15], s[16:17]
	s_cbranch_execz .LBB305_66
; %bb.62:
	s_and_b64 vcc, exec, s[0:1]
	s_cbranch_vccnz .LBB305_64
; %bb.63:
	v_lshl_add_u64 v[36:37], v[34:35], 1, v[42:43]
	flat_load_ushort v36, v[36:37]
	s_waitcnt vmcnt(0) lgkmcnt(0)
	v_mul_f16_e32 v36, s33, v36
	s_branch .LBB305_65
.LBB305_64:
	v_mov_b32_e32 v36, 0
.LBB305_65:
	v_pk_max_f16 v37, v20, v20
	v_pk_max_f16 v70, v10, v10
	s_nop 0
	v_pk_min_f16 v37, v70, v37
	v_pk_max_f16 v70, v11, v11
	v_pk_add_f16 v37, v39, v37
	v_pk_max_f16 v39, v21, v21
	s_nop 0
	v_pk_min_f16 v39, v70, v39
	s_nop 0
	v_pk_add_f16 v37, v37, v39
	s_nop 0
	v_add_f16_sdwa v37, v37, v37 dst_sel:DWORD dst_unused:UNUSED_PAD src0_sel:DWORD src1_sel:WORD_1
	v_add_f16_e32 v39, v37, v36
	v_lshl_add_u64 v[36:37], v[34:35], 1, v[40:41]
	global_store_short v[36:37], v39, off
.LBB305_66:
	s_or_b64 exec, exec, s[14:15]
	v_add_u32_e32 v36, 48, v24
	v_cmp_gt_i32_e64 s[14:15], s20, v36
	s_and_b64 s[26:27], s[14:15], s[18:19]
	v_ashrrev_i32_e32 v37, 31, v36
	s_and_saveexec_b64 s[16:17], s[26:27]
	s_cbranch_execz .LBB305_71
; %bb.67:
	s_and_b64 vcc, exec, s[0:1]
	s_cbranch_vccnz .LBB305_69
; %bb.68:
	v_lshl_add_u64 v[70:71], v[36:37], 1, v[42:43]
	flat_load_ushort v39, v[70:71]
	s_waitcnt vmcnt(0) lgkmcnt(0)
	v_mul_f16_e32 v39, s33, v39
	s_branch .LBB305_70
.LBB305_69:
	v_mov_b32_e32 v39, 0
.LBB305_70:
	v_pk_max_f16 v70, v20, v20
	v_pk_max_f16 v71, v0, v0
	s_nop 0
	v_pk_min_f16 v70, v71, v70
	v_pk_max_f16 v71, v1, v1
	v_pk_add_f16 v38, v38, v70
	v_pk_max_f16 v70, v21, v21
	s_nop 0
	v_pk_min_f16 v70, v71, v70
	s_nop 0
	v_pk_add_f16 v38, v38, v70
	s_nop 0
	v_add_f16_sdwa v38, v38, v38 dst_sel:DWORD dst_unused:UNUSED_PAD src0_sel:DWORD src1_sel:WORD_1
	v_add_f16_e32 v70, v38, v39
	v_lshl_add_u64 v[38:39], v[36:37], 1, v[40:41]
	global_store_short v[38:39], v70, off
.LBB305_71:
	s_or_b64 exec, exec, s[16:17]
	v_add_u32_e32 v38, 56, v24
	v_cmp_gt_i32_e64 s[16:17], s20, v38
	s_and_b64 s[26:27], s[16:17], s[18:19]
	v_ashrrev_i32_e32 v39, 31, v38
	s_and_saveexec_b64 s[18:19], s[26:27]
	s_cbranch_execz .LBB305_76
; %bb.72:
	s_and_b64 vcc, exec, s[0:1]
	s_cbranch_vccnz .LBB305_74
; %bb.73:
	v_lshl_add_u64 v[42:43], v[38:39], 1, v[42:43]
	flat_load_ushort v42, v[42:43]
	s_waitcnt vmcnt(0) lgkmcnt(0)
	v_mul_f16_e32 v42, s33, v42
	s_branch .LBB305_75
.LBB305_74:
	v_mov_b32_e32 v42, 0
.LBB305_75:
	v_pk_max_f16 v20, v20, v20
	v_pk_max_f16 v43, v2, v2
	;; [unrolled: 1-line block ×3, first 2 shown]
	v_pk_min_f16 v20, v43, v20
	v_pk_max_f16 v43, v3, v3
	v_pk_add_f16 v20, v68, v20
	v_pk_min_f16 v21, v43, v21
	s_nop 0
	v_pk_add_f16 v20, v20, v21
	s_nop 0
	v_add_f16_sdwa v20, v20, v20 dst_sel:DWORD dst_unused:UNUSED_PAD src0_sel:DWORD src1_sel:WORD_1
	v_add_f16_e32 v42, v20, v42
	v_lshl_add_u64 v[20:21], v[38:39], 1, v[40:41]
	global_store_short v[20:21], v42, off
.LBB305_76:
	s_or_b64 exec, exec, s[18:19]
	v_add_u32_e32 v42, 32, v69
	v_mad_i64_i32 v[20:21], s[26:27], v42, s29, 0
	v_cmp_gt_i32_e64 s[18:19], s21, v42
	v_lshl_add_u64 v[40:41], v[20:21], 1, s[24:25]
	v_mad_i64_i32 v[20:21], s[26:27], v42, s28, 0
	v_lshl_add_u64 v[20:21], v[20:21], 1, s[22:23]
	s_and_b64 s[30:31], s[2:3], s[18:19]
	s_and_saveexec_b64 s[26:27], s[30:31]
	s_cbranch_execnz .LBB305_84
; %bb.77:
	s_or_b64 exec, exec, s[26:27]
	s_and_b64 s[30:31], s[4:5], s[18:19]
	s_and_saveexec_b64 s[26:27], s[30:31]
	s_cbranch_execnz .LBB305_88
.LBB305_78:
	s_or_b64 exec, exec, s[26:27]
	s_and_b64 s[30:31], s[6:7], s[18:19]
	s_and_saveexec_b64 s[26:27], s[30:31]
	s_cbranch_execnz .LBB305_92
.LBB305_79:
	s_or_b64 exec, exec, s[26:27]
	s_and_b64 s[30:31], s[8:9], s[18:19]
	s_and_saveexec_b64 s[26:27], s[30:31]
	s_cbranch_execnz .LBB305_96
.LBB305_80:
	s_or_b64 exec, exec, s[26:27]
	s_and_b64 s[30:31], s[10:11], s[18:19]
	s_and_saveexec_b64 s[26:27], s[30:31]
	s_cbranch_execnz .LBB305_100
.LBB305_81:
	s_or_b64 exec, exec, s[26:27]
	s_and_b64 s[30:31], s[12:13], s[18:19]
	s_and_saveexec_b64 s[26:27], s[30:31]
	s_cbranch_execnz .LBB305_104
.LBB305_82:
	s_or_b64 exec, exec, s[26:27]
	s_and_b64 s[30:31], s[14:15], s[18:19]
	s_and_saveexec_b64 s[26:27], s[30:31]
	s_cbranch_execnz .LBB305_108
.LBB305_83:
	s_or_b64 exec, exec, s[26:27]
	s_and_b64 s[26:27], s[16:17], s[18:19]
	s_and_saveexec_b64 s[18:19], s[26:27]
	s_cbranch_execnz .LBB305_112
	s_branch .LBB305_116
.LBB305_84:
	s_and_b64 vcc, exec, s[0:1]
	s_cbranch_vccnz .LBB305_86
; %bb.85:
	v_lshl_add_u64 v[42:43], v[24:25], 1, v[40:41]
	flat_load_ushort v42, v[42:43]
	s_waitcnt vmcnt(0) lgkmcnt(0)
	v_mul_f16_e32 v42, s33, v42
	s_branch .LBB305_87
.LBB305_86:
	v_mov_b32_e32 v42, 0
.LBB305_87:
	v_pk_max_f16 v43, v22, v22
	v_pk_max_f16 v68, v16, v16
	s_nop 0
	v_pk_min_f16 v43, v68, v43
	v_pk_max_f16 v68, v17, v17
	v_pk_add_f16 v43, v67, v43
	v_pk_max_f16 v67, v23, v23
	s_nop 0
	v_pk_min_f16 v67, v68, v67
	s_nop 0
	v_pk_add_f16 v43, v43, v67
	s_nop 0
	v_add_f16_sdwa v43, v43, v43 dst_sel:DWORD dst_unused:UNUSED_PAD src0_sel:DWORD src1_sel:WORD_1
	v_add_f16_e32 v67, v43, v42
	v_lshl_add_u64 v[42:43], v[24:25], 1, v[20:21]
	global_store_short v[42:43], v67, off
	s_or_b64 exec, exec, s[26:27]
	s_and_b64 s[30:31], s[4:5], s[18:19]
	s_and_saveexec_b64 s[26:27], s[30:31]
	s_cbranch_execz .LBB305_78
.LBB305_88:
	s_and_b64 vcc, exec, s[0:1]
	s_cbranch_vccnz .LBB305_90
; %bb.89:
	v_lshl_add_u64 v[42:43], v[26:27], 1, v[40:41]
	flat_load_ushort v42, v[42:43]
	s_waitcnt vmcnt(0) lgkmcnt(0)
	v_mul_f16_e32 v42, s33, v42
	s_branch .LBB305_91
.LBB305_90:
	v_mov_b32_e32 v42, 0
.LBB305_91:
	v_pk_max_f16 v43, v22, v22
	v_pk_max_f16 v67, v18, v18
	s_nop 0
	v_pk_min_f16 v43, v67, v43
	v_pk_max_f16 v67, v19, v19
	v_pk_add_f16 v43, v66, v43
	v_pk_max_f16 v66, v23, v23
	s_nop 0
	v_pk_min_f16 v66, v67, v66
	s_nop 0
	v_pk_add_f16 v43, v43, v66
	s_nop 0
	v_add_f16_sdwa v43, v43, v43 dst_sel:DWORD dst_unused:UNUSED_PAD src0_sel:DWORD src1_sel:WORD_1
	v_add_f16_e32 v66, v43, v42
	v_lshl_add_u64 v[42:43], v[26:27], 1, v[20:21]
	global_store_short v[42:43], v66, off
	s_or_b64 exec, exec, s[26:27]
	s_and_b64 s[30:31], s[6:7], s[18:19]
	s_and_saveexec_b64 s[26:27], s[30:31]
	s_cbranch_execz .LBB305_79
.LBB305_92:
	s_and_b64 vcc, exec, s[0:1]
	s_cbranch_vccnz .LBB305_94
; %bb.93:
	v_lshl_add_u64 v[42:43], v[28:29], 1, v[40:41]
	flat_load_ushort v42, v[42:43]
	s_waitcnt vmcnt(0) lgkmcnt(0)
	v_mul_f16_e32 v42, s33, v42
	s_branch .LBB305_95
.LBB305_94:
	v_mov_b32_e32 v42, 0
.LBB305_95:
	v_pk_max_f16 v43, v22, v22
	v_pk_max_f16 v66, v12, v12
	s_nop 0
	v_pk_min_f16 v43, v66, v43
	v_pk_max_f16 v66, v13, v13
	v_pk_add_f16 v43, v65, v43
	v_pk_max_f16 v65, v23, v23
	s_nop 0
	v_pk_min_f16 v65, v66, v65
	s_nop 0
	v_pk_add_f16 v43, v43, v65
	s_nop 0
	v_add_f16_sdwa v43, v43, v43 dst_sel:DWORD dst_unused:UNUSED_PAD src0_sel:DWORD src1_sel:WORD_1
	v_add_f16_e32 v65, v43, v42
	v_lshl_add_u64 v[42:43], v[28:29], 1, v[20:21]
	global_store_short v[42:43], v65, off
	s_or_b64 exec, exec, s[26:27]
	s_and_b64 s[30:31], s[8:9], s[18:19]
	s_and_saveexec_b64 s[26:27], s[30:31]
	s_cbranch_execz .LBB305_80
.LBB305_96:
	s_and_b64 vcc, exec, s[0:1]
	s_cbranch_vccnz .LBB305_98
; %bb.97:
	v_lshl_add_u64 v[42:43], v[30:31], 1, v[40:41]
	flat_load_ushort v42, v[42:43]
	s_waitcnt vmcnt(0) lgkmcnt(0)
	v_mul_f16_e32 v42, s33, v42
	s_branch .LBB305_99
.LBB305_98:
	v_mov_b32_e32 v42, 0
.LBB305_99:
	v_pk_max_f16 v43, v22, v22
	v_pk_max_f16 v65, v14, v14
	s_nop 0
	v_pk_min_f16 v43, v65, v43
	v_pk_max_f16 v65, v15, v15
	v_pk_add_f16 v43, v64, v43
	v_pk_max_f16 v64, v23, v23
	s_nop 0
	v_pk_min_f16 v64, v65, v64
	s_nop 0
	v_pk_add_f16 v43, v43, v64
	s_nop 0
	v_add_f16_sdwa v43, v43, v43 dst_sel:DWORD dst_unused:UNUSED_PAD src0_sel:DWORD src1_sel:WORD_1
	v_add_f16_e32 v64, v43, v42
	v_lshl_add_u64 v[42:43], v[30:31], 1, v[20:21]
	global_store_short v[42:43], v64, off
	s_or_b64 exec, exec, s[26:27]
	s_and_b64 s[30:31], s[10:11], s[18:19]
	s_and_saveexec_b64 s[26:27], s[30:31]
	s_cbranch_execz .LBB305_81
.LBB305_100:
	s_and_b64 vcc, exec, s[0:1]
	s_cbranch_vccnz .LBB305_102
; %bb.101:
	v_lshl_add_u64 v[42:43], v[32:33], 1, v[40:41]
	flat_load_ushort v42, v[42:43]
	s_waitcnt vmcnt(0) lgkmcnt(0)
	v_mul_f16_e32 v42, s33, v42
	s_branch .LBB305_103
.LBB305_102:
	v_mov_b32_e32 v42, 0
.LBB305_103:
	v_pk_max_f16 v43, v22, v22
	v_pk_max_f16 v64, v8, v8
	s_nop 0
	v_pk_min_f16 v43, v64, v43
	v_pk_max_f16 v64, v9, v9
	v_pk_add_f16 v43, v63, v43
	v_pk_max_f16 v63, v23, v23
	s_nop 0
	v_pk_min_f16 v63, v64, v63
	s_nop 0
	v_pk_add_f16 v43, v43, v63
	s_nop 0
	v_add_f16_sdwa v43, v43, v43 dst_sel:DWORD dst_unused:UNUSED_PAD src0_sel:DWORD src1_sel:WORD_1
	v_add_f16_e32 v63, v43, v42
	v_lshl_add_u64 v[42:43], v[32:33], 1, v[20:21]
	global_store_short v[42:43], v63, off
	s_or_b64 exec, exec, s[26:27]
	s_and_b64 s[30:31], s[12:13], s[18:19]
	s_and_saveexec_b64 s[26:27], s[30:31]
	s_cbranch_execz .LBB305_82
.LBB305_104:
	s_and_b64 vcc, exec, s[0:1]
	s_cbranch_vccnz .LBB305_106
; %bb.105:
	v_lshl_add_u64 v[42:43], v[34:35], 1, v[40:41]
	flat_load_ushort v42, v[42:43]
	s_waitcnt vmcnt(0) lgkmcnt(0)
	v_mul_f16_e32 v42, s33, v42
	s_branch .LBB305_107
.LBB305_106:
	v_mov_b32_e32 v42, 0
.LBB305_107:
	v_pk_max_f16 v43, v22, v22
	v_pk_max_f16 v63, v10, v10
	s_nop 0
	v_pk_min_f16 v43, v63, v43
	v_pk_max_f16 v63, v11, v11
	v_pk_add_f16 v43, v62, v43
	v_pk_max_f16 v62, v23, v23
	s_nop 0
	v_pk_min_f16 v62, v63, v62
	s_nop 0
	v_pk_add_f16 v43, v43, v62
	s_nop 0
	v_add_f16_sdwa v43, v43, v43 dst_sel:DWORD dst_unused:UNUSED_PAD src0_sel:DWORD src1_sel:WORD_1
	v_add_f16_e32 v62, v43, v42
	v_lshl_add_u64 v[42:43], v[34:35], 1, v[20:21]
	global_store_short v[42:43], v62, off
	s_or_b64 exec, exec, s[26:27]
	s_and_b64 s[30:31], s[14:15], s[18:19]
	s_and_saveexec_b64 s[26:27], s[30:31]
	s_cbranch_execz .LBB305_83
.LBB305_108:
	s_and_b64 vcc, exec, s[0:1]
	s_cbranch_vccnz .LBB305_110
; %bb.109:
	v_lshl_add_u64 v[42:43], v[36:37], 1, v[40:41]
	flat_load_ushort v42, v[42:43]
	s_waitcnt vmcnt(0) lgkmcnt(0)
	v_mul_f16_e32 v42, s33, v42
	s_branch .LBB305_111
.LBB305_110:
	v_mov_b32_e32 v42, 0
.LBB305_111:
	v_pk_max_f16 v43, v22, v22
	v_pk_max_f16 v62, v0, v0
	s_nop 0
	v_pk_min_f16 v43, v62, v43
	v_pk_max_f16 v62, v1, v1
	v_pk_add_f16 v43, v61, v43
	v_pk_max_f16 v61, v23, v23
	s_nop 0
	v_pk_min_f16 v61, v62, v61
	s_nop 0
	v_pk_add_f16 v43, v43, v61
	s_nop 0
	v_add_f16_sdwa v43, v43, v43 dst_sel:DWORD dst_unused:UNUSED_PAD src0_sel:DWORD src1_sel:WORD_1
	v_add_f16_e32 v61, v43, v42
	v_lshl_add_u64 v[42:43], v[36:37], 1, v[20:21]
	global_store_short v[42:43], v61, off
	s_or_b64 exec, exec, s[26:27]
	s_and_b64 s[26:27], s[16:17], s[18:19]
	s_and_saveexec_b64 s[18:19], s[26:27]
	s_cbranch_execz .LBB305_116
.LBB305_112:
	s_and_b64 vcc, exec, s[0:1]
	s_cbranch_vccnz .LBB305_114
; %bb.113:
	v_lshl_add_u64 v[40:41], v[38:39], 1, v[40:41]
	flat_load_ushort v40, v[40:41]
	s_waitcnt vmcnt(0) lgkmcnt(0)
	v_mul_f16_e32 v40, s33, v40
	s_branch .LBB305_115
.LBB305_114:
	v_mov_b32_e32 v40, 0
.LBB305_115:
	v_pk_max_f16 v22, v22, v22
	v_pk_max_f16 v41, v2, v2
	;; [unrolled: 1-line block ×3, first 2 shown]
	v_pk_min_f16 v22, v41, v22
	v_pk_max_f16 v41, v3, v3
	v_pk_add_f16 v22, v60, v22
	v_pk_min_f16 v23, v41, v23
	v_lshl_add_u64 v[20:21], v[38:39], 1, v[20:21]
	v_pk_add_f16 v22, v22, v23
	s_nop 0
	v_add_f16_sdwa v22, v22, v22 dst_sel:DWORD dst_unused:UNUSED_PAD src0_sel:DWORD src1_sel:WORD_1
	v_add_f16_e32 v22, v22, v40
	global_store_short v[20:21], v22, off
.LBB305_116:
	s_or_b64 exec, exec, s[18:19]
	v_add_u32_e32 v40, 64, v69
	v_mad_i64_i32 v[20:21], s[26:27], v40, s29, 0
	v_cmp_gt_i32_e64 s[18:19], s21, v40
	v_lshl_add_u64 v[22:23], v[20:21], 1, s[24:25]
	v_mad_i64_i32 v[20:21], s[26:27], v40, s28, 0
	v_lshl_add_u64 v[20:21], v[20:21], 1, s[22:23]
	s_and_b64 s[30:31], s[2:3], s[18:19]
	s_and_saveexec_b64 s[26:27], s[30:31]
	s_cbranch_execnz .LBB305_124
; %bb.117:
	s_or_b64 exec, exec, s[26:27]
	s_and_b64 s[30:31], s[4:5], s[18:19]
	s_and_saveexec_b64 s[26:27], s[30:31]
	s_cbranch_execnz .LBB305_128
.LBB305_118:
	s_or_b64 exec, exec, s[26:27]
	s_and_b64 s[30:31], s[6:7], s[18:19]
	s_and_saveexec_b64 s[26:27], s[30:31]
	s_cbranch_execnz .LBB305_132
.LBB305_119:
	s_or_b64 exec, exec, s[26:27]
	s_and_b64 s[30:31], s[8:9], s[18:19]
	s_and_saveexec_b64 s[26:27], s[30:31]
	s_cbranch_execnz .LBB305_136
.LBB305_120:
	s_or_b64 exec, exec, s[26:27]
	s_and_b64 s[30:31], s[10:11], s[18:19]
	s_and_saveexec_b64 s[26:27], s[30:31]
	s_cbranch_execnz .LBB305_140
.LBB305_121:
	s_or_b64 exec, exec, s[26:27]
	s_and_b64 s[30:31], s[12:13], s[18:19]
	s_and_saveexec_b64 s[26:27], s[30:31]
	s_cbranch_execnz .LBB305_144
.LBB305_122:
	s_or_b64 exec, exec, s[26:27]
	s_and_b64 s[30:31], s[14:15], s[18:19]
	s_and_saveexec_b64 s[26:27], s[30:31]
	s_cbranch_execnz .LBB305_148
.LBB305_123:
	s_or_b64 exec, exec, s[26:27]
	s_and_b64 s[26:27], s[16:17], s[18:19]
	s_and_saveexec_b64 s[18:19], s[26:27]
	s_cbranch_execnz .LBB305_152
	s_branch .LBB305_156
.LBB305_124:
	s_and_b64 vcc, exec, s[0:1]
	s_cbranch_vccnz .LBB305_126
; %bb.125:
	v_lshl_add_u64 v[40:41], v[24:25], 1, v[22:23]
	flat_load_ushort v40, v[40:41]
	s_waitcnt vmcnt(0) lgkmcnt(0)
	v_mul_f16_e32 v40, s33, v40
	s_branch .LBB305_127
.LBB305_126:
	v_mov_b32_e32 v40, 0
.LBB305_127:
	v_pk_max_f16 v41, v4, v4
	v_pk_max_f16 v42, v16, v16
	;; [unrolled: 1-line block ×3, first 2 shown]
	v_pk_min_f16 v41, v42, v41
	v_pk_max_f16 v42, v5, v5
	v_pk_add_f16 v41, v59, v41
	v_pk_min_f16 v42, v43, v42
	s_nop 0
	v_pk_add_f16 v41, v41, v42
	s_nop 0
	v_add_f16_sdwa v41, v41, v41 dst_sel:DWORD dst_unused:UNUSED_PAD src0_sel:DWORD src1_sel:WORD_1
	v_add_f16_e32 v42, v41, v40
	v_lshl_add_u64 v[40:41], v[24:25], 1, v[20:21]
	global_store_short v[40:41], v42, off
	s_or_b64 exec, exec, s[26:27]
	s_and_b64 s[30:31], s[4:5], s[18:19]
	s_and_saveexec_b64 s[26:27], s[30:31]
	s_cbranch_execz .LBB305_118
.LBB305_128:
	s_and_b64 vcc, exec, s[0:1]
	s_cbranch_vccnz .LBB305_130
; %bb.129:
	v_lshl_add_u64 v[40:41], v[26:27], 1, v[22:23]
	flat_load_ushort v40, v[40:41]
	s_waitcnt vmcnt(0) lgkmcnt(0)
	v_mul_f16_e32 v40, s33, v40
	s_branch .LBB305_131
.LBB305_130:
	v_mov_b32_e32 v40, 0
.LBB305_131:
	v_pk_max_f16 v41, v4, v4
	v_pk_max_f16 v42, v18, v18
	;; [unrolled: 1-line block ×3, first 2 shown]
	v_pk_min_f16 v41, v42, v41
	v_pk_max_f16 v42, v5, v5
	v_pk_add_f16 v41, v58, v41
	v_pk_min_f16 v42, v43, v42
	s_nop 0
	v_pk_add_f16 v41, v41, v42
	s_nop 0
	v_add_f16_sdwa v41, v41, v41 dst_sel:DWORD dst_unused:UNUSED_PAD src0_sel:DWORD src1_sel:WORD_1
	v_add_f16_e32 v42, v41, v40
	v_lshl_add_u64 v[40:41], v[26:27], 1, v[20:21]
	global_store_short v[40:41], v42, off
	s_or_b64 exec, exec, s[26:27]
	s_and_b64 s[30:31], s[6:7], s[18:19]
	s_and_saveexec_b64 s[26:27], s[30:31]
	s_cbranch_execz .LBB305_119
.LBB305_132:
	s_and_b64 vcc, exec, s[0:1]
	s_cbranch_vccnz .LBB305_134
; %bb.133:
	v_lshl_add_u64 v[40:41], v[28:29], 1, v[22:23]
	flat_load_ushort v40, v[40:41]
	s_waitcnt vmcnt(0) lgkmcnt(0)
	v_mul_f16_e32 v40, s33, v40
	s_branch .LBB305_135
.LBB305_134:
	v_mov_b32_e32 v40, 0
.LBB305_135:
	v_pk_max_f16 v41, v4, v4
	v_pk_max_f16 v42, v12, v12
	;; [unrolled: 1-line block ×3, first 2 shown]
	v_pk_min_f16 v41, v42, v41
	v_pk_max_f16 v42, v5, v5
	v_pk_add_f16 v41, v57, v41
	v_pk_min_f16 v42, v43, v42
	s_nop 0
	v_pk_add_f16 v41, v41, v42
	s_nop 0
	v_add_f16_sdwa v41, v41, v41 dst_sel:DWORD dst_unused:UNUSED_PAD src0_sel:DWORD src1_sel:WORD_1
	v_add_f16_e32 v42, v41, v40
	v_lshl_add_u64 v[40:41], v[28:29], 1, v[20:21]
	global_store_short v[40:41], v42, off
	s_or_b64 exec, exec, s[26:27]
	s_and_b64 s[30:31], s[8:9], s[18:19]
	s_and_saveexec_b64 s[26:27], s[30:31]
	s_cbranch_execz .LBB305_120
.LBB305_136:
	s_and_b64 vcc, exec, s[0:1]
	s_cbranch_vccnz .LBB305_138
; %bb.137:
	v_lshl_add_u64 v[40:41], v[30:31], 1, v[22:23]
	flat_load_ushort v40, v[40:41]
	s_waitcnt vmcnt(0) lgkmcnt(0)
	v_mul_f16_e32 v40, s33, v40
	s_branch .LBB305_139
.LBB305_138:
	v_mov_b32_e32 v40, 0
.LBB305_139:
	v_pk_max_f16 v41, v4, v4
	v_pk_max_f16 v42, v14, v14
	;; [unrolled: 1-line block ×3, first 2 shown]
	v_pk_min_f16 v41, v42, v41
	v_pk_max_f16 v42, v5, v5
	v_pk_add_f16 v41, v56, v41
	v_pk_min_f16 v42, v43, v42
	s_nop 0
	v_pk_add_f16 v41, v41, v42
	s_nop 0
	v_add_f16_sdwa v41, v41, v41 dst_sel:DWORD dst_unused:UNUSED_PAD src0_sel:DWORD src1_sel:WORD_1
	v_add_f16_e32 v42, v41, v40
	v_lshl_add_u64 v[40:41], v[30:31], 1, v[20:21]
	global_store_short v[40:41], v42, off
	s_or_b64 exec, exec, s[26:27]
	s_and_b64 s[30:31], s[10:11], s[18:19]
	s_and_saveexec_b64 s[26:27], s[30:31]
	s_cbranch_execz .LBB305_121
.LBB305_140:
	s_and_b64 vcc, exec, s[0:1]
	s_cbranch_vccnz .LBB305_142
; %bb.141:
	v_lshl_add_u64 v[40:41], v[32:33], 1, v[22:23]
	flat_load_ushort v40, v[40:41]
	s_waitcnt vmcnt(0) lgkmcnt(0)
	v_mul_f16_e32 v40, s33, v40
	s_branch .LBB305_143
.LBB305_142:
	v_mov_b32_e32 v40, 0
.LBB305_143:
	v_pk_max_f16 v41, v4, v4
	v_pk_max_f16 v42, v8, v8
	;; [unrolled: 1-line block ×3, first 2 shown]
	v_pk_min_f16 v41, v42, v41
	v_pk_max_f16 v42, v5, v5
	v_pk_add_f16 v41, v55, v41
	v_pk_min_f16 v42, v43, v42
	s_nop 0
	v_pk_add_f16 v41, v41, v42
	s_nop 0
	v_add_f16_sdwa v41, v41, v41 dst_sel:DWORD dst_unused:UNUSED_PAD src0_sel:DWORD src1_sel:WORD_1
	v_add_f16_e32 v42, v41, v40
	v_lshl_add_u64 v[40:41], v[32:33], 1, v[20:21]
	global_store_short v[40:41], v42, off
	s_or_b64 exec, exec, s[26:27]
	s_and_b64 s[30:31], s[12:13], s[18:19]
	s_and_saveexec_b64 s[26:27], s[30:31]
	s_cbranch_execz .LBB305_122
.LBB305_144:
	s_and_b64 vcc, exec, s[0:1]
	s_cbranch_vccnz .LBB305_146
; %bb.145:
	v_lshl_add_u64 v[40:41], v[34:35], 1, v[22:23]
	flat_load_ushort v40, v[40:41]
	s_waitcnt vmcnt(0) lgkmcnt(0)
	v_mul_f16_e32 v40, s33, v40
	s_branch .LBB305_147
.LBB305_146:
	v_mov_b32_e32 v40, 0
.LBB305_147:
	v_pk_max_f16 v41, v4, v4
	v_pk_max_f16 v42, v10, v10
	;; [unrolled: 1-line block ×3, first 2 shown]
	v_pk_min_f16 v41, v42, v41
	v_pk_max_f16 v42, v5, v5
	v_pk_add_f16 v41, v54, v41
	v_pk_min_f16 v42, v43, v42
	s_nop 0
	v_pk_add_f16 v41, v41, v42
	s_nop 0
	v_add_f16_sdwa v41, v41, v41 dst_sel:DWORD dst_unused:UNUSED_PAD src0_sel:DWORD src1_sel:WORD_1
	v_add_f16_e32 v42, v41, v40
	v_lshl_add_u64 v[40:41], v[34:35], 1, v[20:21]
	global_store_short v[40:41], v42, off
	s_or_b64 exec, exec, s[26:27]
	s_and_b64 s[30:31], s[14:15], s[18:19]
	s_and_saveexec_b64 s[26:27], s[30:31]
	s_cbranch_execz .LBB305_123
.LBB305_148:
	s_and_b64 vcc, exec, s[0:1]
	s_cbranch_vccnz .LBB305_150
; %bb.149:
	v_lshl_add_u64 v[40:41], v[36:37], 1, v[22:23]
	flat_load_ushort v40, v[40:41]
	s_waitcnt vmcnt(0) lgkmcnt(0)
	v_mul_f16_e32 v40, s33, v40
	s_branch .LBB305_151
.LBB305_150:
	v_mov_b32_e32 v40, 0
.LBB305_151:
	v_pk_max_f16 v41, v4, v4
	v_pk_max_f16 v42, v0, v0
	;; [unrolled: 1-line block ×3, first 2 shown]
	v_pk_min_f16 v41, v42, v41
	v_pk_max_f16 v42, v5, v5
	v_pk_add_f16 v41, v53, v41
	v_pk_min_f16 v42, v43, v42
	s_nop 0
	v_pk_add_f16 v41, v41, v42
	s_nop 0
	v_add_f16_sdwa v41, v41, v41 dst_sel:DWORD dst_unused:UNUSED_PAD src0_sel:DWORD src1_sel:WORD_1
	v_add_f16_e32 v42, v41, v40
	v_lshl_add_u64 v[40:41], v[36:37], 1, v[20:21]
	global_store_short v[40:41], v42, off
	s_or_b64 exec, exec, s[26:27]
	s_and_b64 s[26:27], s[16:17], s[18:19]
	s_and_saveexec_b64 s[18:19], s[26:27]
	s_cbranch_execz .LBB305_156
.LBB305_152:
	s_and_b64 vcc, exec, s[0:1]
	s_cbranch_vccnz .LBB305_154
; %bb.153:
	v_lshl_add_u64 v[22:23], v[38:39], 1, v[22:23]
	flat_load_ushort v22, v[22:23]
	s_waitcnt vmcnt(0) lgkmcnt(0)
	v_mul_f16_e32 v22, s33, v22
	s_branch .LBB305_155
.LBB305_154:
	v_mov_b32_e32 v22, 0
.LBB305_155:
	v_pk_max_f16 v4, v4, v4
	v_pk_max_f16 v23, v2, v2
	;; [unrolled: 1-line block ×3, first 2 shown]
	v_pk_min_f16 v4, v23, v4
	v_pk_max_f16 v23, v3, v3
	v_pk_add_f16 v4, v52, v4
	v_pk_min_f16 v5, v23, v5
	s_nop 0
	v_pk_add_f16 v4, v4, v5
	s_nop 0
	v_add_f16_sdwa v4, v4, v4 dst_sel:DWORD dst_unused:UNUSED_PAD src0_sel:DWORD src1_sel:WORD_1
	v_add_f16_e32 v22, v4, v22
	v_lshl_add_u64 v[4:5], v[38:39], 1, v[20:21]
	global_store_short v[4:5], v22, off
.LBB305_156:
	s_or_b64 exec, exec, s[18:19]
	v_add_u32_e32 v22, 0x60, v69
	v_cmp_gt_i32_e64 s[18:19], s21, v22
	v_mad_i64_i32 v[4:5], s[20:21], v22, s29, 0
	v_lshl_add_u64 v[20:21], v[4:5], 1, s[24:25]
	v_mad_i64_i32 v[4:5], s[20:21], v22, s28, 0
	v_lshl_add_u64 v[4:5], v[4:5], 1, s[22:23]
	s_and_b64 s[20:21], s[2:3], s[18:19]
	s_and_saveexec_b64 s[2:3], s[20:21]
	s_cbranch_execnz .LBB305_165
; %bb.157:
	s_or_b64 exec, exec, s[2:3]
	s_and_b64 s[4:5], s[4:5], s[18:19]
	s_and_saveexec_b64 s[2:3], s[4:5]
	s_cbranch_execnz .LBB305_169
.LBB305_158:
	s_or_b64 exec, exec, s[2:3]
	s_and_b64 s[4:5], s[6:7], s[18:19]
	s_and_saveexec_b64 s[2:3], s[4:5]
	s_cbranch_execnz .LBB305_173
.LBB305_159:
	s_or_b64 exec, exec, s[2:3]
	s_and_b64 s[4:5], s[8:9], s[18:19]
	s_and_saveexec_b64 s[2:3], s[4:5]
	s_cbranch_execnz .LBB305_177
.LBB305_160:
	s_or_b64 exec, exec, s[2:3]
	s_and_b64 s[4:5], s[10:11], s[18:19]
	s_and_saveexec_b64 s[2:3], s[4:5]
	s_cbranch_execnz .LBB305_181
.LBB305_161:
	s_or_b64 exec, exec, s[2:3]
	s_and_b64 s[4:5], s[12:13], s[18:19]
	s_and_saveexec_b64 s[2:3], s[4:5]
	s_cbranch_execnz .LBB305_185
.LBB305_162:
	s_or_b64 exec, exec, s[2:3]
	s_and_b64 s[4:5], s[14:15], s[18:19]
	s_and_saveexec_b64 s[2:3], s[4:5]
	s_cbranch_execnz .LBB305_189
.LBB305_163:
	s_or_b64 exec, exec, s[2:3]
	s_and_b64 s[2:3], s[16:17], s[18:19]
	s_and_saveexec_b64 s[4:5], s[2:3]
	s_cbranch_execnz .LBB305_193
.LBB305_164:
	s_endpgm
.LBB305_165:
	s_and_b64 vcc, exec, s[0:1]
	s_cbranch_vccnz .LBB305_167
; %bb.166:
	v_lshl_add_u64 v[22:23], v[24:25], 1, v[20:21]
	flat_load_ushort v22, v[22:23]
	s_waitcnt vmcnt(0) lgkmcnt(0)
	v_mul_f16_e32 v22, s33, v22
	s_branch .LBB305_168
.LBB305_167:
	v_mov_b32_e32 v22, 0
.LBB305_168:
	v_pk_max_f16 v23, v6, v6
	v_pk_max_f16 v16, v16, v16
	;; [unrolled: 1-line block ×3, first 2 shown]
	v_pk_min_f16 v16, v16, v23
	v_pk_max_f16 v23, v7, v7
	v_pk_add_f16 v16, v51, v16
	v_pk_min_f16 v17, v17, v23
	s_nop 0
	v_pk_add_f16 v16, v16, v17
	s_nop 0
	v_add_f16_sdwa v16, v16, v16 dst_sel:DWORD dst_unused:UNUSED_PAD src0_sel:DWORD src1_sel:WORD_1
	v_add_f16_e32 v22, v16, v22
	v_lshl_add_u64 v[16:17], v[24:25], 1, v[4:5]
	global_store_short v[16:17], v22, off
	s_or_b64 exec, exec, s[2:3]
	s_and_b64 s[4:5], s[4:5], s[18:19]
	s_and_saveexec_b64 s[2:3], s[4:5]
	s_cbranch_execz .LBB305_158
.LBB305_169:
	s_and_b64 vcc, exec, s[0:1]
	s_cbranch_vccnz .LBB305_171
; %bb.170:
	v_lshl_add_u64 v[16:17], v[26:27], 1, v[20:21]
	flat_load_ushort v16, v[16:17]
	s_waitcnt vmcnt(0) lgkmcnt(0)
	v_mul_f16_e32 v16, s33, v16
	s_branch .LBB305_172
.LBB305_171:
	v_mov_b32_e32 v16, 0
.LBB305_172:
	v_pk_max_f16 v17, v6, v6
	v_pk_max_f16 v18, v18, v18
	;; [unrolled: 1-line block ×3, first 2 shown]
	v_pk_min_f16 v17, v18, v17
	v_pk_max_f16 v18, v7, v7
	v_pk_add_f16 v17, v50, v17
	v_pk_min_f16 v18, v19, v18
	s_nop 0
	v_pk_add_f16 v17, v17, v18
	s_nop 0
	v_add_f16_sdwa v17, v17, v17 dst_sel:DWORD dst_unused:UNUSED_PAD src0_sel:DWORD src1_sel:WORD_1
	v_add_f16_e32 v18, v17, v16
	v_lshl_add_u64 v[16:17], v[26:27], 1, v[4:5]
	global_store_short v[16:17], v18, off
	s_or_b64 exec, exec, s[2:3]
	s_and_b64 s[4:5], s[6:7], s[18:19]
	s_and_saveexec_b64 s[2:3], s[4:5]
	s_cbranch_execz .LBB305_159
.LBB305_173:
	s_and_b64 vcc, exec, s[0:1]
	s_cbranch_vccnz .LBB305_175
; %bb.174:
	v_lshl_add_u64 v[16:17], v[28:29], 1, v[20:21]
	flat_load_ushort v16, v[16:17]
	s_waitcnt vmcnt(0) lgkmcnt(0)
	v_mul_f16_e32 v16, s33, v16
	s_branch .LBB305_176
.LBB305_175:
	v_mov_b32_e32 v16, 0
.LBB305_176:
	v_pk_max_f16 v17, v6, v6
	v_pk_max_f16 v12, v12, v12
	;; [unrolled: 1-line block ×3, first 2 shown]
	v_pk_min_f16 v12, v12, v17
	v_pk_max_f16 v17, v7, v7
	v_pk_add_f16 v12, v49, v12
	v_pk_min_f16 v13, v13, v17
	s_nop 0
	v_pk_add_f16 v12, v12, v13
	s_nop 0
	v_add_f16_sdwa v12, v12, v12 dst_sel:DWORD dst_unused:UNUSED_PAD src0_sel:DWORD src1_sel:WORD_1
	v_add_f16_e32 v16, v12, v16
	v_lshl_add_u64 v[12:13], v[28:29], 1, v[4:5]
	global_store_short v[12:13], v16, off
	s_or_b64 exec, exec, s[2:3]
	s_and_b64 s[4:5], s[8:9], s[18:19]
	s_and_saveexec_b64 s[2:3], s[4:5]
	s_cbranch_execz .LBB305_160
.LBB305_177:
	s_and_b64 vcc, exec, s[0:1]
	s_cbranch_vccnz .LBB305_179
; %bb.178:
	v_lshl_add_u64 v[12:13], v[30:31], 1, v[20:21]
	flat_load_ushort v12, v[12:13]
	s_waitcnt vmcnt(0) lgkmcnt(0)
	v_mul_f16_e32 v12, s33, v12
	s_branch .LBB305_180
.LBB305_179:
	v_mov_b32_e32 v12, 0
.LBB305_180:
	v_pk_max_f16 v13, v6, v6
	v_pk_max_f16 v14, v14, v14
	;; [unrolled: 1-line block ×3, first 2 shown]
	v_pk_min_f16 v13, v14, v13
	v_pk_max_f16 v14, v7, v7
	v_pk_add_f16 v13, v48, v13
	v_pk_min_f16 v14, v15, v14
	s_nop 0
	v_pk_add_f16 v13, v13, v14
	s_nop 0
	v_add_f16_sdwa v13, v13, v13 dst_sel:DWORD dst_unused:UNUSED_PAD src0_sel:DWORD src1_sel:WORD_1
	v_add_f16_e32 v14, v13, v12
	v_lshl_add_u64 v[12:13], v[30:31], 1, v[4:5]
	global_store_short v[12:13], v14, off
	s_or_b64 exec, exec, s[2:3]
	s_and_b64 s[4:5], s[10:11], s[18:19]
	s_and_saveexec_b64 s[2:3], s[4:5]
	s_cbranch_execz .LBB305_161
.LBB305_181:
	s_and_b64 vcc, exec, s[0:1]
	s_cbranch_vccnz .LBB305_183
; %bb.182:
	v_lshl_add_u64 v[12:13], v[32:33], 1, v[20:21]
	flat_load_ushort v12, v[12:13]
	s_waitcnt vmcnt(0) lgkmcnt(0)
	v_mul_f16_e32 v12, s33, v12
	s_branch .LBB305_184
.LBB305_183:
	v_mov_b32_e32 v12, 0
.LBB305_184:
	v_pk_max_f16 v13, v6, v6
	v_pk_max_f16 v8, v8, v8
	;; [unrolled: 1-line block ×3, first 2 shown]
	v_pk_min_f16 v8, v8, v13
	v_pk_max_f16 v13, v7, v7
	v_pk_add_f16 v8, v47, v8
	v_pk_min_f16 v9, v9, v13
	s_nop 0
	v_pk_add_f16 v8, v8, v9
	s_nop 0
	v_add_f16_sdwa v8, v8, v8 dst_sel:DWORD dst_unused:UNUSED_PAD src0_sel:DWORD src1_sel:WORD_1
	v_add_f16_e32 v12, v8, v12
	v_lshl_add_u64 v[8:9], v[32:33], 1, v[4:5]
	global_store_short v[8:9], v12, off
	s_or_b64 exec, exec, s[2:3]
	s_and_b64 s[4:5], s[12:13], s[18:19]
	s_and_saveexec_b64 s[2:3], s[4:5]
	s_cbranch_execz .LBB305_162
.LBB305_185:
	s_and_b64 vcc, exec, s[0:1]
	s_cbranch_vccnz .LBB305_187
; %bb.186:
	v_lshl_add_u64 v[8:9], v[34:35], 1, v[20:21]
	flat_load_ushort v8, v[8:9]
	s_waitcnt vmcnt(0) lgkmcnt(0)
	v_mul_f16_e32 v8, s33, v8
	s_branch .LBB305_188
.LBB305_187:
	v_mov_b32_e32 v8, 0
.LBB305_188:
	v_pk_max_f16 v9, v6, v6
	v_pk_max_f16 v10, v10, v10
	;; [unrolled: 1-line block ×3, first 2 shown]
	v_pk_min_f16 v9, v10, v9
	v_pk_max_f16 v10, v7, v7
	v_pk_add_f16 v9, v46, v9
	v_pk_min_f16 v10, v11, v10
	s_nop 0
	v_pk_add_f16 v9, v9, v10
	s_nop 0
	v_add_f16_sdwa v9, v9, v9 dst_sel:DWORD dst_unused:UNUSED_PAD src0_sel:DWORD src1_sel:WORD_1
	v_add_f16_e32 v10, v9, v8
	v_lshl_add_u64 v[8:9], v[34:35], 1, v[4:5]
	global_store_short v[8:9], v10, off
	s_or_b64 exec, exec, s[2:3]
	s_and_b64 s[4:5], s[14:15], s[18:19]
	s_and_saveexec_b64 s[2:3], s[4:5]
	s_cbranch_execz .LBB305_163
.LBB305_189:
	s_and_b64 vcc, exec, s[0:1]
	s_cbranch_vccnz .LBB305_191
; %bb.190:
	v_lshl_add_u64 v[8:9], v[36:37], 1, v[20:21]
	flat_load_ushort v8, v[8:9]
	s_waitcnt vmcnt(0) lgkmcnt(0)
	v_mul_f16_e32 v8, s33, v8
	s_branch .LBB305_192
.LBB305_191:
	v_mov_b32_e32 v8, 0
.LBB305_192:
	v_pk_max_f16 v9, v6, v6
	v_pk_max_f16 v0, v0, v0
	;; [unrolled: 1-line block ×3, first 2 shown]
	v_pk_min_f16 v0, v0, v9
	v_pk_max_f16 v9, v7, v7
	v_pk_add_f16 v0, v45, v0
	v_pk_min_f16 v1, v1, v9
	s_nop 0
	v_pk_add_f16 v0, v0, v1
	s_nop 0
	v_add_f16_sdwa v0, v0, v0 dst_sel:DWORD dst_unused:UNUSED_PAD src0_sel:DWORD src1_sel:WORD_1
	v_add_f16_e32 v8, v0, v8
	v_lshl_add_u64 v[0:1], v[36:37], 1, v[4:5]
	global_store_short v[0:1], v8, off
	s_or_b64 exec, exec, s[2:3]
	s_and_b64 s[2:3], s[16:17], s[18:19]
	s_and_saveexec_b64 s[4:5], s[2:3]
	s_cbranch_execz .LBB305_164
.LBB305_193:
	s_and_b64 vcc, exec, s[0:1]
	s_cbranch_vccnz .LBB305_195
; %bb.194:
	v_lshl_add_u64 v[0:1], v[38:39], 1, v[20:21]
	flat_load_ushort v0, v[0:1]
	s_waitcnt vmcnt(0) lgkmcnt(0)
	v_mul_f16_e32 v0, s33, v0
	s_branch .LBB305_196
.LBB305_195:
	v_mov_b32_e32 v0, 0
.LBB305_196:
	v_pk_max_f16 v1, v6, v6
	v_pk_max_f16 v2, v2, v2
	;; [unrolled: 1-line block ×3, first 2 shown]
	v_pk_min_f16 v1, v2, v1
	v_pk_max_f16 v2, v7, v7
	v_pk_add_f16 v1, v44, v1
	v_pk_min_f16 v2, v3, v2
	s_nop 0
	v_pk_add_f16 v1, v1, v2
	s_nop 0
	v_add_f16_sdwa v1, v1, v1 dst_sel:DWORD dst_unused:UNUSED_PAD src0_sel:DWORD src1_sel:WORD_1
	v_add_f16_e32 v2, v1, v0
	v_lshl_add_u64 v[0:1], v[38:39], 1, v[4:5]
	global_store_short v[0:1], v2, off
	s_endpgm
	.section	.rodata,"a",@progbits
	.p2align	6, 0x0
	.amdhsa_kernel _ZN12_GLOBAL__N_120geam_min_plus_kernelIDF16_Dv2_DF16_S1_Li8ELi32ELi64ELi128ELi4ELi4ELi64ELi64ELi4ELc84ELc84ELb0ELb1ELb0EDF16_KDF16_DF16_EEviiiT16_PT17_ilS5_ilS3_S5_ilPT18_ili26rocblas_geam_ex_operation_
		.amdhsa_group_segment_fixed_size 3072
		.amdhsa_private_segment_fixed_size 0
		.amdhsa_kernarg_size 128
		.amdhsa_user_sgpr_count 2
		.amdhsa_user_sgpr_dispatch_ptr 0
		.amdhsa_user_sgpr_queue_ptr 0
		.amdhsa_user_sgpr_kernarg_segment_ptr 1
		.amdhsa_user_sgpr_dispatch_id 0
		.amdhsa_user_sgpr_kernarg_preload_length 0
		.amdhsa_user_sgpr_kernarg_preload_offset 0
		.amdhsa_user_sgpr_private_segment_size 0
		.amdhsa_uses_dynamic_stack 0
		.amdhsa_enable_private_segment 0
		.amdhsa_system_sgpr_workgroup_id_x 1
		.amdhsa_system_sgpr_workgroup_id_y 0
		.amdhsa_system_sgpr_workgroup_id_z 1
		.amdhsa_system_sgpr_workgroup_info 0
		.amdhsa_system_vgpr_workitem_id 1
		.amdhsa_next_free_vgpr 119
		.amdhsa_next_free_sgpr 40
		.amdhsa_accum_offset 120
		.amdhsa_reserve_vcc 1
		.amdhsa_float_round_mode_32 0
		.amdhsa_float_round_mode_16_64 0
		.amdhsa_float_denorm_mode_32 3
		.amdhsa_float_denorm_mode_16_64 3
		.amdhsa_dx10_clamp 1
		.amdhsa_ieee_mode 1
		.amdhsa_fp16_overflow 0
		.amdhsa_tg_split 0
		.amdhsa_exception_fp_ieee_invalid_op 0
		.amdhsa_exception_fp_denorm_src 0
		.amdhsa_exception_fp_ieee_div_zero 0
		.amdhsa_exception_fp_ieee_overflow 0
		.amdhsa_exception_fp_ieee_underflow 0
		.amdhsa_exception_fp_ieee_inexact 0
		.amdhsa_exception_int_div_zero 0
	.end_amdhsa_kernel
	.section	.text._ZN12_GLOBAL__N_120geam_min_plus_kernelIDF16_Dv2_DF16_S1_Li8ELi32ELi64ELi128ELi4ELi4ELi64ELi64ELi4ELc84ELc84ELb0ELb1ELb0EDF16_KDF16_DF16_EEviiiT16_PT17_ilS5_ilS3_S5_ilPT18_ili26rocblas_geam_ex_operation_,"axG",@progbits,_ZN12_GLOBAL__N_120geam_min_plus_kernelIDF16_Dv2_DF16_S1_Li8ELi32ELi64ELi128ELi4ELi4ELi64ELi64ELi4ELc84ELc84ELb0ELb1ELb0EDF16_KDF16_DF16_EEviiiT16_PT17_ilS5_ilS3_S5_ilPT18_ili26rocblas_geam_ex_operation_,comdat
.Lfunc_end305:
	.size	_ZN12_GLOBAL__N_120geam_min_plus_kernelIDF16_Dv2_DF16_S1_Li8ELi32ELi64ELi128ELi4ELi4ELi64ELi64ELi4ELc84ELc84ELb0ELb1ELb0EDF16_KDF16_DF16_EEviiiT16_PT17_ilS5_ilS3_S5_ilPT18_ili26rocblas_geam_ex_operation_, .Lfunc_end305-_ZN12_GLOBAL__N_120geam_min_plus_kernelIDF16_Dv2_DF16_S1_Li8ELi32ELi64ELi128ELi4ELi4ELi64ELi64ELi4ELc84ELc84ELb0ELb1ELb0EDF16_KDF16_DF16_EEviiiT16_PT17_ilS5_ilS3_S5_ilPT18_ili26rocblas_geam_ex_operation_
                                        ; -- End function
	.section	.AMDGPU.csdata,"",@progbits
; Kernel info:
; codeLenInByte = 11312
; NumSgprs: 46
; NumVgprs: 119
; NumAgprs: 0
; TotalNumVgprs: 119
; ScratchSize: 0
; MemoryBound: 0
; FloatMode: 240
; IeeeMode: 1
; LDSByteSize: 3072 bytes/workgroup (compile time only)
; SGPRBlocks: 5
; VGPRBlocks: 14
; NumSGPRsForWavesPerEU: 46
; NumVGPRsForWavesPerEU: 119
; AccumOffset: 120
; Occupancy: 4
; WaveLimiterHint : 0
; COMPUTE_PGM_RSRC2:SCRATCH_EN: 0
; COMPUTE_PGM_RSRC2:USER_SGPR: 2
; COMPUTE_PGM_RSRC2:TRAP_HANDLER: 0
; COMPUTE_PGM_RSRC2:TGID_X_EN: 1
; COMPUTE_PGM_RSRC2:TGID_Y_EN: 0
; COMPUTE_PGM_RSRC2:TGID_Z_EN: 1
; COMPUTE_PGM_RSRC2:TIDIG_COMP_CNT: 1
; COMPUTE_PGM_RSRC3_GFX90A:ACCUM_OFFSET: 29
; COMPUTE_PGM_RSRC3_GFX90A:TG_SPLIT: 0
	.text
	.p2alignl 6, 3212836864
	.fill 256, 4, 3212836864
	.type	__hip_cuid_df633f8f6df9d2a9,@object ; @__hip_cuid_df633f8f6df9d2a9
	.section	.bss,"aw",@nobits
	.globl	__hip_cuid_df633f8f6df9d2a9
__hip_cuid_df633f8f6df9d2a9:
	.byte	0                               ; 0x0
	.size	__hip_cuid_df633f8f6df9d2a9, 1

	.ident	"AMD clang version 19.0.0git (https://github.com/RadeonOpenCompute/llvm-project roc-6.4.0 25133 c7fe45cf4b819c5991fe208aaa96edf142730f1d)"
	.section	".note.GNU-stack","",@progbits
	.addrsig
	.addrsig_sym __hip_cuid_df633f8f6df9d2a9
	.amdgpu_metadata
---
amdhsa.kernels:
  - .agpr_count:     0
    .args:
      - .offset:         0
        .size:           4
        .value_kind:     by_value
      - .offset:         4
        .size:           4
        .value_kind:     by_value
      - .offset:         8
        .size:           4
        .value_kind:     by_value
      - .address_space:  global
        .offset:         16
        .size:           8
        .value_kind:     global_buffer
      - .offset:         24
        .size:           8
        .value_kind:     by_value
      - .offset:         32
        .size:           4
        .value_kind:     by_value
      - .offset:         40
        .size:           8
        .value_kind:     by_value
      - .address_space:  global
        .offset:         48
        .size:           8
        .value_kind:     global_buffer
      - .offset:         56
        .size:           8
        .value_kind:     by_value
      - .offset:         64
        .size:           4
        .value_kind:     by_value
      - .offset:         72
        .size:           8
        .value_kind:     by_value
    .group_segment_fixed_size: 0
    .kernarg_segment_align: 8
    .kernarg_segment_size: 80
    .language:       OpenCL C
    .language_version:
      - 2
      - 0
    .max_flat_workgroup_size: 1024
    .name:           _ZN12_GLOBAL__N_120geam_ex_scale_kernelILi32ELi32EffPKPKfPKPfEEviiT2_T3_lilT4_lil
    .private_segment_fixed_size: 0
    .sgpr_count:     24
    .sgpr_spill_count: 0
    .symbol:         _ZN12_GLOBAL__N_120geam_ex_scale_kernelILi32ELi32EffPKPKfPKPfEEviiT2_T3_lilT4_lil.kd
    .uniform_work_group_size: 1
    .uses_dynamic_stack: false
    .vgpr_count:     8
    .vgpr_spill_count: 0
    .wavefront_size: 64
  - .agpr_count:     0
    .args:
      - .offset:         0
        .size:           4
        .value_kind:     by_value
      - .offset:         4
        .size:           4
        .value_kind:     by_value
      - .address_space:  global
        .offset:         8
        .size:           8
        .value_kind:     global_buffer
      - .address_space:  global
        .offset:         16
        .size:           8
        .value_kind:     global_buffer
      - .offset:         24
        .size:           8
        .value_kind:     by_value
      - .offset:         32
        .size:           4
        .value_kind:     by_value
      - .offset:         40
        .size:           8
        .value_kind:     by_value
      - .address_space:  global
        .offset:         48
        .size:           8
        .value_kind:     global_buffer
      - .offset:         56
        .size:           8
        .value_kind:     by_value
      - .offset:         64
        .size:           4
        .value_kind:     by_value
      - .offset:         72
        .size:           8
        .value_kind:     by_value
    .group_segment_fixed_size: 0
    .kernarg_segment_align: 8
    .kernarg_segment_size: 80
    .language:       OpenCL C
    .language_version:
      - 2
      - 0
    .max_flat_workgroup_size: 1024
    .name:           _ZN12_GLOBAL__N_120geam_ex_scale_kernelILi32ELi32EfPKfPKS2_PKPfEEviiT2_T3_lilT4_lil
    .private_segment_fixed_size: 0
    .sgpr_count:     23
    .sgpr_spill_count: 0
    .symbol:         _ZN12_GLOBAL__N_120geam_ex_scale_kernelILi32ELi32EfPKfPKS2_PKPfEEviiT2_T3_lilT4_lil.kd
    .uniform_work_group_size: 1
    .uses_dynamic_stack: false
    .vgpr_count:     8
    .vgpr_spill_count: 0
    .wavefront_size: 64
  - .agpr_count:     0
    .args:
      - .offset:         0
        .size:           4
        .value_kind:     by_value
      - .offset:         4
        .size:           4
        .value_kind:     by_value
      - .offset:         8
        .size:           4
        .value_kind:     by_value
      - .address_space:  global
        .offset:         16
        .size:           8
        .value_kind:     global_buffer
      - .offset:         24
        .size:           8
        .value_kind:     by_value
      - .offset:         32
        .size:           4
        .value_kind:     by_value
      - .offset:         40
        .size:           8
        .value_kind:     by_value
      - .address_space:  global
        .offset:         48
        .size:           8
        .value_kind:     global_buffer
      - .offset:         56
        .size:           8
        .value_kind:     by_value
      - .offset:         64
        .size:           4
        .value_kind:     by_value
      - .offset:         72
        .size:           8
        .value_kind:     by_value
    .group_segment_fixed_size: 0
    .kernarg_segment_align: 8
    .kernarg_segment_size: 80
    .language:       OpenCL C
    .language_version:
      - 2
      - 0
    .max_flat_workgroup_size: 1024
    .name:           _ZN12_GLOBAL__N_120geam_ex_round_kernelILi32ELi32EffPKPKfPKPfEEviiT2_T3_lilT4_lil
    .private_segment_fixed_size: 0
    .sgpr_count:     24
    .sgpr_spill_count: 0
    .symbol:         _ZN12_GLOBAL__N_120geam_ex_round_kernelILi32ELi32EffPKPKfPKPfEEviiT2_T3_lilT4_lil.kd
    .uniform_work_group_size: 1
    .uses_dynamic_stack: false
    .vgpr_count:     10
    .vgpr_spill_count: 0
    .wavefront_size: 64
  - .agpr_count:     0
    .args:
      - .offset:         0
        .size:           4
        .value_kind:     by_value
      - .offset:         4
        .size:           4
        .value_kind:     by_value
      - .offset:         8
        .size:           4
        .value_kind:     by_value
      - .address_space:  global
        .offset:         16
        .size:           8
        .value_kind:     global_buffer
      - .address_space:  global
        .offset:         24
        .size:           8
        .value_kind:     global_buffer
      - .offset:         32
        .size:           4
        .value_kind:     by_value
      - .offset:         40
        .size:           8
        .value_kind:     by_value
      - .address_space:  global
        .offset:         48
        .size:           8
        .value_kind:     global_buffer
      - .offset:         56
        .size:           4
        .value_kind:     by_value
      - .offset:         64
        .size:           8
        .value_kind:     by_value
      - .address_space:  global
        .offset:         72
        .size:           8
        .value_kind:     global_buffer
      - .address_space:  global
        .offset:         80
        .size:           8
        .value_kind:     global_buffer
      - .offset:         88
        .size:           4
        .value_kind:     by_value
      - .offset:         96
        .size:           8
        .value_kind:     by_value
      - .address_space:  global
        .offset:         104
        .size:           8
        .value_kind:     global_buffer
      - .offset:         112
        .size:           4
        .value_kind:     by_value
      - .offset:         120
        .size:           8
        .value_kind:     by_value
      - .offset:         128
        .size:           4
        .value_kind:     by_value
      - .offset:         132
        .size:           4
        .value_kind:     by_value
    .group_segment_fixed_size: 10240
    .kernarg_segment_align: 8
    .kernarg_segment_size: 136
    .language:       OpenCL C
    .language_version:
      - 2
      - 0
    .max_flat_workgroup_size: 256
    .name:           _ZN12_GLOBAL__N_120geam_min_plus_kernelIf15HIP_vector_typeIfLj2EEfLi32ELi8ELi256ELi64ELi4ELi64ELi4ELi4ELi64ELc78ELc78ELb0ELb0ELb1EPKfKS4_KPfEEviiiT16_PT17_ilSA_ilS8_SA_ilPT18_ili26rocblas_geam_ex_operation_
    .private_segment_fixed_size: 0
    .sgpr_count:     33
    .sgpr_spill_count: 0
    .symbol:         _ZN12_GLOBAL__N_120geam_min_plus_kernelIf15HIP_vector_typeIfLj2EEfLi32ELi8ELi256ELi64ELi4ELi64ELi4ELi4ELi64ELc78ELc78ELb0ELb0ELb1EPKfKS4_KPfEEviiiT16_PT17_ilSA_ilS8_SA_ilPT18_ili26rocblas_geam_ex_operation_.kd
    .uniform_work_group_size: 1
    .uses_dynamic_stack: false
    .vgpr_count:     172
    .vgpr_spill_count: 0
    .wavefront_size: 64
  - .agpr_count:     0
    .args:
      - .offset:         0
        .size:           4
        .value_kind:     by_value
      - .offset:         4
        .size:           4
        .value_kind:     by_value
      - .offset:         8
        .size:           4
        .value_kind:     by_value
      - .offset:         12
        .size:           4
        .value_kind:     by_value
      - .address_space:  global
        .offset:         16
        .size:           8
        .value_kind:     global_buffer
      - .offset:         24
        .size:           4
        .value_kind:     by_value
      - .offset:         32
        .size:           8
        .value_kind:     by_value
      - .address_space:  global
        .offset:         40
        .size:           8
        .value_kind:     global_buffer
      - .offset:         48
        .size:           4
        .value_kind:     by_value
      - .offset:         56
        .size:           8
        .value_kind:     by_value
      - .offset:         64
        .size:           4
        .value_kind:     by_value
      - .address_space:  global
        .offset:         72
        .size:           8
        .value_kind:     global_buffer
      - .offset:         80
        .size:           4
        .value_kind:     by_value
      - .offset:         88
        .size:           8
        .value_kind:     by_value
      - .address_space:  global
        .offset:         96
        .size:           8
        .value_kind:     global_buffer
      - .offset:         104
        .size:           4
        .value_kind:     by_value
      - .offset:         112
        .size:           8
        .value_kind:     by_value
      - .offset:         120
        .size:           4
        .value_kind:     by_value
      - .offset:         124
        .size:           4
        .value_kind:     by_value
    .group_segment_fixed_size: 10240
    .kernarg_segment_align: 8
    .kernarg_segment_size: 128
    .language:       OpenCL C
    .language_version:
      - 2
      - 0
    .max_flat_workgroup_size: 256
    .name:           _ZN12_GLOBAL__N_120geam_min_plus_kernelIf15HIP_vector_typeIfLj2EEfLi32ELi8ELi256ELi64ELi4ELi64ELi4ELi4ELi64ELc78ELc78ELb1ELb0ELb1EfKPKfKPfEEviiiT16_PT17_ilSA_ilS8_SA_ilPT18_ili26rocblas_geam_ex_operation_
    .private_segment_fixed_size: 0
    .sgpr_count:     28
    .sgpr_spill_count: 0
    .symbol:         _ZN12_GLOBAL__N_120geam_min_plus_kernelIf15HIP_vector_typeIfLj2EEfLi32ELi8ELi256ELi64ELi4ELi64ELi4ELi4ELi64ELc78ELc78ELb1ELb0ELb1EfKPKfKPfEEviiiT16_PT17_ilSA_ilS8_SA_ilPT18_ili26rocblas_geam_ex_operation_.kd
    .uniform_work_group_size: 1
    .uses_dynamic_stack: false
    .vgpr_count:     175
    .vgpr_spill_count: 0
    .wavefront_size: 64
  - .agpr_count:     0
    .args:
      - .offset:         0
        .size:           4
        .value_kind:     by_value
      - .offset:         4
        .size:           4
        .value_kind:     by_value
      - .offset:         8
        .size:           4
        .value_kind:     by_value
      - .offset:         12
        .size:           4
        .value_kind:     by_value
      - .address_space:  global
        .offset:         16
        .size:           8
        .value_kind:     global_buffer
      - .offset:         24
        .size:           4
        .value_kind:     by_value
      - .offset:         32
        .size:           8
        .value_kind:     by_value
      - .address_space:  global
        .offset:         40
        .size:           8
        .value_kind:     global_buffer
      - .offset:         48
        .size:           4
        .value_kind:     by_value
      - .offset:         56
        .size:           8
        .value_kind:     by_value
      - .offset:         64
        .size:           4
        .value_kind:     by_value
      - .address_space:  global
        .offset:         72
        .size:           8
        .value_kind:     global_buffer
      - .offset:         80
        .size:           4
        .value_kind:     by_value
      - .offset:         88
        .size:           8
        .value_kind:     by_value
      - .address_space:  global
        .offset:         96
        .size:           8
        .value_kind:     global_buffer
      - .offset:         104
        .size:           4
        .value_kind:     by_value
      - .offset:         112
        .size:           8
        .value_kind:     by_value
      - .offset:         120
        .size:           4
        .value_kind:     by_value
      - .offset:         124
        .size:           4
        .value_kind:     by_value
    .group_segment_fixed_size: 10240
    .kernarg_segment_align: 8
    .kernarg_segment_size: 128
    .language:       OpenCL C
    .language_version:
      - 2
      - 0
    .max_flat_workgroup_size: 256
    .name:           _ZN12_GLOBAL__N_120geam_min_plus_kernelIf15HIP_vector_typeIfLj2EEfLi32ELi8ELi256ELi64ELi4ELi64ELi4ELi4ELi64ELc78ELc78ELb0ELb0ELb1EfKPKfKPfEEviiiT16_PT17_ilSA_ilS8_SA_ilPT18_ili26rocblas_geam_ex_operation_
    .private_segment_fixed_size: 0
    .sgpr_count:     34
    .sgpr_spill_count: 0
    .symbol:         _ZN12_GLOBAL__N_120geam_min_plus_kernelIf15HIP_vector_typeIfLj2EEfLi32ELi8ELi256ELi64ELi4ELi64ELi4ELi4ELi64ELc78ELc78ELb0ELb0ELb1EfKPKfKPfEEviiiT16_PT17_ilSA_ilS8_SA_ilPT18_ili26rocblas_geam_ex_operation_.kd
    .uniform_work_group_size: 1
    .uses_dynamic_stack: false
    .vgpr_count:     172
    .vgpr_spill_count: 0
    .wavefront_size: 64
  - .agpr_count:     0
    .args:
      - .offset:         0
        .size:           4
        .value_kind:     by_value
      - .offset:         4
        .size:           4
        .value_kind:     by_value
      - .offset:         8
        .size:           4
        .value_kind:     by_value
      - .address_space:  global
        .offset:         16
        .size:           8
        .value_kind:     global_buffer
      - .address_space:  global
        .offset:         24
        .size:           8
        .value_kind:     global_buffer
      - .offset:         32
        .size:           4
        .value_kind:     by_value
      - .offset:         40
        .size:           8
        .value_kind:     by_value
      - .address_space:  global
        .offset:         48
        .size:           8
        .value_kind:     global_buffer
      - .offset:         56
        .size:           4
        .value_kind:     by_value
      - .offset:         64
        .size:           8
        .value_kind:     by_value
      - .address_space:  global
        .offset:         72
        .size:           8
        .value_kind:     global_buffer
      - .address_space:  global
        .offset:         80
        .size:           8
        .value_kind:     global_buffer
      - .offset:         88
        .size:           4
        .value_kind:     by_value
      - .offset:         96
        .size:           8
        .value_kind:     by_value
      - .address_space:  global
        .offset:         104
        .size:           8
        .value_kind:     global_buffer
      - .offset:         112
        .size:           4
        .value_kind:     by_value
      - .offset:         120
        .size:           8
        .value_kind:     by_value
      - .offset:         128
        .size:           4
        .value_kind:     by_value
      - .offset:         132
        .size:           4
        .value_kind:     by_value
    .group_segment_fixed_size: 10240
    .kernarg_segment_align: 8
    .kernarg_segment_size: 136
    .language:       OpenCL C
    .language_version:
      - 2
      - 0
    .max_flat_workgroup_size: 256
    .name:           _ZN12_GLOBAL__N_120geam_min_plus_kernelIf15HIP_vector_typeIfLj2EEfLi32ELi8ELi256ELi64ELi4ELi64ELi4ELi4ELi64ELc78ELc78ELb0ELb1ELb1EPKfKS4_KPfEEviiiT16_PT17_ilSA_ilS8_SA_ilPT18_ili26rocblas_geam_ex_operation_
    .private_segment_fixed_size: 0
    .sgpr_count:     46
    .sgpr_spill_count: 0
    .symbol:         _ZN12_GLOBAL__N_120geam_min_plus_kernelIf15HIP_vector_typeIfLj2EEfLi32ELi8ELi256ELi64ELi4ELi64ELi4ELi4ELi64ELc78ELc78ELb0ELb1ELb1EPKfKS4_KPfEEviiiT16_PT17_ilSA_ilS8_SA_ilPT18_ili26rocblas_geam_ex_operation_.kd
    .uniform_work_group_size: 1
    .uses_dynamic_stack: false
    .vgpr_count:     172
    .vgpr_spill_count: 0
    .wavefront_size: 64
  - .agpr_count:     0
    .args:
      - .offset:         0
        .size:           4
        .value_kind:     by_value
      - .offset:         4
        .size:           4
        .value_kind:     by_value
      - .offset:         8
        .size:           4
        .value_kind:     by_value
      - .offset:         12
        .size:           4
        .value_kind:     by_value
      - .address_space:  global
        .offset:         16
        .size:           8
        .value_kind:     global_buffer
      - .offset:         24
        .size:           4
        .value_kind:     by_value
      - .offset:         32
        .size:           8
        .value_kind:     by_value
      - .address_space:  global
        .offset:         40
        .size:           8
        .value_kind:     global_buffer
      - .offset:         48
        .size:           4
        .value_kind:     by_value
      - .offset:         56
        .size:           8
        .value_kind:     by_value
      - .offset:         64
        .size:           4
        .value_kind:     by_value
      - .address_space:  global
        .offset:         72
        .size:           8
        .value_kind:     global_buffer
      - .offset:         80
        .size:           4
        .value_kind:     by_value
      - .offset:         88
        .size:           8
        .value_kind:     by_value
      - .address_space:  global
        .offset:         96
        .size:           8
        .value_kind:     global_buffer
      - .offset:         104
        .size:           4
        .value_kind:     by_value
      - .offset:         112
        .size:           8
        .value_kind:     by_value
      - .offset:         120
        .size:           4
        .value_kind:     by_value
      - .offset:         124
        .size:           4
        .value_kind:     by_value
    .group_segment_fixed_size: 10240
    .kernarg_segment_align: 8
    .kernarg_segment_size: 128
    .language:       OpenCL C
    .language_version:
      - 2
      - 0
    .max_flat_workgroup_size: 256
    .name:           _ZN12_GLOBAL__N_120geam_min_plus_kernelIf15HIP_vector_typeIfLj2EEfLi32ELi8ELi256ELi64ELi4ELi64ELi4ELi4ELi64ELc78ELc78ELb1ELb1ELb1EfKPKfKPfEEviiiT16_PT17_ilSA_ilS8_SA_ilPT18_ili26rocblas_geam_ex_operation_
    .private_segment_fixed_size: 0
    .sgpr_count:     44
    .sgpr_spill_count: 0
    .symbol:         _ZN12_GLOBAL__N_120geam_min_plus_kernelIf15HIP_vector_typeIfLj2EEfLi32ELi8ELi256ELi64ELi4ELi64ELi4ELi4ELi64ELc78ELc78ELb1ELb1ELb1EfKPKfKPfEEviiiT16_PT17_ilSA_ilS8_SA_ilPT18_ili26rocblas_geam_ex_operation_.kd
    .uniform_work_group_size: 1
    .uses_dynamic_stack: false
    .vgpr_count:     176
    .vgpr_spill_count: 0
    .wavefront_size: 64
  - .agpr_count:     0
    .args:
      - .offset:         0
        .size:           4
        .value_kind:     by_value
      - .offset:         4
        .size:           4
        .value_kind:     by_value
      - .offset:         8
        .size:           4
        .value_kind:     by_value
      - .offset:         12
        .size:           4
        .value_kind:     by_value
      - .address_space:  global
        .offset:         16
        .size:           8
        .value_kind:     global_buffer
      - .offset:         24
        .size:           4
        .value_kind:     by_value
      - .offset:         32
        .size:           8
        .value_kind:     by_value
      - .address_space:  global
        .offset:         40
        .size:           8
        .value_kind:     global_buffer
      - .offset:         48
        .size:           4
        .value_kind:     by_value
      - .offset:         56
        .size:           8
        .value_kind:     by_value
      - .offset:         64
        .size:           4
        .value_kind:     by_value
      - .address_space:  global
        .offset:         72
        .size:           8
        .value_kind:     global_buffer
      - .offset:         80
        .size:           4
        .value_kind:     by_value
      - .offset:         88
        .size:           8
        .value_kind:     by_value
      - .address_space:  global
        .offset:         96
        .size:           8
        .value_kind:     global_buffer
      - .offset:         104
        .size:           4
        .value_kind:     by_value
      - .offset:         112
        .size:           8
        .value_kind:     by_value
      - .offset:         120
        .size:           4
        .value_kind:     by_value
      - .offset:         124
        .size:           4
        .value_kind:     by_value
    .group_segment_fixed_size: 10240
    .kernarg_segment_align: 8
    .kernarg_segment_size: 128
    .language:       OpenCL C
    .language_version:
      - 2
      - 0
    .max_flat_workgroup_size: 256
    .name:           _ZN12_GLOBAL__N_120geam_min_plus_kernelIf15HIP_vector_typeIfLj2EEfLi32ELi8ELi256ELi64ELi4ELi64ELi4ELi4ELi64ELc78ELc78ELb0ELb1ELb1EfKPKfKPfEEviiiT16_PT17_ilSA_ilS8_SA_ilPT18_ili26rocblas_geam_ex_operation_
    .private_segment_fixed_size: 0
    .sgpr_count:     46
    .sgpr_spill_count: 0
    .symbol:         _ZN12_GLOBAL__N_120geam_min_plus_kernelIf15HIP_vector_typeIfLj2EEfLi32ELi8ELi256ELi64ELi4ELi64ELi4ELi4ELi64ELc78ELc78ELb0ELb1ELb1EfKPKfKPfEEviiiT16_PT17_ilSA_ilS8_SA_ilPT18_ili26rocblas_geam_ex_operation_.kd
    .uniform_work_group_size: 1
    .uses_dynamic_stack: false
    .vgpr_count:     172
    .vgpr_spill_count: 0
    .wavefront_size: 64
  - .agpr_count:     0
    .args:
      - .offset:         0
        .size:           4
        .value_kind:     by_value
      - .offset:         4
        .size:           4
        .value_kind:     by_value
      - .offset:         8
        .size:           4
        .value_kind:     by_value
      - .address_space:  global
        .offset:         16
        .size:           8
        .value_kind:     global_buffer
      - .address_space:  global
        .offset:         24
        .size:           8
        .value_kind:     global_buffer
      - .offset:         32
        .size:           4
        .value_kind:     by_value
      - .offset:         40
        .size:           8
        .value_kind:     by_value
      - .address_space:  global
        .offset:         48
        .size:           8
        .value_kind:     global_buffer
      - .offset:         56
        .size:           4
        .value_kind:     by_value
      - .offset:         64
        .size:           8
        .value_kind:     by_value
      - .address_space:  global
        .offset:         72
        .size:           8
        .value_kind:     global_buffer
      - .address_space:  global
        .offset:         80
        .size:           8
        .value_kind:     global_buffer
      - .offset:         88
        .size:           4
        .value_kind:     by_value
      - .offset:         96
        .size:           8
        .value_kind:     by_value
      - .address_space:  global
        .offset:         104
        .size:           8
        .value_kind:     global_buffer
      - .offset:         112
        .size:           4
        .value_kind:     by_value
      - .offset:         120
        .size:           8
        .value_kind:     by_value
      - .offset:         128
        .size:           4
        .value_kind:     by_value
      - .offset:         132
        .size:           4
        .value_kind:     by_value
    .group_segment_fixed_size: 8192
    .kernarg_segment_align: 8
    .kernarg_segment_size: 136
    .language:       OpenCL C
    .language_version:
      - 2
      - 0
    .max_flat_workgroup_size: 256
    .name:           _ZN12_GLOBAL__N_120geam_min_plus_kernelIf15HIP_vector_typeIfLj2EEfLi32ELi8ELi128ELi128ELi4ELi4ELi64ELi4ELi64ELc84ELc78ELb0ELb0ELb1EPKfKS4_KPfEEviiiT16_PT17_ilSA_ilS8_SA_ilPT18_ili26rocblas_geam_ex_operation_
    .private_segment_fixed_size: 0
    .sgpr_count:     32
    .sgpr_spill_count: 0
    .symbol:         _ZN12_GLOBAL__N_120geam_min_plus_kernelIf15HIP_vector_typeIfLj2EEfLi32ELi8ELi128ELi128ELi4ELi4ELi64ELi4ELi64ELc84ELc78ELb0ELb0ELb1EPKfKS4_KPfEEviiiT16_PT17_ilSA_ilS8_SA_ilPT18_ili26rocblas_geam_ex_operation_.kd
    .uniform_work_group_size: 1
    .uses_dynamic_stack: false
    .vgpr_count:     206
    .vgpr_spill_count: 0
    .wavefront_size: 64
  - .agpr_count:     0
    .args:
      - .offset:         0
        .size:           4
        .value_kind:     by_value
      - .offset:         4
        .size:           4
        .value_kind:     by_value
      - .offset:         8
        .size:           4
        .value_kind:     by_value
      - .offset:         12
        .size:           4
        .value_kind:     by_value
      - .address_space:  global
        .offset:         16
        .size:           8
        .value_kind:     global_buffer
      - .offset:         24
        .size:           4
        .value_kind:     by_value
      - .offset:         32
        .size:           8
        .value_kind:     by_value
      - .address_space:  global
        .offset:         40
        .size:           8
        .value_kind:     global_buffer
      - .offset:         48
        .size:           4
        .value_kind:     by_value
      - .offset:         56
        .size:           8
        .value_kind:     by_value
      - .offset:         64
        .size:           4
        .value_kind:     by_value
      - .address_space:  global
        .offset:         72
        .size:           8
        .value_kind:     global_buffer
      - .offset:         80
        .size:           4
        .value_kind:     by_value
      - .offset:         88
        .size:           8
        .value_kind:     by_value
      - .address_space:  global
        .offset:         96
        .size:           8
        .value_kind:     global_buffer
      - .offset:         104
        .size:           4
        .value_kind:     by_value
      - .offset:         112
        .size:           8
        .value_kind:     by_value
      - .offset:         120
        .size:           4
        .value_kind:     by_value
      - .offset:         124
        .size:           4
        .value_kind:     by_value
    .group_segment_fixed_size: 8192
    .kernarg_segment_align: 8
    .kernarg_segment_size: 128
    .language:       OpenCL C
    .language_version:
      - 2
      - 0
    .max_flat_workgroup_size: 256
    .name:           _ZN12_GLOBAL__N_120geam_min_plus_kernelIf15HIP_vector_typeIfLj2EEfLi32ELi8ELi128ELi128ELi4ELi4ELi64ELi4ELi64ELc84ELc78ELb1ELb0ELb1EfKPKfKPfEEviiiT16_PT17_ilSA_ilS8_SA_ilPT18_ili26rocblas_geam_ex_operation_
    .private_segment_fixed_size: 0
    .sgpr_count:     28
    .sgpr_spill_count: 0
    .symbol:         _ZN12_GLOBAL__N_120geam_min_plus_kernelIf15HIP_vector_typeIfLj2EEfLi32ELi8ELi128ELi128ELi4ELi4ELi64ELi4ELi64ELc84ELc78ELb1ELb0ELb1EfKPKfKPfEEviiiT16_PT17_ilSA_ilS8_SA_ilPT18_ili26rocblas_geam_ex_operation_.kd
    .uniform_work_group_size: 1
    .uses_dynamic_stack: false
    .vgpr_count:     187
    .vgpr_spill_count: 0
    .wavefront_size: 64
  - .agpr_count:     0
    .args:
      - .offset:         0
        .size:           4
        .value_kind:     by_value
      - .offset:         4
        .size:           4
        .value_kind:     by_value
      - .offset:         8
        .size:           4
        .value_kind:     by_value
      - .offset:         12
        .size:           4
        .value_kind:     by_value
      - .address_space:  global
        .offset:         16
        .size:           8
        .value_kind:     global_buffer
      - .offset:         24
        .size:           4
        .value_kind:     by_value
      - .offset:         32
        .size:           8
        .value_kind:     by_value
      - .address_space:  global
        .offset:         40
        .size:           8
        .value_kind:     global_buffer
      - .offset:         48
        .size:           4
        .value_kind:     by_value
      - .offset:         56
        .size:           8
        .value_kind:     by_value
      - .offset:         64
        .size:           4
        .value_kind:     by_value
      - .address_space:  global
        .offset:         72
        .size:           8
        .value_kind:     global_buffer
      - .offset:         80
        .size:           4
        .value_kind:     by_value
      - .offset:         88
        .size:           8
        .value_kind:     by_value
      - .address_space:  global
        .offset:         96
        .size:           8
        .value_kind:     global_buffer
      - .offset:         104
        .size:           4
        .value_kind:     by_value
      - .offset:         112
        .size:           8
        .value_kind:     by_value
      - .offset:         120
        .size:           4
        .value_kind:     by_value
      - .offset:         124
        .size:           4
        .value_kind:     by_value
    .group_segment_fixed_size: 8192
    .kernarg_segment_align: 8
    .kernarg_segment_size: 128
    .language:       OpenCL C
    .language_version:
      - 2
      - 0
    .max_flat_workgroup_size: 256
    .name:           _ZN12_GLOBAL__N_120geam_min_plus_kernelIf15HIP_vector_typeIfLj2EEfLi32ELi8ELi128ELi128ELi4ELi4ELi64ELi4ELi64ELc84ELc78ELb0ELb0ELb1EfKPKfKPfEEviiiT16_PT17_ilSA_ilS8_SA_ilPT18_ili26rocblas_geam_ex_operation_
    .private_segment_fixed_size: 0
    .sgpr_count:     32
    .sgpr_spill_count: 0
    .symbol:         _ZN12_GLOBAL__N_120geam_min_plus_kernelIf15HIP_vector_typeIfLj2EEfLi32ELi8ELi128ELi128ELi4ELi4ELi64ELi4ELi64ELc84ELc78ELb0ELb0ELb1EfKPKfKPfEEviiiT16_PT17_ilSA_ilS8_SA_ilPT18_ili26rocblas_geam_ex_operation_.kd
    .uniform_work_group_size: 1
    .uses_dynamic_stack: false
    .vgpr_count:     206
    .vgpr_spill_count: 0
    .wavefront_size: 64
  - .agpr_count:     0
    .args:
      - .offset:         0
        .size:           4
        .value_kind:     by_value
      - .offset:         4
        .size:           4
        .value_kind:     by_value
      - .offset:         8
        .size:           4
        .value_kind:     by_value
      - .address_space:  global
        .offset:         16
        .size:           8
        .value_kind:     global_buffer
      - .address_space:  global
        .offset:         24
        .size:           8
        .value_kind:     global_buffer
      - .offset:         32
        .size:           4
        .value_kind:     by_value
      - .offset:         40
        .size:           8
        .value_kind:     by_value
      - .address_space:  global
        .offset:         48
        .size:           8
        .value_kind:     global_buffer
      - .offset:         56
        .size:           4
        .value_kind:     by_value
      - .offset:         64
        .size:           8
        .value_kind:     by_value
      - .address_space:  global
        .offset:         72
        .size:           8
        .value_kind:     global_buffer
      - .address_space:  global
        .offset:         80
        .size:           8
        .value_kind:     global_buffer
      - .offset:         88
        .size:           4
        .value_kind:     by_value
      - .offset:         96
        .size:           8
        .value_kind:     by_value
      - .address_space:  global
        .offset:         104
        .size:           8
        .value_kind:     global_buffer
      - .offset:         112
        .size:           4
        .value_kind:     by_value
      - .offset:         120
        .size:           8
        .value_kind:     by_value
      - .offset:         128
        .size:           4
        .value_kind:     by_value
      - .offset:         132
        .size:           4
        .value_kind:     by_value
    .group_segment_fixed_size: 8192
    .kernarg_segment_align: 8
    .kernarg_segment_size: 136
    .language:       OpenCL C
    .language_version:
      - 2
      - 0
    .max_flat_workgroup_size: 256
    .name:           _ZN12_GLOBAL__N_120geam_min_plus_kernelIf15HIP_vector_typeIfLj2EEfLi32ELi8ELi128ELi128ELi4ELi4ELi64ELi4ELi64ELc84ELc78ELb0ELb1ELb1EPKfKS4_KPfEEviiiT16_PT17_ilSA_ilS8_SA_ilPT18_ili26rocblas_geam_ex_operation_
    .private_segment_fixed_size: 0
    .sgpr_count:     44
    .sgpr_spill_count: 0
    .symbol:         _ZN12_GLOBAL__N_120geam_min_plus_kernelIf15HIP_vector_typeIfLj2EEfLi32ELi8ELi128ELi128ELi4ELi4ELi64ELi4ELi64ELc84ELc78ELb0ELb1ELb1EPKfKS4_KPfEEviiiT16_PT17_ilSA_ilS8_SA_ilPT18_ili26rocblas_geam_ex_operation_.kd
    .uniform_work_group_size: 1
    .uses_dynamic_stack: false
    .vgpr_count:     200
    .vgpr_spill_count: 0
    .wavefront_size: 64
  - .agpr_count:     0
    .args:
      - .offset:         0
        .size:           4
        .value_kind:     by_value
      - .offset:         4
        .size:           4
        .value_kind:     by_value
      - .offset:         8
        .size:           4
        .value_kind:     by_value
      - .offset:         12
        .size:           4
        .value_kind:     by_value
      - .address_space:  global
        .offset:         16
        .size:           8
        .value_kind:     global_buffer
      - .offset:         24
        .size:           4
        .value_kind:     by_value
      - .offset:         32
        .size:           8
        .value_kind:     by_value
      - .address_space:  global
        .offset:         40
        .size:           8
        .value_kind:     global_buffer
      - .offset:         48
        .size:           4
        .value_kind:     by_value
      - .offset:         56
        .size:           8
        .value_kind:     by_value
      - .offset:         64
        .size:           4
        .value_kind:     by_value
      - .address_space:  global
        .offset:         72
        .size:           8
        .value_kind:     global_buffer
      - .offset:         80
        .size:           4
        .value_kind:     by_value
      - .offset:         88
        .size:           8
        .value_kind:     by_value
      - .address_space:  global
        .offset:         96
        .size:           8
        .value_kind:     global_buffer
      - .offset:         104
        .size:           4
        .value_kind:     by_value
      - .offset:         112
        .size:           8
        .value_kind:     by_value
      - .offset:         120
        .size:           4
        .value_kind:     by_value
      - .offset:         124
        .size:           4
        .value_kind:     by_value
    .group_segment_fixed_size: 8192
    .kernarg_segment_align: 8
    .kernarg_segment_size: 128
    .language:       OpenCL C
    .language_version:
      - 2
      - 0
    .max_flat_workgroup_size: 256
    .name:           _ZN12_GLOBAL__N_120geam_min_plus_kernelIf15HIP_vector_typeIfLj2EEfLi32ELi8ELi128ELi128ELi4ELi4ELi64ELi4ELi64ELc84ELc78ELb1ELb1ELb1EfKPKfKPfEEviiiT16_PT17_ilSA_ilS8_SA_ilPT18_ili26rocblas_geam_ex_operation_
    .private_segment_fixed_size: 0
    .sgpr_count:     42
    .sgpr_spill_count: 0
    .symbol:         _ZN12_GLOBAL__N_120geam_min_plus_kernelIf15HIP_vector_typeIfLj2EEfLi32ELi8ELi128ELi128ELi4ELi4ELi64ELi4ELi64ELc84ELc78ELb1ELb1ELb1EfKPKfKPfEEviiiT16_PT17_ilSA_ilS8_SA_ilPT18_ili26rocblas_geam_ex_operation_.kd
    .uniform_work_group_size: 1
    .uses_dynamic_stack: false
    .vgpr_count:     204
    .vgpr_spill_count: 0
    .wavefront_size: 64
  - .agpr_count:     0
    .args:
      - .offset:         0
        .size:           4
        .value_kind:     by_value
      - .offset:         4
        .size:           4
        .value_kind:     by_value
      - .offset:         8
        .size:           4
        .value_kind:     by_value
      - .offset:         12
        .size:           4
        .value_kind:     by_value
      - .address_space:  global
        .offset:         16
        .size:           8
        .value_kind:     global_buffer
      - .offset:         24
        .size:           4
        .value_kind:     by_value
      - .offset:         32
        .size:           8
        .value_kind:     by_value
      - .address_space:  global
        .offset:         40
        .size:           8
        .value_kind:     global_buffer
      - .offset:         48
        .size:           4
        .value_kind:     by_value
      - .offset:         56
        .size:           8
        .value_kind:     by_value
      - .offset:         64
        .size:           4
        .value_kind:     by_value
      - .address_space:  global
        .offset:         72
        .size:           8
        .value_kind:     global_buffer
      - .offset:         80
        .size:           4
        .value_kind:     by_value
      - .offset:         88
        .size:           8
        .value_kind:     by_value
      - .address_space:  global
        .offset:         96
        .size:           8
        .value_kind:     global_buffer
      - .offset:         104
        .size:           4
        .value_kind:     by_value
      - .offset:         112
        .size:           8
        .value_kind:     by_value
      - .offset:         120
        .size:           4
        .value_kind:     by_value
      - .offset:         124
        .size:           4
        .value_kind:     by_value
    .group_segment_fixed_size: 8192
    .kernarg_segment_align: 8
    .kernarg_segment_size: 128
    .language:       OpenCL C
    .language_version:
      - 2
      - 0
    .max_flat_workgroup_size: 256
    .name:           _ZN12_GLOBAL__N_120geam_min_plus_kernelIf15HIP_vector_typeIfLj2EEfLi32ELi8ELi128ELi128ELi4ELi4ELi64ELi4ELi64ELc84ELc78ELb0ELb1ELb1EfKPKfKPfEEviiiT16_PT17_ilSA_ilS8_SA_ilPT18_ili26rocblas_geam_ex_operation_
    .private_segment_fixed_size: 0
    .sgpr_count:     44
    .sgpr_spill_count: 0
    .symbol:         _ZN12_GLOBAL__N_120geam_min_plus_kernelIf15HIP_vector_typeIfLj2EEfLi32ELi8ELi128ELi128ELi4ELi4ELi64ELi4ELi64ELc84ELc78ELb0ELb1ELb1EfKPKfKPfEEviiiT16_PT17_ilSA_ilS8_SA_ilPT18_ili26rocblas_geam_ex_operation_.kd
    .uniform_work_group_size: 1
    .uses_dynamic_stack: false
    .vgpr_count:     200
    .vgpr_spill_count: 0
    .wavefront_size: 64
  - .agpr_count:     0
    .args:
      - .offset:         0
        .size:           4
        .value_kind:     by_value
      - .offset:         4
        .size:           4
        .value_kind:     by_value
      - .offset:         8
        .size:           4
        .value_kind:     by_value
      - .address_space:  global
        .offset:         16
        .size:           8
        .value_kind:     global_buffer
      - .address_space:  global
        .offset:         24
        .size:           8
        .value_kind:     global_buffer
      - .offset:         32
        .size:           4
        .value_kind:     by_value
      - .offset:         40
        .size:           8
        .value_kind:     by_value
      - .address_space:  global
        .offset:         48
        .size:           8
        .value_kind:     global_buffer
      - .offset:         56
        .size:           4
        .value_kind:     by_value
      - .offset:         64
        .size:           8
        .value_kind:     by_value
      - .address_space:  global
        .offset:         72
        .size:           8
        .value_kind:     global_buffer
      - .address_space:  global
        .offset:         80
        .size:           8
        .value_kind:     global_buffer
      - .offset:         88
        .size:           4
        .value_kind:     by_value
      - .offset:         96
        .size:           8
        .value_kind:     by_value
      - .address_space:  global
        .offset:         104
        .size:           8
        .value_kind:     global_buffer
      - .offset:         112
        .size:           4
        .value_kind:     by_value
      - .offset:         120
        .size:           8
        .value_kind:     by_value
      - .offset:         128
        .size:           4
        .value_kind:     by_value
      - .offset:         132
        .size:           4
        .value_kind:     by_value
    .group_segment_fixed_size: 10240
    .kernarg_segment_align: 8
    .kernarg_segment_size: 136
    .language:       OpenCL C
    .language_version:
      - 2
      - 0
    .max_flat_workgroup_size: 256
    .name:           _ZN12_GLOBAL__N_120geam_min_plus_kernelIf15HIP_vector_typeIfLj2EEfLi8ELi32ELi64ELi256ELi4ELi64ELi4ELi64ELi4ELc78ELc84ELb0ELb0ELb1EPKfKS4_KPfEEviiiT16_PT17_ilSA_ilS8_SA_ilPT18_ili26rocblas_geam_ex_operation_
    .private_segment_fixed_size: 0
    .sgpr_count:     35
    .sgpr_spill_count: 0
    .symbol:         _ZN12_GLOBAL__N_120geam_min_plus_kernelIf15HIP_vector_typeIfLj2EEfLi8ELi32ELi64ELi256ELi4ELi64ELi4ELi64ELi4ELc78ELc84ELb0ELb0ELb1EPKfKS4_KPfEEviiiT16_PT17_ilSA_ilS8_SA_ilPT18_ili26rocblas_geam_ex_operation_.kd
    .uniform_work_group_size: 1
    .uses_dynamic_stack: false
    .vgpr_count:     176
    .vgpr_spill_count: 0
    .wavefront_size: 64
  - .agpr_count:     0
    .args:
      - .offset:         0
        .size:           4
        .value_kind:     by_value
      - .offset:         4
        .size:           4
        .value_kind:     by_value
      - .offset:         8
        .size:           4
        .value_kind:     by_value
      - .offset:         12
        .size:           4
        .value_kind:     by_value
      - .address_space:  global
        .offset:         16
        .size:           8
        .value_kind:     global_buffer
      - .offset:         24
        .size:           4
        .value_kind:     by_value
      - .offset:         32
        .size:           8
        .value_kind:     by_value
      - .address_space:  global
        .offset:         40
        .size:           8
        .value_kind:     global_buffer
      - .offset:         48
        .size:           4
        .value_kind:     by_value
      - .offset:         56
        .size:           8
        .value_kind:     by_value
      - .offset:         64
        .size:           4
        .value_kind:     by_value
      - .address_space:  global
        .offset:         72
        .size:           8
        .value_kind:     global_buffer
      - .offset:         80
        .size:           4
        .value_kind:     by_value
      - .offset:         88
        .size:           8
        .value_kind:     by_value
      - .address_space:  global
        .offset:         96
        .size:           8
        .value_kind:     global_buffer
      - .offset:         104
        .size:           4
        .value_kind:     by_value
      - .offset:         112
        .size:           8
        .value_kind:     by_value
      - .offset:         120
        .size:           4
        .value_kind:     by_value
      - .offset:         124
        .size:           4
        .value_kind:     by_value
    .group_segment_fixed_size: 10240
    .kernarg_segment_align: 8
    .kernarg_segment_size: 128
    .language:       OpenCL C
    .language_version:
      - 2
      - 0
    .max_flat_workgroup_size: 256
    .name:           _ZN12_GLOBAL__N_120geam_min_plus_kernelIf15HIP_vector_typeIfLj2EEfLi8ELi32ELi64ELi256ELi4ELi64ELi4ELi64ELi4ELc78ELc84ELb1ELb0ELb1EfKPKfKPfEEviiiT16_PT17_ilSA_ilS8_SA_ilPT18_ili26rocblas_geam_ex_operation_
    .private_segment_fixed_size: 0
    .sgpr_count:     30
    .sgpr_spill_count: 0
    .symbol:         _ZN12_GLOBAL__N_120geam_min_plus_kernelIf15HIP_vector_typeIfLj2EEfLi8ELi32ELi64ELi256ELi4ELi64ELi4ELi64ELi4ELc78ELc84ELb1ELb0ELb1EfKPKfKPfEEviiiT16_PT17_ilSA_ilS8_SA_ilPT18_ili26rocblas_geam_ex_operation_.kd
    .uniform_work_group_size: 1
    .uses_dynamic_stack: false
    .vgpr_count:     178
    .vgpr_spill_count: 0
    .wavefront_size: 64
  - .agpr_count:     0
    .args:
      - .offset:         0
        .size:           4
        .value_kind:     by_value
      - .offset:         4
        .size:           4
        .value_kind:     by_value
      - .offset:         8
        .size:           4
        .value_kind:     by_value
      - .offset:         12
        .size:           4
        .value_kind:     by_value
      - .address_space:  global
        .offset:         16
        .size:           8
        .value_kind:     global_buffer
      - .offset:         24
        .size:           4
        .value_kind:     by_value
      - .offset:         32
        .size:           8
        .value_kind:     by_value
      - .address_space:  global
        .offset:         40
        .size:           8
        .value_kind:     global_buffer
      - .offset:         48
        .size:           4
        .value_kind:     by_value
      - .offset:         56
        .size:           8
        .value_kind:     by_value
      - .offset:         64
        .size:           4
        .value_kind:     by_value
      - .address_space:  global
        .offset:         72
        .size:           8
        .value_kind:     global_buffer
      - .offset:         80
        .size:           4
        .value_kind:     by_value
      - .offset:         88
        .size:           8
        .value_kind:     by_value
      - .address_space:  global
        .offset:         96
        .size:           8
        .value_kind:     global_buffer
      - .offset:         104
        .size:           4
        .value_kind:     by_value
      - .offset:         112
        .size:           8
        .value_kind:     by_value
      - .offset:         120
        .size:           4
        .value_kind:     by_value
      - .offset:         124
        .size:           4
        .value_kind:     by_value
    .group_segment_fixed_size: 10240
    .kernarg_segment_align: 8
    .kernarg_segment_size: 128
    .language:       OpenCL C
    .language_version:
      - 2
      - 0
    .max_flat_workgroup_size: 256
    .name:           _ZN12_GLOBAL__N_120geam_min_plus_kernelIf15HIP_vector_typeIfLj2EEfLi8ELi32ELi64ELi256ELi4ELi64ELi4ELi64ELi4ELc78ELc84ELb0ELb0ELb1EfKPKfKPfEEviiiT16_PT17_ilSA_ilS8_SA_ilPT18_ili26rocblas_geam_ex_operation_
    .private_segment_fixed_size: 0
    .sgpr_count:     35
    .sgpr_spill_count: 0
    .symbol:         _ZN12_GLOBAL__N_120geam_min_plus_kernelIf15HIP_vector_typeIfLj2EEfLi8ELi32ELi64ELi256ELi4ELi64ELi4ELi64ELi4ELc78ELc84ELb0ELb0ELb1EfKPKfKPfEEviiiT16_PT17_ilSA_ilS8_SA_ilPT18_ili26rocblas_geam_ex_operation_.kd
    .uniform_work_group_size: 1
    .uses_dynamic_stack: false
    .vgpr_count:     176
    .vgpr_spill_count: 0
    .wavefront_size: 64
  - .agpr_count:     0
    .args:
      - .offset:         0
        .size:           4
        .value_kind:     by_value
      - .offset:         4
        .size:           4
        .value_kind:     by_value
      - .offset:         8
        .size:           4
        .value_kind:     by_value
      - .address_space:  global
        .offset:         16
        .size:           8
        .value_kind:     global_buffer
      - .address_space:  global
        .offset:         24
        .size:           8
        .value_kind:     global_buffer
      - .offset:         32
        .size:           4
        .value_kind:     by_value
      - .offset:         40
        .size:           8
        .value_kind:     by_value
      - .address_space:  global
        .offset:         48
        .size:           8
        .value_kind:     global_buffer
      - .offset:         56
        .size:           4
        .value_kind:     by_value
      - .offset:         64
        .size:           8
        .value_kind:     by_value
      - .address_space:  global
        .offset:         72
        .size:           8
        .value_kind:     global_buffer
      - .address_space:  global
        .offset:         80
        .size:           8
        .value_kind:     global_buffer
      - .offset:         88
        .size:           4
        .value_kind:     by_value
      - .offset:         96
        .size:           8
        .value_kind:     by_value
      - .address_space:  global
        .offset:         104
        .size:           8
        .value_kind:     global_buffer
      - .offset:         112
        .size:           4
        .value_kind:     by_value
      - .offset:         120
        .size:           8
        .value_kind:     by_value
      - .offset:         128
        .size:           4
        .value_kind:     by_value
      - .offset:         132
        .size:           4
        .value_kind:     by_value
    .group_segment_fixed_size: 10240
    .kernarg_segment_align: 8
    .kernarg_segment_size: 136
    .language:       OpenCL C
    .language_version:
      - 2
      - 0
    .max_flat_workgroup_size: 256
    .name:           _ZN12_GLOBAL__N_120geam_min_plus_kernelIf15HIP_vector_typeIfLj2EEfLi8ELi32ELi64ELi256ELi4ELi64ELi4ELi64ELi4ELc78ELc84ELb0ELb1ELb1EPKfKS4_KPfEEviiiT16_PT17_ilSA_ilS8_SA_ilPT18_ili26rocblas_geam_ex_operation_
    .private_segment_fixed_size: 0
    .sgpr_count:     50
    .sgpr_spill_count: 0
    .symbol:         _ZN12_GLOBAL__N_120geam_min_plus_kernelIf15HIP_vector_typeIfLj2EEfLi8ELi32ELi64ELi256ELi4ELi64ELi4ELi64ELi4ELc78ELc84ELb0ELb1ELb1EPKfKS4_KPfEEviiiT16_PT17_ilSA_ilS8_SA_ilPT18_ili26rocblas_geam_ex_operation_.kd
    .uniform_work_group_size: 1
    .uses_dynamic_stack: false
    .vgpr_count:     180
    .vgpr_spill_count: 0
    .wavefront_size: 64
  - .agpr_count:     0
    .args:
      - .offset:         0
        .size:           4
        .value_kind:     by_value
      - .offset:         4
        .size:           4
        .value_kind:     by_value
      - .offset:         8
        .size:           4
        .value_kind:     by_value
      - .offset:         12
        .size:           4
        .value_kind:     by_value
      - .address_space:  global
        .offset:         16
        .size:           8
        .value_kind:     global_buffer
      - .offset:         24
        .size:           4
        .value_kind:     by_value
      - .offset:         32
        .size:           8
        .value_kind:     by_value
      - .address_space:  global
        .offset:         40
        .size:           8
        .value_kind:     global_buffer
      - .offset:         48
        .size:           4
        .value_kind:     by_value
      - .offset:         56
        .size:           8
        .value_kind:     by_value
      - .offset:         64
        .size:           4
        .value_kind:     by_value
      - .address_space:  global
        .offset:         72
        .size:           8
        .value_kind:     global_buffer
      - .offset:         80
        .size:           4
        .value_kind:     by_value
      - .offset:         88
        .size:           8
        .value_kind:     by_value
      - .address_space:  global
        .offset:         96
        .size:           8
        .value_kind:     global_buffer
      - .offset:         104
        .size:           4
        .value_kind:     by_value
      - .offset:         112
        .size:           8
        .value_kind:     by_value
      - .offset:         120
        .size:           4
        .value_kind:     by_value
      - .offset:         124
        .size:           4
        .value_kind:     by_value
    .group_segment_fixed_size: 10240
    .kernarg_segment_align: 8
    .kernarg_segment_size: 128
    .language:       OpenCL C
    .language_version:
      - 2
      - 0
    .max_flat_workgroup_size: 256
    .name:           _ZN12_GLOBAL__N_120geam_min_plus_kernelIf15HIP_vector_typeIfLj2EEfLi8ELi32ELi64ELi256ELi4ELi64ELi4ELi64ELi4ELc78ELc84ELb1ELb1ELb1EfKPKfKPfEEviiiT16_PT17_ilSA_ilS8_SA_ilPT18_ili26rocblas_geam_ex_operation_
    .private_segment_fixed_size: 0
    .sgpr_count:     44
    .sgpr_spill_count: 0
    .symbol:         _ZN12_GLOBAL__N_120geam_min_plus_kernelIf15HIP_vector_typeIfLj2EEfLi8ELi32ELi64ELi256ELi4ELi64ELi4ELi64ELi4ELc78ELc84ELb1ELb1ELb1EfKPKfKPfEEviiiT16_PT17_ilSA_ilS8_SA_ilPT18_ili26rocblas_geam_ex_operation_.kd
    .uniform_work_group_size: 1
    .uses_dynamic_stack: false
    .vgpr_count:     180
    .vgpr_spill_count: 0
    .wavefront_size: 64
  - .agpr_count:     0
    .args:
      - .offset:         0
        .size:           4
        .value_kind:     by_value
      - .offset:         4
        .size:           4
        .value_kind:     by_value
      - .offset:         8
        .size:           4
        .value_kind:     by_value
      - .offset:         12
        .size:           4
        .value_kind:     by_value
      - .address_space:  global
        .offset:         16
        .size:           8
        .value_kind:     global_buffer
      - .offset:         24
        .size:           4
        .value_kind:     by_value
      - .offset:         32
        .size:           8
        .value_kind:     by_value
      - .address_space:  global
        .offset:         40
        .size:           8
        .value_kind:     global_buffer
      - .offset:         48
        .size:           4
        .value_kind:     by_value
      - .offset:         56
        .size:           8
        .value_kind:     by_value
      - .offset:         64
        .size:           4
        .value_kind:     by_value
      - .address_space:  global
        .offset:         72
        .size:           8
        .value_kind:     global_buffer
      - .offset:         80
        .size:           4
        .value_kind:     by_value
      - .offset:         88
        .size:           8
        .value_kind:     by_value
      - .address_space:  global
        .offset:         96
        .size:           8
        .value_kind:     global_buffer
      - .offset:         104
        .size:           4
        .value_kind:     by_value
      - .offset:         112
        .size:           8
        .value_kind:     by_value
      - .offset:         120
        .size:           4
        .value_kind:     by_value
      - .offset:         124
        .size:           4
        .value_kind:     by_value
    .group_segment_fixed_size: 10240
    .kernarg_segment_align: 8
    .kernarg_segment_size: 128
    .language:       OpenCL C
    .language_version:
      - 2
      - 0
    .max_flat_workgroup_size: 256
    .name:           _ZN12_GLOBAL__N_120geam_min_plus_kernelIf15HIP_vector_typeIfLj2EEfLi8ELi32ELi64ELi256ELi4ELi64ELi4ELi64ELi4ELc78ELc84ELb0ELb1ELb1EfKPKfKPfEEviiiT16_PT17_ilSA_ilS8_SA_ilPT18_ili26rocblas_geam_ex_operation_
    .private_segment_fixed_size: 0
    .sgpr_count:     50
    .sgpr_spill_count: 0
    .symbol:         _ZN12_GLOBAL__N_120geam_min_plus_kernelIf15HIP_vector_typeIfLj2EEfLi8ELi32ELi64ELi256ELi4ELi64ELi4ELi64ELi4ELc78ELc84ELb0ELb1ELb1EfKPKfKPfEEviiiT16_PT17_ilSA_ilS8_SA_ilPT18_ili26rocblas_geam_ex_operation_.kd
    .uniform_work_group_size: 1
    .uses_dynamic_stack: false
    .vgpr_count:     180
    .vgpr_spill_count: 0
    .wavefront_size: 64
  - .agpr_count:     0
    .args:
      - .offset:         0
        .size:           4
        .value_kind:     by_value
      - .offset:         4
        .size:           4
        .value_kind:     by_value
      - .offset:         8
        .size:           4
        .value_kind:     by_value
      - .address_space:  global
        .offset:         16
        .size:           8
        .value_kind:     global_buffer
      - .address_space:  global
        .offset:         24
        .size:           8
        .value_kind:     global_buffer
      - .offset:         32
        .size:           4
        .value_kind:     by_value
      - .offset:         40
        .size:           8
        .value_kind:     by_value
      - .address_space:  global
        .offset:         48
        .size:           8
        .value_kind:     global_buffer
      - .offset:         56
        .size:           4
        .value_kind:     by_value
      - .offset:         64
        .size:           8
        .value_kind:     by_value
      - .address_space:  global
        .offset:         72
        .size:           8
        .value_kind:     global_buffer
      - .address_space:  global
        .offset:         80
        .size:           8
        .value_kind:     global_buffer
      - .offset:         88
        .size:           4
        .value_kind:     by_value
      - .offset:         96
        .size:           8
        .value_kind:     by_value
      - .address_space:  global
        .offset:         104
        .size:           8
        .value_kind:     global_buffer
      - .offset:         112
        .size:           4
        .value_kind:     by_value
      - .offset:         120
        .size:           8
        .value_kind:     by_value
      - .offset:         128
        .size:           4
        .value_kind:     by_value
      - .offset:         132
        .size:           4
        .value_kind:     by_value
    .group_segment_fixed_size: 10240
    .kernarg_segment_align: 8
    .kernarg_segment_size: 136
    .language:       OpenCL C
    .language_version:
      - 2
      - 0
    .max_flat_workgroup_size: 256
    .name:           _ZN12_GLOBAL__N_120geam_min_plus_kernelIf15HIP_vector_typeIfLj2EEfLi8ELi32ELi64ELi256ELi4ELi4ELi64ELi64ELi4ELc84ELc84ELb0ELb0ELb1EPKfKS4_KPfEEviiiT16_PT17_ilSA_ilS8_SA_ilPT18_ili26rocblas_geam_ex_operation_
    .private_segment_fixed_size: 0
    .sgpr_count:     33
    .sgpr_spill_count: 0
    .symbol:         _ZN12_GLOBAL__N_120geam_min_plus_kernelIf15HIP_vector_typeIfLj2EEfLi8ELi32ELi64ELi256ELi4ELi4ELi64ELi64ELi4ELc84ELc84ELb0ELb0ELb1EPKfKS4_KPfEEviiiT16_PT17_ilSA_ilS8_SA_ilPT18_ili26rocblas_geam_ex_operation_.kd
    .uniform_work_group_size: 1
    .uses_dynamic_stack: false
    .vgpr_count:     172
    .vgpr_spill_count: 0
    .wavefront_size: 64
  - .agpr_count:     0
    .args:
      - .offset:         0
        .size:           4
        .value_kind:     by_value
      - .offset:         4
        .size:           4
        .value_kind:     by_value
      - .offset:         8
        .size:           4
        .value_kind:     by_value
      - .offset:         12
        .size:           4
        .value_kind:     by_value
      - .address_space:  global
        .offset:         16
        .size:           8
        .value_kind:     global_buffer
      - .offset:         24
        .size:           4
        .value_kind:     by_value
      - .offset:         32
        .size:           8
        .value_kind:     by_value
      - .address_space:  global
        .offset:         40
        .size:           8
        .value_kind:     global_buffer
      - .offset:         48
        .size:           4
        .value_kind:     by_value
      - .offset:         56
        .size:           8
        .value_kind:     by_value
      - .offset:         64
        .size:           4
        .value_kind:     by_value
      - .address_space:  global
        .offset:         72
        .size:           8
        .value_kind:     global_buffer
      - .offset:         80
        .size:           4
        .value_kind:     by_value
      - .offset:         88
        .size:           8
        .value_kind:     by_value
      - .address_space:  global
        .offset:         96
        .size:           8
        .value_kind:     global_buffer
      - .offset:         104
        .size:           4
        .value_kind:     by_value
      - .offset:         112
        .size:           8
        .value_kind:     by_value
      - .offset:         120
        .size:           4
        .value_kind:     by_value
      - .offset:         124
        .size:           4
        .value_kind:     by_value
    .group_segment_fixed_size: 10240
    .kernarg_segment_align: 8
    .kernarg_segment_size: 128
    .language:       OpenCL C
    .language_version:
      - 2
      - 0
    .max_flat_workgroup_size: 256
    .name:           _ZN12_GLOBAL__N_120geam_min_plus_kernelIf15HIP_vector_typeIfLj2EEfLi8ELi32ELi64ELi256ELi4ELi4ELi64ELi64ELi4ELc84ELc84ELb1ELb0ELb1EfKPKfKPfEEviiiT16_PT17_ilSA_ilS8_SA_ilPT18_ili26rocblas_geam_ex_operation_
    .private_segment_fixed_size: 0
    .sgpr_count:     28
    .sgpr_spill_count: 0
    .symbol:         _ZN12_GLOBAL__N_120geam_min_plus_kernelIf15HIP_vector_typeIfLj2EEfLi8ELi32ELi64ELi256ELi4ELi4ELi64ELi64ELi4ELc84ELc84ELb1ELb0ELb1EfKPKfKPfEEviiiT16_PT17_ilSA_ilS8_SA_ilPT18_ili26rocblas_geam_ex_operation_.kd
    .uniform_work_group_size: 1
    .uses_dynamic_stack: false
    .vgpr_count:     175
    .vgpr_spill_count: 0
    .wavefront_size: 64
  - .agpr_count:     0
    .args:
      - .offset:         0
        .size:           4
        .value_kind:     by_value
      - .offset:         4
        .size:           4
        .value_kind:     by_value
      - .offset:         8
        .size:           4
        .value_kind:     by_value
      - .offset:         12
        .size:           4
        .value_kind:     by_value
      - .address_space:  global
        .offset:         16
        .size:           8
        .value_kind:     global_buffer
      - .offset:         24
        .size:           4
        .value_kind:     by_value
      - .offset:         32
        .size:           8
        .value_kind:     by_value
      - .address_space:  global
        .offset:         40
        .size:           8
        .value_kind:     global_buffer
      - .offset:         48
        .size:           4
        .value_kind:     by_value
      - .offset:         56
        .size:           8
        .value_kind:     by_value
      - .offset:         64
        .size:           4
        .value_kind:     by_value
      - .address_space:  global
        .offset:         72
        .size:           8
        .value_kind:     global_buffer
      - .offset:         80
        .size:           4
        .value_kind:     by_value
      - .offset:         88
        .size:           8
        .value_kind:     by_value
      - .address_space:  global
        .offset:         96
        .size:           8
        .value_kind:     global_buffer
      - .offset:         104
        .size:           4
        .value_kind:     by_value
      - .offset:         112
        .size:           8
        .value_kind:     by_value
      - .offset:         120
        .size:           4
        .value_kind:     by_value
      - .offset:         124
        .size:           4
        .value_kind:     by_value
    .group_segment_fixed_size: 10240
    .kernarg_segment_align: 8
    .kernarg_segment_size: 128
    .language:       OpenCL C
    .language_version:
      - 2
      - 0
    .max_flat_workgroup_size: 256
    .name:           _ZN12_GLOBAL__N_120geam_min_plus_kernelIf15HIP_vector_typeIfLj2EEfLi8ELi32ELi64ELi256ELi4ELi4ELi64ELi64ELi4ELc84ELc84ELb0ELb0ELb1EfKPKfKPfEEviiiT16_PT17_ilSA_ilS8_SA_ilPT18_ili26rocblas_geam_ex_operation_
    .private_segment_fixed_size: 0
    .sgpr_count:     34
    .sgpr_spill_count: 0
    .symbol:         _ZN12_GLOBAL__N_120geam_min_plus_kernelIf15HIP_vector_typeIfLj2EEfLi8ELi32ELi64ELi256ELi4ELi4ELi64ELi64ELi4ELc84ELc84ELb0ELb0ELb1EfKPKfKPfEEviiiT16_PT17_ilSA_ilS8_SA_ilPT18_ili26rocblas_geam_ex_operation_.kd
    .uniform_work_group_size: 1
    .uses_dynamic_stack: false
    .vgpr_count:     172
    .vgpr_spill_count: 0
    .wavefront_size: 64
  - .agpr_count:     0
    .args:
      - .offset:         0
        .size:           4
        .value_kind:     by_value
      - .offset:         4
        .size:           4
        .value_kind:     by_value
      - .offset:         8
        .size:           4
        .value_kind:     by_value
      - .address_space:  global
        .offset:         16
        .size:           8
        .value_kind:     global_buffer
      - .address_space:  global
        .offset:         24
        .size:           8
        .value_kind:     global_buffer
      - .offset:         32
        .size:           4
        .value_kind:     by_value
      - .offset:         40
        .size:           8
        .value_kind:     by_value
      - .address_space:  global
        .offset:         48
        .size:           8
        .value_kind:     global_buffer
      - .offset:         56
        .size:           4
        .value_kind:     by_value
      - .offset:         64
        .size:           8
        .value_kind:     by_value
      - .address_space:  global
        .offset:         72
        .size:           8
        .value_kind:     global_buffer
      - .address_space:  global
        .offset:         80
        .size:           8
        .value_kind:     global_buffer
      - .offset:         88
        .size:           4
        .value_kind:     by_value
      - .offset:         96
        .size:           8
        .value_kind:     by_value
      - .address_space:  global
        .offset:         104
        .size:           8
        .value_kind:     global_buffer
      - .offset:         112
        .size:           4
        .value_kind:     by_value
      - .offset:         120
        .size:           8
        .value_kind:     by_value
      - .offset:         128
        .size:           4
        .value_kind:     by_value
      - .offset:         132
        .size:           4
        .value_kind:     by_value
    .group_segment_fixed_size: 10240
    .kernarg_segment_align: 8
    .kernarg_segment_size: 136
    .language:       OpenCL C
    .language_version:
      - 2
      - 0
    .max_flat_workgroup_size: 256
    .name:           _ZN12_GLOBAL__N_120geam_min_plus_kernelIf15HIP_vector_typeIfLj2EEfLi8ELi32ELi64ELi256ELi4ELi4ELi64ELi64ELi4ELc84ELc84ELb0ELb1ELb1EPKfKS4_KPfEEviiiT16_PT17_ilSA_ilS8_SA_ilPT18_ili26rocblas_geam_ex_operation_
    .private_segment_fixed_size: 0
    .sgpr_count:     46
    .sgpr_spill_count: 0
    .symbol:         _ZN12_GLOBAL__N_120geam_min_plus_kernelIf15HIP_vector_typeIfLj2EEfLi8ELi32ELi64ELi256ELi4ELi4ELi64ELi64ELi4ELc84ELc84ELb0ELb1ELb1EPKfKS4_KPfEEviiiT16_PT17_ilSA_ilS8_SA_ilPT18_ili26rocblas_geam_ex_operation_.kd
    .uniform_work_group_size: 1
    .uses_dynamic_stack: false
    .vgpr_count:     172
    .vgpr_spill_count: 0
    .wavefront_size: 64
  - .agpr_count:     0
    .args:
      - .offset:         0
        .size:           4
        .value_kind:     by_value
      - .offset:         4
        .size:           4
        .value_kind:     by_value
      - .offset:         8
        .size:           4
        .value_kind:     by_value
      - .offset:         12
        .size:           4
        .value_kind:     by_value
      - .address_space:  global
        .offset:         16
        .size:           8
        .value_kind:     global_buffer
      - .offset:         24
        .size:           4
        .value_kind:     by_value
      - .offset:         32
        .size:           8
        .value_kind:     by_value
      - .address_space:  global
        .offset:         40
        .size:           8
        .value_kind:     global_buffer
      - .offset:         48
        .size:           4
        .value_kind:     by_value
      - .offset:         56
        .size:           8
        .value_kind:     by_value
      - .offset:         64
        .size:           4
        .value_kind:     by_value
      - .address_space:  global
        .offset:         72
        .size:           8
        .value_kind:     global_buffer
      - .offset:         80
        .size:           4
        .value_kind:     by_value
      - .offset:         88
        .size:           8
        .value_kind:     by_value
      - .address_space:  global
        .offset:         96
        .size:           8
        .value_kind:     global_buffer
      - .offset:         104
        .size:           4
        .value_kind:     by_value
      - .offset:         112
        .size:           8
        .value_kind:     by_value
      - .offset:         120
        .size:           4
        .value_kind:     by_value
      - .offset:         124
        .size:           4
        .value_kind:     by_value
    .group_segment_fixed_size: 10240
    .kernarg_segment_align: 8
    .kernarg_segment_size: 128
    .language:       OpenCL C
    .language_version:
      - 2
      - 0
    .max_flat_workgroup_size: 256
    .name:           _ZN12_GLOBAL__N_120geam_min_plus_kernelIf15HIP_vector_typeIfLj2EEfLi8ELi32ELi64ELi256ELi4ELi4ELi64ELi64ELi4ELc84ELc84ELb1ELb1ELb1EfKPKfKPfEEviiiT16_PT17_ilSA_ilS8_SA_ilPT18_ili26rocblas_geam_ex_operation_
    .private_segment_fixed_size: 0
    .sgpr_count:     46
    .sgpr_spill_count: 0
    .symbol:         _ZN12_GLOBAL__N_120geam_min_plus_kernelIf15HIP_vector_typeIfLj2EEfLi8ELi32ELi64ELi256ELi4ELi4ELi64ELi64ELi4ELc84ELc84ELb1ELb1ELb1EfKPKfKPfEEviiiT16_PT17_ilSA_ilS8_SA_ilPT18_ili26rocblas_geam_ex_operation_.kd
    .uniform_work_group_size: 1
    .uses_dynamic_stack: false
    .vgpr_count:     176
    .vgpr_spill_count: 0
    .wavefront_size: 64
  - .agpr_count:     0
    .args:
      - .offset:         0
        .size:           4
        .value_kind:     by_value
      - .offset:         4
        .size:           4
        .value_kind:     by_value
      - .offset:         8
        .size:           4
        .value_kind:     by_value
      - .offset:         12
        .size:           4
        .value_kind:     by_value
      - .address_space:  global
        .offset:         16
        .size:           8
        .value_kind:     global_buffer
      - .offset:         24
        .size:           4
        .value_kind:     by_value
      - .offset:         32
        .size:           8
        .value_kind:     by_value
      - .address_space:  global
        .offset:         40
        .size:           8
        .value_kind:     global_buffer
      - .offset:         48
        .size:           4
        .value_kind:     by_value
      - .offset:         56
        .size:           8
        .value_kind:     by_value
      - .offset:         64
        .size:           4
        .value_kind:     by_value
      - .address_space:  global
        .offset:         72
        .size:           8
        .value_kind:     global_buffer
      - .offset:         80
        .size:           4
        .value_kind:     by_value
      - .offset:         88
        .size:           8
        .value_kind:     by_value
      - .address_space:  global
        .offset:         96
        .size:           8
        .value_kind:     global_buffer
      - .offset:         104
        .size:           4
        .value_kind:     by_value
      - .offset:         112
        .size:           8
        .value_kind:     by_value
      - .offset:         120
        .size:           4
        .value_kind:     by_value
      - .offset:         124
        .size:           4
        .value_kind:     by_value
    .group_segment_fixed_size: 10240
    .kernarg_segment_align: 8
    .kernarg_segment_size: 128
    .language:       OpenCL C
    .language_version:
      - 2
      - 0
    .max_flat_workgroup_size: 256
    .name:           _ZN12_GLOBAL__N_120geam_min_plus_kernelIf15HIP_vector_typeIfLj2EEfLi8ELi32ELi64ELi256ELi4ELi4ELi64ELi64ELi4ELc84ELc84ELb0ELb1ELb1EfKPKfKPfEEviiiT16_PT17_ilSA_ilS8_SA_ilPT18_ili26rocblas_geam_ex_operation_
    .private_segment_fixed_size: 0
    .sgpr_count:     46
    .sgpr_spill_count: 0
    .symbol:         _ZN12_GLOBAL__N_120geam_min_plus_kernelIf15HIP_vector_typeIfLj2EEfLi8ELi32ELi64ELi256ELi4ELi4ELi64ELi64ELi4ELc84ELc84ELb0ELb1ELb1EfKPKfKPfEEviiiT16_PT17_ilSA_ilS8_SA_ilPT18_ili26rocblas_geam_ex_operation_.kd
    .uniform_work_group_size: 1
    .uses_dynamic_stack: false
    .vgpr_count:     172
    .vgpr_spill_count: 0
    .wavefront_size: 64
  - .agpr_count:     0
    .args:
      - .offset:         0
        .size:           4
        .value_kind:     by_value
      - .offset:         4
        .size:           4
        .value_kind:     by_value
      - .offset:         8
        .size:           4
        .value_kind:     by_value
      - .address_space:  global
        .offset:         16
        .size:           8
        .value_kind:     global_buffer
      - .address_space:  global
        .offset:         24
        .size:           8
        .value_kind:     global_buffer
      - .offset:         32
        .size:           4
        .value_kind:     by_value
      - .offset:         40
        .size:           8
        .value_kind:     by_value
      - .address_space:  global
        .offset:         48
        .size:           8
        .value_kind:     global_buffer
      - .offset:         56
        .size:           4
        .value_kind:     by_value
      - .offset:         64
        .size:           8
        .value_kind:     by_value
      - .address_space:  global
        .offset:         72
        .size:           8
        .value_kind:     global_buffer
      - .address_space:  global
        .offset:         80
        .size:           8
        .value_kind:     global_buffer
      - .offset:         88
        .size:           4
        .value_kind:     by_value
      - .offset:         96
        .size:           8
        .value_kind:     by_value
      - .address_space:  global
        .offset:         104
        .size:           8
        .value_kind:     global_buffer
      - .offset:         112
        .size:           4
        .value_kind:     by_value
      - .offset:         120
        .size:           8
        .value_kind:     by_value
      - .offset:         128
        .size:           4
        .value_kind:     by_value
      - .offset:         132
        .size:           4
        .value_kind:     by_value
    .group_segment_fixed_size: 6144
    .kernarg_segment_align: 8
    .kernarg_segment_size: 136
    .language:       OpenCL C
    .language_version:
      - 2
      - 0
    .max_flat_workgroup_size: 256
    .name:           _ZN12_GLOBAL__N_120geam_min_plus_kernelIf15HIP_vector_typeIfLj2EES2_Li8ELi32ELi64ELi128ELi4ELi64ELi4ELi4ELi64ELc78ELc78ELb0ELb0ELb0EPKfKS4_KPfEEviiiT16_PT17_ilSA_ilS8_SA_ilPT18_ili26rocblas_geam_ex_operation_
    .private_segment_fixed_size: 0
    .sgpr_count:     33
    .sgpr_spill_count: 0
    .symbol:         _ZN12_GLOBAL__N_120geam_min_plus_kernelIf15HIP_vector_typeIfLj2EES2_Li8ELi32ELi64ELi128ELi4ELi64ELi4ELi4ELi64ELc78ELc78ELb0ELb0ELb0EPKfKS4_KPfEEviiiT16_PT17_ilSA_ilS8_SA_ilPT18_ili26rocblas_geam_ex_operation_.kd
    .uniform_work_group_size: 1
    .uses_dynamic_stack: false
    .vgpr_count:     227
    .vgpr_spill_count: 0
    .wavefront_size: 64
  - .agpr_count:     0
    .args:
      - .offset:         0
        .size:           4
        .value_kind:     by_value
      - .offset:         4
        .size:           4
        .value_kind:     by_value
      - .offset:         8
        .size:           4
        .value_kind:     by_value
      - .offset:         12
        .size:           4
        .value_kind:     by_value
      - .address_space:  global
        .offset:         16
        .size:           8
        .value_kind:     global_buffer
      - .offset:         24
        .size:           4
        .value_kind:     by_value
      - .offset:         32
        .size:           8
        .value_kind:     by_value
      - .address_space:  global
        .offset:         40
        .size:           8
        .value_kind:     global_buffer
      - .offset:         48
        .size:           4
        .value_kind:     by_value
      - .offset:         56
        .size:           8
        .value_kind:     by_value
      - .offset:         64
        .size:           4
        .value_kind:     by_value
      - .address_space:  global
        .offset:         72
        .size:           8
        .value_kind:     global_buffer
      - .offset:         80
        .size:           4
        .value_kind:     by_value
      - .offset:         88
        .size:           8
        .value_kind:     by_value
      - .address_space:  global
        .offset:         96
        .size:           8
        .value_kind:     global_buffer
      - .offset:         104
        .size:           4
        .value_kind:     by_value
      - .offset:         112
        .size:           8
        .value_kind:     by_value
      - .offset:         120
        .size:           4
        .value_kind:     by_value
      - .offset:         124
        .size:           4
        .value_kind:     by_value
    .group_segment_fixed_size: 6144
    .kernarg_segment_align: 8
    .kernarg_segment_size: 128
    .language:       OpenCL C
    .language_version:
      - 2
      - 0
    .max_flat_workgroup_size: 256
    .name:           _ZN12_GLOBAL__N_120geam_min_plus_kernelIf15HIP_vector_typeIfLj2EES2_Li8ELi32ELi64ELi128ELi4ELi64ELi4ELi4ELi64ELc78ELc78ELb1ELb0ELb0EfKPKfKPfEEviiiT16_PT17_ilSA_ilS8_SA_ilPT18_ili26rocblas_geam_ex_operation_
    .private_segment_fixed_size: 0
    .sgpr_count:     28
    .sgpr_spill_count: 0
    .symbol:         _ZN12_GLOBAL__N_120geam_min_plus_kernelIf15HIP_vector_typeIfLj2EES2_Li8ELi32ELi64ELi128ELi4ELi64ELi4ELi4ELi64ELc78ELc78ELb1ELb0ELb0EfKPKfKPfEEviiiT16_PT17_ilSA_ilS8_SA_ilPT18_ili26rocblas_geam_ex_operation_.kd
    .uniform_work_group_size: 1
    .uses_dynamic_stack: false
    .vgpr_count:     156
    .vgpr_spill_count: 0
    .wavefront_size: 64
  - .agpr_count:     0
    .args:
      - .offset:         0
        .size:           4
        .value_kind:     by_value
      - .offset:         4
        .size:           4
        .value_kind:     by_value
      - .offset:         8
        .size:           4
        .value_kind:     by_value
      - .offset:         12
        .size:           4
        .value_kind:     by_value
      - .address_space:  global
        .offset:         16
        .size:           8
        .value_kind:     global_buffer
      - .offset:         24
        .size:           4
        .value_kind:     by_value
      - .offset:         32
        .size:           8
        .value_kind:     by_value
      - .address_space:  global
        .offset:         40
        .size:           8
        .value_kind:     global_buffer
      - .offset:         48
        .size:           4
        .value_kind:     by_value
      - .offset:         56
        .size:           8
        .value_kind:     by_value
      - .offset:         64
        .size:           4
        .value_kind:     by_value
      - .address_space:  global
        .offset:         72
        .size:           8
        .value_kind:     global_buffer
      - .offset:         80
        .size:           4
        .value_kind:     by_value
      - .offset:         88
        .size:           8
        .value_kind:     by_value
      - .address_space:  global
        .offset:         96
        .size:           8
        .value_kind:     global_buffer
      - .offset:         104
        .size:           4
        .value_kind:     by_value
      - .offset:         112
        .size:           8
        .value_kind:     by_value
      - .offset:         120
        .size:           4
        .value_kind:     by_value
      - .offset:         124
        .size:           4
        .value_kind:     by_value
    .group_segment_fixed_size: 6144
    .kernarg_segment_align: 8
    .kernarg_segment_size: 128
    .language:       OpenCL C
    .language_version:
      - 2
      - 0
    .max_flat_workgroup_size: 256
    .name:           _ZN12_GLOBAL__N_120geam_min_plus_kernelIf15HIP_vector_typeIfLj2EES2_Li8ELi32ELi64ELi128ELi4ELi64ELi4ELi4ELi64ELc78ELc78ELb0ELb0ELb0EfKPKfKPfEEviiiT16_PT17_ilSA_ilS8_SA_ilPT18_ili26rocblas_geam_ex_operation_
    .private_segment_fixed_size: 0
    .sgpr_count:     34
    .sgpr_spill_count: 0
    .symbol:         _ZN12_GLOBAL__N_120geam_min_plus_kernelIf15HIP_vector_typeIfLj2EES2_Li8ELi32ELi64ELi128ELi4ELi64ELi4ELi4ELi64ELc78ELc78ELb0ELb0ELb0EfKPKfKPfEEviiiT16_PT17_ilSA_ilS8_SA_ilPT18_ili26rocblas_geam_ex_operation_.kd
    .uniform_work_group_size: 1
    .uses_dynamic_stack: false
    .vgpr_count:     227
    .vgpr_spill_count: 0
    .wavefront_size: 64
  - .agpr_count:     0
    .args:
      - .offset:         0
        .size:           4
        .value_kind:     by_value
      - .offset:         4
        .size:           4
        .value_kind:     by_value
      - .offset:         8
        .size:           4
        .value_kind:     by_value
      - .address_space:  global
        .offset:         16
        .size:           8
        .value_kind:     global_buffer
      - .address_space:  global
        .offset:         24
        .size:           8
        .value_kind:     global_buffer
      - .offset:         32
        .size:           4
        .value_kind:     by_value
      - .offset:         40
        .size:           8
        .value_kind:     by_value
      - .address_space:  global
        .offset:         48
        .size:           8
        .value_kind:     global_buffer
      - .offset:         56
        .size:           4
        .value_kind:     by_value
      - .offset:         64
        .size:           8
        .value_kind:     by_value
      - .address_space:  global
        .offset:         72
        .size:           8
        .value_kind:     global_buffer
      - .address_space:  global
        .offset:         80
        .size:           8
        .value_kind:     global_buffer
      - .offset:         88
        .size:           4
        .value_kind:     by_value
      - .offset:         96
        .size:           8
        .value_kind:     by_value
      - .address_space:  global
        .offset:         104
        .size:           8
        .value_kind:     global_buffer
      - .offset:         112
        .size:           4
        .value_kind:     by_value
      - .offset:         120
        .size:           8
        .value_kind:     by_value
      - .offset:         128
        .size:           4
        .value_kind:     by_value
      - .offset:         132
        .size:           4
        .value_kind:     by_value
    .group_segment_fixed_size: 6144
    .kernarg_segment_align: 8
    .kernarg_segment_size: 136
    .language:       OpenCL C
    .language_version:
      - 2
      - 0
    .max_flat_workgroup_size: 256
    .name:           _ZN12_GLOBAL__N_120geam_min_plus_kernelIf15HIP_vector_typeIfLj2EES2_Li8ELi32ELi64ELi128ELi4ELi64ELi4ELi4ELi64ELc78ELc78ELb0ELb1ELb0EPKfKS4_KPfEEviiiT16_PT17_ilSA_ilS8_SA_ilPT18_ili26rocblas_geam_ex_operation_
    .private_segment_fixed_size: 0
    .sgpr_count:     42
    .sgpr_spill_count: 0
    .symbol:         _ZN12_GLOBAL__N_120geam_min_plus_kernelIf15HIP_vector_typeIfLj2EES2_Li8ELi32ELi64ELi128ELi4ELi64ELi4ELi4ELi64ELc78ELc78ELb0ELb1ELb0EPKfKS4_KPfEEviiiT16_PT17_ilSA_ilS8_SA_ilPT18_ili26rocblas_geam_ex_operation_.kd
    .uniform_work_group_size: 1
    .uses_dynamic_stack: false
    .vgpr_count:     226
    .vgpr_spill_count: 0
    .wavefront_size: 64
  - .agpr_count:     0
    .args:
      - .offset:         0
        .size:           4
        .value_kind:     by_value
      - .offset:         4
        .size:           4
        .value_kind:     by_value
      - .offset:         8
        .size:           4
        .value_kind:     by_value
      - .offset:         12
        .size:           4
        .value_kind:     by_value
      - .address_space:  global
        .offset:         16
        .size:           8
        .value_kind:     global_buffer
      - .offset:         24
        .size:           4
        .value_kind:     by_value
      - .offset:         32
        .size:           8
        .value_kind:     by_value
      - .address_space:  global
        .offset:         40
        .size:           8
        .value_kind:     global_buffer
      - .offset:         48
        .size:           4
        .value_kind:     by_value
      - .offset:         56
        .size:           8
        .value_kind:     by_value
      - .offset:         64
        .size:           4
        .value_kind:     by_value
      - .address_space:  global
        .offset:         72
        .size:           8
        .value_kind:     global_buffer
      - .offset:         80
        .size:           4
        .value_kind:     by_value
      - .offset:         88
        .size:           8
        .value_kind:     by_value
      - .address_space:  global
        .offset:         96
        .size:           8
        .value_kind:     global_buffer
      - .offset:         104
        .size:           4
        .value_kind:     by_value
      - .offset:         112
        .size:           8
        .value_kind:     by_value
      - .offset:         120
        .size:           4
        .value_kind:     by_value
      - .offset:         124
        .size:           4
        .value_kind:     by_value
    .group_segment_fixed_size: 6144
    .kernarg_segment_align: 8
    .kernarg_segment_size: 128
    .language:       OpenCL C
    .language_version:
      - 2
      - 0
    .max_flat_workgroup_size: 256
    .name:           _ZN12_GLOBAL__N_120geam_min_plus_kernelIf15HIP_vector_typeIfLj2EES2_Li8ELi32ELi64ELi128ELi4ELi64ELi4ELi4ELi64ELc78ELc78ELb1ELb1ELb0EfKPKfKPfEEviiiT16_PT17_ilSA_ilS8_SA_ilPT18_ili26rocblas_geam_ex_operation_
    .private_segment_fixed_size: 0
    .sgpr_count:     42
    .sgpr_spill_count: 0
    .symbol:         _ZN12_GLOBAL__N_120geam_min_plus_kernelIf15HIP_vector_typeIfLj2EES2_Li8ELi32ELi64ELi128ELi4ELi64ELi4ELi4ELi64ELc78ELc78ELb1ELb1ELb0EfKPKfKPfEEviiiT16_PT17_ilSA_ilS8_SA_ilPT18_ili26rocblas_geam_ex_operation_.kd
    .uniform_work_group_size: 1
    .uses_dynamic_stack: false
    .vgpr_count:     227
    .vgpr_spill_count: 0
    .wavefront_size: 64
  - .agpr_count:     0
    .args:
      - .offset:         0
        .size:           4
        .value_kind:     by_value
      - .offset:         4
        .size:           4
        .value_kind:     by_value
      - .offset:         8
        .size:           4
        .value_kind:     by_value
      - .offset:         12
        .size:           4
        .value_kind:     by_value
      - .address_space:  global
        .offset:         16
        .size:           8
        .value_kind:     global_buffer
      - .offset:         24
        .size:           4
        .value_kind:     by_value
      - .offset:         32
        .size:           8
        .value_kind:     by_value
      - .address_space:  global
        .offset:         40
        .size:           8
        .value_kind:     global_buffer
      - .offset:         48
        .size:           4
        .value_kind:     by_value
      - .offset:         56
        .size:           8
        .value_kind:     by_value
      - .offset:         64
        .size:           4
        .value_kind:     by_value
      - .address_space:  global
        .offset:         72
        .size:           8
        .value_kind:     global_buffer
      - .offset:         80
        .size:           4
        .value_kind:     by_value
      - .offset:         88
        .size:           8
        .value_kind:     by_value
      - .address_space:  global
        .offset:         96
        .size:           8
        .value_kind:     global_buffer
      - .offset:         104
        .size:           4
        .value_kind:     by_value
      - .offset:         112
        .size:           8
        .value_kind:     by_value
      - .offset:         120
        .size:           4
        .value_kind:     by_value
      - .offset:         124
        .size:           4
        .value_kind:     by_value
    .group_segment_fixed_size: 6144
    .kernarg_segment_align: 8
    .kernarg_segment_size: 128
    .language:       OpenCL C
    .language_version:
      - 2
      - 0
    .max_flat_workgroup_size: 256
    .name:           _ZN12_GLOBAL__N_120geam_min_plus_kernelIf15HIP_vector_typeIfLj2EES2_Li8ELi32ELi64ELi128ELi4ELi64ELi4ELi4ELi64ELc78ELc78ELb0ELb1ELb0EfKPKfKPfEEviiiT16_PT17_ilSA_ilS8_SA_ilPT18_ili26rocblas_geam_ex_operation_
    .private_segment_fixed_size: 0
    .sgpr_count:     42
    .sgpr_spill_count: 0
    .symbol:         _ZN12_GLOBAL__N_120geam_min_plus_kernelIf15HIP_vector_typeIfLj2EES2_Li8ELi32ELi64ELi128ELi4ELi64ELi4ELi4ELi64ELc78ELc78ELb0ELb1ELb0EfKPKfKPfEEviiiT16_PT17_ilSA_ilS8_SA_ilPT18_ili26rocblas_geam_ex_operation_.kd
    .uniform_work_group_size: 1
    .uses_dynamic_stack: false
    .vgpr_count:     226
    .vgpr_spill_count: 0
    .wavefront_size: 64
  - .agpr_count:     0
    .args:
      - .offset:         0
        .size:           4
        .value_kind:     by_value
      - .offset:         4
        .size:           4
        .value_kind:     by_value
      - .offset:         8
        .size:           4
        .value_kind:     by_value
      - .address_space:  global
        .offset:         16
        .size:           8
        .value_kind:     global_buffer
      - .address_space:  global
        .offset:         24
        .size:           8
        .value_kind:     global_buffer
      - .offset:         32
        .size:           4
        .value_kind:     by_value
      - .offset:         40
        .size:           8
        .value_kind:     by_value
      - .address_space:  global
        .offset:         48
        .size:           8
        .value_kind:     global_buffer
      - .offset:         56
        .size:           4
        .value_kind:     by_value
      - .offset:         64
        .size:           8
        .value_kind:     by_value
      - .address_space:  global
        .offset:         72
        .size:           8
        .value_kind:     global_buffer
      - .address_space:  global
        .offset:         80
        .size:           8
        .value_kind:     global_buffer
      - .offset:         88
        .size:           4
        .value_kind:     by_value
      - .offset:         96
        .size:           8
        .value_kind:     by_value
      - .address_space:  global
        .offset:         104
        .size:           8
        .value_kind:     global_buffer
      - .offset:         112
        .size:           4
        .value_kind:     by_value
      - .offset:         120
        .size:           8
        .value_kind:     by_value
      - .offset:         128
        .size:           4
        .value_kind:     by_value
      - .offset:         132
        .size:           4
        .value_kind:     by_value
    .group_segment_fixed_size: 6144
    .kernarg_segment_align: 8
    .kernarg_segment_size: 136
    .language:       OpenCL C
    .language_version:
      - 2
      - 0
    .max_flat_workgroup_size: 256
    .name:           _ZN12_GLOBAL__N_120geam_min_plus_kernelIf15HIP_vector_typeIfLj2EES2_Li8ELi32ELi64ELi128ELi4ELi4ELi64ELi4ELi64ELc84ELc78ELb0ELb0ELb0EPKfKS4_KPfEEviiiT16_PT17_ilSA_ilS8_SA_ilPT18_ili26rocblas_geam_ex_operation_
    .private_segment_fixed_size: 0
    .sgpr_count:     32
    .sgpr_spill_count: 0
    .symbol:         _ZN12_GLOBAL__N_120geam_min_plus_kernelIf15HIP_vector_typeIfLj2EES2_Li8ELi32ELi64ELi128ELi4ELi4ELi64ELi4ELi64ELc84ELc78ELb0ELb0ELb0EPKfKS4_KPfEEviiiT16_PT17_ilSA_ilS8_SA_ilPT18_ili26rocblas_geam_ex_operation_.kd
    .uniform_work_group_size: 1
    .uses_dynamic_stack: false
    .vgpr_count:     223
    .vgpr_spill_count: 0
    .wavefront_size: 64
  - .agpr_count:     0
    .args:
      - .offset:         0
        .size:           4
        .value_kind:     by_value
      - .offset:         4
        .size:           4
        .value_kind:     by_value
      - .offset:         8
        .size:           4
        .value_kind:     by_value
      - .offset:         12
        .size:           4
        .value_kind:     by_value
      - .address_space:  global
        .offset:         16
        .size:           8
        .value_kind:     global_buffer
      - .offset:         24
        .size:           4
        .value_kind:     by_value
      - .offset:         32
        .size:           8
        .value_kind:     by_value
      - .address_space:  global
        .offset:         40
        .size:           8
        .value_kind:     global_buffer
      - .offset:         48
        .size:           4
        .value_kind:     by_value
      - .offset:         56
        .size:           8
        .value_kind:     by_value
      - .offset:         64
        .size:           4
        .value_kind:     by_value
      - .address_space:  global
        .offset:         72
        .size:           8
        .value_kind:     global_buffer
      - .offset:         80
        .size:           4
        .value_kind:     by_value
      - .offset:         88
        .size:           8
        .value_kind:     by_value
      - .address_space:  global
        .offset:         96
        .size:           8
        .value_kind:     global_buffer
      - .offset:         104
        .size:           4
        .value_kind:     by_value
      - .offset:         112
        .size:           8
        .value_kind:     by_value
      - .offset:         120
        .size:           4
        .value_kind:     by_value
      - .offset:         124
        .size:           4
        .value_kind:     by_value
    .group_segment_fixed_size: 6144
    .kernarg_segment_align: 8
    .kernarg_segment_size: 128
    .language:       OpenCL C
    .language_version:
      - 2
      - 0
    .max_flat_workgroup_size: 256
    .name:           _ZN12_GLOBAL__N_120geam_min_plus_kernelIf15HIP_vector_typeIfLj2EES2_Li8ELi32ELi64ELi128ELi4ELi4ELi64ELi4ELi64ELc84ELc78ELb1ELb0ELb0EfKPKfKPfEEviiiT16_PT17_ilSA_ilS8_SA_ilPT18_ili26rocblas_geam_ex_operation_
    .private_segment_fixed_size: 0
    .sgpr_count:     28
    .sgpr_spill_count: 0
    .symbol:         _ZN12_GLOBAL__N_120geam_min_plus_kernelIf15HIP_vector_typeIfLj2EES2_Li8ELi32ELi64ELi128ELi4ELi4ELi64ELi4ELi64ELc84ELc78ELb1ELb0ELb0EfKPKfKPfEEviiiT16_PT17_ilSA_ilS8_SA_ilPT18_ili26rocblas_geam_ex_operation_.kd
    .uniform_work_group_size: 1
    .uses_dynamic_stack: false
    .vgpr_count:     162
    .vgpr_spill_count: 0
    .wavefront_size: 64
  - .agpr_count:     0
    .args:
      - .offset:         0
        .size:           4
        .value_kind:     by_value
      - .offset:         4
        .size:           4
        .value_kind:     by_value
      - .offset:         8
        .size:           4
        .value_kind:     by_value
      - .offset:         12
        .size:           4
        .value_kind:     by_value
      - .address_space:  global
        .offset:         16
        .size:           8
        .value_kind:     global_buffer
      - .offset:         24
        .size:           4
        .value_kind:     by_value
      - .offset:         32
        .size:           8
        .value_kind:     by_value
      - .address_space:  global
        .offset:         40
        .size:           8
        .value_kind:     global_buffer
      - .offset:         48
        .size:           4
        .value_kind:     by_value
      - .offset:         56
        .size:           8
        .value_kind:     by_value
      - .offset:         64
        .size:           4
        .value_kind:     by_value
      - .address_space:  global
        .offset:         72
        .size:           8
        .value_kind:     global_buffer
      - .offset:         80
        .size:           4
        .value_kind:     by_value
      - .offset:         88
        .size:           8
        .value_kind:     by_value
      - .address_space:  global
        .offset:         96
        .size:           8
        .value_kind:     global_buffer
      - .offset:         104
        .size:           4
        .value_kind:     by_value
      - .offset:         112
        .size:           8
        .value_kind:     by_value
      - .offset:         120
        .size:           4
        .value_kind:     by_value
      - .offset:         124
        .size:           4
        .value_kind:     by_value
    .group_segment_fixed_size: 6144
    .kernarg_segment_align: 8
    .kernarg_segment_size: 128
    .language:       OpenCL C
    .language_version:
      - 2
      - 0
    .max_flat_workgroup_size: 256
    .name:           _ZN12_GLOBAL__N_120geam_min_plus_kernelIf15HIP_vector_typeIfLj2EES2_Li8ELi32ELi64ELi128ELi4ELi4ELi64ELi4ELi64ELc84ELc78ELb0ELb0ELb0EfKPKfKPfEEviiiT16_PT17_ilSA_ilS8_SA_ilPT18_ili26rocblas_geam_ex_operation_
    .private_segment_fixed_size: 0
    .sgpr_count:     32
    .sgpr_spill_count: 0
    .symbol:         _ZN12_GLOBAL__N_120geam_min_plus_kernelIf15HIP_vector_typeIfLj2EES2_Li8ELi32ELi64ELi128ELi4ELi4ELi64ELi4ELi64ELc84ELc78ELb0ELb0ELb0EfKPKfKPfEEviiiT16_PT17_ilSA_ilS8_SA_ilPT18_ili26rocblas_geam_ex_operation_.kd
    .uniform_work_group_size: 1
    .uses_dynamic_stack: false
    .vgpr_count:     223
    .vgpr_spill_count: 0
    .wavefront_size: 64
  - .agpr_count:     0
    .args:
      - .offset:         0
        .size:           4
        .value_kind:     by_value
      - .offset:         4
        .size:           4
        .value_kind:     by_value
      - .offset:         8
        .size:           4
        .value_kind:     by_value
      - .address_space:  global
        .offset:         16
        .size:           8
        .value_kind:     global_buffer
      - .address_space:  global
        .offset:         24
        .size:           8
        .value_kind:     global_buffer
      - .offset:         32
        .size:           4
        .value_kind:     by_value
      - .offset:         40
        .size:           8
        .value_kind:     by_value
      - .address_space:  global
        .offset:         48
        .size:           8
        .value_kind:     global_buffer
      - .offset:         56
        .size:           4
        .value_kind:     by_value
      - .offset:         64
        .size:           8
        .value_kind:     by_value
      - .address_space:  global
        .offset:         72
        .size:           8
        .value_kind:     global_buffer
      - .address_space:  global
        .offset:         80
        .size:           8
        .value_kind:     global_buffer
      - .offset:         88
        .size:           4
        .value_kind:     by_value
      - .offset:         96
        .size:           8
        .value_kind:     by_value
      - .address_space:  global
        .offset:         104
        .size:           8
        .value_kind:     global_buffer
      - .offset:         112
        .size:           4
        .value_kind:     by_value
      - .offset:         120
        .size:           8
        .value_kind:     by_value
      - .offset:         128
        .size:           4
        .value_kind:     by_value
      - .offset:         132
        .size:           4
        .value_kind:     by_value
    .group_segment_fixed_size: 6144
    .kernarg_segment_align: 8
    .kernarg_segment_size: 136
    .language:       OpenCL C
    .language_version:
      - 2
      - 0
    .max_flat_workgroup_size: 256
    .name:           _ZN12_GLOBAL__N_120geam_min_plus_kernelIf15HIP_vector_typeIfLj2EES2_Li8ELi32ELi64ELi128ELi4ELi4ELi64ELi4ELi64ELc84ELc78ELb0ELb1ELb0EPKfKS4_KPfEEviiiT16_PT17_ilSA_ilS8_SA_ilPT18_ili26rocblas_geam_ex_operation_
    .private_segment_fixed_size: 0
    .sgpr_count:     44
    .sgpr_spill_count: 0
    .symbol:         _ZN12_GLOBAL__N_120geam_min_plus_kernelIf15HIP_vector_typeIfLj2EES2_Li8ELi32ELi64ELi128ELi4ELi4ELi64ELi4ELi64ELc84ELc78ELb0ELb1ELb0EPKfKS4_KPfEEviiiT16_PT17_ilSA_ilS8_SA_ilPT18_ili26rocblas_geam_ex_operation_.kd
    .uniform_work_group_size: 1
    .uses_dynamic_stack: false
    .vgpr_count:     220
    .vgpr_spill_count: 0
    .wavefront_size: 64
  - .agpr_count:     0
    .args:
      - .offset:         0
        .size:           4
        .value_kind:     by_value
      - .offset:         4
        .size:           4
        .value_kind:     by_value
      - .offset:         8
        .size:           4
        .value_kind:     by_value
      - .offset:         12
        .size:           4
        .value_kind:     by_value
      - .address_space:  global
        .offset:         16
        .size:           8
        .value_kind:     global_buffer
      - .offset:         24
        .size:           4
        .value_kind:     by_value
      - .offset:         32
        .size:           8
        .value_kind:     by_value
      - .address_space:  global
        .offset:         40
        .size:           8
        .value_kind:     global_buffer
      - .offset:         48
        .size:           4
        .value_kind:     by_value
      - .offset:         56
        .size:           8
        .value_kind:     by_value
      - .offset:         64
        .size:           4
        .value_kind:     by_value
      - .address_space:  global
        .offset:         72
        .size:           8
        .value_kind:     global_buffer
      - .offset:         80
        .size:           4
        .value_kind:     by_value
      - .offset:         88
        .size:           8
        .value_kind:     by_value
      - .address_space:  global
        .offset:         96
        .size:           8
        .value_kind:     global_buffer
      - .offset:         104
        .size:           4
        .value_kind:     by_value
      - .offset:         112
        .size:           8
        .value_kind:     by_value
      - .offset:         120
        .size:           4
        .value_kind:     by_value
      - .offset:         124
        .size:           4
        .value_kind:     by_value
    .group_segment_fixed_size: 6144
    .kernarg_segment_align: 8
    .kernarg_segment_size: 128
    .language:       OpenCL C
    .language_version:
      - 2
      - 0
    .max_flat_workgroup_size: 256
    .name:           _ZN12_GLOBAL__N_120geam_min_plus_kernelIf15HIP_vector_typeIfLj2EES2_Li8ELi32ELi64ELi128ELi4ELi4ELi64ELi4ELi64ELc84ELc78ELb1ELb1ELb0EfKPKfKPfEEviiiT16_PT17_ilSA_ilS8_SA_ilPT18_ili26rocblas_geam_ex_operation_
    .private_segment_fixed_size: 0
    .sgpr_count:     42
    .sgpr_spill_count: 0
    .symbol:         _ZN12_GLOBAL__N_120geam_min_plus_kernelIf15HIP_vector_typeIfLj2EES2_Li8ELi32ELi64ELi128ELi4ELi4ELi64ELi4ELi64ELc84ELc78ELb1ELb1ELb0EfKPKfKPfEEviiiT16_PT17_ilSA_ilS8_SA_ilPT18_ili26rocblas_geam_ex_operation_.kd
    .uniform_work_group_size: 1
    .uses_dynamic_stack: false
    .vgpr_count:     222
    .vgpr_spill_count: 0
    .wavefront_size: 64
  - .agpr_count:     0
    .args:
      - .offset:         0
        .size:           4
        .value_kind:     by_value
      - .offset:         4
        .size:           4
        .value_kind:     by_value
      - .offset:         8
        .size:           4
        .value_kind:     by_value
      - .offset:         12
        .size:           4
        .value_kind:     by_value
      - .address_space:  global
        .offset:         16
        .size:           8
        .value_kind:     global_buffer
      - .offset:         24
        .size:           4
        .value_kind:     by_value
      - .offset:         32
        .size:           8
        .value_kind:     by_value
      - .address_space:  global
        .offset:         40
        .size:           8
        .value_kind:     global_buffer
      - .offset:         48
        .size:           4
        .value_kind:     by_value
      - .offset:         56
        .size:           8
        .value_kind:     by_value
      - .offset:         64
        .size:           4
        .value_kind:     by_value
      - .address_space:  global
        .offset:         72
        .size:           8
        .value_kind:     global_buffer
      - .offset:         80
        .size:           4
        .value_kind:     by_value
      - .offset:         88
        .size:           8
        .value_kind:     by_value
      - .address_space:  global
        .offset:         96
        .size:           8
        .value_kind:     global_buffer
      - .offset:         104
        .size:           4
        .value_kind:     by_value
      - .offset:         112
        .size:           8
        .value_kind:     by_value
      - .offset:         120
        .size:           4
        .value_kind:     by_value
      - .offset:         124
        .size:           4
        .value_kind:     by_value
    .group_segment_fixed_size: 6144
    .kernarg_segment_align: 8
    .kernarg_segment_size: 128
    .language:       OpenCL C
    .language_version:
      - 2
      - 0
    .max_flat_workgroup_size: 256
    .name:           _ZN12_GLOBAL__N_120geam_min_plus_kernelIf15HIP_vector_typeIfLj2EES2_Li8ELi32ELi64ELi128ELi4ELi4ELi64ELi4ELi64ELc84ELc78ELb0ELb1ELb0EfKPKfKPfEEviiiT16_PT17_ilSA_ilS8_SA_ilPT18_ili26rocblas_geam_ex_operation_
    .private_segment_fixed_size: 0
    .sgpr_count:     44
    .sgpr_spill_count: 0
    .symbol:         _ZN12_GLOBAL__N_120geam_min_plus_kernelIf15HIP_vector_typeIfLj2EES2_Li8ELi32ELi64ELi128ELi4ELi4ELi64ELi4ELi64ELc84ELc78ELb0ELb1ELb0EfKPKfKPfEEviiiT16_PT17_ilSA_ilS8_SA_ilPT18_ili26rocblas_geam_ex_operation_.kd
    .uniform_work_group_size: 1
    .uses_dynamic_stack: false
    .vgpr_count:     220
    .vgpr_spill_count: 0
    .wavefront_size: 64
  - .agpr_count:     0
    .args:
      - .offset:         0
        .size:           4
        .value_kind:     by_value
      - .offset:         4
        .size:           4
        .value_kind:     by_value
      - .offset:         8
        .size:           4
        .value_kind:     by_value
      - .address_space:  global
        .offset:         16
        .size:           8
        .value_kind:     global_buffer
      - .address_space:  global
        .offset:         24
        .size:           8
        .value_kind:     global_buffer
      - .offset:         32
        .size:           4
        .value_kind:     by_value
      - .offset:         40
        .size:           8
        .value_kind:     by_value
      - .address_space:  global
        .offset:         48
        .size:           8
        .value_kind:     global_buffer
      - .offset:         56
        .size:           4
        .value_kind:     by_value
      - .offset:         64
        .size:           8
        .value_kind:     by_value
      - .address_space:  global
        .offset:         72
        .size:           8
        .value_kind:     global_buffer
      - .address_space:  global
        .offset:         80
        .size:           8
        .value_kind:     global_buffer
      - .offset:         88
        .size:           4
        .value_kind:     by_value
      - .offset:         96
        .size:           8
        .value_kind:     by_value
      - .address_space:  global
        .offset:         104
        .size:           8
        .value_kind:     global_buffer
      - .offset:         112
        .size:           4
        .value_kind:     by_value
      - .offset:         120
        .size:           8
        .value_kind:     by_value
      - .offset:         128
        .size:           4
        .value_kind:     by_value
      - .offset:         132
        .size:           4
        .value_kind:     by_value
    .group_segment_fixed_size: 6144
    .kernarg_segment_align: 8
    .kernarg_segment_size: 136
    .language:       OpenCL C
    .language_version:
      - 2
      - 0
    .max_flat_workgroup_size: 256
    .name:           _ZN12_GLOBAL__N_120geam_min_plus_kernelIf15HIP_vector_typeIfLj2EES2_Li8ELi32ELi64ELi128ELi4ELi64ELi4ELi64ELi4ELc78ELc84ELb0ELb0ELb0EPKfKS4_KPfEEviiiT16_PT17_ilSA_ilS8_SA_ilPT18_ili26rocblas_geam_ex_operation_
    .private_segment_fixed_size: 0
    .sgpr_count:     34
    .sgpr_spill_count: 0
    .symbol:         _ZN12_GLOBAL__N_120geam_min_plus_kernelIf15HIP_vector_typeIfLj2EES2_Li8ELi32ELi64ELi128ELi4ELi64ELi4ELi64ELi4ELc78ELc84ELb0ELb0ELb0EPKfKS4_KPfEEviiiT16_PT17_ilSA_ilS8_SA_ilPT18_ili26rocblas_geam_ex_operation_.kd
    .uniform_work_group_size: 1
    .uses_dynamic_stack: false
    .vgpr_count:     223
    .vgpr_spill_count: 0
    .wavefront_size: 64
  - .agpr_count:     0
    .args:
      - .offset:         0
        .size:           4
        .value_kind:     by_value
      - .offset:         4
        .size:           4
        .value_kind:     by_value
      - .offset:         8
        .size:           4
        .value_kind:     by_value
      - .offset:         12
        .size:           4
        .value_kind:     by_value
      - .address_space:  global
        .offset:         16
        .size:           8
        .value_kind:     global_buffer
      - .offset:         24
        .size:           4
        .value_kind:     by_value
      - .offset:         32
        .size:           8
        .value_kind:     by_value
      - .address_space:  global
        .offset:         40
        .size:           8
        .value_kind:     global_buffer
      - .offset:         48
        .size:           4
        .value_kind:     by_value
      - .offset:         56
        .size:           8
        .value_kind:     by_value
      - .offset:         64
        .size:           4
        .value_kind:     by_value
      - .address_space:  global
        .offset:         72
        .size:           8
        .value_kind:     global_buffer
      - .offset:         80
        .size:           4
        .value_kind:     by_value
      - .offset:         88
        .size:           8
        .value_kind:     by_value
      - .address_space:  global
        .offset:         96
        .size:           8
        .value_kind:     global_buffer
      - .offset:         104
        .size:           4
        .value_kind:     by_value
      - .offset:         112
        .size:           8
        .value_kind:     by_value
      - .offset:         120
        .size:           4
        .value_kind:     by_value
      - .offset:         124
        .size:           4
        .value_kind:     by_value
    .group_segment_fixed_size: 6144
    .kernarg_segment_align: 8
    .kernarg_segment_size: 128
    .language:       OpenCL C
    .language_version:
      - 2
      - 0
    .max_flat_workgroup_size: 256
    .name:           _ZN12_GLOBAL__N_120geam_min_plus_kernelIf15HIP_vector_typeIfLj2EES2_Li8ELi32ELi64ELi128ELi4ELi64ELi4ELi64ELi4ELc78ELc84ELb1ELb0ELb0EfKPKfKPfEEviiiT16_PT17_ilSA_ilS8_SA_ilPT18_ili26rocblas_geam_ex_operation_
    .private_segment_fixed_size: 0
    .sgpr_count:     30
    .sgpr_spill_count: 0
    .symbol:         _ZN12_GLOBAL__N_120geam_min_plus_kernelIf15HIP_vector_typeIfLj2EES2_Li8ELi32ELi64ELi128ELi4ELi64ELi4ELi64ELi4ELc78ELc84ELb1ELb0ELb0EfKPKfKPfEEviiiT16_PT17_ilSA_ilS8_SA_ilPT18_ili26rocblas_geam_ex_operation_.kd
    .uniform_work_group_size: 1
    .uses_dynamic_stack: false
    .vgpr_count:     156
    .vgpr_spill_count: 0
    .wavefront_size: 64
  - .agpr_count:     0
    .args:
      - .offset:         0
        .size:           4
        .value_kind:     by_value
      - .offset:         4
        .size:           4
        .value_kind:     by_value
      - .offset:         8
        .size:           4
        .value_kind:     by_value
      - .offset:         12
        .size:           4
        .value_kind:     by_value
      - .address_space:  global
        .offset:         16
        .size:           8
        .value_kind:     global_buffer
      - .offset:         24
        .size:           4
        .value_kind:     by_value
      - .offset:         32
        .size:           8
        .value_kind:     by_value
      - .address_space:  global
        .offset:         40
        .size:           8
        .value_kind:     global_buffer
      - .offset:         48
        .size:           4
        .value_kind:     by_value
      - .offset:         56
        .size:           8
        .value_kind:     by_value
      - .offset:         64
        .size:           4
        .value_kind:     by_value
      - .address_space:  global
        .offset:         72
        .size:           8
        .value_kind:     global_buffer
      - .offset:         80
        .size:           4
        .value_kind:     by_value
      - .offset:         88
        .size:           8
        .value_kind:     by_value
      - .address_space:  global
        .offset:         96
        .size:           8
        .value_kind:     global_buffer
      - .offset:         104
        .size:           4
        .value_kind:     by_value
      - .offset:         112
        .size:           8
        .value_kind:     by_value
      - .offset:         120
        .size:           4
        .value_kind:     by_value
      - .offset:         124
        .size:           4
        .value_kind:     by_value
    .group_segment_fixed_size: 6144
    .kernarg_segment_align: 8
    .kernarg_segment_size: 128
    .language:       OpenCL C
    .language_version:
      - 2
      - 0
    .max_flat_workgroup_size: 256
    .name:           _ZN12_GLOBAL__N_120geam_min_plus_kernelIf15HIP_vector_typeIfLj2EES2_Li8ELi32ELi64ELi128ELi4ELi64ELi4ELi64ELi4ELc78ELc84ELb0ELb0ELb0EfKPKfKPfEEviiiT16_PT17_ilSA_ilS8_SA_ilPT18_ili26rocblas_geam_ex_operation_
    .private_segment_fixed_size: 0
    .sgpr_count:     34
    .sgpr_spill_count: 0
    .symbol:         _ZN12_GLOBAL__N_120geam_min_plus_kernelIf15HIP_vector_typeIfLj2EES2_Li8ELi32ELi64ELi128ELi4ELi64ELi4ELi64ELi4ELc78ELc84ELb0ELb0ELb0EfKPKfKPfEEviiiT16_PT17_ilSA_ilS8_SA_ilPT18_ili26rocblas_geam_ex_operation_.kd
    .uniform_work_group_size: 1
    .uses_dynamic_stack: false
    .vgpr_count:     223
    .vgpr_spill_count: 0
    .wavefront_size: 64
  - .agpr_count:     0
    .args:
      - .offset:         0
        .size:           4
        .value_kind:     by_value
      - .offset:         4
        .size:           4
        .value_kind:     by_value
      - .offset:         8
        .size:           4
        .value_kind:     by_value
      - .address_space:  global
        .offset:         16
        .size:           8
        .value_kind:     global_buffer
      - .address_space:  global
        .offset:         24
        .size:           8
        .value_kind:     global_buffer
      - .offset:         32
        .size:           4
        .value_kind:     by_value
      - .offset:         40
        .size:           8
        .value_kind:     by_value
      - .address_space:  global
        .offset:         48
        .size:           8
        .value_kind:     global_buffer
      - .offset:         56
        .size:           4
        .value_kind:     by_value
      - .offset:         64
        .size:           8
        .value_kind:     by_value
      - .address_space:  global
        .offset:         72
        .size:           8
        .value_kind:     global_buffer
      - .address_space:  global
        .offset:         80
        .size:           8
        .value_kind:     global_buffer
      - .offset:         88
        .size:           4
        .value_kind:     by_value
      - .offset:         96
        .size:           8
        .value_kind:     by_value
      - .address_space:  global
        .offset:         104
        .size:           8
        .value_kind:     global_buffer
      - .offset:         112
        .size:           4
        .value_kind:     by_value
      - .offset:         120
        .size:           8
        .value_kind:     by_value
      - .offset:         128
        .size:           4
        .value_kind:     by_value
      - .offset:         132
        .size:           4
        .value_kind:     by_value
    .group_segment_fixed_size: 6144
    .kernarg_segment_align: 8
    .kernarg_segment_size: 136
    .language:       OpenCL C
    .language_version:
      - 2
      - 0
    .max_flat_workgroup_size: 256
    .name:           _ZN12_GLOBAL__N_120geam_min_plus_kernelIf15HIP_vector_typeIfLj2EES2_Li8ELi32ELi64ELi128ELi4ELi64ELi4ELi64ELi4ELc78ELc84ELb0ELb1ELb0EPKfKS4_KPfEEviiiT16_PT17_ilSA_ilS8_SA_ilPT18_ili26rocblas_geam_ex_operation_
    .private_segment_fixed_size: 0
    .sgpr_count:     44
    .sgpr_spill_count: 0
    .symbol:         _ZN12_GLOBAL__N_120geam_min_plus_kernelIf15HIP_vector_typeIfLj2EES2_Li8ELi32ELi64ELi128ELi4ELi64ELi4ELi64ELi4ELc78ELc84ELb0ELb1ELb0EPKfKS4_KPfEEviiiT16_PT17_ilSA_ilS8_SA_ilPT18_ili26rocblas_geam_ex_operation_.kd
    .uniform_work_group_size: 1
    .uses_dynamic_stack: false
    .vgpr_count:     223
    .vgpr_spill_count: 0
    .wavefront_size: 64
  - .agpr_count:     0
    .args:
      - .offset:         0
        .size:           4
        .value_kind:     by_value
      - .offset:         4
        .size:           4
        .value_kind:     by_value
      - .offset:         8
        .size:           4
        .value_kind:     by_value
      - .offset:         12
        .size:           4
        .value_kind:     by_value
      - .address_space:  global
        .offset:         16
        .size:           8
        .value_kind:     global_buffer
      - .offset:         24
        .size:           4
        .value_kind:     by_value
      - .offset:         32
        .size:           8
        .value_kind:     by_value
      - .address_space:  global
        .offset:         40
        .size:           8
        .value_kind:     global_buffer
      - .offset:         48
        .size:           4
        .value_kind:     by_value
      - .offset:         56
        .size:           8
        .value_kind:     by_value
      - .offset:         64
        .size:           4
        .value_kind:     by_value
      - .address_space:  global
        .offset:         72
        .size:           8
        .value_kind:     global_buffer
      - .offset:         80
        .size:           4
        .value_kind:     by_value
      - .offset:         88
        .size:           8
        .value_kind:     by_value
      - .address_space:  global
        .offset:         96
        .size:           8
        .value_kind:     global_buffer
      - .offset:         104
        .size:           4
        .value_kind:     by_value
      - .offset:         112
        .size:           8
        .value_kind:     by_value
      - .offset:         120
        .size:           4
        .value_kind:     by_value
      - .offset:         124
        .size:           4
        .value_kind:     by_value
    .group_segment_fixed_size: 6144
    .kernarg_segment_align: 8
    .kernarg_segment_size: 128
    .language:       OpenCL C
    .language_version:
      - 2
      - 0
    .max_flat_workgroup_size: 256
    .name:           _ZN12_GLOBAL__N_120geam_min_plus_kernelIf15HIP_vector_typeIfLj2EES2_Li8ELi32ELi64ELi128ELi4ELi64ELi4ELi64ELi4ELc78ELc84ELb1ELb1ELb0EfKPKfKPfEEviiiT16_PT17_ilSA_ilS8_SA_ilPT18_ili26rocblas_geam_ex_operation_
    .private_segment_fixed_size: 0
    .sgpr_count:     42
    .sgpr_spill_count: 0
    .symbol:         _ZN12_GLOBAL__N_120geam_min_plus_kernelIf15HIP_vector_typeIfLj2EES2_Li8ELi32ELi64ELi128ELi4ELi64ELi4ELi64ELi4ELc78ELc84ELb1ELb1ELb0EfKPKfKPfEEviiiT16_PT17_ilSA_ilS8_SA_ilPT18_ili26rocblas_geam_ex_operation_.kd
    .uniform_work_group_size: 1
    .uses_dynamic_stack: false
    .vgpr_count:     227
    .vgpr_spill_count: 0
    .wavefront_size: 64
  - .agpr_count:     0
    .args:
      - .offset:         0
        .size:           4
        .value_kind:     by_value
      - .offset:         4
        .size:           4
        .value_kind:     by_value
      - .offset:         8
        .size:           4
        .value_kind:     by_value
      - .offset:         12
        .size:           4
        .value_kind:     by_value
      - .address_space:  global
        .offset:         16
        .size:           8
        .value_kind:     global_buffer
      - .offset:         24
        .size:           4
        .value_kind:     by_value
      - .offset:         32
        .size:           8
        .value_kind:     by_value
      - .address_space:  global
        .offset:         40
        .size:           8
        .value_kind:     global_buffer
      - .offset:         48
        .size:           4
        .value_kind:     by_value
      - .offset:         56
        .size:           8
        .value_kind:     by_value
      - .offset:         64
        .size:           4
        .value_kind:     by_value
      - .address_space:  global
        .offset:         72
        .size:           8
        .value_kind:     global_buffer
      - .offset:         80
        .size:           4
        .value_kind:     by_value
      - .offset:         88
        .size:           8
        .value_kind:     by_value
      - .address_space:  global
        .offset:         96
        .size:           8
        .value_kind:     global_buffer
      - .offset:         104
        .size:           4
        .value_kind:     by_value
      - .offset:         112
        .size:           8
        .value_kind:     by_value
      - .offset:         120
        .size:           4
        .value_kind:     by_value
      - .offset:         124
        .size:           4
        .value_kind:     by_value
    .group_segment_fixed_size: 6144
    .kernarg_segment_align: 8
    .kernarg_segment_size: 128
    .language:       OpenCL C
    .language_version:
      - 2
      - 0
    .max_flat_workgroup_size: 256
    .name:           _ZN12_GLOBAL__N_120geam_min_plus_kernelIf15HIP_vector_typeIfLj2EES2_Li8ELi32ELi64ELi128ELi4ELi64ELi4ELi64ELi4ELc78ELc84ELb0ELb1ELb0EfKPKfKPfEEviiiT16_PT17_ilSA_ilS8_SA_ilPT18_ili26rocblas_geam_ex_operation_
    .private_segment_fixed_size: 0
    .sgpr_count:     44
    .sgpr_spill_count: 0
    .symbol:         _ZN12_GLOBAL__N_120geam_min_plus_kernelIf15HIP_vector_typeIfLj2EES2_Li8ELi32ELi64ELi128ELi4ELi64ELi4ELi64ELi4ELc78ELc84ELb0ELb1ELb0EfKPKfKPfEEviiiT16_PT17_ilSA_ilS8_SA_ilPT18_ili26rocblas_geam_ex_operation_.kd
    .uniform_work_group_size: 1
    .uses_dynamic_stack: false
    .vgpr_count:     223
    .vgpr_spill_count: 0
    .wavefront_size: 64
  - .agpr_count:     0
    .args:
      - .offset:         0
        .size:           4
        .value_kind:     by_value
      - .offset:         4
        .size:           4
        .value_kind:     by_value
      - .offset:         8
        .size:           4
        .value_kind:     by_value
      - .address_space:  global
        .offset:         16
        .size:           8
        .value_kind:     global_buffer
      - .address_space:  global
        .offset:         24
        .size:           8
        .value_kind:     global_buffer
      - .offset:         32
        .size:           4
        .value_kind:     by_value
      - .offset:         40
        .size:           8
        .value_kind:     by_value
      - .address_space:  global
        .offset:         48
        .size:           8
        .value_kind:     global_buffer
      - .offset:         56
        .size:           4
        .value_kind:     by_value
      - .offset:         64
        .size:           8
        .value_kind:     by_value
      - .address_space:  global
        .offset:         72
        .size:           8
        .value_kind:     global_buffer
      - .address_space:  global
        .offset:         80
        .size:           8
        .value_kind:     global_buffer
      - .offset:         88
        .size:           4
        .value_kind:     by_value
      - .offset:         96
        .size:           8
        .value_kind:     by_value
      - .address_space:  global
        .offset:         104
        .size:           8
        .value_kind:     global_buffer
      - .offset:         112
        .size:           4
        .value_kind:     by_value
      - .offset:         120
        .size:           8
        .value_kind:     by_value
      - .offset:         128
        .size:           4
        .value_kind:     by_value
      - .offset:         132
        .size:           4
        .value_kind:     by_value
    .group_segment_fixed_size: 6144
    .kernarg_segment_align: 8
    .kernarg_segment_size: 136
    .language:       OpenCL C
    .language_version:
      - 2
      - 0
    .max_flat_workgroup_size: 256
    .name:           _ZN12_GLOBAL__N_120geam_min_plus_kernelIf15HIP_vector_typeIfLj2EES2_Li8ELi32ELi64ELi128ELi4ELi4ELi64ELi64ELi4ELc84ELc84ELb0ELb0ELb0EPKfKS4_KPfEEviiiT16_PT17_ilSA_ilS8_SA_ilPT18_ili26rocblas_geam_ex_operation_
    .private_segment_fixed_size: 0
    .sgpr_count:     33
    .sgpr_spill_count: 0
    .symbol:         _ZN12_GLOBAL__N_120geam_min_plus_kernelIf15HIP_vector_typeIfLj2EES2_Li8ELi32ELi64ELi128ELi4ELi4ELi64ELi64ELi4ELc84ELc84ELb0ELb0ELb0EPKfKS4_KPfEEviiiT16_PT17_ilSA_ilS8_SA_ilPT18_ili26rocblas_geam_ex_operation_.kd
    .uniform_work_group_size: 1
    .uses_dynamic_stack: false
    .vgpr_count:     219
    .vgpr_spill_count: 0
    .wavefront_size: 64
  - .agpr_count:     0
    .args:
      - .offset:         0
        .size:           4
        .value_kind:     by_value
      - .offset:         4
        .size:           4
        .value_kind:     by_value
      - .offset:         8
        .size:           4
        .value_kind:     by_value
      - .offset:         12
        .size:           4
        .value_kind:     by_value
      - .address_space:  global
        .offset:         16
        .size:           8
        .value_kind:     global_buffer
      - .offset:         24
        .size:           4
        .value_kind:     by_value
      - .offset:         32
        .size:           8
        .value_kind:     by_value
      - .address_space:  global
        .offset:         40
        .size:           8
        .value_kind:     global_buffer
      - .offset:         48
        .size:           4
        .value_kind:     by_value
      - .offset:         56
        .size:           8
        .value_kind:     by_value
      - .offset:         64
        .size:           4
        .value_kind:     by_value
      - .address_space:  global
        .offset:         72
        .size:           8
        .value_kind:     global_buffer
      - .offset:         80
        .size:           4
        .value_kind:     by_value
      - .offset:         88
        .size:           8
        .value_kind:     by_value
      - .address_space:  global
        .offset:         96
        .size:           8
        .value_kind:     global_buffer
      - .offset:         104
        .size:           4
        .value_kind:     by_value
      - .offset:         112
        .size:           8
        .value_kind:     by_value
      - .offset:         120
        .size:           4
        .value_kind:     by_value
      - .offset:         124
        .size:           4
        .value_kind:     by_value
    .group_segment_fixed_size: 6144
    .kernarg_segment_align: 8
    .kernarg_segment_size: 128
    .language:       OpenCL C
    .language_version:
      - 2
      - 0
    .max_flat_workgroup_size: 256
    .name:           _ZN12_GLOBAL__N_120geam_min_plus_kernelIf15HIP_vector_typeIfLj2EES2_Li8ELi32ELi64ELi128ELi4ELi4ELi64ELi64ELi4ELc84ELc84ELb1ELb0ELb0EfKPKfKPfEEviiiT16_PT17_ilSA_ilS8_SA_ilPT18_ili26rocblas_geam_ex_operation_
    .private_segment_fixed_size: 0
    .sgpr_count:     28
    .sgpr_spill_count: 0
    .symbol:         _ZN12_GLOBAL__N_120geam_min_plus_kernelIf15HIP_vector_typeIfLj2EES2_Li8ELi32ELi64ELi128ELi4ELi4ELi64ELi64ELi4ELc84ELc84ELb1ELb0ELb0EfKPKfKPfEEviiiT16_PT17_ilSA_ilS8_SA_ilPT18_ili26rocblas_geam_ex_operation_.kd
    .uniform_work_group_size: 1
    .uses_dynamic_stack: false
    .vgpr_count:     150
    .vgpr_spill_count: 0
    .wavefront_size: 64
  - .agpr_count:     0
    .args:
      - .offset:         0
        .size:           4
        .value_kind:     by_value
      - .offset:         4
        .size:           4
        .value_kind:     by_value
      - .offset:         8
        .size:           4
        .value_kind:     by_value
      - .offset:         12
        .size:           4
        .value_kind:     by_value
      - .address_space:  global
        .offset:         16
        .size:           8
        .value_kind:     global_buffer
      - .offset:         24
        .size:           4
        .value_kind:     by_value
      - .offset:         32
        .size:           8
        .value_kind:     by_value
      - .address_space:  global
        .offset:         40
        .size:           8
        .value_kind:     global_buffer
      - .offset:         48
        .size:           4
        .value_kind:     by_value
      - .offset:         56
        .size:           8
        .value_kind:     by_value
      - .offset:         64
        .size:           4
        .value_kind:     by_value
      - .address_space:  global
        .offset:         72
        .size:           8
        .value_kind:     global_buffer
      - .offset:         80
        .size:           4
        .value_kind:     by_value
      - .offset:         88
        .size:           8
        .value_kind:     by_value
      - .address_space:  global
        .offset:         96
        .size:           8
        .value_kind:     global_buffer
      - .offset:         104
        .size:           4
        .value_kind:     by_value
      - .offset:         112
        .size:           8
        .value_kind:     by_value
      - .offset:         120
        .size:           4
        .value_kind:     by_value
      - .offset:         124
        .size:           4
        .value_kind:     by_value
    .group_segment_fixed_size: 6144
    .kernarg_segment_align: 8
    .kernarg_segment_size: 128
    .language:       OpenCL C
    .language_version:
      - 2
      - 0
    .max_flat_workgroup_size: 256
    .name:           _ZN12_GLOBAL__N_120geam_min_plus_kernelIf15HIP_vector_typeIfLj2EES2_Li8ELi32ELi64ELi128ELi4ELi4ELi64ELi64ELi4ELc84ELc84ELb0ELb0ELb0EfKPKfKPfEEviiiT16_PT17_ilSA_ilS8_SA_ilPT18_ili26rocblas_geam_ex_operation_
    .private_segment_fixed_size: 0
    .sgpr_count:     32
    .sgpr_spill_count: 0
    .symbol:         _ZN12_GLOBAL__N_120geam_min_plus_kernelIf15HIP_vector_typeIfLj2EES2_Li8ELi32ELi64ELi128ELi4ELi4ELi64ELi64ELi4ELc84ELc84ELb0ELb0ELb0EfKPKfKPfEEviiiT16_PT17_ilSA_ilS8_SA_ilPT18_ili26rocblas_geam_ex_operation_.kd
    .uniform_work_group_size: 1
    .uses_dynamic_stack: false
    .vgpr_count:     219
    .vgpr_spill_count: 0
    .wavefront_size: 64
  - .agpr_count:     0
    .args:
      - .offset:         0
        .size:           4
        .value_kind:     by_value
      - .offset:         4
        .size:           4
        .value_kind:     by_value
      - .offset:         8
        .size:           4
        .value_kind:     by_value
      - .address_space:  global
        .offset:         16
        .size:           8
        .value_kind:     global_buffer
      - .address_space:  global
        .offset:         24
        .size:           8
        .value_kind:     global_buffer
      - .offset:         32
        .size:           4
        .value_kind:     by_value
      - .offset:         40
        .size:           8
        .value_kind:     by_value
      - .address_space:  global
        .offset:         48
        .size:           8
        .value_kind:     global_buffer
      - .offset:         56
        .size:           4
        .value_kind:     by_value
      - .offset:         64
        .size:           8
        .value_kind:     by_value
      - .address_space:  global
        .offset:         72
        .size:           8
        .value_kind:     global_buffer
      - .address_space:  global
        .offset:         80
        .size:           8
        .value_kind:     global_buffer
      - .offset:         88
        .size:           4
        .value_kind:     by_value
      - .offset:         96
        .size:           8
        .value_kind:     by_value
      - .address_space:  global
        .offset:         104
        .size:           8
        .value_kind:     global_buffer
      - .offset:         112
        .size:           4
        .value_kind:     by_value
      - .offset:         120
        .size:           8
        .value_kind:     by_value
      - .offset:         128
        .size:           4
        .value_kind:     by_value
      - .offset:         132
        .size:           4
        .value_kind:     by_value
    .group_segment_fixed_size: 6144
    .kernarg_segment_align: 8
    .kernarg_segment_size: 136
    .language:       OpenCL C
    .language_version:
      - 2
      - 0
    .max_flat_workgroup_size: 256
    .name:           _ZN12_GLOBAL__N_120geam_min_plus_kernelIf15HIP_vector_typeIfLj2EES2_Li8ELi32ELi64ELi128ELi4ELi4ELi64ELi64ELi4ELc84ELc84ELb0ELb1ELb0EPKfKS4_KPfEEviiiT16_PT17_ilSA_ilS8_SA_ilPT18_ili26rocblas_geam_ex_operation_
    .private_segment_fixed_size: 0
    .sgpr_count:     44
    .sgpr_spill_count: 0
    .symbol:         _ZN12_GLOBAL__N_120geam_min_plus_kernelIf15HIP_vector_typeIfLj2EES2_Li8ELi32ELi64ELi128ELi4ELi4ELi64ELi64ELi4ELc84ELc84ELb0ELb1ELb0EPKfKS4_KPfEEviiiT16_PT17_ilSA_ilS8_SA_ilPT18_ili26rocblas_geam_ex_operation_.kd
    .uniform_work_group_size: 1
    .uses_dynamic_stack: false
    .vgpr_count:     219
    .vgpr_spill_count: 0
    .wavefront_size: 64
  - .agpr_count:     0
    .args:
      - .offset:         0
        .size:           4
        .value_kind:     by_value
      - .offset:         4
        .size:           4
        .value_kind:     by_value
      - .offset:         8
        .size:           4
        .value_kind:     by_value
      - .offset:         12
        .size:           4
        .value_kind:     by_value
      - .address_space:  global
        .offset:         16
        .size:           8
        .value_kind:     global_buffer
      - .offset:         24
        .size:           4
        .value_kind:     by_value
      - .offset:         32
        .size:           8
        .value_kind:     by_value
      - .address_space:  global
        .offset:         40
        .size:           8
        .value_kind:     global_buffer
      - .offset:         48
        .size:           4
        .value_kind:     by_value
      - .offset:         56
        .size:           8
        .value_kind:     by_value
      - .offset:         64
        .size:           4
        .value_kind:     by_value
      - .address_space:  global
        .offset:         72
        .size:           8
        .value_kind:     global_buffer
      - .offset:         80
        .size:           4
        .value_kind:     by_value
      - .offset:         88
        .size:           8
        .value_kind:     by_value
      - .address_space:  global
        .offset:         96
        .size:           8
        .value_kind:     global_buffer
      - .offset:         104
        .size:           4
        .value_kind:     by_value
      - .offset:         112
        .size:           8
        .value_kind:     by_value
      - .offset:         120
        .size:           4
        .value_kind:     by_value
      - .offset:         124
        .size:           4
        .value_kind:     by_value
    .group_segment_fixed_size: 6144
    .kernarg_segment_align: 8
    .kernarg_segment_size: 128
    .language:       OpenCL C
    .language_version:
      - 2
      - 0
    .max_flat_workgroup_size: 256
    .name:           _ZN12_GLOBAL__N_120geam_min_plus_kernelIf15HIP_vector_typeIfLj2EES2_Li8ELi32ELi64ELi128ELi4ELi4ELi64ELi64ELi4ELc84ELc84ELb1ELb1ELb0EfKPKfKPfEEviiiT16_PT17_ilSA_ilS8_SA_ilPT18_ili26rocblas_geam_ex_operation_
    .private_segment_fixed_size: 0
    .sgpr_count:     42
    .sgpr_spill_count: 0
    .symbol:         _ZN12_GLOBAL__N_120geam_min_plus_kernelIf15HIP_vector_typeIfLj2EES2_Li8ELi32ELi64ELi128ELi4ELi4ELi64ELi64ELi4ELc84ELc84ELb1ELb1ELb0EfKPKfKPfEEviiiT16_PT17_ilSA_ilS8_SA_ilPT18_ili26rocblas_geam_ex_operation_.kd
    .uniform_work_group_size: 1
    .uses_dynamic_stack: false
    .vgpr_count:     223
    .vgpr_spill_count: 0
    .wavefront_size: 64
  - .agpr_count:     0
    .args:
      - .offset:         0
        .size:           4
        .value_kind:     by_value
      - .offset:         4
        .size:           4
        .value_kind:     by_value
      - .offset:         8
        .size:           4
        .value_kind:     by_value
      - .offset:         12
        .size:           4
        .value_kind:     by_value
      - .address_space:  global
        .offset:         16
        .size:           8
        .value_kind:     global_buffer
      - .offset:         24
        .size:           4
        .value_kind:     by_value
      - .offset:         32
        .size:           8
        .value_kind:     by_value
      - .address_space:  global
        .offset:         40
        .size:           8
        .value_kind:     global_buffer
      - .offset:         48
        .size:           4
        .value_kind:     by_value
      - .offset:         56
        .size:           8
        .value_kind:     by_value
      - .offset:         64
        .size:           4
        .value_kind:     by_value
      - .address_space:  global
        .offset:         72
        .size:           8
        .value_kind:     global_buffer
      - .offset:         80
        .size:           4
        .value_kind:     by_value
      - .offset:         88
        .size:           8
        .value_kind:     by_value
      - .address_space:  global
        .offset:         96
        .size:           8
        .value_kind:     global_buffer
      - .offset:         104
        .size:           4
        .value_kind:     by_value
      - .offset:         112
        .size:           8
        .value_kind:     by_value
      - .offset:         120
        .size:           4
        .value_kind:     by_value
      - .offset:         124
        .size:           4
        .value_kind:     by_value
    .group_segment_fixed_size: 6144
    .kernarg_segment_align: 8
    .kernarg_segment_size: 128
    .language:       OpenCL C
    .language_version:
      - 2
      - 0
    .max_flat_workgroup_size: 256
    .name:           _ZN12_GLOBAL__N_120geam_min_plus_kernelIf15HIP_vector_typeIfLj2EES2_Li8ELi32ELi64ELi128ELi4ELi4ELi64ELi64ELi4ELc84ELc84ELb0ELb1ELb0EfKPKfKPfEEviiiT16_PT17_ilSA_ilS8_SA_ilPT18_ili26rocblas_geam_ex_operation_
    .private_segment_fixed_size: 0
    .sgpr_count:     44
    .sgpr_spill_count: 0
    .symbol:         _ZN12_GLOBAL__N_120geam_min_plus_kernelIf15HIP_vector_typeIfLj2EES2_Li8ELi32ELi64ELi128ELi4ELi4ELi64ELi64ELi4ELc84ELc84ELb0ELb1ELb0EfKPKfKPfEEviiiT16_PT17_ilSA_ilS8_SA_ilPT18_ili26rocblas_geam_ex_operation_.kd
    .uniform_work_group_size: 1
    .uses_dynamic_stack: false
    .vgpr_count:     219
    .vgpr_spill_count: 0
    .wavefront_size: 64
  - .agpr_count:     0
    .args:
      - .offset:         0
        .size:           4
        .value_kind:     by_value
      - .offset:         4
        .size:           4
        .value_kind:     by_value
      - .offset:         8
        .size:           4
        .value_kind:     by_value
      - .address_space:  global
        .offset:         16
        .size:           8
        .value_kind:     global_buffer
      - .offset:         24
        .size:           8
        .value_kind:     by_value
      - .offset:         32
        .size:           4
        .value_kind:     by_value
      - .offset:         40
        .size:           8
        .value_kind:     by_value
      - .address_space:  global
        .offset:         48
        .size:           8
        .value_kind:     global_buffer
      - .offset:         56
        .size:           8
        .value_kind:     by_value
      - .offset:         64
        .size:           4
        .value_kind:     by_value
      - .offset:         72
        .size:           8
        .value_kind:     by_value
    .group_segment_fixed_size: 0
    .kernarg_segment_align: 8
    .kernarg_segment_size: 80
    .language:       OpenCL C
    .language_version:
      - 2
      - 0
    .max_flat_workgroup_size: 1024
    .name:           _ZN12_GLOBAL__N_120geam_ex_scale_kernelILi32ELi32EffPKfPfEEviiT2_T3_lilT4_lil
    .private_segment_fixed_size: 0
    .sgpr_count:     30
    .sgpr_spill_count: 0
    .symbol:         _ZN12_GLOBAL__N_120geam_ex_scale_kernelILi32ELi32EffPKfPfEEviiT2_T3_lilT4_lil.kd
    .uniform_work_group_size: 1
    .uses_dynamic_stack: false
    .vgpr_count:     8
    .vgpr_spill_count: 0
    .wavefront_size: 64
  - .agpr_count:     0
    .args:
      - .offset:         0
        .size:           4
        .value_kind:     by_value
      - .offset:         4
        .size:           4
        .value_kind:     by_value
      - .address_space:  global
        .offset:         8
        .size:           8
        .value_kind:     global_buffer
      - .address_space:  global
        .offset:         16
        .size:           8
        .value_kind:     global_buffer
      - .offset:         24
        .size:           8
        .value_kind:     by_value
      - .offset:         32
        .size:           4
        .value_kind:     by_value
      - .offset:         40
        .size:           8
        .value_kind:     by_value
      - .address_space:  global
        .offset:         48
        .size:           8
        .value_kind:     global_buffer
      - .offset:         56
        .size:           8
        .value_kind:     by_value
      - .offset:         64
        .size:           4
        .value_kind:     by_value
      - .offset:         72
        .size:           8
        .value_kind:     by_value
    .group_segment_fixed_size: 0
    .kernarg_segment_align: 8
    .kernarg_segment_size: 80
    .language:       OpenCL C
    .language_version:
      - 2
      - 0
    .max_flat_workgroup_size: 1024
    .name:           _ZN12_GLOBAL__N_120geam_ex_scale_kernelILi32ELi32EfPKfS2_PfEEviiT2_T3_lilT4_lil
    .private_segment_fixed_size: 0
    .sgpr_count:     26
    .sgpr_spill_count: 0
    .symbol:         _ZN12_GLOBAL__N_120geam_ex_scale_kernelILi32ELi32EfPKfS2_PfEEviiT2_T3_lilT4_lil.kd
    .uniform_work_group_size: 1
    .uses_dynamic_stack: false
    .vgpr_count:     8
    .vgpr_spill_count: 0
    .wavefront_size: 64
  - .agpr_count:     0
    .args:
      - .offset:         0
        .size:           4
        .value_kind:     by_value
      - .offset:         4
        .size:           4
        .value_kind:     by_value
      - .offset:         8
        .size:           4
        .value_kind:     by_value
      - .address_space:  global
        .offset:         16
        .size:           8
        .value_kind:     global_buffer
      - .offset:         24
        .size:           8
        .value_kind:     by_value
      - .offset:         32
        .size:           4
        .value_kind:     by_value
      - .offset:         40
        .size:           8
        .value_kind:     by_value
      - .address_space:  global
        .offset:         48
        .size:           8
        .value_kind:     global_buffer
      - .offset:         56
        .size:           8
        .value_kind:     by_value
      - .offset:         64
        .size:           4
        .value_kind:     by_value
      - .offset:         72
        .size:           8
        .value_kind:     by_value
    .group_segment_fixed_size: 0
    .kernarg_segment_align: 8
    .kernarg_segment_size: 80
    .language:       OpenCL C
    .language_version:
      - 2
      - 0
    .max_flat_workgroup_size: 1024
    .name:           _ZN12_GLOBAL__N_120geam_ex_round_kernelILi32ELi32EffPKfPfEEviiT2_T3_lilT4_lil
    .private_segment_fixed_size: 0
    .sgpr_count:     30
    .sgpr_spill_count: 0
    .symbol:         _ZN12_GLOBAL__N_120geam_ex_round_kernelILi32ELi32EffPKfPfEEviiT2_T3_lilT4_lil.kd
    .uniform_work_group_size: 1
    .uses_dynamic_stack: false
    .vgpr_count:     10
    .vgpr_spill_count: 0
    .wavefront_size: 64
  - .agpr_count:     0
    .args:
      - .offset:         0
        .size:           4
        .value_kind:     by_value
      - .offset:         4
        .size:           4
        .value_kind:     by_value
      - .offset:         8
        .size:           4
        .value_kind:     by_value
      - .address_space:  global
        .offset:         16
        .size:           8
        .value_kind:     global_buffer
      - .address_space:  global
        .offset:         24
        .size:           8
        .value_kind:     global_buffer
      - .offset:         32
        .size:           4
        .value_kind:     by_value
      - .offset:         40
        .size:           8
        .value_kind:     by_value
      - .address_space:  global
        .offset:         48
        .size:           8
        .value_kind:     global_buffer
      - .offset:         56
        .size:           4
        .value_kind:     by_value
      - .offset:         64
        .size:           8
        .value_kind:     by_value
      - .address_space:  global
        .offset:         72
        .size:           8
        .value_kind:     global_buffer
      - .address_space:  global
        .offset:         80
        .size:           8
        .value_kind:     global_buffer
      - .offset:         88
        .size:           4
        .value_kind:     by_value
      - .offset:         96
        .size:           8
        .value_kind:     by_value
      - .address_space:  global
        .offset:         104
        .size:           8
        .value_kind:     global_buffer
      - .offset:         112
        .size:           4
        .value_kind:     by_value
      - .offset:         120
        .size:           8
        .value_kind:     by_value
      - .offset:         128
        .size:           4
        .value_kind:     by_value
      - .offset:         132
        .size:           4
        .value_kind:     by_value
    .group_segment_fixed_size: 10240
    .kernarg_segment_align: 8
    .kernarg_segment_size: 136
    .language:       OpenCL C
    .language_version:
      - 2
      - 0
    .max_flat_workgroup_size: 256
    .name:           _ZN12_GLOBAL__N_120geam_min_plus_kernelIf15HIP_vector_typeIfLj2EEfLi32ELi8ELi256ELi64ELi4ELi64ELi4ELi4ELi64ELc78ELc78ELb0ELb0ELb1EPKfS3_fEEviiiT16_PT17_ilS7_ilS5_S7_ilPT18_ili26rocblas_geam_ex_operation_
    .private_segment_fixed_size: 0
    .sgpr_count:     34
    .sgpr_spill_count: 0
    .symbol:         _ZN12_GLOBAL__N_120geam_min_plus_kernelIf15HIP_vector_typeIfLj2EEfLi32ELi8ELi256ELi64ELi4ELi64ELi4ELi4ELi64ELc78ELc78ELb0ELb0ELb1EPKfS3_fEEviiiT16_PT17_ilS7_ilS5_S7_ilPT18_ili26rocblas_geam_ex_operation_.kd
    .uniform_work_group_size: 1
    .uses_dynamic_stack: false
    .vgpr_count:     172
    .vgpr_spill_count: 0
    .wavefront_size: 64
  - .agpr_count:     0
    .args:
      - .offset:         0
        .size:           4
        .value_kind:     by_value
      - .offset:         4
        .size:           4
        .value_kind:     by_value
      - .offset:         8
        .size:           4
        .value_kind:     by_value
      - .offset:         12
        .size:           4
        .value_kind:     by_value
      - .address_space:  global
        .offset:         16
        .size:           8
        .value_kind:     global_buffer
      - .offset:         24
        .size:           4
        .value_kind:     by_value
      - .offset:         32
        .size:           8
        .value_kind:     by_value
      - .address_space:  global
        .offset:         40
        .size:           8
        .value_kind:     global_buffer
      - .offset:         48
        .size:           4
        .value_kind:     by_value
      - .offset:         56
        .size:           8
        .value_kind:     by_value
      - .offset:         64
        .size:           4
        .value_kind:     by_value
      - .address_space:  global
        .offset:         72
        .size:           8
        .value_kind:     global_buffer
      - .offset:         80
        .size:           4
        .value_kind:     by_value
      - .offset:         88
        .size:           8
        .value_kind:     by_value
      - .address_space:  global
        .offset:         96
        .size:           8
        .value_kind:     global_buffer
      - .offset:         104
        .size:           4
        .value_kind:     by_value
      - .offset:         112
        .size:           8
        .value_kind:     by_value
      - .offset:         120
        .size:           4
        .value_kind:     by_value
      - .offset:         124
        .size:           4
        .value_kind:     by_value
    .group_segment_fixed_size: 10240
    .kernarg_segment_align: 8
    .kernarg_segment_size: 128
    .language:       OpenCL C
    .language_version:
      - 2
      - 0
    .max_flat_workgroup_size: 256
    .name:           _ZN12_GLOBAL__N_120geam_min_plus_kernelIf15HIP_vector_typeIfLj2EEfLi32ELi8ELi256ELi64ELi4ELi64ELi4ELi4ELi64ELc78ELc78ELb1ELb0ELb1EfKffEEviiiT16_PT17_ilS6_ilS4_S6_ilPT18_ili26rocblas_geam_ex_operation_
    .private_segment_fixed_size: 0
    .sgpr_count:     30
    .sgpr_spill_count: 0
    .symbol:         _ZN12_GLOBAL__N_120geam_min_plus_kernelIf15HIP_vector_typeIfLj2EEfLi32ELi8ELi256ELi64ELi4ELi64ELi4ELi4ELi64ELc78ELc78ELb1ELb0ELb1EfKffEEviiiT16_PT17_ilS6_ilS4_S6_ilPT18_ili26rocblas_geam_ex_operation_.kd
    .uniform_work_group_size: 1
    .uses_dynamic_stack: false
    .vgpr_count:     175
    .vgpr_spill_count: 0
    .wavefront_size: 64
  - .agpr_count:     0
    .args:
      - .offset:         0
        .size:           4
        .value_kind:     by_value
      - .offset:         4
        .size:           4
        .value_kind:     by_value
      - .offset:         8
        .size:           4
        .value_kind:     by_value
      - .offset:         12
        .size:           4
        .value_kind:     by_value
      - .address_space:  global
        .offset:         16
        .size:           8
        .value_kind:     global_buffer
      - .offset:         24
        .size:           4
        .value_kind:     by_value
      - .offset:         32
        .size:           8
        .value_kind:     by_value
      - .address_space:  global
        .offset:         40
        .size:           8
        .value_kind:     global_buffer
      - .offset:         48
        .size:           4
        .value_kind:     by_value
      - .offset:         56
        .size:           8
        .value_kind:     by_value
      - .offset:         64
        .size:           4
        .value_kind:     by_value
      - .address_space:  global
        .offset:         72
        .size:           8
        .value_kind:     global_buffer
      - .offset:         80
        .size:           4
        .value_kind:     by_value
      - .offset:         88
        .size:           8
        .value_kind:     by_value
      - .address_space:  global
        .offset:         96
        .size:           8
        .value_kind:     global_buffer
      - .offset:         104
        .size:           4
        .value_kind:     by_value
      - .offset:         112
        .size:           8
        .value_kind:     by_value
      - .offset:         120
        .size:           4
        .value_kind:     by_value
      - .offset:         124
        .size:           4
        .value_kind:     by_value
    .group_segment_fixed_size: 10240
    .kernarg_segment_align: 8
    .kernarg_segment_size: 128
    .language:       OpenCL C
    .language_version:
      - 2
      - 0
    .max_flat_workgroup_size: 256
    .name:           _ZN12_GLOBAL__N_120geam_min_plus_kernelIf15HIP_vector_typeIfLj2EEfLi32ELi8ELi256ELi64ELi4ELi64ELi4ELi4ELi64ELc78ELc78ELb0ELb0ELb1EfKffEEviiiT16_PT17_ilS6_ilS4_S6_ilPT18_ili26rocblas_geam_ex_operation_
    .private_segment_fixed_size: 0
    .sgpr_count:     36
    .sgpr_spill_count: 0
    .symbol:         _ZN12_GLOBAL__N_120geam_min_plus_kernelIf15HIP_vector_typeIfLj2EEfLi32ELi8ELi256ELi64ELi4ELi64ELi4ELi4ELi64ELc78ELc78ELb0ELb0ELb1EfKffEEviiiT16_PT17_ilS6_ilS4_S6_ilPT18_ili26rocblas_geam_ex_operation_.kd
    .uniform_work_group_size: 1
    .uses_dynamic_stack: false
    .vgpr_count:     172
    .vgpr_spill_count: 0
    .wavefront_size: 64
  - .agpr_count:     0
    .args:
      - .offset:         0
        .size:           4
        .value_kind:     by_value
      - .offset:         4
        .size:           4
        .value_kind:     by_value
      - .offset:         8
        .size:           4
        .value_kind:     by_value
      - .address_space:  global
        .offset:         16
        .size:           8
        .value_kind:     global_buffer
      - .address_space:  global
        .offset:         24
        .size:           8
        .value_kind:     global_buffer
      - .offset:         32
        .size:           4
        .value_kind:     by_value
      - .offset:         40
        .size:           8
        .value_kind:     by_value
      - .address_space:  global
        .offset:         48
        .size:           8
        .value_kind:     global_buffer
      - .offset:         56
        .size:           4
        .value_kind:     by_value
      - .offset:         64
        .size:           8
        .value_kind:     by_value
      - .address_space:  global
        .offset:         72
        .size:           8
        .value_kind:     global_buffer
      - .address_space:  global
        .offset:         80
        .size:           8
        .value_kind:     global_buffer
      - .offset:         88
        .size:           4
        .value_kind:     by_value
      - .offset:         96
        .size:           8
        .value_kind:     by_value
      - .address_space:  global
        .offset:         104
        .size:           8
        .value_kind:     global_buffer
      - .offset:         112
        .size:           4
        .value_kind:     by_value
      - .offset:         120
        .size:           8
        .value_kind:     by_value
      - .offset:         128
        .size:           4
        .value_kind:     by_value
      - .offset:         132
        .size:           4
        .value_kind:     by_value
    .group_segment_fixed_size: 10240
    .kernarg_segment_align: 8
    .kernarg_segment_size: 136
    .language:       OpenCL C
    .language_version:
      - 2
      - 0
    .max_flat_workgroup_size: 256
    .name:           _ZN12_GLOBAL__N_120geam_min_plus_kernelIf15HIP_vector_typeIfLj2EEfLi32ELi8ELi256ELi64ELi4ELi64ELi4ELi4ELi64ELc78ELc78ELb0ELb1ELb1EPKfS3_fEEviiiT16_PT17_ilS7_ilS5_S7_ilPT18_ili26rocblas_geam_ex_operation_
    .private_segment_fixed_size: 0
    .sgpr_count:     48
    .sgpr_spill_count: 0
    .symbol:         _ZN12_GLOBAL__N_120geam_min_plus_kernelIf15HIP_vector_typeIfLj2EEfLi32ELi8ELi256ELi64ELi4ELi64ELi4ELi4ELi64ELc78ELc78ELb0ELb1ELb1EPKfS3_fEEviiiT16_PT17_ilS7_ilS5_S7_ilPT18_ili26rocblas_geam_ex_operation_.kd
    .uniform_work_group_size: 1
    .uses_dynamic_stack: false
    .vgpr_count:     172
    .vgpr_spill_count: 0
    .wavefront_size: 64
  - .agpr_count:     0
    .args:
      - .offset:         0
        .size:           4
        .value_kind:     by_value
      - .offset:         4
        .size:           4
        .value_kind:     by_value
      - .offset:         8
        .size:           4
        .value_kind:     by_value
      - .offset:         12
        .size:           4
        .value_kind:     by_value
      - .address_space:  global
        .offset:         16
        .size:           8
        .value_kind:     global_buffer
      - .offset:         24
        .size:           4
        .value_kind:     by_value
      - .offset:         32
        .size:           8
        .value_kind:     by_value
      - .address_space:  global
        .offset:         40
        .size:           8
        .value_kind:     global_buffer
      - .offset:         48
        .size:           4
        .value_kind:     by_value
      - .offset:         56
        .size:           8
        .value_kind:     by_value
      - .offset:         64
        .size:           4
        .value_kind:     by_value
      - .address_space:  global
        .offset:         72
        .size:           8
        .value_kind:     global_buffer
      - .offset:         80
        .size:           4
        .value_kind:     by_value
      - .offset:         88
        .size:           8
        .value_kind:     by_value
      - .address_space:  global
        .offset:         96
        .size:           8
        .value_kind:     global_buffer
      - .offset:         104
        .size:           4
        .value_kind:     by_value
      - .offset:         112
        .size:           8
        .value_kind:     by_value
      - .offset:         120
        .size:           4
        .value_kind:     by_value
      - .offset:         124
        .size:           4
        .value_kind:     by_value
    .group_segment_fixed_size: 10240
    .kernarg_segment_align: 8
    .kernarg_segment_size: 128
    .language:       OpenCL C
    .language_version:
      - 2
      - 0
    .max_flat_workgroup_size: 256
    .name:           _ZN12_GLOBAL__N_120geam_min_plus_kernelIf15HIP_vector_typeIfLj2EEfLi32ELi8ELi256ELi64ELi4ELi64ELi4ELi4ELi64ELc78ELc78ELb1ELb1ELb1EfKffEEviiiT16_PT17_ilS6_ilS4_S6_ilPT18_ili26rocblas_geam_ex_operation_
    .private_segment_fixed_size: 0
    .sgpr_count:     46
    .sgpr_spill_count: 0
    .symbol:         _ZN12_GLOBAL__N_120geam_min_plus_kernelIf15HIP_vector_typeIfLj2EEfLi32ELi8ELi256ELi64ELi4ELi64ELi4ELi4ELi64ELc78ELc78ELb1ELb1ELb1EfKffEEviiiT16_PT17_ilS6_ilS4_S6_ilPT18_ili26rocblas_geam_ex_operation_.kd
    .uniform_work_group_size: 1
    .uses_dynamic_stack: false
    .vgpr_count:     176
    .vgpr_spill_count: 0
    .wavefront_size: 64
  - .agpr_count:     0
    .args:
      - .offset:         0
        .size:           4
        .value_kind:     by_value
      - .offset:         4
        .size:           4
        .value_kind:     by_value
      - .offset:         8
        .size:           4
        .value_kind:     by_value
      - .offset:         12
        .size:           4
        .value_kind:     by_value
      - .address_space:  global
        .offset:         16
        .size:           8
        .value_kind:     global_buffer
      - .offset:         24
        .size:           4
        .value_kind:     by_value
      - .offset:         32
        .size:           8
        .value_kind:     by_value
      - .address_space:  global
        .offset:         40
        .size:           8
        .value_kind:     global_buffer
      - .offset:         48
        .size:           4
        .value_kind:     by_value
      - .offset:         56
        .size:           8
        .value_kind:     by_value
      - .offset:         64
        .size:           4
        .value_kind:     by_value
      - .address_space:  global
        .offset:         72
        .size:           8
        .value_kind:     global_buffer
      - .offset:         80
        .size:           4
        .value_kind:     by_value
      - .offset:         88
        .size:           8
        .value_kind:     by_value
      - .address_space:  global
        .offset:         96
        .size:           8
        .value_kind:     global_buffer
      - .offset:         104
        .size:           4
        .value_kind:     by_value
      - .offset:         112
        .size:           8
        .value_kind:     by_value
      - .offset:         120
        .size:           4
        .value_kind:     by_value
      - .offset:         124
        .size:           4
        .value_kind:     by_value
    .group_segment_fixed_size: 10240
    .kernarg_segment_align: 8
    .kernarg_segment_size: 128
    .language:       OpenCL C
    .language_version:
      - 2
      - 0
    .max_flat_workgroup_size: 256
    .name:           _ZN12_GLOBAL__N_120geam_min_plus_kernelIf15HIP_vector_typeIfLj2EEfLi32ELi8ELi256ELi64ELi4ELi64ELi4ELi4ELi64ELc78ELc78ELb0ELb1ELb1EfKffEEviiiT16_PT17_ilS6_ilS4_S6_ilPT18_ili26rocblas_geam_ex_operation_
    .private_segment_fixed_size: 0
    .sgpr_count:     48
    .sgpr_spill_count: 0
    .symbol:         _ZN12_GLOBAL__N_120geam_min_plus_kernelIf15HIP_vector_typeIfLj2EEfLi32ELi8ELi256ELi64ELi4ELi64ELi4ELi4ELi64ELc78ELc78ELb0ELb1ELb1EfKffEEviiiT16_PT17_ilS6_ilS4_S6_ilPT18_ili26rocblas_geam_ex_operation_.kd
    .uniform_work_group_size: 1
    .uses_dynamic_stack: false
    .vgpr_count:     172
    .vgpr_spill_count: 0
    .wavefront_size: 64
  - .agpr_count:     0
    .args:
      - .offset:         0
        .size:           4
        .value_kind:     by_value
      - .offset:         4
        .size:           4
        .value_kind:     by_value
      - .offset:         8
        .size:           4
        .value_kind:     by_value
      - .address_space:  global
        .offset:         16
        .size:           8
        .value_kind:     global_buffer
      - .address_space:  global
        .offset:         24
        .size:           8
        .value_kind:     global_buffer
      - .offset:         32
        .size:           4
        .value_kind:     by_value
      - .offset:         40
        .size:           8
        .value_kind:     by_value
      - .address_space:  global
        .offset:         48
        .size:           8
        .value_kind:     global_buffer
      - .offset:         56
        .size:           4
        .value_kind:     by_value
      - .offset:         64
        .size:           8
        .value_kind:     by_value
      - .address_space:  global
        .offset:         72
        .size:           8
        .value_kind:     global_buffer
      - .address_space:  global
        .offset:         80
        .size:           8
        .value_kind:     global_buffer
      - .offset:         88
        .size:           4
        .value_kind:     by_value
      - .offset:         96
        .size:           8
        .value_kind:     by_value
      - .address_space:  global
        .offset:         104
        .size:           8
        .value_kind:     global_buffer
      - .offset:         112
        .size:           4
        .value_kind:     by_value
      - .offset:         120
        .size:           8
        .value_kind:     by_value
      - .offset:         128
        .size:           4
        .value_kind:     by_value
      - .offset:         132
        .size:           4
        .value_kind:     by_value
    .group_segment_fixed_size: 8192
    .kernarg_segment_align: 8
    .kernarg_segment_size: 136
    .language:       OpenCL C
    .language_version:
      - 2
      - 0
    .max_flat_workgroup_size: 256
    .name:           _ZN12_GLOBAL__N_120geam_min_plus_kernelIf15HIP_vector_typeIfLj2EEfLi32ELi8ELi128ELi128ELi4ELi4ELi64ELi4ELi64ELc84ELc78ELb0ELb0ELb1EPKfS3_fEEviiiT16_PT17_ilS7_ilS5_S7_ilPT18_ili26rocblas_geam_ex_operation_
    .private_segment_fixed_size: 0
    .sgpr_count:     32
    .sgpr_spill_count: 0
    .symbol:         _ZN12_GLOBAL__N_120geam_min_plus_kernelIf15HIP_vector_typeIfLj2EEfLi32ELi8ELi128ELi128ELi4ELi4ELi64ELi4ELi64ELc84ELc78ELb0ELb0ELb1EPKfS3_fEEviiiT16_PT17_ilS7_ilS5_S7_ilPT18_ili26rocblas_geam_ex_operation_.kd
    .uniform_work_group_size: 1
    .uses_dynamic_stack: false
    .vgpr_count:     206
    .vgpr_spill_count: 0
    .wavefront_size: 64
  - .agpr_count:     0
    .args:
      - .offset:         0
        .size:           4
        .value_kind:     by_value
      - .offset:         4
        .size:           4
        .value_kind:     by_value
      - .offset:         8
        .size:           4
        .value_kind:     by_value
      - .offset:         12
        .size:           4
        .value_kind:     by_value
      - .address_space:  global
        .offset:         16
        .size:           8
        .value_kind:     global_buffer
      - .offset:         24
        .size:           4
        .value_kind:     by_value
      - .offset:         32
        .size:           8
        .value_kind:     by_value
      - .address_space:  global
        .offset:         40
        .size:           8
        .value_kind:     global_buffer
      - .offset:         48
        .size:           4
        .value_kind:     by_value
      - .offset:         56
        .size:           8
        .value_kind:     by_value
      - .offset:         64
        .size:           4
        .value_kind:     by_value
      - .address_space:  global
        .offset:         72
        .size:           8
        .value_kind:     global_buffer
      - .offset:         80
        .size:           4
        .value_kind:     by_value
      - .offset:         88
        .size:           8
        .value_kind:     by_value
      - .address_space:  global
        .offset:         96
        .size:           8
        .value_kind:     global_buffer
      - .offset:         104
        .size:           4
        .value_kind:     by_value
      - .offset:         112
        .size:           8
        .value_kind:     by_value
      - .offset:         120
        .size:           4
        .value_kind:     by_value
      - .offset:         124
        .size:           4
        .value_kind:     by_value
    .group_segment_fixed_size: 8192
    .kernarg_segment_align: 8
    .kernarg_segment_size: 128
    .language:       OpenCL C
    .language_version:
      - 2
      - 0
    .max_flat_workgroup_size: 256
    .name:           _ZN12_GLOBAL__N_120geam_min_plus_kernelIf15HIP_vector_typeIfLj2EEfLi32ELi8ELi128ELi128ELi4ELi4ELi64ELi4ELi64ELc84ELc78ELb1ELb0ELb1EfKffEEviiiT16_PT17_ilS6_ilS4_S6_ilPT18_ili26rocblas_geam_ex_operation_
    .private_segment_fixed_size: 0
    .sgpr_count:     30
    .sgpr_spill_count: 0
    .symbol:         _ZN12_GLOBAL__N_120geam_min_plus_kernelIf15HIP_vector_typeIfLj2EEfLi32ELi8ELi128ELi128ELi4ELi4ELi64ELi4ELi64ELc84ELc78ELb1ELb0ELb1EfKffEEviiiT16_PT17_ilS6_ilS4_S6_ilPT18_ili26rocblas_geam_ex_operation_.kd
    .uniform_work_group_size: 1
    .uses_dynamic_stack: false
    .vgpr_count:     187
    .vgpr_spill_count: 0
    .wavefront_size: 64
  - .agpr_count:     0
    .args:
      - .offset:         0
        .size:           4
        .value_kind:     by_value
      - .offset:         4
        .size:           4
        .value_kind:     by_value
      - .offset:         8
        .size:           4
        .value_kind:     by_value
      - .offset:         12
        .size:           4
        .value_kind:     by_value
      - .address_space:  global
        .offset:         16
        .size:           8
        .value_kind:     global_buffer
      - .offset:         24
        .size:           4
        .value_kind:     by_value
      - .offset:         32
        .size:           8
        .value_kind:     by_value
      - .address_space:  global
        .offset:         40
        .size:           8
        .value_kind:     global_buffer
      - .offset:         48
        .size:           4
        .value_kind:     by_value
      - .offset:         56
        .size:           8
        .value_kind:     by_value
      - .offset:         64
        .size:           4
        .value_kind:     by_value
      - .address_space:  global
        .offset:         72
        .size:           8
        .value_kind:     global_buffer
      - .offset:         80
        .size:           4
        .value_kind:     by_value
      - .offset:         88
        .size:           8
        .value_kind:     by_value
      - .address_space:  global
        .offset:         96
        .size:           8
        .value_kind:     global_buffer
      - .offset:         104
        .size:           4
        .value_kind:     by_value
      - .offset:         112
        .size:           8
        .value_kind:     by_value
      - .offset:         120
        .size:           4
        .value_kind:     by_value
      - .offset:         124
        .size:           4
        .value_kind:     by_value
    .group_segment_fixed_size: 8192
    .kernarg_segment_align: 8
    .kernarg_segment_size: 128
    .language:       OpenCL C
    .language_version:
      - 2
      - 0
    .max_flat_workgroup_size: 256
    .name:           _ZN12_GLOBAL__N_120geam_min_plus_kernelIf15HIP_vector_typeIfLj2EEfLi32ELi8ELi128ELi128ELi4ELi4ELi64ELi4ELi64ELc84ELc78ELb0ELb0ELb1EfKffEEviiiT16_PT17_ilS6_ilS4_S6_ilPT18_ili26rocblas_geam_ex_operation_
    .private_segment_fixed_size: 0
    .sgpr_count:     34
    .sgpr_spill_count: 0
    .symbol:         _ZN12_GLOBAL__N_120geam_min_plus_kernelIf15HIP_vector_typeIfLj2EEfLi32ELi8ELi128ELi128ELi4ELi4ELi64ELi4ELi64ELc84ELc78ELb0ELb0ELb1EfKffEEviiiT16_PT17_ilS6_ilS4_S6_ilPT18_ili26rocblas_geam_ex_operation_.kd
    .uniform_work_group_size: 1
    .uses_dynamic_stack: false
    .vgpr_count:     206
    .vgpr_spill_count: 0
    .wavefront_size: 64
  - .agpr_count:     0
    .args:
      - .offset:         0
        .size:           4
        .value_kind:     by_value
      - .offset:         4
        .size:           4
        .value_kind:     by_value
      - .offset:         8
        .size:           4
        .value_kind:     by_value
      - .address_space:  global
        .offset:         16
        .size:           8
        .value_kind:     global_buffer
      - .address_space:  global
        .offset:         24
        .size:           8
        .value_kind:     global_buffer
      - .offset:         32
        .size:           4
        .value_kind:     by_value
      - .offset:         40
        .size:           8
        .value_kind:     by_value
      - .address_space:  global
        .offset:         48
        .size:           8
        .value_kind:     global_buffer
      - .offset:         56
        .size:           4
        .value_kind:     by_value
      - .offset:         64
        .size:           8
        .value_kind:     by_value
      - .address_space:  global
        .offset:         72
        .size:           8
        .value_kind:     global_buffer
      - .address_space:  global
        .offset:         80
        .size:           8
        .value_kind:     global_buffer
      - .offset:         88
        .size:           4
        .value_kind:     by_value
      - .offset:         96
        .size:           8
        .value_kind:     by_value
      - .address_space:  global
        .offset:         104
        .size:           8
        .value_kind:     global_buffer
      - .offset:         112
        .size:           4
        .value_kind:     by_value
      - .offset:         120
        .size:           8
        .value_kind:     by_value
      - .offset:         128
        .size:           4
        .value_kind:     by_value
      - .offset:         132
        .size:           4
        .value_kind:     by_value
    .group_segment_fixed_size: 8192
    .kernarg_segment_align: 8
    .kernarg_segment_size: 136
    .language:       OpenCL C
    .language_version:
      - 2
      - 0
    .max_flat_workgroup_size: 256
    .name:           _ZN12_GLOBAL__N_120geam_min_plus_kernelIf15HIP_vector_typeIfLj2EEfLi32ELi8ELi128ELi128ELi4ELi4ELi64ELi4ELi64ELc84ELc78ELb0ELb1ELb1EPKfS3_fEEviiiT16_PT17_ilS7_ilS5_S7_ilPT18_ili26rocblas_geam_ex_operation_
    .private_segment_fixed_size: 0
    .sgpr_count:     46
    .sgpr_spill_count: 0
    .symbol:         _ZN12_GLOBAL__N_120geam_min_plus_kernelIf15HIP_vector_typeIfLj2EEfLi32ELi8ELi128ELi128ELi4ELi4ELi64ELi4ELi64ELc84ELc78ELb0ELb1ELb1EPKfS3_fEEviiiT16_PT17_ilS7_ilS5_S7_ilPT18_ili26rocblas_geam_ex_operation_.kd
    .uniform_work_group_size: 1
    .uses_dynamic_stack: false
    .vgpr_count:     200
    .vgpr_spill_count: 0
    .wavefront_size: 64
  - .agpr_count:     0
    .args:
      - .offset:         0
        .size:           4
        .value_kind:     by_value
      - .offset:         4
        .size:           4
        .value_kind:     by_value
      - .offset:         8
        .size:           4
        .value_kind:     by_value
      - .offset:         12
        .size:           4
        .value_kind:     by_value
      - .address_space:  global
        .offset:         16
        .size:           8
        .value_kind:     global_buffer
      - .offset:         24
        .size:           4
        .value_kind:     by_value
      - .offset:         32
        .size:           8
        .value_kind:     by_value
      - .address_space:  global
        .offset:         40
        .size:           8
        .value_kind:     global_buffer
      - .offset:         48
        .size:           4
        .value_kind:     by_value
      - .offset:         56
        .size:           8
        .value_kind:     by_value
      - .offset:         64
        .size:           4
        .value_kind:     by_value
      - .address_space:  global
        .offset:         72
        .size:           8
        .value_kind:     global_buffer
      - .offset:         80
        .size:           4
        .value_kind:     by_value
      - .offset:         88
        .size:           8
        .value_kind:     by_value
      - .address_space:  global
        .offset:         96
        .size:           8
        .value_kind:     global_buffer
      - .offset:         104
        .size:           4
        .value_kind:     by_value
      - .offset:         112
        .size:           8
        .value_kind:     by_value
      - .offset:         120
        .size:           4
        .value_kind:     by_value
      - .offset:         124
        .size:           4
        .value_kind:     by_value
    .group_segment_fixed_size: 8192
    .kernarg_segment_align: 8
    .kernarg_segment_size: 128
    .language:       OpenCL C
    .language_version:
      - 2
      - 0
    .max_flat_workgroup_size: 256
    .name:           _ZN12_GLOBAL__N_120geam_min_plus_kernelIf15HIP_vector_typeIfLj2EEfLi32ELi8ELi128ELi128ELi4ELi4ELi64ELi4ELi64ELc84ELc78ELb1ELb1ELb1EfKffEEviiiT16_PT17_ilS6_ilS4_S6_ilPT18_ili26rocblas_geam_ex_operation_
    .private_segment_fixed_size: 0
    .sgpr_count:     42
    .sgpr_spill_count: 0
    .symbol:         _ZN12_GLOBAL__N_120geam_min_plus_kernelIf15HIP_vector_typeIfLj2EEfLi32ELi8ELi128ELi128ELi4ELi4ELi64ELi4ELi64ELc84ELc78ELb1ELb1ELb1EfKffEEviiiT16_PT17_ilS6_ilS4_S6_ilPT18_ili26rocblas_geam_ex_operation_.kd
    .uniform_work_group_size: 1
    .uses_dynamic_stack: false
    .vgpr_count:     204
    .vgpr_spill_count: 0
    .wavefront_size: 64
  - .agpr_count:     0
    .args:
      - .offset:         0
        .size:           4
        .value_kind:     by_value
      - .offset:         4
        .size:           4
        .value_kind:     by_value
      - .offset:         8
        .size:           4
        .value_kind:     by_value
      - .offset:         12
        .size:           4
        .value_kind:     by_value
      - .address_space:  global
        .offset:         16
        .size:           8
        .value_kind:     global_buffer
      - .offset:         24
        .size:           4
        .value_kind:     by_value
      - .offset:         32
        .size:           8
        .value_kind:     by_value
      - .address_space:  global
        .offset:         40
        .size:           8
        .value_kind:     global_buffer
      - .offset:         48
        .size:           4
        .value_kind:     by_value
      - .offset:         56
        .size:           8
        .value_kind:     by_value
      - .offset:         64
        .size:           4
        .value_kind:     by_value
      - .address_space:  global
        .offset:         72
        .size:           8
        .value_kind:     global_buffer
      - .offset:         80
        .size:           4
        .value_kind:     by_value
      - .offset:         88
        .size:           8
        .value_kind:     by_value
      - .address_space:  global
        .offset:         96
        .size:           8
        .value_kind:     global_buffer
      - .offset:         104
        .size:           4
        .value_kind:     by_value
      - .offset:         112
        .size:           8
        .value_kind:     by_value
      - .offset:         120
        .size:           4
        .value_kind:     by_value
      - .offset:         124
        .size:           4
        .value_kind:     by_value
    .group_segment_fixed_size: 8192
    .kernarg_segment_align: 8
    .kernarg_segment_size: 128
    .language:       OpenCL C
    .language_version:
      - 2
      - 0
    .max_flat_workgroup_size: 256
    .name:           _ZN12_GLOBAL__N_120geam_min_plus_kernelIf15HIP_vector_typeIfLj2EEfLi32ELi8ELi128ELi128ELi4ELi4ELi64ELi4ELi64ELc84ELc78ELb0ELb1ELb1EfKffEEviiiT16_PT17_ilS6_ilS4_S6_ilPT18_ili26rocblas_geam_ex_operation_
    .private_segment_fixed_size: 0
    .sgpr_count:     46
    .sgpr_spill_count: 0
    .symbol:         _ZN12_GLOBAL__N_120geam_min_plus_kernelIf15HIP_vector_typeIfLj2EEfLi32ELi8ELi128ELi128ELi4ELi4ELi64ELi4ELi64ELc84ELc78ELb0ELb1ELb1EfKffEEviiiT16_PT17_ilS6_ilS4_S6_ilPT18_ili26rocblas_geam_ex_operation_.kd
    .uniform_work_group_size: 1
    .uses_dynamic_stack: false
    .vgpr_count:     200
    .vgpr_spill_count: 0
    .wavefront_size: 64
  - .agpr_count:     0
    .args:
      - .offset:         0
        .size:           4
        .value_kind:     by_value
      - .offset:         4
        .size:           4
        .value_kind:     by_value
      - .offset:         8
        .size:           4
        .value_kind:     by_value
      - .address_space:  global
        .offset:         16
        .size:           8
        .value_kind:     global_buffer
      - .address_space:  global
        .offset:         24
        .size:           8
        .value_kind:     global_buffer
      - .offset:         32
        .size:           4
        .value_kind:     by_value
      - .offset:         40
        .size:           8
        .value_kind:     by_value
      - .address_space:  global
        .offset:         48
        .size:           8
        .value_kind:     global_buffer
      - .offset:         56
        .size:           4
        .value_kind:     by_value
      - .offset:         64
        .size:           8
        .value_kind:     by_value
      - .address_space:  global
        .offset:         72
        .size:           8
        .value_kind:     global_buffer
      - .address_space:  global
        .offset:         80
        .size:           8
        .value_kind:     global_buffer
      - .offset:         88
        .size:           4
        .value_kind:     by_value
      - .offset:         96
        .size:           8
        .value_kind:     by_value
      - .address_space:  global
        .offset:         104
        .size:           8
        .value_kind:     global_buffer
      - .offset:         112
        .size:           4
        .value_kind:     by_value
      - .offset:         120
        .size:           8
        .value_kind:     by_value
      - .offset:         128
        .size:           4
        .value_kind:     by_value
      - .offset:         132
        .size:           4
        .value_kind:     by_value
    .group_segment_fixed_size: 10240
    .kernarg_segment_align: 8
    .kernarg_segment_size: 136
    .language:       OpenCL C
    .language_version:
      - 2
      - 0
    .max_flat_workgroup_size: 256
    .name:           _ZN12_GLOBAL__N_120geam_min_plus_kernelIf15HIP_vector_typeIfLj2EEfLi8ELi32ELi64ELi256ELi4ELi64ELi4ELi64ELi4ELc78ELc84ELb0ELb0ELb1EPKfS3_fEEviiiT16_PT17_ilS7_ilS5_S7_ilPT18_ili26rocblas_geam_ex_operation_
    .private_segment_fixed_size: 0
    .sgpr_count:     36
    .sgpr_spill_count: 0
    .symbol:         _ZN12_GLOBAL__N_120geam_min_plus_kernelIf15HIP_vector_typeIfLj2EEfLi8ELi32ELi64ELi256ELi4ELi64ELi4ELi64ELi4ELc78ELc84ELb0ELb0ELb1EPKfS3_fEEviiiT16_PT17_ilS7_ilS5_S7_ilPT18_ili26rocblas_geam_ex_operation_.kd
    .uniform_work_group_size: 1
    .uses_dynamic_stack: false
    .vgpr_count:     176
    .vgpr_spill_count: 0
    .wavefront_size: 64
  - .agpr_count:     0
    .args:
      - .offset:         0
        .size:           4
        .value_kind:     by_value
      - .offset:         4
        .size:           4
        .value_kind:     by_value
      - .offset:         8
        .size:           4
        .value_kind:     by_value
      - .offset:         12
        .size:           4
        .value_kind:     by_value
      - .address_space:  global
        .offset:         16
        .size:           8
        .value_kind:     global_buffer
      - .offset:         24
        .size:           4
        .value_kind:     by_value
      - .offset:         32
        .size:           8
        .value_kind:     by_value
      - .address_space:  global
        .offset:         40
        .size:           8
        .value_kind:     global_buffer
      - .offset:         48
        .size:           4
        .value_kind:     by_value
      - .offset:         56
        .size:           8
        .value_kind:     by_value
      - .offset:         64
        .size:           4
        .value_kind:     by_value
      - .address_space:  global
        .offset:         72
        .size:           8
        .value_kind:     global_buffer
      - .offset:         80
        .size:           4
        .value_kind:     by_value
      - .offset:         88
        .size:           8
        .value_kind:     by_value
      - .address_space:  global
        .offset:         96
        .size:           8
        .value_kind:     global_buffer
      - .offset:         104
        .size:           4
        .value_kind:     by_value
      - .offset:         112
        .size:           8
        .value_kind:     by_value
      - .offset:         120
        .size:           4
        .value_kind:     by_value
      - .offset:         124
        .size:           4
        .value_kind:     by_value
    .group_segment_fixed_size: 10240
    .kernarg_segment_align: 8
    .kernarg_segment_size: 128
    .language:       OpenCL C
    .language_version:
      - 2
      - 0
    .max_flat_workgroup_size: 256
    .name:           _ZN12_GLOBAL__N_120geam_min_plus_kernelIf15HIP_vector_typeIfLj2EEfLi8ELi32ELi64ELi256ELi4ELi64ELi4ELi64ELi4ELc78ELc84ELb1ELb0ELb1EfKffEEviiiT16_PT17_ilS6_ilS4_S6_ilPT18_ili26rocblas_geam_ex_operation_
    .private_segment_fixed_size: 0
    .sgpr_count:     34
    .sgpr_spill_count: 0
    .symbol:         _ZN12_GLOBAL__N_120geam_min_plus_kernelIf15HIP_vector_typeIfLj2EEfLi8ELi32ELi64ELi256ELi4ELi64ELi4ELi64ELi4ELc78ELc84ELb1ELb0ELb1EfKffEEviiiT16_PT17_ilS6_ilS4_S6_ilPT18_ili26rocblas_geam_ex_operation_.kd
    .uniform_work_group_size: 1
    .uses_dynamic_stack: false
    .vgpr_count:     178
    .vgpr_spill_count: 0
    .wavefront_size: 64
  - .agpr_count:     0
    .args:
      - .offset:         0
        .size:           4
        .value_kind:     by_value
      - .offset:         4
        .size:           4
        .value_kind:     by_value
      - .offset:         8
        .size:           4
        .value_kind:     by_value
      - .offset:         12
        .size:           4
        .value_kind:     by_value
      - .address_space:  global
        .offset:         16
        .size:           8
        .value_kind:     global_buffer
      - .offset:         24
        .size:           4
        .value_kind:     by_value
      - .offset:         32
        .size:           8
        .value_kind:     by_value
      - .address_space:  global
        .offset:         40
        .size:           8
        .value_kind:     global_buffer
      - .offset:         48
        .size:           4
        .value_kind:     by_value
      - .offset:         56
        .size:           8
        .value_kind:     by_value
      - .offset:         64
        .size:           4
        .value_kind:     by_value
      - .address_space:  global
        .offset:         72
        .size:           8
        .value_kind:     global_buffer
      - .offset:         80
        .size:           4
        .value_kind:     by_value
      - .offset:         88
        .size:           8
        .value_kind:     by_value
      - .address_space:  global
        .offset:         96
        .size:           8
        .value_kind:     global_buffer
      - .offset:         104
        .size:           4
        .value_kind:     by_value
      - .offset:         112
        .size:           8
        .value_kind:     by_value
      - .offset:         120
        .size:           4
        .value_kind:     by_value
      - .offset:         124
        .size:           4
        .value_kind:     by_value
    .group_segment_fixed_size: 10240
    .kernarg_segment_align: 8
    .kernarg_segment_size: 128
    .language:       OpenCL C
    .language_version:
      - 2
      - 0
    .max_flat_workgroup_size: 256
    .name:           _ZN12_GLOBAL__N_120geam_min_plus_kernelIf15HIP_vector_typeIfLj2EEfLi8ELi32ELi64ELi256ELi4ELi64ELi4ELi64ELi4ELc78ELc84ELb0ELb0ELb1EfKffEEviiiT16_PT17_ilS6_ilS4_S6_ilPT18_ili26rocblas_geam_ex_operation_
    .private_segment_fixed_size: 0
    .sgpr_count:     37
    .sgpr_spill_count: 0
    .symbol:         _ZN12_GLOBAL__N_120geam_min_plus_kernelIf15HIP_vector_typeIfLj2EEfLi8ELi32ELi64ELi256ELi4ELi64ELi4ELi64ELi4ELc78ELc84ELb0ELb0ELb1EfKffEEviiiT16_PT17_ilS6_ilS4_S6_ilPT18_ili26rocblas_geam_ex_operation_.kd
    .uniform_work_group_size: 1
    .uses_dynamic_stack: false
    .vgpr_count:     176
    .vgpr_spill_count: 0
    .wavefront_size: 64
  - .agpr_count:     0
    .args:
      - .offset:         0
        .size:           4
        .value_kind:     by_value
      - .offset:         4
        .size:           4
        .value_kind:     by_value
      - .offset:         8
        .size:           4
        .value_kind:     by_value
      - .address_space:  global
        .offset:         16
        .size:           8
        .value_kind:     global_buffer
      - .address_space:  global
        .offset:         24
        .size:           8
        .value_kind:     global_buffer
      - .offset:         32
        .size:           4
        .value_kind:     by_value
      - .offset:         40
        .size:           8
        .value_kind:     by_value
      - .address_space:  global
        .offset:         48
        .size:           8
        .value_kind:     global_buffer
      - .offset:         56
        .size:           4
        .value_kind:     by_value
      - .offset:         64
        .size:           8
        .value_kind:     by_value
      - .address_space:  global
        .offset:         72
        .size:           8
        .value_kind:     global_buffer
      - .address_space:  global
        .offset:         80
        .size:           8
        .value_kind:     global_buffer
      - .offset:         88
        .size:           4
        .value_kind:     by_value
      - .offset:         96
        .size:           8
        .value_kind:     by_value
      - .address_space:  global
        .offset:         104
        .size:           8
        .value_kind:     global_buffer
      - .offset:         112
        .size:           4
        .value_kind:     by_value
      - .offset:         120
        .size:           8
        .value_kind:     by_value
      - .offset:         128
        .size:           4
        .value_kind:     by_value
      - .offset:         132
        .size:           4
        .value_kind:     by_value
    .group_segment_fixed_size: 10240
    .kernarg_segment_align: 8
    .kernarg_segment_size: 136
    .language:       OpenCL C
    .language_version:
      - 2
      - 0
    .max_flat_workgroup_size: 256
    .name:           _ZN12_GLOBAL__N_120geam_min_plus_kernelIf15HIP_vector_typeIfLj2EEfLi8ELi32ELi64ELi256ELi4ELi64ELi4ELi64ELi4ELc78ELc84ELb0ELb1ELb1EPKfS3_fEEviiiT16_PT17_ilS7_ilS5_S7_ilPT18_ili26rocblas_geam_ex_operation_
    .private_segment_fixed_size: 0
    .sgpr_count:     50
    .sgpr_spill_count: 0
    .symbol:         _ZN12_GLOBAL__N_120geam_min_plus_kernelIf15HIP_vector_typeIfLj2EEfLi8ELi32ELi64ELi256ELi4ELi64ELi4ELi64ELi4ELc78ELc84ELb0ELb1ELb1EPKfS3_fEEviiiT16_PT17_ilS7_ilS5_S7_ilPT18_ili26rocblas_geam_ex_operation_.kd
    .uniform_work_group_size: 1
    .uses_dynamic_stack: false
    .vgpr_count:     180
    .vgpr_spill_count: 0
    .wavefront_size: 64
  - .agpr_count:     0
    .args:
      - .offset:         0
        .size:           4
        .value_kind:     by_value
      - .offset:         4
        .size:           4
        .value_kind:     by_value
      - .offset:         8
        .size:           4
        .value_kind:     by_value
      - .offset:         12
        .size:           4
        .value_kind:     by_value
      - .address_space:  global
        .offset:         16
        .size:           8
        .value_kind:     global_buffer
      - .offset:         24
        .size:           4
        .value_kind:     by_value
      - .offset:         32
        .size:           8
        .value_kind:     by_value
      - .address_space:  global
        .offset:         40
        .size:           8
        .value_kind:     global_buffer
      - .offset:         48
        .size:           4
        .value_kind:     by_value
      - .offset:         56
        .size:           8
        .value_kind:     by_value
      - .offset:         64
        .size:           4
        .value_kind:     by_value
      - .address_space:  global
        .offset:         72
        .size:           8
        .value_kind:     global_buffer
      - .offset:         80
        .size:           4
        .value_kind:     by_value
      - .offset:         88
        .size:           8
        .value_kind:     by_value
      - .address_space:  global
        .offset:         96
        .size:           8
        .value_kind:     global_buffer
      - .offset:         104
        .size:           4
        .value_kind:     by_value
      - .offset:         112
        .size:           8
        .value_kind:     by_value
      - .offset:         120
        .size:           4
        .value_kind:     by_value
      - .offset:         124
        .size:           4
        .value_kind:     by_value
    .group_segment_fixed_size: 10240
    .kernarg_segment_align: 8
    .kernarg_segment_size: 128
    .language:       OpenCL C
    .language_version:
      - 2
      - 0
    .max_flat_workgroup_size: 256
    .name:           _ZN12_GLOBAL__N_120geam_min_plus_kernelIf15HIP_vector_typeIfLj2EEfLi8ELi32ELi64ELi256ELi4ELi64ELi4ELi64ELi4ELc78ELc84ELb1ELb1ELb1EfKffEEviiiT16_PT17_ilS6_ilS4_S6_ilPT18_ili26rocblas_geam_ex_operation_
    .private_segment_fixed_size: 0
    .sgpr_count:     46
    .sgpr_spill_count: 0
    .symbol:         _ZN12_GLOBAL__N_120geam_min_plus_kernelIf15HIP_vector_typeIfLj2EEfLi8ELi32ELi64ELi256ELi4ELi64ELi4ELi64ELi4ELc78ELc84ELb1ELb1ELb1EfKffEEviiiT16_PT17_ilS6_ilS4_S6_ilPT18_ili26rocblas_geam_ex_operation_.kd
    .uniform_work_group_size: 1
    .uses_dynamic_stack: false
    .vgpr_count:     180
    .vgpr_spill_count: 0
    .wavefront_size: 64
  - .agpr_count:     0
    .args:
      - .offset:         0
        .size:           4
        .value_kind:     by_value
      - .offset:         4
        .size:           4
        .value_kind:     by_value
      - .offset:         8
        .size:           4
        .value_kind:     by_value
      - .offset:         12
        .size:           4
        .value_kind:     by_value
      - .address_space:  global
        .offset:         16
        .size:           8
        .value_kind:     global_buffer
      - .offset:         24
        .size:           4
        .value_kind:     by_value
      - .offset:         32
        .size:           8
        .value_kind:     by_value
      - .address_space:  global
        .offset:         40
        .size:           8
        .value_kind:     global_buffer
      - .offset:         48
        .size:           4
        .value_kind:     by_value
      - .offset:         56
        .size:           8
        .value_kind:     by_value
      - .offset:         64
        .size:           4
        .value_kind:     by_value
      - .address_space:  global
        .offset:         72
        .size:           8
        .value_kind:     global_buffer
      - .offset:         80
        .size:           4
        .value_kind:     by_value
      - .offset:         88
        .size:           8
        .value_kind:     by_value
      - .address_space:  global
        .offset:         96
        .size:           8
        .value_kind:     global_buffer
      - .offset:         104
        .size:           4
        .value_kind:     by_value
      - .offset:         112
        .size:           8
        .value_kind:     by_value
      - .offset:         120
        .size:           4
        .value_kind:     by_value
      - .offset:         124
        .size:           4
        .value_kind:     by_value
    .group_segment_fixed_size: 10240
    .kernarg_segment_align: 8
    .kernarg_segment_size: 128
    .language:       OpenCL C
    .language_version:
      - 2
      - 0
    .max_flat_workgroup_size: 256
    .name:           _ZN12_GLOBAL__N_120geam_min_plus_kernelIf15HIP_vector_typeIfLj2EEfLi8ELi32ELi64ELi256ELi4ELi64ELi4ELi64ELi4ELc78ELc84ELb0ELb1ELb1EfKffEEviiiT16_PT17_ilS6_ilS4_S6_ilPT18_ili26rocblas_geam_ex_operation_
    .private_segment_fixed_size: 0
    .sgpr_count:     52
    .sgpr_spill_count: 0
    .symbol:         _ZN12_GLOBAL__N_120geam_min_plus_kernelIf15HIP_vector_typeIfLj2EEfLi8ELi32ELi64ELi256ELi4ELi64ELi4ELi64ELi4ELc78ELc84ELb0ELb1ELb1EfKffEEviiiT16_PT17_ilS6_ilS4_S6_ilPT18_ili26rocblas_geam_ex_operation_.kd
    .uniform_work_group_size: 1
    .uses_dynamic_stack: false
    .vgpr_count:     180
    .vgpr_spill_count: 0
    .wavefront_size: 64
  - .agpr_count:     0
    .args:
      - .offset:         0
        .size:           4
        .value_kind:     by_value
      - .offset:         4
        .size:           4
        .value_kind:     by_value
      - .offset:         8
        .size:           4
        .value_kind:     by_value
      - .address_space:  global
        .offset:         16
        .size:           8
        .value_kind:     global_buffer
      - .address_space:  global
        .offset:         24
        .size:           8
        .value_kind:     global_buffer
      - .offset:         32
        .size:           4
        .value_kind:     by_value
      - .offset:         40
        .size:           8
        .value_kind:     by_value
      - .address_space:  global
        .offset:         48
        .size:           8
        .value_kind:     global_buffer
      - .offset:         56
        .size:           4
        .value_kind:     by_value
      - .offset:         64
        .size:           8
        .value_kind:     by_value
      - .address_space:  global
        .offset:         72
        .size:           8
        .value_kind:     global_buffer
      - .address_space:  global
        .offset:         80
        .size:           8
        .value_kind:     global_buffer
      - .offset:         88
        .size:           4
        .value_kind:     by_value
      - .offset:         96
        .size:           8
        .value_kind:     by_value
      - .address_space:  global
        .offset:         104
        .size:           8
        .value_kind:     global_buffer
      - .offset:         112
        .size:           4
        .value_kind:     by_value
      - .offset:         120
        .size:           8
        .value_kind:     by_value
      - .offset:         128
        .size:           4
        .value_kind:     by_value
      - .offset:         132
        .size:           4
        .value_kind:     by_value
    .group_segment_fixed_size: 10240
    .kernarg_segment_align: 8
    .kernarg_segment_size: 136
    .language:       OpenCL C
    .language_version:
      - 2
      - 0
    .max_flat_workgroup_size: 256
    .name:           _ZN12_GLOBAL__N_120geam_min_plus_kernelIf15HIP_vector_typeIfLj2EEfLi8ELi32ELi64ELi256ELi4ELi4ELi64ELi64ELi4ELc84ELc84ELb0ELb0ELb1EPKfS3_fEEviiiT16_PT17_ilS7_ilS5_S7_ilPT18_ili26rocblas_geam_ex_operation_
    .private_segment_fixed_size: 0
    .sgpr_count:     34
    .sgpr_spill_count: 0
    .symbol:         _ZN12_GLOBAL__N_120geam_min_plus_kernelIf15HIP_vector_typeIfLj2EEfLi8ELi32ELi64ELi256ELi4ELi4ELi64ELi64ELi4ELc84ELc84ELb0ELb0ELb1EPKfS3_fEEviiiT16_PT17_ilS7_ilS5_S7_ilPT18_ili26rocblas_geam_ex_operation_.kd
    .uniform_work_group_size: 1
    .uses_dynamic_stack: false
    .vgpr_count:     172
    .vgpr_spill_count: 0
    .wavefront_size: 64
  - .agpr_count:     0
    .args:
      - .offset:         0
        .size:           4
        .value_kind:     by_value
      - .offset:         4
        .size:           4
        .value_kind:     by_value
      - .offset:         8
        .size:           4
        .value_kind:     by_value
      - .offset:         12
        .size:           4
        .value_kind:     by_value
      - .address_space:  global
        .offset:         16
        .size:           8
        .value_kind:     global_buffer
      - .offset:         24
        .size:           4
        .value_kind:     by_value
      - .offset:         32
        .size:           8
        .value_kind:     by_value
      - .address_space:  global
        .offset:         40
        .size:           8
        .value_kind:     global_buffer
      - .offset:         48
        .size:           4
        .value_kind:     by_value
      - .offset:         56
        .size:           8
        .value_kind:     by_value
      - .offset:         64
        .size:           4
        .value_kind:     by_value
      - .address_space:  global
        .offset:         72
        .size:           8
        .value_kind:     global_buffer
      - .offset:         80
        .size:           4
        .value_kind:     by_value
      - .offset:         88
        .size:           8
        .value_kind:     by_value
      - .address_space:  global
        .offset:         96
        .size:           8
        .value_kind:     global_buffer
      - .offset:         104
        .size:           4
        .value_kind:     by_value
      - .offset:         112
        .size:           8
        .value_kind:     by_value
      - .offset:         120
        .size:           4
        .value_kind:     by_value
      - .offset:         124
        .size:           4
        .value_kind:     by_value
    .group_segment_fixed_size: 10240
    .kernarg_segment_align: 8
    .kernarg_segment_size: 128
    .language:       OpenCL C
    .language_version:
      - 2
      - 0
    .max_flat_workgroup_size: 256
    .name:           _ZN12_GLOBAL__N_120geam_min_plus_kernelIf15HIP_vector_typeIfLj2EEfLi8ELi32ELi64ELi256ELi4ELi4ELi64ELi64ELi4ELc84ELc84ELb1ELb0ELb1EfKffEEviiiT16_PT17_ilS6_ilS4_S6_ilPT18_ili26rocblas_geam_ex_operation_
    .private_segment_fixed_size: 0
    .sgpr_count:     30
    .sgpr_spill_count: 0
    .symbol:         _ZN12_GLOBAL__N_120geam_min_plus_kernelIf15HIP_vector_typeIfLj2EEfLi8ELi32ELi64ELi256ELi4ELi4ELi64ELi64ELi4ELc84ELc84ELb1ELb0ELb1EfKffEEviiiT16_PT17_ilS6_ilS4_S6_ilPT18_ili26rocblas_geam_ex_operation_.kd
    .uniform_work_group_size: 1
    .uses_dynamic_stack: false
    .vgpr_count:     175
    .vgpr_spill_count: 0
    .wavefront_size: 64
  - .agpr_count:     0
    .args:
      - .offset:         0
        .size:           4
        .value_kind:     by_value
      - .offset:         4
        .size:           4
        .value_kind:     by_value
      - .offset:         8
        .size:           4
        .value_kind:     by_value
      - .offset:         12
        .size:           4
        .value_kind:     by_value
      - .address_space:  global
        .offset:         16
        .size:           8
        .value_kind:     global_buffer
      - .offset:         24
        .size:           4
        .value_kind:     by_value
      - .offset:         32
        .size:           8
        .value_kind:     by_value
      - .address_space:  global
        .offset:         40
        .size:           8
        .value_kind:     global_buffer
      - .offset:         48
        .size:           4
        .value_kind:     by_value
      - .offset:         56
        .size:           8
        .value_kind:     by_value
      - .offset:         64
        .size:           4
        .value_kind:     by_value
      - .address_space:  global
        .offset:         72
        .size:           8
        .value_kind:     global_buffer
      - .offset:         80
        .size:           4
        .value_kind:     by_value
      - .offset:         88
        .size:           8
        .value_kind:     by_value
      - .address_space:  global
        .offset:         96
        .size:           8
        .value_kind:     global_buffer
      - .offset:         104
        .size:           4
        .value_kind:     by_value
      - .offset:         112
        .size:           8
        .value_kind:     by_value
      - .offset:         120
        .size:           4
        .value_kind:     by_value
      - .offset:         124
        .size:           4
        .value_kind:     by_value
    .group_segment_fixed_size: 10240
    .kernarg_segment_align: 8
    .kernarg_segment_size: 128
    .language:       OpenCL C
    .language_version:
      - 2
      - 0
    .max_flat_workgroup_size: 256
    .name:           _ZN12_GLOBAL__N_120geam_min_plus_kernelIf15HIP_vector_typeIfLj2EEfLi8ELi32ELi64ELi256ELi4ELi4ELi64ELi64ELi4ELc84ELc84ELb0ELb0ELb1EfKffEEviiiT16_PT17_ilS6_ilS4_S6_ilPT18_ili26rocblas_geam_ex_operation_
    .private_segment_fixed_size: 0
    .sgpr_count:     36
    .sgpr_spill_count: 0
    .symbol:         _ZN12_GLOBAL__N_120geam_min_plus_kernelIf15HIP_vector_typeIfLj2EEfLi8ELi32ELi64ELi256ELi4ELi4ELi64ELi64ELi4ELc84ELc84ELb0ELb0ELb1EfKffEEviiiT16_PT17_ilS6_ilS4_S6_ilPT18_ili26rocblas_geam_ex_operation_.kd
    .uniform_work_group_size: 1
    .uses_dynamic_stack: false
    .vgpr_count:     172
    .vgpr_spill_count: 0
    .wavefront_size: 64
  - .agpr_count:     0
    .args:
      - .offset:         0
        .size:           4
        .value_kind:     by_value
      - .offset:         4
        .size:           4
        .value_kind:     by_value
      - .offset:         8
        .size:           4
        .value_kind:     by_value
      - .address_space:  global
        .offset:         16
        .size:           8
        .value_kind:     global_buffer
      - .address_space:  global
        .offset:         24
        .size:           8
        .value_kind:     global_buffer
      - .offset:         32
        .size:           4
        .value_kind:     by_value
      - .offset:         40
        .size:           8
        .value_kind:     by_value
      - .address_space:  global
        .offset:         48
        .size:           8
        .value_kind:     global_buffer
      - .offset:         56
        .size:           4
        .value_kind:     by_value
      - .offset:         64
        .size:           8
        .value_kind:     by_value
      - .address_space:  global
        .offset:         72
        .size:           8
        .value_kind:     global_buffer
      - .address_space:  global
        .offset:         80
        .size:           8
        .value_kind:     global_buffer
      - .offset:         88
        .size:           4
        .value_kind:     by_value
      - .offset:         96
        .size:           8
        .value_kind:     by_value
      - .address_space:  global
        .offset:         104
        .size:           8
        .value_kind:     global_buffer
      - .offset:         112
        .size:           4
        .value_kind:     by_value
      - .offset:         120
        .size:           8
        .value_kind:     by_value
      - .offset:         128
        .size:           4
        .value_kind:     by_value
      - .offset:         132
        .size:           4
        .value_kind:     by_value
    .group_segment_fixed_size: 10240
    .kernarg_segment_align: 8
    .kernarg_segment_size: 136
    .language:       OpenCL C
    .language_version:
      - 2
      - 0
    .max_flat_workgroup_size: 256
    .name:           _ZN12_GLOBAL__N_120geam_min_plus_kernelIf15HIP_vector_typeIfLj2EEfLi8ELi32ELi64ELi256ELi4ELi4ELi64ELi64ELi4ELc84ELc84ELb0ELb1ELb1EPKfS3_fEEviiiT16_PT17_ilS7_ilS5_S7_ilPT18_ili26rocblas_geam_ex_operation_
    .private_segment_fixed_size: 0
    .sgpr_count:     48
    .sgpr_spill_count: 0
    .symbol:         _ZN12_GLOBAL__N_120geam_min_plus_kernelIf15HIP_vector_typeIfLj2EEfLi8ELi32ELi64ELi256ELi4ELi4ELi64ELi64ELi4ELc84ELc84ELb0ELb1ELb1EPKfS3_fEEviiiT16_PT17_ilS7_ilS5_S7_ilPT18_ili26rocblas_geam_ex_operation_.kd
    .uniform_work_group_size: 1
    .uses_dynamic_stack: false
    .vgpr_count:     172
    .vgpr_spill_count: 0
    .wavefront_size: 64
  - .agpr_count:     0
    .args:
      - .offset:         0
        .size:           4
        .value_kind:     by_value
      - .offset:         4
        .size:           4
        .value_kind:     by_value
      - .offset:         8
        .size:           4
        .value_kind:     by_value
      - .offset:         12
        .size:           4
        .value_kind:     by_value
      - .address_space:  global
        .offset:         16
        .size:           8
        .value_kind:     global_buffer
      - .offset:         24
        .size:           4
        .value_kind:     by_value
      - .offset:         32
        .size:           8
        .value_kind:     by_value
      - .address_space:  global
        .offset:         40
        .size:           8
        .value_kind:     global_buffer
      - .offset:         48
        .size:           4
        .value_kind:     by_value
      - .offset:         56
        .size:           8
        .value_kind:     by_value
      - .offset:         64
        .size:           4
        .value_kind:     by_value
      - .address_space:  global
        .offset:         72
        .size:           8
        .value_kind:     global_buffer
      - .offset:         80
        .size:           4
        .value_kind:     by_value
      - .offset:         88
        .size:           8
        .value_kind:     by_value
      - .address_space:  global
        .offset:         96
        .size:           8
        .value_kind:     global_buffer
      - .offset:         104
        .size:           4
        .value_kind:     by_value
      - .offset:         112
        .size:           8
        .value_kind:     by_value
      - .offset:         120
        .size:           4
        .value_kind:     by_value
      - .offset:         124
        .size:           4
        .value_kind:     by_value
    .group_segment_fixed_size: 10240
    .kernarg_segment_align: 8
    .kernarg_segment_size: 128
    .language:       OpenCL C
    .language_version:
      - 2
      - 0
    .max_flat_workgroup_size: 256
    .name:           _ZN12_GLOBAL__N_120geam_min_plus_kernelIf15HIP_vector_typeIfLj2EEfLi8ELi32ELi64ELi256ELi4ELi4ELi64ELi64ELi4ELc84ELc84ELb1ELb1ELb1EfKffEEviiiT16_PT17_ilS6_ilS4_S6_ilPT18_ili26rocblas_geam_ex_operation_
    .private_segment_fixed_size: 0
    .sgpr_count:     46
    .sgpr_spill_count: 0
    .symbol:         _ZN12_GLOBAL__N_120geam_min_plus_kernelIf15HIP_vector_typeIfLj2EEfLi8ELi32ELi64ELi256ELi4ELi4ELi64ELi64ELi4ELc84ELc84ELb1ELb1ELb1EfKffEEviiiT16_PT17_ilS6_ilS4_S6_ilPT18_ili26rocblas_geam_ex_operation_.kd
    .uniform_work_group_size: 1
    .uses_dynamic_stack: false
    .vgpr_count:     176
    .vgpr_spill_count: 0
    .wavefront_size: 64
  - .agpr_count:     0
    .args:
      - .offset:         0
        .size:           4
        .value_kind:     by_value
      - .offset:         4
        .size:           4
        .value_kind:     by_value
      - .offset:         8
        .size:           4
        .value_kind:     by_value
      - .offset:         12
        .size:           4
        .value_kind:     by_value
      - .address_space:  global
        .offset:         16
        .size:           8
        .value_kind:     global_buffer
      - .offset:         24
        .size:           4
        .value_kind:     by_value
      - .offset:         32
        .size:           8
        .value_kind:     by_value
      - .address_space:  global
        .offset:         40
        .size:           8
        .value_kind:     global_buffer
      - .offset:         48
        .size:           4
        .value_kind:     by_value
      - .offset:         56
        .size:           8
        .value_kind:     by_value
      - .offset:         64
        .size:           4
        .value_kind:     by_value
      - .address_space:  global
        .offset:         72
        .size:           8
        .value_kind:     global_buffer
      - .offset:         80
        .size:           4
        .value_kind:     by_value
      - .offset:         88
        .size:           8
        .value_kind:     by_value
      - .address_space:  global
        .offset:         96
        .size:           8
        .value_kind:     global_buffer
      - .offset:         104
        .size:           4
        .value_kind:     by_value
      - .offset:         112
        .size:           8
        .value_kind:     by_value
      - .offset:         120
        .size:           4
        .value_kind:     by_value
      - .offset:         124
        .size:           4
        .value_kind:     by_value
    .group_segment_fixed_size: 10240
    .kernarg_segment_align: 8
    .kernarg_segment_size: 128
    .language:       OpenCL C
    .language_version:
      - 2
      - 0
    .max_flat_workgroup_size: 256
    .name:           _ZN12_GLOBAL__N_120geam_min_plus_kernelIf15HIP_vector_typeIfLj2EEfLi8ELi32ELi64ELi256ELi4ELi4ELi64ELi64ELi4ELc84ELc84ELb0ELb1ELb1EfKffEEviiiT16_PT17_ilS6_ilS4_S6_ilPT18_ili26rocblas_geam_ex_operation_
    .private_segment_fixed_size: 0
    .sgpr_count:     48
    .sgpr_spill_count: 0
    .symbol:         _ZN12_GLOBAL__N_120geam_min_plus_kernelIf15HIP_vector_typeIfLj2EEfLi8ELi32ELi64ELi256ELi4ELi4ELi64ELi64ELi4ELc84ELc84ELb0ELb1ELb1EfKffEEviiiT16_PT17_ilS6_ilS4_S6_ilPT18_ili26rocblas_geam_ex_operation_.kd
    .uniform_work_group_size: 1
    .uses_dynamic_stack: false
    .vgpr_count:     172
    .vgpr_spill_count: 0
    .wavefront_size: 64
  - .agpr_count:     0
    .args:
      - .offset:         0
        .size:           4
        .value_kind:     by_value
      - .offset:         4
        .size:           4
        .value_kind:     by_value
      - .offset:         8
        .size:           4
        .value_kind:     by_value
      - .address_space:  global
        .offset:         16
        .size:           8
        .value_kind:     global_buffer
      - .address_space:  global
        .offset:         24
        .size:           8
        .value_kind:     global_buffer
      - .offset:         32
        .size:           4
        .value_kind:     by_value
      - .offset:         40
        .size:           8
        .value_kind:     by_value
      - .address_space:  global
        .offset:         48
        .size:           8
        .value_kind:     global_buffer
      - .offset:         56
        .size:           4
        .value_kind:     by_value
      - .offset:         64
        .size:           8
        .value_kind:     by_value
      - .address_space:  global
        .offset:         72
        .size:           8
        .value_kind:     global_buffer
      - .address_space:  global
        .offset:         80
        .size:           8
        .value_kind:     global_buffer
      - .offset:         88
        .size:           4
        .value_kind:     by_value
      - .offset:         96
        .size:           8
        .value_kind:     by_value
      - .address_space:  global
        .offset:         104
        .size:           8
        .value_kind:     global_buffer
      - .offset:         112
        .size:           4
        .value_kind:     by_value
      - .offset:         120
        .size:           8
        .value_kind:     by_value
      - .offset:         128
        .size:           4
        .value_kind:     by_value
      - .offset:         132
        .size:           4
        .value_kind:     by_value
    .group_segment_fixed_size: 6144
    .kernarg_segment_align: 8
    .kernarg_segment_size: 136
    .language:       OpenCL C
    .language_version:
      - 2
      - 0
    .max_flat_workgroup_size: 256
    .name:           _ZN12_GLOBAL__N_120geam_min_plus_kernelIf15HIP_vector_typeIfLj2EES2_Li8ELi32ELi64ELi128ELi4ELi64ELi4ELi4ELi64ELc78ELc78ELb0ELb0ELb0EPKfS3_fEEviiiT16_PT17_ilS7_ilS5_S7_ilPT18_ili26rocblas_geam_ex_operation_
    .private_segment_fixed_size: 0
    .sgpr_count:     34
    .sgpr_spill_count: 0
    .symbol:         _ZN12_GLOBAL__N_120geam_min_plus_kernelIf15HIP_vector_typeIfLj2EES2_Li8ELi32ELi64ELi128ELi4ELi64ELi4ELi4ELi64ELc78ELc78ELb0ELb0ELb0EPKfS3_fEEviiiT16_PT17_ilS7_ilS5_S7_ilPT18_ili26rocblas_geam_ex_operation_.kd
    .uniform_work_group_size: 1
    .uses_dynamic_stack: false
    .vgpr_count:     227
    .vgpr_spill_count: 0
    .wavefront_size: 64
  - .agpr_count:     0
    .args:
      - .offset:         0
        .size:           4
        .value_kind:     by_value
      - .offset:         4
        .size:           4
        .value_kind:     by_value
      - .offset:         8
        .size:           4
        .value_kind:     by_value
      - .offset:         12
        .size:           4
        .value_kind:     by_value
      - .address_space:  global
        .offset:         16
        .size:           8
        .value_kind:     global_buffer
      - .offset:         24
        .size:           4
        .value_kind:     by_value
      - .offset:         32
        .size:           8
        .value_kind:     by_value
      - .address_space:  global
        .offset:         40
        .size:           8
        .value_kind:     global_buffer
      - .offset:         48
        .size:           4
        .value_kind:     by_value
      - .offset:         56
        .size:           8
        .value_kind:     by_value
      - .offset:         64
        .size:           4
        .value_kind:     by_value
      - .address_space:  global
        .offset:         72
        .size:           8
        .value_kind:     global_buffer
      - .offset:         80
        .size:           4
        .value_kind:     by_value
      - .offset:         88
        .size:           8
        .value_kind:     by_value
      - .address_space:  global
        .offset:         96
        .size:           8
        .value_kind:     global_buffer
      - .offset:         104
        .size:           4
        .value_kind:     by_value
      - .offset:         112
        .size:           8
        .value_kind:     by_value
      - .offset:         120
        .size:           4
        .value_kind:     by_value
      - .offset:         124
        .size:           4
        .value_kind:     by_value
    .group_segment_fixed_size: 6144
    .kernarg_segment_align: 8
    .kernarg_segment_size: 128
    .language:       OpenCL C
    .language_version:
      - 2
      - 0
    .max_flat_workgroup_size: 256
    .name:           _ZN12_GLOBAL__N_120geam_min_plus_kernelIf15HIP_vector_typeIfLj2EES2_Li8ELi32ELi64ELi128ELi4ELi64ELi4ELi4ELi64ELc78ELc78ELb1ELb0ELb0EfKffEEviiiT16_PT17_ilS6_ilS4_S6_ilPT18_ili26rocblas_geam_ex_operation_
    .private_segment_fixed_size: 0
    .sgpr_count:     30
    .sgpr_spill_count: 0
    .symbol:         _ZN12_GLOBAL__N_120geam_min_plus_kernelIf15HIP_vector_typeIfLj2EES2_Li8ELi32ELi64ELi128ELi4ELi64ELi4ELi4ELi64ELc78ELc78ELb1ELb0ELb0EfKffEEviiiT16_PT17_ilS6_ilS4_S6_ilPT18_ili26rocblas_geam_ex_operation_.kd
    .uniform_work_group_size: 1
    .uses_dynamic_stack: false
    .vgpr_count:     156
    .vgpr_spill_count: 0
    .wavefront_size: 64
  - .agpr_count:     0
    .args:
      - .offset:         0
        .size:           4
        .value_kind:     by_value
      - .offset:         4
        .size:           4
        .value_kind:     by_value
      - .offset:         8
        .size:           4
        .value_kind:     by_value
      - .offset:         12
        .size:           4
        .value_kind:     by_value
      - .address_space:  global
        .offset:         16
        .size:           8
        .value_kind:     global_buffer
      - .offset:         24
        .size:           4
        .value_kind:     by_value
      - .offset:         32
        .size:           8
        .value_kind:     by_value
      - .address_space:  global
        .offset:         40
        .size:           8
        .value_kind:     global_buffer
      - .offset:         48
        .size:           4
        .value_kind:     by_value
      - .offset:         56
        .size:           8
        .value_kind:     by_value
      - .offset:         64
        .size:           4
        .value_kind:     by_value
      - .address_space:  global
        .offset:         72
        .size:           8
        .value_kind:     global_buffer
      - .offset:         80
        .size:           4
        .value_kind:     by_value
      - .offset:         88
        .size:           8
        .value_kind:     by_value
      - .address_space:  global
        .offset:         96
        .size:           8
        .value_kind:     global_buffer
      - .offset:         104
        .size:           4
        .value_kind:     by_value
      - .offset:         112
        .size:           8
        .value_kind:     by_value
      - .offset:         120
        .size:           4
        .value_kind:     by_value
      - .offset:         124
        .size:           4
        .value_kind:     by_value
    .group_segment_fixed_size: 6144
    .kernarg_segment_align: 8
    .kernarg_segment_size: 128
    .language:       OpenCL C
    .language_version:
      - 2
      - 0
    .max_flat_workgroup_size: 256
    .name:           _ZN12_GLOBAL__N_120geam_min_plus_kernelIf15HIP_vector_typeIfLj2EES2_Li8ELi32ELi64ELi128ELi4ELi64ELi4ELi4ELi64ELc78ELc78ELb0ELb0ELb0EfKffEEviiiT16_PT17_ilS6_ilS4_S6_ilPT18_ili26rocblas_geam_ex_operation_
    .private_segment_fixed_size: 0
    .sgpr_count:     36
    .sgpr_spill_count: 0
    .symbol:         _ZN12_GLOBAL__N_120geam_min_plus_kernelIf15HIP_vector_typeIfLj2EES2_Li8ELi32ELi64ELi128ELi4ELi64ELi4ELi4ELi64ELc78ELc78ELb0ELb0ELb0EfKffEEviiiT16_PT17_ilS6_ilS4_S6_ilPT18_ili26rocblas_geam_ex_operation_.kd
    .uniform_work_group_size: 1
    .uses_dynamic_stack: false
    .vgpr_count:     227
    .vgpr_spill_count: 0
    .wavefront_size: 64
  - .agpr_count:     0
    .args:
      - .offset:         0
        .size:           4
        .value_kind:     by_value
      - .offset:         4
        .size:           4
        .value_kind:     by_value
      - .offset:         8
        .size:           4
        .value_kind:     by_value
      - .address_space:  global
        .offset:         16
        .size:           8
        .value_kind:     global_buffer
      - .address_space:  global
        .offset:         24
        .size:           8
        .value_kind:     global_buffer
      - .offset:         32
        .size:           4
        .value_kind:     by_value
      - .offset:         40
        .size:           8
        .value_kind:     by_value
      - .address_space:  global
        .offset:         48
        .size:           8
        .value_kind:     global_buffer
      - .offset:         56
        .size:           4
        .value_kind:     by_value
      - .offset:         64
        .size:           8
        .value_kind:     by_value
      - .address_space:  global
        .offset:         72
        .size:           8
        .value_kind:     global_buffer
      - .address_space:  global
        .offset:         80
        .size:           8
        .value_kind:     global_buffer
      - .offset:         88
        .size:           4
        .value_kind:     by_value
      - .offset:         96
        .size:           8
        .value_kind:     by_value
      - .address_space:  global
        .offset:         104
        .size:           8
        .value_kind:     global_buffer
      - .offset:         112
        .size:           4
        .value_kind:     by_value
      - .offset:         120
        .size:           8
        .value_kind:     by_value
      - .offset:         128
        .size:           4
        .value_kind:     by_value
      - .offset:         132
        .size:           4
        .value_kind:     by_value
    .group_segment_fixed_size: 6144
    .kernarg_segment_align: 8
    .kernarg_segment_size: 136
    .language:       OpenCL C
    .language_version:
      - 2
      - 0
    .max_flat_workgroup_size: 256
    .name:           _ZN12_GLOBAL__N_120geam_min_plus_kernelIf15HIP_vector_typeIfLj2EES2_Li8ELi32ELi64ELi128ELi4ELi64ELi4ELi4ELi64ELc78ELc78ELb0ELb1ELb0EPKfS3_fEEviiiT16_PT17_ilS7_ilS5_S7_ilPT18_ili26rocblas_geam_ex_operation_
    .private_segment_fixed_size: 0
    .sgpr_count:     44
    .sgpr_spill_count: 0
    .symbol:         _ZN12_GLOBAL__N_120geam_min_plus_kernelIf15HIP_vector_typeIfLj2EES2_Li8ELi32ELi64ELi128ELi4ELi64ELi4ELi4ELi64ELc78ELc78ELb0ELb1ELb0EPKfS3_fEEviiiT16_PT17_ilS7_ilS5_S7_ilPT18_ili26rocblas_geam_ex_operation_.kd
    .uniform_work_group_size: 1
    .uses_dynamic_stack: false
    .vgpr_count:     226
    .vgpr_spill_count: 0
    .wavefront_size: 64
  - .agpr_count:     0
    .args:
      - .offset:         0
        .size:           4
        .value_kind:     by_value
      - .offset:         4
        .size:           4
        .value_kind:     by_value
      - .offset:         8
        .size:           4
        .value_kind:     by_value
      - .offset:         12
        .size:           4
        .value_kind:     by_value
      - .address_space:  global
        .offset:         16
        .size:           8
        .value_kind:     global_buffer
      - .offset:         24
        .size:           4
        .value_kind:     by_value
      - .offset:         32
        .size:           8
        .value_kind:     by_value
      - .address_space:  global
        .offset:         40
        .size:           8
        .value_kind:     global_buffer
      - .offset:         48
        .size:           4
        .value_kind:     by_value
      - .offset:         56
        .size:           8
        .value_kind:     by_value
      - .offset:         64
        .size:           4
        .value_kind:     by_value
      - .address_space:  global
        .offset:         72
        .size:           8
        .value_kind:     global_buffer
      - .offset:         80
        .size:           4
        .value_kind:     by_value
      - .offset:         88
        .size:           8
        .value_kind:     by_value
      - .address_space:  global
        .offset:         96
        .size:           8
        .value_kind:     global_buffer
      - .offset:         104
        .size:           4
        .value_kind:     by_value
      - .offset:         112
        .size:           8
        .value_kind:     by_value
      - .offset:         120
        .size:           4
        .value_kind:     by_value
      - .offset:         124
        .size:           4
        .value_kind:     by_value
    .group_segment_fixed_size: 6144
    .kernarg_segment_align: 8
    .kernarg_segment_size: 128
    .language:       OpenCL C
    .language_version:
      - 2
      - 0
    .max_flat_workgroup_size: 256
    .name:           _ZN12_GLOBAL__N_120geam_min_plus_kernelIf15HIP_vector_typeIfLj2EES2_Li8ELi32ELi64ELi128ELi4ELi64ELi4ELi4ELi64ELc78ELc78ELb1ELb1ELb0EfKffEEviiiT16_PT17_ilS6_ilS4_S6_ilPT18_ili26rocblas_geam_ex_operation_
    .private_segment_fixed_size: 0
    .sgpr_count:     42
    .sgpr_spill_count: 0
    .symbol:         _ZN12_GLOBAL__N_120geam_min_plus_kernelIf15HIP_vector_typeIfLj2EES2_Li8ELi32ELi64ELi128ELi4ELi64ELi4ELi4ELi64ELc78ELc78ELb1ELb1ELb0EfKffEEviiiT16_PT17_ilS6_ilS4_S6_ilPT18_ili26rocblas_geam_ex_operation_.kd
    .uniform_work_group_size: 1
    .uses_dynamic_stack: false
    .vgpr_count:     227
    .vgpr_spill_count: 0
    .wavefront_size: 64
  - .agpr_count:     0
    .args:
      - .offset:         0
        .size:           4
        .value_kind:     by_value
      - .offset:         4
        .size:           4
        .value_kind:     by_value
      - .offset:         8
        .size:           4
        .value_kind:     by_value
      - .offset:         12
        .size:           4
        .value_kind:     by_value
      - .address_space:  global
        .offset:         16
        .size:           8
        .value_kind:     global_buffer
      - .offset:         24
        .size:           4
        .value_kind:     by_value
      - .offset:         32
        .size:           8
        .value_kind:     by_value
      - .address_space:  global
        .offset:         40
        .size:           8
        .value_kind:     global_buffer
      - .offset:         48
        .size:           4
        .value_kind:     by_value
      - .offset:         56
        .size:           8
        .value_kind:     by_value
      - .offset:         64
        .size:           4
        .value_kind:     by_value
      - .address_space:  global
        .offset:         72
        .size:           8
        .value_kind:     global_buffer
      - .offset:         80
        .size:           4
        .value_kind:     by_value
      - .offset:         88
        .size:           8
        .value_kind:     by_value
      - .address_space:  global
        .offset:         96
        .size:           8
        .value_kind:     global_buffer
      - .offset:         104
        .size:           4
        .value_kind:     by_value
      - .offset:         112
        .size:           8
        .value_kind:     by_value
      - .offset:         120
        .size:           4
        .value_kind:     by_value
      - .offset:         124
        .size:           4
        .value_kind:     by_value
    .group_segment_fixed_size: 6144
    .kernarg_segment_align: 8
    .kernarg_segment_size: 128
    .language:       OpenCL C
    .language_version:
      - 2
      - 0
    .max_flat_workgroup_size: 256
    .name:           _ZN12_GLOBAL__N_120geam_min_plus_kernelIf15HIP_vector_typeIfLj2EES2_Li8ELi32ELi64ELi128ELi4ELi64ELi4ELi4ELi64ELc78ELc78ELb0ELb1ELb0EfKffEEviiiT16_PT17_ilS6_ilS4_S6_ilPT18_ili26rocblas_geam_ex_operation_
    .private_segment_fixed_size: 0
    .sgpr_count:     44
    .sgpr_spill_count: 0
    .symbol:         _ZN12_GLOBAL__N_120geam_min_plus_kernelIf15HIP_vector_typeIfLj2EES2_Li8ELi32ELi64ELi128ELi4ELi64ELi4ELi4ELi64ELc78ELc78ELb0ELb1ELb0EfKffEEviiiT16_PT17_ilS6_ilS4_S6_ilPT18_ili26rocblas_geam_ex_operation_.kd
    .uniform_work_group_size: 1
    .uses_dynamic_stack: false
    .vgpr_count:     226
    .vgpr_spill_count: 0
    .wavefront_size: 64
  - .agpr_count:     0
    .args:
      - .offset:         0
        .size:           4
        .value_kind:     by_value
      - .offset:         4
        .size:           4
        .value_kind:     by_value
      - .offset:         8
        .size:           4
        .value_kind:     by_value
      - .address_space:  global
        .offset:         16
        .size:           8
        .value_kind:     global_buffer
      - .address_space:  global
        .offset:         24
        .size:           8
        .value_kind:     global_buffer
      - .offset:         32
        .size:           4
        .value_kind:     by_value
      - .offset:         40
        .size:           8
        .value_kind:     by_value
      - .address_space:  global
        .offset:         48
        .size:           8
        .value_kind:     global_buffer
      - .offset:         56
        .size:           4
        .value_kind:     by_value
      - .offset:         64
        .size:           8
        .value_kind:     by_value
      - .address_space:  global
        .offset:         72
        .size:           8
        .value_kind:     global_buffer
      - .address_space:  global
        .offset:         80
        .size:           8
        .value_kind:     global_buffer
      - .offset:         88
        .size:           4
        .value_kind:     by_value
      - .offset:         96
        .size:           8
        .value_kind:     by_value
      - .address_space:  global
        .offset:         104
        .size:           8
        .value_kind:     global_buffer
      - .offset:         112
        .size:           4
        .value_kind:     by_value
      - .offset:         120
        .size:           8
        .value_kind:     by_value
      - .offset:         128
        .size:           4
        .value_kind:     by_value
      - .offset:         132
        .size:           4
        .value_kind:     by_value
    .group_segment_fixed_size: 6144
    .kernarg_segment_align: 8
    .kernarg_segment_size: 136
    .language:       OpenCL C
    .language_version:
      - 2
      - 0
    .max_flat_workgroup_size: 256
    .name:           _ZN12_GLOBAL__N_120geam_min_plus_kernelIf15HIP_vector_typeIfLj2EES2_Li8ELi32ELi64ELi128ELi4ELi4ELi64ELi4ELi64ELc84ELc78ELb0ELb0ELb0EPKfS3_fEEviiiT16_PT17_ilS7_ilS5_S7_ilPT18_ili26rocblas_geam_ex_operation_
    .private_segment_fixed_size: 0
    .sgpr_count:     32
    .sgpr_spill_count: 0
    .symbol:         _ZN12_GLOBAL__N_120geam_min_plus_kernelIf15HIP_vector_typeIfLj2EES2_Li8ELi32ELi64ELi128ELi4ELi4ELi64ELi4ELi64ELc84ELc78ELb0ELb0ELb0EPKfS3_fEEviiiT16_PT17_ilS7_ilS5_S7_ilPT18_ili26rocblas_geam_ex_operation_.kd
    .uniform_work_group_size: 1
    .uses_dynamic_stack: false
    .vgpr_count:     223
    .vgpr_spill_count: 0
    .wavefront_size: 64
  - .agpr_count:     0
    .args:
      - .offset:         0
        .size:           4
        .value_kind:     by_value
      - .offset:         4
        .size:           4
        .value_kind:     by_value
      - .offset:         8
        .size:           4
        .value_kind:     by_value
      - .offset:         12
        .size:           4
        .value_kind:     by_value
      - .address_space:  global
        .offset:         16
        .size:           8
        .value_kind:     global_buffer
      - .offset:         24
        .size:           4
        .value_kind:     by_value
      - .offset:         32
        .size:           8
        .value_kind:     by_value
      - .address_space:  global
        .offset:         40
        .size:           8
        .value_kind:     global_buffer
      - .offset:         48
        .size:           4
        .value_kind:     by_value
      - .offset:         56
        .size:           8
        .value_kind:     by_value
      - .offset:         64
        .size:           4
        .value_kind:     by_value
      - .address_space:  global
        .offset:         72
        .size:           8
        .value_kind:     global_buffer
      - .offset:         80
        .size:           4
        .value_kind:     by_value
      - .offset:         88
        .size:           8
        .value_kind:     by_value
      - .address_space:  global
        .offset:         96
        .size:           8
        .value_kind:     global_buffer
      - .offset:         104
        .size:           4
        .value_kind:     by_value
      - .offset:         112
        .size:           8
        .value_kind:     by_value
      - .offset:         120
        .size:           4
        .value_kind:     by_value
      - .offset:         124
        .size:           4
        .value_kind:     by_value
    .group_segment_fixed_size: 6144
    .kernarg_segment_align: 8
    .kernarg_segment_size: 128
    .language:       OpenCL C
    .language_version:
      - 2
      - 0
    .max_flat_workgroup_size: 256
    .name:           _ZN12_GLOBAL__N_120geam_min_plus_kernelIf15HIP_vector_typeIfLj2EES2_Li8ELi32ELi64ELi128ELi4ELi4ELi64ELi4ELi64ELc84ELc78ELb1ELb0ELb0EfKffEEviiiT16_PT17_ilS6_ilS4_S6_ilPT18_ili26rocblas_geam_ex_operation_
    .private_segment_fixed_size: 0
    .sgpr_count:     30
    .sgpr_spill_count: 0
    .symbol:         _ZN12_GLOBAL__N_120geam_min_plus_kernelIf15HIP_vector_typeIfLj2EES2_Li8ELi32ELi64ELi128ELi4ELi4ELi64ELi4ELi64ELc84ELc78ELb1ELb0ELb0EfKffEEviiiT16_PT17_ilS6_ilS4_S6_ilPT18_ili26rocblas_geam_ex_operation_.kd
    .uniform_work_group_size: 1
    .uses_dynamic_stack: false
    .vgpr_count:     162
    .vgpr_spill_count: 0
    .wavefront_size: 64
  - .agpr_count:     0
    .args:
      - .offset:         0
        .size:           4
        .value_kind:     by_value
      - .offset:         4
        .size:           4
        .value_kind:     by_value
      - .offset:         8
        .size:           4
        .value_kind:     by_value
      - .offset:         12
        .size:           4
        .value_kind:     by_value
      - .address_space:  global
        .offset:         16
        .size:           8
        .value_kind:     global_buffer
      - .offset:         24
        .size:           4
        .value_kind:     by_value
      - .offset:         32
        .size:           8
        .value_kind:     by_value
      - .address_space:  global
        .offset:         40
        .size:           8
        .value_kind:     global_buffer
      - .offset:         48
        .size:           4
        .value_kind:     by_value
      - .offset:         56
        .size:           8
        .value_kind:     by_value
      - .offset:         64
        .size:           4
        .value_kind:     by_value
      - .address_space:  global
        .offset:         72
        .size:           8
        .value_kind:     global_buffer
      - .offset:         80
        .size:           4
        .value_kind:     by_value
      - .offset:         88
        .size:           8
        .value_kind:     by_value
      - .address_space:  global
        .offset:         96
        .size:           8
        .value_kind:     global_buffer
      - .offset:         104
        .size:           4
        .value_kind:     by_value
      - .offset:         112
        .size:           8
        .value_kind:     by_value
      - .offset:         120
        .size:           4
        .value_kind:     by_value
      - .offset:         124
        .size:           4
        .value_kind:     by_value
    .group_segment_fixed_size: 6144
    .kernarg_segment_align: 8
    .kernarg_segment_size: 128
    .language:       OpenCL C
    .language_version:
      - 2
      - 0
    .max_flat_workgroup_size: 256
    .name:           _ZN12_GLOBAL__N_120geam_min_plus_kernelIf15HIP_vector_typeIfLj2EES2_Li8ELi32ELi64ELi128ELi4ELi4ELi64ELi4ELi64ELc84ELc78ELb0ELb0ELb0EfKffEEviiiT16_PT17_ilS6_ilS4_S6_ilPT18_ili26rocblas_geam_ex_operation_
    .private_segment_fixed_size: 0
    .sgpr_count:     34
    .sgpr_spill_count: 0
    .symbol:         _ZN12_GLOBAL__N_120geam_min_plus_kernelIf15HIP_vector_typeIfLj2EES2_Li8ELi32ELi64ELi128ELi4ELi4ELi64ELi4ELi64ELc84ELc78ELb0ELb0ELb0EfKffEEviiiT16_PT17_ilS6_ilS4_S6_ilPT18_ili26rocblas_geam_ex_operation_.kd
    .uniform_work_group_size: 1
    .uses_dynamic_stack: false
    .vgpr_count:     223
    .vgpr_spill_count: 0
    .wavefront_size: 64
  - .agpr_count:     0
    .args:
      - .offset:         0
        .size:           4
        .value_kind:     by_value
      - .offset:         4
        .size:           4
        .value_kind:     by_value
      - .offset:         8
        .size:           4
        .value_kind:     by_value
      - .address_space:  global
        .offset:         16
        .size:           8
        .value_kind:     global_buffer
      - .address_space:  global
        .offset:         24
        .size:           8
        .value_kind:     global_buffer
      - .offset:         32
        .size:           4
        .value_kind:     by_value
      - .offset:         40
        .size:           8
        .value_kind:     by_value
      - .address_space:  global
        .offset:         48
        .size:           8
        .value_kind:     global_buffer
      - .offset:         56
        .size:           4
        .value_kind:     by_value
      - .offset:         64
        .size:           8
        .value_kind:     by_value
      - .address_space:  global
        .offset:         72
        .size:           8
        .value_kind:     global_buffer
      - .address_space:  global
        .offset:         80
        .size:           8
        .value_kind:     global_buffer
      - .offset:         88
        .size:           4
        .value_kind:     by_value
      - .offset:         96
        .size:           8
        .value_kind:     by_value
      - .address_space:  global
        .offset:         104
        .size:           8
        .value_kind:     global_buffer
      - .offset:         112
        .size:           4
        .value_kind:     by_value
      - .offset:         120
        .size:           8
        .value_kind:     by_value
      - .offset:         128
        .size:           4
        .value_kind:     by_value
      - .offset:         132
        .size:           4
        .value_kind:     by_value
    .group_segment_fixed_size: 6144
    .kernarg_segment_align: 8
    .kernarg_segment_size: 136
    .language:       OpenCL C
    .language_version:
      - 2
      - 0
    .max_flat_workgroup_size: 256
    .name:           _ZN12_GLOBAL__N_120geam_min_plus_kernelIf15HIP_vector_typeIfLj2EES2_Li8ELi32ELi64ELi128ELi4ELi4ELi64ELi4ELi64ELc84ELc78ELb0ELb1ELb0EPKfS3_fEEviiiT16_PT17_ilS7_ilS5_S7_ilPT18_ili26rocblas_geam_ex_operation_
    .private_segment_fixed_size: 0
    .sgpr_count:     44
    .sgpr_spill_count: 0
    .symbol:         _ZN12_GLOBAL__N_120geam_min_plus_kernelIf15HIP_vector_typeIfLj2EES2_Li8ELi32ELi64ELi128ELi4ELi4ELi64ELi4ELi64ELc84ELc78ELb0ELb1ELb0EPKfS3_fEEviiiT16_PT17_ilS7_ilS5_S7_ilPT18_ili26rocblas_geam_ex_operation_.kd
    .uniform_work_group_size: 1
    .uses_dynamic_stack: false
    .vgpr_count:     220
    .vgpr_spill_count: 0
    .wavefront_size: 64
  - .agpr_count:     0
    .args:
      - .offset:         0
        .size:           4
        .value_kind:     by_value
      - .offset:         4
        .size:           4
        .value_kind:     by_value
      - .offset:         8
        .size:           4
        .value_kind:     by_value
      - .offset:         12
        .size:           4
        .value_kind:     by_value
      - .address_space:  global
        .offset:         16
        .size:           8
        .value_kind:     global_buffer
      - .offset:         24
        .size:           4
        .value_kind:     by_value
      - .offset:         32
        .size:           8
        .value_kind:     by_value
      - .address_space:  global
        .offset:         40
        .size:           8
        .value_kind:     global_buffer
      - .offset:         48
        .size:           4
        .value_kind:     by_value
      - .offset:         56
        .size:           8
        .value_kind:     by_value
      - .offset:         64
        .size:           4
        .value_kind:     by_value
      - .address_space:  global
        .offset:         72
        .size:           8
        .value_kind:     global_buffer
      - .offset:         80
        .size:           4
        .value_kind:     by_value
      - .offset:         88
        .size:           8
        .value_kind:     by_value
      - .address_space:  global
        .offset:         96
        .size:           8
        .value_kind:     global_buffer
      - .offset:         104
        .size:           4
        .value_kind:     by_value
      - .offset:         112
        .size:           8
        .value_kind:     by_value
      - .offset:         120
        .size:           4
        .value_kind:     by_value
      - .offset:         124
        .size:           4
        .value_kind:     by_value
    .group_segment_fixed_size: 6144
    .kernarg_segment_align: 8
    .kernarg_segment_size: 128
    .language:       OpenCL C
    .language_version:
      - 2
      - 0
    .max_flat_workgroup_size: 256
    .name:           _ZN12_GLOBAL__N_120geam_min_plus_kernelIf15HIP_vector_typeIfLj2EES2_Li8ELi32ELi64ELi128ELi4ELi4ELi64ELi4ELi64ELc84ELc78ELb1ELb1ELb0EfKffEEviiiT16_PT17_ilS6_ilS4_S6_ilPT18_ili26rocblas_geam_ex_operation_
    .private_segment_fixed_size: 0
    .sgpr_count:     42
    .sgpr_spill_count: 0
    .symbol:         _ZN12_GLOBAL__N_120geam_min_plus_kernelIf15HIP_vector_typeIfLj2EES2_Li8ELi32ELi64ELi128ELi4ELi4ELi64ELi4ELi64ELc84ELc78ELb1ELb1ELb0EfKffEEviiiT16_PT17_ilS6_ilS4_S6_ilPT18_ili26rocblas_geam_ex_operation_.kd
    .uniform_work_group_size: 1
    .uses_dynamic_stack: false
    .vgpr_count:     222
    .vgpr_spill_count: 0
    .wavefront_size: 64
  - .agpr_count:     0
    .args:
      - .offset:         0
        .size:           4
        .value_kind:     by_value
      - .offset:         4
        .size:           4
        .value_kind:     by_value
      - .offset:         8
        .size:           4
        .value_kind:     by_value
      - .offset:         12
        .size:           4
        .value_kind:     by_value
      - .address_space:  global
        .offset:         16
        .size:           8
        .value_kind:     global_buffer
      - .offset:         24
        .size:           4
        .value_kind:     by_value
      - .offset:         32
        .size:           8
        .value_kind:     by_value
      - .address_space:  global
        .offset:         40
        .size:           8
        .value_kind:     global_buffer
      - .offset:         48
        .size:           4
        .value_kind:     by_value
      - .offset:         56
        .size:           8
        .value_kind:     by_value
      - .offset:         64
        .size:           4
        .value_kind:     by_value
      - .address_space:  global
        .offset:         72
        .size:           8
        .value_kind:     global_buffer
      - .offset:         80
        .size:           4
        .value_kind:     by_value
      - .offset:         88
        .size:           8
        .value_kind:     by_value
      - .address_space:  global
        .offset:         96
        .size:           8
        .value_kind:     global_buffer
      - .offset:         104
        .size:           4
        .value_kind:     by_value
      - .offset:         112
        .size:           8
        .value_kind:     by_value
      - .offset:         120
        .size:           4
        .value_kind:     by_value
      - .offset:         124
        .size:           4
        .value_kind:     by_value
    .group_segment_fixed_size: 6144
    .kernarg_segment_align: 8
    .kernarg_segment_size: 128
    .language:       OpenCL C
    .language_version:
      - 2
      - 0
    .max_flat_workgroup_size: 256
    .name:           _ZN12_GLOBAL__N_120geam_min_plus_kernelIf15HIP_vector_typeIfLj2EES2_Li8ELi32ELi64ELi128ELi4ELi4ELi64ELi4ELi64ELc84ELc78ELb0ELb1ELb0EfKffEEviiiT16_PT17_ilS6_ilS4_S6_ilPT18_ili26rocblas_geam_ex_operation_
    .private_segment_fixed_size: 0
    .sgpr_count:     46
    .sgpr_spill_count: 0
    .symbol:         _ZN12_GLOBAL__N_120geam_min_plus_kernelIf15HIP_vector_typeIfLj2EES2_Li8ELi32ELi64ELi128ELi4ELi4ELi64ELi4ELi64ELc84ELc78ELb0ELb1ELb0EfKffEEviiiT16_PT17_ilS6_ilS4_S6_ilPT18_ili26rocblas_geam_ex_operation_.kd
    .uniform_work_group_size: 1
    .uses_dynamic_stack: false
    .vgpr_count:     220
    .vgpr_spill_count: 0
    .wavefront_size: 64
  - .agpr_count:     0
    .args:
      - .offset:         0
        .size:           4
        .value_kind:     by_value
      - .offset:         4
        .size:           4
        .value_kind:     by_value
      - .offset:         8
        .size:           4
        .value_kind:     by_value
      - .address_space:  global
        .offset:         16
        .size:           8
        .value_kind:     global_buffer
      - .address_space:  global
        .offset:         24
        .size:           8
        .value_kind:     global_buffer
      - .offset:         32
        .size:           4
        .value_kind:     by_value
      - .offset:         40
        .size:           8
        .value_kind:     by_value
      - .address_space:  global
        .offset:         48
        .size:           8
        .value_kind:     global_buffer
      - .offset:         56
        .size:           4
        .value_kind:     by_value
      - .offset:         64
        .size:           8
        .value_kind:     by_value
      - .address_space:  global
        .offset:         72
        .size:           8
        .value_kind:     global_buffer
      - .address_space:  global
        .offset:         80
        .size:           8
        .value_kind:     global_buffer
      - .offset:         88
        .size:           4
        .value_kind:     by_value
      - .offset:         96
        .size:           8
        .value_kind:     by_value
      - .address_space:  global
        .offset:         104
        .size:           8
        .value_kind:     global_buffer
      - .offset:         112
        .size:           4
        .value_kind:     by_value
      - .offset:         120
        .size:           8
        .value_kind:     by_value
      - .offset:         128
        .size:           4
        .value_kind:     by_value
      - .offset:         132
        .size:           4
        .value_kind:     by_value
    .group_segment_fixed_size: 6144
    .kernarg_segment_align: 8
    .kernarg_segment_size: 136
    .language:       OpenCL C
    .language_version:
      - 2
      - 0
    .max_flat_workgroup_size: 256
    .name:           _ZN12_GLOBAL__N_120geam_min_plus_kernelIf15HIP_vector_typeIfLj2EES2_Li8ELi32ELi64ELi128ELi4ELi64ELi4ELi64ELi4ELc78ELc84ELb0ELb0ELb0EPKfS3_fEEviiiT16_PT17_ilS7_ilS5_S7_ilPT18_ili26rocblas_geam_ex_operation_
    .private_segment_fixed_size: 0
    .sgpr_count:     35
    .sgpr_spill_count: 0
    .symbol:         _ZN12_GLOBAL__N_120geam_min_plus_kernelIf15HIP_vector_typeIfLj2EES2_Li8ELi32ELi64ELi128ELi4ELi64ELi4ELi64ELi4ELc78ELc84ELb0ELb0ELb0EPKfS3_fEEviiiT16_PT17_ilS7_ilS5_S7_ilPT18_ili26rocblas_geam_ex_operation_.kd
    .uniform_work_group_size: 1
    .uses_dynamic_stack: false
    .vgpr_count:     223
    .vgpr_spill_count: 0
    .wavefront_size: 64
  - .agpr_count:     0
    .args:
      - .offset:         0
        .size:           4
        .value_kind:     by_value
      - .offset:         4
        .size:           4
        .value_kind:     by_value
      - .offset:         8
        .size:           4
        .value_kind:     by_value
      - .offset:         12
        .size:           4
        .value_kind:     by_value
      - .address_space:  global
        .offset:         16
        .size:           8
        .value_kind:     global_buffer
      - .offset:         24
        .size:           4
        .value_kind:     by_value
      - .offset:         32
        .size:           8
        .value_kind:     by_value
      - .address_space:  global
        .offset:         40
        .size:           8
        .value_kind:     global_buffer
      - .offset:         48
        .size:           4
        .value_kind:     by_value
      - .offset:         56
        .size:           8
        .value_kind:     by_value
      - .offset:         64
        .size:           4
        .value_kind:     by_value
      - .address_space:  global
        .offset:         72
        .size:           8
        .value_kind:     global_buffer
      - .offset:         80
        .size:           4
        .value_kind:     by_value
      - .offset:         88
        .size:           8
        .value_kind:     by_value
      - .address_space:  global
        .offset:         96
        .size:           8
        .value_kind:     global_buffer
      - .offset:         104
        .size:           4
        .value_kind:     by_value
      - .offset:         112
        .size:           8
        .value_kind:     by_value
      - .offset:         120
        .size:           4
        .value_kind:     by_value
      - .offset:         124
        .size:           4
        .value_kind:     by_value
    .group_segment_fixed_size: 6144
    .kernarg_segment_align: 8
    .kernarg_segment_size: 128
    .language:       OpenCL C
    .language_version:
      - 2
      - 0
    .max_flat_workgroup_size: 256
    .name:           _ZN12_GLOBAL__N_120geam_min_plus_kernelIf15HIP_vector_typeIfLj2EES2_Li8ELi32ELi64ELi128ELi4ELi64ELi4ELi64ELi4ELc78ELc84ELb1ELb0ELb0EfKffEEviiiT16_PT17_ilS6_ilS4_S6_ilPT18_ili26rocblas_geam_ex_operation_
    .private_segment_fixed_size: 0
    .sgpr_count:     32
    .sgpr_spill_count: 0
    .symbol:         _ZN12_GLOBAL__N_120geam_min_plus_kernelIf15HIP_vector_typeIfLj2EES2_Li8ELi32ELi64ELi128ELi4ELi64ELi4ELi64ELi4ELc78ELc84ELb1ELb0ELb0EfKffEEviiiT16_PT17_ilS6_ilS4_S6_ilPT18_ili26rocblas_geam_ex_operation_.kd
    .uniform_work_group_size: 1
    .uses_dynamic_stack: false
    .vgpr_count:     156
    .vgpr_spill_count: 0
    .wavefront_size: 64
  - .agpr_count:     0
    .args:
      - .offset:         0
        .size:           4
        .value_kind:     by_value
      - .offset:         4
        .size:           4
        .value_kind:     by_value
      - .offset:         8
        .size:           4
        .value_kind:     by_value
      - .offset:         12
        .size:           4
        .value_kind:     by_value
      - .address_space:  global
        .offset:         16
        .size:           8
        .value_kind:     global_buffer
      - .offset:         24
        .size:           4
        .value_kind:     by_value
      - .offset:         32
        .size:           8
        .value_kind:     by_value
      - .address_space:  global
        .offset:         40
        .size:           8
        .value_kind:     global_buffer
      - .offset:         48
        .size:           4
        .value_kind:     by_value
      - .offset:         56
        .size:           8
        .value_kind:     by_value
      - .offset:         64
        .size:           4
        .value_kind:     by_value
      - .address_space:  global
        .offset:         72
        .size:           8
        .value_kind:     global_buffer
      - .offset:         80
        .size:           4
        .value_kind:     by_value
      - .offset:         88
        .size:           8
        .value_kind:     by_value
      - .address_space:  global
        .offset:         96
        .size:           8
        .value_kind:     global_buffer
      - .offset:         104
        .size:           4
        .value_kind:     by_value
      - .offset:         112
        .size:           8
        .value_kind:     by_value
      - .offset:         120
        .size:           4
        .value_kind:     by_value
      - .offset:         124
        .size:           4
        .value_kind:     by_value
    .group_segment_fixed_size: 6144
    .kernarg_segment_align: 8
    .kernarg_segment_size: 128
    .language:       OpenCL C
    .language_version:
      - 2
      - 0
    .max_flat_workgroup_size: 256
    .name:           _ZN12_GLOBAL__N_120geam_min_plus_kernelIf15HIP_vector_typeIfLj2EES2_Li8ELi32ELi64ELi128ELi4ELi64ELi4ELi64ELi4ELc78ELc84ELb0ELb0ELb0EfKffEEviiiT16_PT17_ilS6_ilS4_S6_ilPT18_ili26rocblas_geam_ex_operation_
    .private_segment_fixed_size: 0
    .sgpr_count:     36
    .sgpr_spill_count: 0
    .symbol:         _ZN12_GLOBAL__N_120geam_min_plus_kernelIf15HIP_vector_typeIfLj2EES2_Li8ELi32ELi64ELi128ELi4ELi64ELi4ELi64ELi4ELc78ELc84ELb0ELb0ELb0EfKffEEviiiT16_PT17_ilS6_ilS4_S6_ilPT18_ili26rocblas_geam_ex_operation_.kd
    .uniform_work_group_size: 1
    .uses_dynamic_stack: false
    .vgpr_count:     223
    .vgpr_spill_count: 0
    .wavefront_size: 64
  - .agpr_count:     0
    .args:
      - .offset:         0
        .size:           4
        .value_kind:     by_value
      - .offset:         4
        .size:           4
        .value_kind:     by_value
      - .offset:         8
        .size:           4
        .value_kind:     by_value
      - .address_space:  global
        .offset:         16
        .size:           8
        .value_kind:     global_buffer
      - .address_space:  global
        .offset:         24
        .size:           8
        .value_kind:     global_buffer
      - .offset:         32
        .size:           4
        .value_kind:     by_value
      - .offset:         40
        .size:           8
        .value_kind:     by_value
      - .address_space:  global
        .offset:         48
        .size:           8
        .value_kind:     global_buffer
      - .offset:         56
        .size:           4
        .value_kind:     by_value
      - .offset:         64
        .size:           8
        .value_kind:     by_value
      - .address_space:  global
        .offset:         72
        .size:           8
        .value_kind:     global_buffer
      - .address_space:  global
        .offset:         80
        .size:           8
        .value_kind:     global_buffer
      - .offset:         88
        .size:           4
        .value_kind:     by_value
      - .offset:         96
        .size:           8
        .value_kind:     by_value
      - .address_space:  global
        .offset:         104
        .size:           8
        .value_kind:     global_buffer
      - .offset:         112
        .size:           4
        .value_kind:     by_value
      - .offset:         120
        .size:           8
        .value_kind:     by_value
      - .offset:         128
        .size:           4
        .value_kind:     by_value
      - .offset:         132
        .size:           4
        .value_kind:     by_value
    .group_segment_fixed_size: 6144
    .kernarg_segment_align: 8
    .kernarg_segment_size: 136
    .language:       OpenCL C
    .language_version:
      - 2
      - 0
    .max_flat_workgroup_size: 256
    .name:           _ZN12_GLOBAL__N_120geam_min_plus_kernelIf15HIP_vector_typeIfLj2EES2_Li8ELi32ELi64ELi128ELi4ELi64ELi4ELi64ELi4ELc78ELc84ELb0ELb1ELb0EPKfS3_fEEviiiT16_PT17_ilS7_ilS5_S7_ilPT18_ili26rocblas_geam_ex_operation_
    .private_segment_fixed_size: 0
    .sgpr_count:     46
    .sgpr_spill_count: 0
    .symbol:         _ZN12_GLOBAL__N_120geam_min_plus_kernelIf15HIP_vector_typeIfLj2EES2_Li8ELi32ELi64ELi128ELi4ELi64ELi4ELi64ELi4ELc78ELc84ELb0ELb1ELb0EPKfS3_fEEviiiT16_PT17_ilS7_ilS5_S7_ilPT18_ili26rocblas_geam_ex_operation_.kd
    .uniform_work_group_size: 1
    .uses_dynamic_stack: false
    .vgpr_count:     223
    .vgpr_spill_count: 0
    .wavefront_size: 64
  - .agpr_count:     0
    .args:
      - .offset:         0
        .size:           4
        .value_kind:     by_value
      - .offset:         4
        .size:           4
        .value_kind:     by_value
      - .offset:         8
        .size:           4
        .value_kind:     by_value
      - .offset:         12
        .size:           4
        .value_kind:     by_value
      - .address_space:  global
        .offset:         16
        .size:           8
        .value_kind:     global_buffer
      - .offset:         24
        .size:           4
        .value_kind:     by_value
      - .offset:         32
        .size:           8
        .value_kind:     by_value
      - .address_space:  global
        .offset:         40
        .size:           8
        .value_kind:     global_buffer
      - .offset:         48
        .size:           4
        .value_kind:     by_value
      - .offset:         56
        .size:           8
        .value_kind:     by_value
      - .offset:         64
        .size:           4
        .value_kind:     by_value
      - .address_space:  global
        .offset:         72
        .size:           8
        .value_kind:     global_buffer
      - .offset:         80
        .size:           4
        .value_kind:     by_value
      - .offset:         88
        .size:           8
        .value_kind:     by_value
      - .address_space:  global
        .offset:         96
        .size:           8
        .value_kind:     global_buffer
      - .offset:         104
        .size:           4
        .value_kind:     by_value
      - .offset:         112
        .size:           8
        .value_kind:     by_value
      - .offset:         120
        .size:           4
        .value_kind:     by_value
      - .offset:         124
        .size:           4
        .value_kind:     by_value
    .group_segment_fixed_size: 6144
    .kernarg_segment_align: 8
    .kernarg_segment_size: 128
    .language:       OpenCL C
    .language_version:
      - 2
      - 0
    .max_flat_workgroup_size: 256
    .name:           _ZN12_GLOBAL__N_120geam_min_plus_kernelIf15HIP_vector_typeIfLj2EES2_Li8ELi32ELi64ELi128ELi4ELi64ELi4ELi64ELi4ELc78ELc84ELb1ELb1ELb0EfKffEEviiiT16_PT17_ilS6_ilS4_S6_ilPT18_ili26rocblas_geam_ex_operation_
    .private_segment_fixed_size: 0
    .sgpr_count:     42
    .sgpr_spill_count: 0
    .symbol:         _ZN12_GLOBAL__N_120geam_min_plus_kernelIf15HIP_vector_typeIfLj2EES2_Li8ELi32ELi64ELi128ELi4ELi64ELi4ELi64ELi4ELc78ELc84ELb1ELb1ELb0EfKffEEviiiT16_PT17_ilS6_ilS4_S6_ilPT18_ili26rocblas_geam_ex_operation_.kd
    .uniform_work_group_size: 1
    .uses_dynamic_stack: false
    .vgpr_count:     227
    .vgpr_spill_count: 0
    .wavefront_size: 64
  - .agpr_count:     0
    .args:
      - .offset:         0
        .size:           4
        .value_kind:     by_value
      - .offset:         4
        .size:           4
        .value_kind:     by_value
      - .offset:         8
        .size:           4
        .value_kind:     by_value
      - .offset:         12
        .size:           4
        .value_kind:     by_value
      - .address_space:  global
        .offset:         16
        .size:           8
        .value_kind:     global_buffer
      - .offset:         24
        .size:           4
        .value_kind:     by_value
      - .offset:         32
        .size:           8
        .value_kind:     by_value
      - .address_space:  global
        .offset:         40
        .size:           8
        .value_kind:     global_buffer
      - .offset:         48
        .size:           4
        .value_kind:     by_value
      - .offset:         56
        .size:           8
        .value_kind:     by_value
      - .offset:         64
        .size:           4
        .value_kind:     by_value
      - .address_space:  global
        .offset:         72
        .size:           8
        .value_kind:     global_buffer
      - .offset:         80
        .size:           4
        .value_kind:     by_value
      - .offset:         88
        .size:           8
        .value_kind:     by_value
      - .address_space:  global
        .offset:         96
        .size:           8
        .value_kind:     global_buffer
      - .offset:         104
        .size:           4
        .value_kind:     by_value
      - .offset:         112
        .size:           8
        .value_kind:     by_value
      - .offset:         120
        .size:           4
        .value_kind:     by_value
      - .offset:         124
        .size:           4
        .value_kind:     by_value
    .group_segment_fixed_size: 6144
    .kernarg_segment_align: 8
    .kernarg_segment_size: 128
    .language:       OpenCL C
    .language_version:
      - 2
      - 0
    .max_flat_workgroup_size: 256
    .name:           _ZN12_GLOBAL__N_120geam_min_plus_kernelIf15HIP_vector_typeIfLj2EES2_Li8ELi32ELi64ELi128ELi4ELi64ELi4ELi64ELi4ELc78ELc84ELb0ELb1ELb0EfKffEEviiiT16_PT17_ilS6_ilS4_S6_ilPT18_ili26rocblas_geam_ex_operation_
    .private_segment_fixed_size: 0
    .sgpr_count:     46
    .sgpr_spill_count: 0
    .symbol:         _ZN12_GLOBAL__N_120geam_min_plus_kernelIf15HIP_vector_typeIfLj2EES2_Li8ELi32ELi64ELi128ELi4ELi64ELi4ELi64ELi4ELc78ELc84ELb0ELb1ELb0EfKffEEviiiT16_PT17_ilS6_ilS4_S6_ilPT18_ili26rocblas_geam_ex_operation_.kd
    .uniform_work_group_size: 1
    .uses_dynamic_stack: false
    .vgpr_count:     223
    .vgpr_spill_count: 0
    .wavefront_size: 64
  - .agpr_count:     0
    .args:
      - .offset:         0
        .size:           4
        .value_kind:     by_value
      - .offset:         4
        .size:           4
        .value_kind:     by_value
      - .offset:         8
        .size:           4
        .value_kind:     by_value
      - .address_space:  global
        .offset:         16
        .size:           8
        .value_kind:     global_buffer
      - .address_space:  global
        .offset:         24
        .size:           8
        .value_kind:     global_buffer
      - .offset:         32
        .size:           4
        .value_kind:     by_value
      - .offset:         40
        .size:           8
        .value_kind:     by_value
      - .address_space:  global
        .offset:         48
        .size:           8
        .value_kind:     global_buffer
      - .offset:         56
        .size:           4
        .value_kind:     by_value
      - .offset:         64
        .size:           8
        .value_kind:     by_value
      - .address_space:  global
        .offset:         72
        .size:           8
        .value_kind:     global_buffer
      - .address_space:  global
        .offset:         80
        .size:           8
        .value_kind:     global_buffer
      - .offset:         88
        .size:           4
        .value_kind:     by_value
      - .offset:         96
        .size:           8
        .value_kind:     by_value
      - .address_space:  global
        .offset:         104
        .size:           8
        .value_kind:     global_buffer
      - .offset:         112
        .size:           4
        .value_kind:     by_value
      - .offset:         120
        .size:           8
        .value_kind:     by_value
      - .offset:         128
        .size:           4
        .value_kind:     by_value
      - .offset:         132
        .size:           4
        .value_kind:     by_value
    .group_segment_fixed_size: 6144
    .kernarg_segment_align: 8
    .kernarg_segment_size: 136
    .language:       OpenCL C
    .language_version:
      - 2
      - 0
    .max_flat_workgroup_size: 256
    .name:           _ZN12_GLOBAL__N_120geam_min_plus_kernelIf15HIP_vector_typeIfLj2EES2_Li8ELi32ELi64ELi128ELi4ELi4ELi64ELi64ELi4ELc84ELc84ELb0ELb0ELb0EPKfS3_fEEviiiT16_PT17_ilS7_ilS5_S7_ilPT18_ili26rocblas_geam_ex_operation_
    .private_segment_fixed_size: 0
    .sgpr_count:     32
    .sgpr_spill_count: 0
    .symbol:         _ZN12_GLOBAL__N_120geam_min_plus_kernelIf15HIP_vector_typeIfLj2EES2_Li8ELi32ELi64ELi128ELi4ELi4ELi64ELi64ELi4ELc84ELc84ELb0ELb0ELb0EPKfS3_fEEviiiT16_PT17_ilS7_ilS5_S7_ilPT18_ili26rocblas_geam_ex_operation_.kd
    .uniform_work_group_size: 1
    .uses_dynamic_stack: false
    .vgpr_count:     219
    .vgpr_spill_count: 0
    .wavefront_size: 64
  - .agpr_count:     0
    .args:
      - .offset:         0
        .size:           4
        .value_kind:     by_value
      - .offset:         4
        .size:           4
        .value_kind:     by_value
      - .offset:         8
        .size:           4
        .value_kind:     by_value
      - .offset:         12
        .size:           4
        .value_kind:     by_value
      - .address_space:  global
        .offset:         16
        .size:           8
        .value_kind:     global_buffer
      - .offset:         24
        .size:           4
        .value_kind:     by_value
      - .offset:         32
        .size:           8
        .value_kind:     by_value
      - .address_space:  global
        .offset:         40
        .size:           8
        .value_kind:     global_buffer
      - .offset:         48
        .size:           4
        .value_kind:     by_value
      - .offset:         56
        .size:           8
        .value_kind:     by_value
      - .offset:         64
        .size:           4
        .value_kind:     by_value
      - .address_space:  global
        .offset:         72
        .size:           8
        .value_kind:     global_buffer
      - .offset:         80
        .size:           4
        .value_kind:     by_value
      - .offset:         88
        .size:           8
        .value_kind:     by_value
      - .address_space:  global
        .offset:         96
        .size:           8
        .value_kind:     global_buffer
      - .offset:         104
        .size:           4
        .value_kind:     by_value
      - .offset:         112
        .size:           8
        .value_kind:     by_value
      - .offset:         120
        .size:           4
        .value_kind:     by_value
      - .offset:         124
        .size:           4
        .value_kind:     by_value
    .group_segment_fixed_size: 6144
    .kernarg_segment_align: 8
    .kernarg_segment_size: 128
    .language:       OpenCL C
    .language_version:
      - 2
      - 0
    .max_flat_workgroup_size: 256
    .name:           _ZN12_GLOBAL__N_120geam_min_plus_kernelIf15HIP_vector_typeIfLj2EES2_Li8ELi32ELi64ELi128ELi4ELi4ELi64ELi64ELi4ELc84ELc84ELb1ELb0ELb0EfKffEEviiiT16_PT17_ilS6_ilS4_S6_ilPT18_ili26rocblas_geam_ex_operation_
    .private_segment_fixed_size: 0
    .sgpr_count:     30
    .sgpr_spill_count: 0
    .symbol:         _ZN12_GLOBAL__N_120geam_min_plus_kernelIf15HIP_vector_typeIfLj2EES2_Li8ELi32ELi64ELi128ELi4ELi4ELi64ELi64ELi4ELc84ELc84ELb1ELb0ELb0EfKffEEviiiT16_PT17_ilS6_ilS4_S6_ilPT18_ili26rocblas_geam_ex_operation_.kd
    .uniform_work_group_size: 1
    .uses_dynamic_stack: false
    .vgpr_count:     150
    .vgpr_spill_count: 0
    .wavefront_size: 64
  - .agpr_count:     0
    .args:
      - .offset:         0
        .size:           4
        .value_kind:     by_value
      - .offset:         4
        .size:           4
        .value_kind:     by_value
      - .offset:         8
        .size:           4
        .value_kind:     by_value
      - .offset:         12
        .size:           4
        .value_kind:     by_value
      - .address_space:  global
        .offset:         16
        .size:           8
        .value_kind:     global_buffer
      - .offset:         24
        .size:           4
        .value_kind:     by_value
      - .offset:         32
        .size:           8
        .value_kind:     by_value
      - .address_space:  global
        .offset:         40
        .size:           8
        .value_kind:     global_buffer
      - .offset:         48
        .size:           4
        .value_kind:     by_value
      - .offset:         56
        .size:           8
        .value_kind:     by_value
      - .offset:         64
        .size:           4
        .value_kind:     by_value
      - .address_space:  global
        .offset:         72
        .size:           8
        .value_kind:     global_buffer
      - .offset:         80
        .size:           4
        .value_kind:     by_value
      - .offset:         88
        .size:           8
        .value_kind:     by_value
      - .address_space:  global
        .offset:         96
        .size:           8
        .value_kind:     global_buffer
      - .offset:         104
        .size:           4
        .value_kind:     by_value
      - .offset:         112
        .size:           8
        .value_kind:     by_value
      - .offset:         120
        .size:           4
        .value_kind:     by_value
      - .offset:         124
        .size:           4
        .value_kind:     by_value
    .group_segment_fixed_size: 6144
    .kernarg_segment_align: 8
    .kernarg_segment_size: 128
    .language:       OpenCL C
    .language_version:
      - 2
      - 0
    .max_flat_workgroup_size: 256
    .name:           _ZN12_GLOBAL__N_120geam_min_plus_kernelIf15HIP_vector_typeIfLj2EES2_Li8ELi32ELi64ELi128ELi4ELi4ELi64ELi64ELi4ELc84ELc84ELb0ELb0ELb0EfKffEEviiiT16_PT17_ilS6_ilS4_S6_ilPT18_ili26rocblas_geam_ex_operation_
    .private_segment_fixed_size: 0
    .sgpr_count:     34
    .sgpr_spill_count: 0
    .symbol:         _ZN12_GLOBAL__N_120geam_min_plus_kernelIf15HIP_vector_typeIfLj2EES2_Li8ELi32ELi64ELi128ELi4ELi4ELi64ELi64ELi4ELc84ELc84ELb0ELb0ELb0EfKffEEviiiT16_PT17_ilS6_ilS4_S6_ilPT18_ili26rocblas_geam_ex_operation_.kd
    .uniform_work_group_size: 1
    .uses_dynamic_stack: false
    .vgpr_count:     219
    .vgpr_spill_count: 0
    .wavefront_size: 64
  - .agpr_count:     0
    .args:
      - .offset:         0
        .size:           4
        .value_kind:     by_value
      - .offset:         4
        .size:           4
        .value_kind:     by_value
      - .offset:         8
        .size:           4
        .value_kind:     by_value
      - .address_space:  global
        .offset:         16
        .size:           8
        .value_kind:     global_buffer
      - .address_space:  global
        .offset:         24
        .size:           8
        .value_kind:     global_buffer
      - .offset:         32
        .size:           4
        .value_kind:     by_value
      - .offset:         40
        .size:           8
        .value_kind:     by_value
      - .address_space:  global
        .offset:         48
        .size:           8
        .value_kind:     global_buffer
      - .offset:         56
        .size:           4
        .value_kind:     by_value
      - .offset:         64
        .size:           8
        .value_kind:     by_value
      - .address_space:  global
        .offset:         72
        .size:           8
        .value_kind:     global_buffer
      - .address_space:  global
        .offset:         80
        .size:           8
        .value_kind:     global_buffer
      - .offset:         88
        .size:           4
        .value_kind:     by_value
      - .offset:         96
        .size:           8
        .value_kind:     by_value
      - .address_space:  global
        .offset:         104
        .size:           8
        .value_kind:     global_buffer
      - .offset:         112
        .size:           4
        .value_kind:     by_value
      - .offset:         120
        .size:           8
        .value_kind:     by_value
      - .offset:         128
        .size:           4
        .value_kind:     by_value
      - .offset:         132
        .size:           4
        .value_kind:     by_value
    .group_segment_fixed_size: 6144
    .kernarg_segment_align: 8
    .kernarg_segment_size: 136
    .language:       OpenCL C
    .language_version:
      - 2
      - 0
    .max_flat_workgroup_size: 256
    .name:           _ZN12_GLOBAL__N_120geam_min_plus_kernelIf15HIP_vector_typeIfLj2EES2_Li8ELi32ELi64ELi128ELi4ELi4ELi64ELi64ELi4ELc84ELc84ELb0ELb1ELb0EPKfS3_fEEviiiT16_PT17_ilS7_ilS5_S7_ilPT18_ili26rocblas_geam_ex_operation_
    .private_segment_fixed_size: 0
    .sgpr_count:     46
    .sgpr_spill_count: 0
    .symbol:         _ZN12_GLOBAL__N_120geam_min_plus_kernelIf15HIP_vector_typeIfLj2EES2_Li8ELi32ELi64ELi128ELi4ELi4ELi64ELi64ELi4ELc84ELc84ELb0ELb1ELb0EPKfS3_fEEviiiT16_PT17_ilS7_ilS5_S7_ilPT18_ili26rocblas_geam_ex_operation_.kd
    .uniform_work_group_size: 1
    .uses_dynamic_stack: false
    .vgpr_count:     219
    .vgpr_spill_count: 0
    .wavefront_size: 64
  - .agpr_count:     0
    .args:
      - .offset:         0
        .size:           4
        .value_kind:     by_value
      - .offset:         4
        .size:           4
        .value_kind:     by_value
      - .offset:         8
        .size:           4
        .value_kind:     by_value
      - .offset:         12
        .size:           4
        .value_kind:     by_value
      - .address_space:  global
        .offset:         16
        .size:           8
        .value_kind:     global_buffer
      - .offset:         24
        .size:           4
        .value_kind:     by_value
      - .offset:         32
        .size:           8
        .value_kind:     by_value
      - .address_space:  global
        .offset:         40
        .size:           8
        .value_kind:     global_buffer
      - .offset:         48
        .size:           4
        .value_kind:     by_value
      - .offset:         56
        .size:           8
        .value_kind:     by_value
      - .offset:         64
        .size:           4
        .value_kind:     by_value
      - .address_space:  global
        .offset:         72
        .size:           8
        .value_kind:     global_buffer
      - .offset:         80
        .size:           4
        .value_kind:     by_value
      - .offset:         88
        .size:           8
        .value_kind:     by_value
      - .address_space:  global
        .offset:         96
        .size:           8
        .value_kind:     global_buffer
      - .offset:         104
        .size:           4
        .value_kind:     by_value
      - .offset:         112
        .size:           8
        .value_kind:     by_value
      - .offset:         120
        .size:           4
        .value_kind:     by_value
      - .offset:         124
        .size:           4
        .value_kind:     by_value
    .group_segment_fixed_size: 6144
    .kernarg_segment_align: 8
    .kernarg_segment_size: 128
    .language:       OpenCL C
    .language_version:
      - 2
      - 0
    .max_flat_workgroup_size: 256
    .name:           _ZN12_GLOBAL__N_120geam_min_plus_kernelIf15HIP_vector_typeIfLj2EES2_Li8ELi32ELi64ELi128ELi4ELi4ELi64ELi64ELi4ELc84ELc84ELb1ELb1ELb0EfKffEEviiiT16_PT17_ilS6_ilS4_S6_ilPT18_ili26rocblas_geam_ex_operation_
    .private_segment_fixed_size: 0
    .sgpr_count:     42
    .sgpr_spill_count: 0
    .symbol:         _ZN12_GLOBAL__N_120geam_min_plus_kernelIf15HIP_vector_typeIfLj2EES2_Li8ELi32ELi64ELi128ELi4ELi4ELi64ELi64ELi4ELc84ELc84ELb1ELb1ELb0EfKffEEviiiT16_PT17_ilS6_ilS4_S6_ilPT18_ili26rocblas_geam_ex_operation_.kd
    .uniform_work_group_size: 1
    .uses_dynamic_stack: false
    .vgpr_count:     223
    .vgpr_spill_count: 0
    .wavefront_size: 64
  - .agpr_count:     0
    .args:
      - .offset:         0
        .size:           4
        .value_kind:     by_value
      - .offset:         4
        .size:           4
        .value_kind:     by_value
      - .offset:         8
        .size:           4
        .value_kind:     by_value
      - .offset:         12
        .size:           4
        .value_kind:     by_value
      - .address_space:  global
        .offset:         16
        .size:           8
        .value_kind:     global_buffer
      - .offset:         24
        .size:           4
        .value_kind:     by_value
      - .offset:         32
        .size:           8
        .value_kind:     by_value
      - .address_space:  global
        .offset:         40
        .size:           8
        .value_kind:     global_buffer
      - .offset:         48
        .size:           4
        .value_kind:     by_value
      - .offset:         56
        .size:           8
        .value_kind:     by_value
      - .offset:         64
        .size:           4
        .value_kind:     by_value
      - .address_space:  global
        .offset:         72
        .size:           8
        .value_kind:     global_buffer
      - .offset:         80
        .size:           4
        .value_kind:     by_value
      - .offset:         88
        .size:           8
        .value_kind:     by_value
      - .address_space:  global
        .offset:         96
        .size:           8
        .value_kind:     global_buffer
      - .offset:         104
        .size:           4
        .value_kind:     by_value
      - .offset:         112
        .size:           8
        .value_kind:     by_value
      - .offset:         120
        .size:           4
        .value_kind:     by_value
      - .offset:         124
        .size:           4
        .value_kind:     by_value
    .group_segment_fixed_size: 6144
    .kernarg_segment_align: 8
    .kernarg_segment_size: 128
    .language:       OpenCL C
    .language_version:
      - 2
      - 0
    .max_flat_workgroup_size: 256
    .name:           _ZN12_GLOBAL__N_120geam_min_plus_kernelIf15HIP_vector_typeIfLj2EES2_Li8ELi32ELi64ELi128ELi4ELi4ELi64ELi64ELi4ELc84ELc84ELb0ELb1ELb0EfKffEEviiiT16_PT17_ilS6_ilS4_S6_ilPT18_ili26rocblas_geam_ex_operation_
    .private_segment_fixed_size: 0
    .sgpr_count:     46
    .sgpr_spill_count: 0
    .symbol:         _ZN12_GLOBAL__N_120geam_min_plus_kernelIf15HIP_vector_typeIfLj2EES2_Li8ELi32ELi64ELi128ELi4ELi4ELi64ELi64ELi4ELc84ELc84ELb0ELb1ELb0EfKffEEviiiT16_PT17_ilS6_ilS4_S6_ilPT18_ili26rocblas_geam_ex_operation_.kd
    .uniform_work_group_size: 1
    .uses_dynamic_stack: false
    .vgpr_count:     219
    .vgpr_spill_count: 0
    .wavefront_size: 64
  - .agpr_count:     0
    .args:
      - .offset:         0
        .size:           4
        .value_kind:     by_value
      - .offset:         4
        .size:           4
        .value_kind:     by_value
      - .offset:         8
        .size:           8
        .value_kind:     by_value
      - .address_space:  global
        .offset:         16
        .size:           8
        .value_kind:     global_buffer
      - .offset:         24
        .size:           8
        .value_kind:     by_value
      - .offset:         32
        .size:           4
        .value_kind:     by_value
      - .offset:         40
        .size:           8
        .value_kind:     by_value
      - .address_space:  global
        .offset:         48
        .size:           8
        .value_kind:     global_buffer
      - .offset:         56
        .size:           8
        .value_kind:     by_value
      - .offset:         64
        .size:           4
        .value_kind:     by_value
      - .offset:         72
        .size:           8
        .value_kind:     by_value
    .group_segment_fixed_size: 0
    .kernarg_segment_align: 8
    .kernarg_segment_size: 80
    .language:       OpenCL C
    .language_version:
      - 2
      - 0
    .max_flat_workgroup_size: 1024
    .name:           _ZN12_GLOBAL__N_120geam_ex_scale_kernelILi32ELi32EddPKPKdPKPdEEviiT2_T3_lilT4_lil
    .private_segment_fixed_size: 0
    .sgpr_count:     24
    .sgpr_spill_count: 0
    .symbol:         _ZN12_GLOBAL__N_120geam_ex_scale_kernelILi32ELi32EddPKPKdPKPdEEviiT2_T3_lilT4_lil.kd
    .uniform_work_group_size: 1
    .uses_dynamic_stack: false
    .vgpr_count:     10
    .vgpr_spill_count: 0
    .wavefront_size: 64
  - .agpr_count:     0
    .args:
      - .offset:         0
        .size:           4
        .value_kind:     by_value
      - .offset:         4
        .size:           4
        .value_kind:     by_value
      - .address_space:  global
        .offset:         8
        .size:           8
        .value_kind:     global_buffer
      - .address_space:  global
        .offset:         16
        .size:           8
        .value_kind:     global_buffer
      - .offset:         24
        .size:           8
        .value_kind:     by_value
      - .offset:         32
        .size:           4
        .value_kind:     by_value
      - .offset:         40
        .size:           8
        .value_kind:     by_value
      - .address_space:  global
        .offset:         48
        .size:           8
        .value_kind:     global_buffer
      - .offset:         56
        .size:           8
        .value_kind:     by_value
      - .offset:         64
        .size:           4
        .value_kind:     by_value
      - .offset:         72
        .size:           8
        .value_kind:     by_value
    .group_segment_fixed_size: 0
    .kernarg_segment_align: 8
    .kernarg_segment_size: 80
    .language:       OpenCL C
    .language_version:
      - 2
      - 0
    .max_flat_workgroup_size: 1024
    .name:           _ZN12_GLOBAL__N_120geam_ex_scale_kernelILi32ELi32EdPKdPKS2_PKPdEEviiT2_T3_lilT4_lil
    .private_segment_fixed_size: 0
    .sgpr_count:     24
    .sgpr_spill_count: 0
    .symbol:         _ZN12_GLOBAL__N_120geam_ex_scale_kernelILi32ELi32EdPKdPKS2_PKPdEEviiT2_T3_lilT4_lil.kd
    .uniform_work_group_size: 1
    .uses_dynamic_stack: false
    .vgpr_count:     10
    .vgpr_spill_count: 0
    .wavefront_size: 64
  - .agpr_count:     0
    .args:
      - .offset:         0
        .size:           4
        .value_kind:     by_value
      - .offset:         4
        .size:           4
        .value_kind:     by_value
      - .offset:         8
        .size:           8
        .value_kind:     by_value
      - .address_space:  global
        .offset:         16
        .size:           8
        .value_kind:     global_buffer
      - .offset:         24
        .size:           8
        .value_kind:     by_value
      - .offset:         32
        .size:           4
        .value_kind:     by_value
      - .offset:         40
        .size:           8
        .value_kind:     by_value
      - .address_space:  global
        .offset:         48
        .size:           8
        .value_kind:     global_buffer
      - .offset:         56
        .size:           8
        .value_kind:     by_value
      - .offset:         64
        .size:           4
        .value_kind:     by_value
      - .offset:         72
        .size:           8
        .value_kind:     by_value
    .group_segment_fixed_size: 0
    .kernarg_segment_align: 8
    .kernarg_segment_size: 80
    .language:       OpenCL C
    .language_version:
      - 2
      - 0
    .max_flat_workgroup_size: 1024
    .name:           _ZN12_GLOBAL__N_120geam_ex_round_kernelILi32ELi32EddPKPKdPKPdEEviiT2_T3_lilT4_lil
    .private_segment_fixed_size: 0
    .sgpr_count:     24
    .sgpr_spill_count: 0
    .symbol:         _ZN12_GLOBAL__N_120geam_ex_round_kernelILi32ELi32EddPKPKdPKPdEEviiT2_T3_lilT4_lil.kd
    .uniform_work_group_size: 1
    .uses_dynamic_stack: false
    .vgpr_count:     10
    .vgpr_spill_count: 0
    .wavefront_size: 64
  - .agpr_count:     0
    .args:
      - .offset:         0
        .size:           4
        .value_kind:     by_value
      - .offset:         4
        .size:           4
        .value_kind:     by_value
      - .offset:         8
        .size:           4
        .value_kind:     by_value
      - .address_space:  global
        .offset:         16
        .size:           8
        .value_kind:     global_buffer
      - .address_space:  global
        .offset:         24
        .size:           8
        .value_kind:     global_buffer
      - .offset:         32
        .size:           4
        .value_kind:     by_value
      - .offset:         40
        .size:           8
        .value_kind:     by_value
      - .address_space:  global
        .offset:         48
        .size:           8
        .value_kind:     global_buffer
      - .offset:         56
        .size:           4
        .value_kind:     by_value
      - .offset:         64
        .size:           8
        .value_kind:     by_value
      - .address_space:  global
        .offset:         72
        .size:           8
        .value_kind:     global_buffer
      - .address_space:  global
        .offset:         80
        .size:           8
        .value_kind:     global_buffer
      - .offset:         88
        .size:           4
        .value_kind:     by_value
      - .offset:         96
        .size:           8
        .value_kind:     by_value
      - .address_space:  global
        .offset:         104
        .size:           8
        .value_kind:     global_buffer
      - .offset:         112
        .size:           4
        .value_kind:     by_value
      - .offset:         120
        .size:           8
        .value_kind:     by_value
      - .offset:         128
        .size:           4
        .value_kind:     by_value
      - .offset:         132
        .size:           4
        .value_kind:     by_value
    .group_segment_fixed_size: 20480
    .kernarg_segment_align: 8
    .kernarg_segment_size: 136
    .language:       OpenCL C
    .language_version:
      - 2
      - 0
    .max_flat_workgroup_size: 256
    .name:           _ZN12_GLOBAL__N_120geam_min_plus_kernelId15HIP_vector_typeIdLj2EEdLi32ELi8ELi256ELi64ELi4ELi64ELi4ELi4ELi64ELc78ELc78ELb0ELb0ELb1EPKdKS4_KPdEEviiiT16_PT17_ilSA_ilS8_SA_ilPT18_ili26rocblas_geam_ex_operation_
    .private_segment_fixed_size: 0
    .sgpr_count:     34
    .sgpr_spill_count: 0
    .symbol:         _ZN12_GLOBAL__N_120geam_min_plus_kernelId15HIP_vector_typeIdLj2EEdLi32ELi8ELi256ELi64ELi4ELi64ELi4ELi4ELi64ELc78ELc78ELb0ELb0ELb1EPKdKS4_KPdEEviiiT16_PT17_ilSA_ilS8_SA_ilPT18_ili26rocblas_geam_ex_operation_.kd
    .uniform_work_group_size: 1
    .uses_dynamic_stack: false
    .vgpr_count:     160
    .vgpr_spill_count: 0
    .wavefront_size: 64
  - .agpr_count:     0
    .args:
      - .offset:         0
        .size:           4
        .value_kind:     by_value
      - .offset:         4
        .size:           4
        .value_kind:     by_value
      - .offset:         8
        .size:           4
        .value_kind:     by_value
      - .offset:         16
        .size:           8
        .value_kind:     by_value
      - .address_space:  global
        .offset:         24
        .size:           8
        .value_kind:     global_buffer
      - .offset:         32
        .size:           4
        .value_kind:     by_value
      - .offset:         40
        .size:           8
        .value_kind:     by_value
      - .address_space:  global
        .offset:         48
        .size:           8
        .value_kind:     global_buffer
      - .offset:         56
        .size:           4
        .value_kind:     by_value
      - .offset:         64
        .size:           8
        .value_kind:     by_value
      - .offset:         72
        .size:           8
        .value_kind:     by_value
      - .address_space:  global
        .offset:         80
        .size:           8
        .value_kind:     global_buffer
      - .offset:         88
        .size:           4
        .value_kind:     by_value
      - .offset:         96
        .size:           8
        .value_kind:     by_value
      - .address_space:  global
        .offset:         104
        .size:           8
        .value_kind:     global_buffer
      - .offset:         112
        .size:           4
        .value_kind:     by_value
      - .offset:         120
        .size:           8
        .value_kind:     by_value
      - .offset:         128
        .size:           4
        .value_kind:     by_value
      - .offset:         132
        .size:           4
        .value_kind:     by_value
    .group_segment_fixed_size: 20480
    .kernarg_segment_align: 8
    .kernarg_segment_size: 136
    .language:       OpenCL C
    .language_version:
      - 2
      - 0
    .max_flat_workgroup_size: 256
    .name:           _ZN12_GLOBAL__N_120geam_min_plus_kernelId15HIP_vector_typeIdLj2EEdLi32ELi8ELi256ELi64ELi4ELi64ELi4ELi4ELi64ELc78ELc78ELb1ELb0ELb1EdKPKdKPdEEviiiT16_PT17_ilSA_ilS8_SA_ilPT18_ili26rocblas_geam_ex_operation_
    .private_segment_fixed_size: 0
    .sgpr_count:     29
    .sgpr_spill_count: 0
    .symbol:         _ZN12_GLOBAL__N_120geam_min_plus_kernelId15HIP_vector_typeIdLj2EEdLi32ELi8ELi256ELi64ELi4ELi64ELi4ELi4ELi64ELc78ELc78ELb1ELb0ELb1EdKPKdKPdEEviiiT16_PT17_ilSA_ilS8_SA_ilPT18_ili26rocblas_geam_ex_operation_.kd
    .uniform_work_group_size: 1
    .uses_dynamic_stack: false
    .vgpr_count:     160
    .vgpr_spill_count: 0
    .wavefront_size: 64
  - .agpr_count:     0
    .args:
      - .offset:         0
        .size:           4
        .value_kind:     by_value
      - .offset:         4
        .size:           4
        .value_kind:     by_value
      - .offset:         8
        .size:           4
        .value_kind:     by_value
      - .offset:         16
        .size:           8
        .value_kind:     by_value
      - .address_space:  global
        .offset:         24
        .size:           8
        .value_kind:     global_buffer
      - .offset:         32
        .size:           4
        .value_kind:     by_value
      - .offset:         40
        .size:           8
        .value_kind:     by_value
      - .address_space:  global
        .offset:         48
        .size:           8
        .value_kind:     global_buffer
      - .offset:         56
        .size:           4
        .value_kind:     by_value
      - .offset:         64
        .size:           8
        .value_kind:     by_value
      - .offset:         72
        .size:           8
        .value_kind:     by_value
      - .address_space:  global
        .offset:         80
        .size:           8
        .value_kind:     global_buffer
      - .offset:         88
        .size:           4
        .value_kind:     by_value
      - .offset:         96
        .size:           8
        .value_kind:     by_value
      - .address_space:  global
        .offset:         104
        .size:           8
        .value_kind:     global_buffer
      - .offset:         112
        .size:           4
        .value_kind:     by_value
      - .offset:         120
        .size:           8
        .value_kind:     by_value
      - .offset:         128
        .size:           4
        .value_kind:     by_value
      - .offset:         132
        .size:           4
        .value_kind:     by_value
    .group_segment_fixed_size: 20480
    .kernarg_segment_align: 8
    .kernarg_segment_size: 136
    .language:       OpenCL C
    .language_version:
      - 2
      - 0
    .max_flat_workgroup_size: 256
    .name:           _ZN12_GLOBAL__N_120geam_min_plus_kernelId15HIP_vector_typeIdLj2EEdLi32ELi8ELi256ELi64ELi4ELi64ELi4ELi4ELi64ELc78ELc78ELb0ELb0ELb1EdKPKdKPdEEviiiT16_PT17_ilSA_ilS8_SA_ilPT18_ili26rocblas_geam_ex_operation_
    .private_segment_fixed_size: 0
    .sgpr_count:     35
    .sgpr_spill_count: 0
    .symbol:         _ZN12_GLOBAL__N_120geam_min_plus_kernelId15HIP_vector_typeIdLj2EEdLi32ELi8ELi256ELi64ELi4ELi64ELi4ELi4ELi64ELc78ELc78ELb0ELb0ELb1EdKPKdKPdEEviiiT16_PT17_ilSA_ilS8_SA_ilPT18_ili26rocblas_geam_ex_operation_.kd
    .uniform_work_group_size: 1
    .uses_dynamic_stack: false
    .vgpr_count:     160
    .vgpr_spill_count: 0
    .wavefront_size: 64
  - .agpr_count:     0
    .args:
      - .offset:         0
        .size:           4
        .value_kind:     by_value
      - .offset:         4
        .size:           4
        .value_kind:     by_value
      - .offset:         8
        .size:           4
        .value_kind:     by_value
      - .address_space:  global
        .offset:         16
        .size:           8
        .value_kind:     global_buffer
      - .address_space:  global
        .offset:         24
        .size:           8
        .value_kind:     global_buffer
      - .offset:         32
        .size:           4
        .value_kind:     by_value
      - .offset:         40
        .size:           8
        .value_kind:     by_value
      - .address_space:  global
        .offset:         48
        .size:           8
        .value_kind:     global_buffer
      - .offset:         56
        .size:           4
        .value_kind:     by_value
      - .offset:         64
        .size:           8
        .value_kind:     by_value
      - .address_space:  global
        .offset:         72
        .size:           8
        .value_kind:     global_buffer
      - .address_space:  global
        .offset:         80
        .size:           8
        .value_kind:     global_buffer
      - .offset:         88
        .size:           4
        .value_kind:     by_value
      - .offset:         96
        .size:           8
        .value_kind:     by_value
      - .address_space:  global
        .offset:         104
        .size:           8
        .value_kind:     global_buffer
      - .offset:         112
        .size:           4
        .value_kind:     by_value
      - .offset:         120
        .size:           8
        .value_kind:     by_value
      - .offset:         128
        .size:           4
        .value_kind:     by_value
      - .offset:         132
        .size:           4
        .value_kind:     by_value
    .group_segment_fixed_size: 20480
    .kernarg_segment_align: 8
    .kernarg_segment_size: 136
    .language:       OpenCL C
    .language_version:
      - 2
      - 0
    .max_flat_workgroup_size: 256
    .name:           _ZN12_GLOBAL__N_120geam_min_plus_kernelId15HIP_vector_typeIdLj2EEdLi32ELi8ELi256ELi64ELi4ELi64ELi4ELi4ELi64ELc78ELc78ELb0ELb1ELb1EPKdKS4_KPdEEviiiT16_PT17_ilSA_ilS8_SA_ilPT18_ili26rocblas_geam_ex_operation_
    .private_segment_fixed_size: 0
    .sgpr_count:     50
    .sgpr_spill_count: 0
    .symbol:         _ZN12_GLOBAL__N_120geam_min_plus_kernelId15HIP_vector_typeIdLj2EEdLi32ELi8ELi256ELi64ELi4ELi64ELi4ELi4ELi64ELc78ELc78ELb0ELb1ELb1EPKdKS4_KPdEEviiiT16_PT17_ilSA_ilS8_SA_ilPT18_ili26rocblas_geam_ex_operation_.kd
    .uniform_work_group_size: 1
    .uses_dynamic_stack: false
    .vgpr_count:     160
    .vgpr_spill_count: 0
    .wavefront_size: 64
  - .agpr_count:     0
    .args:
      - .offset:         0
        .size:           4
        .value_kind:     by_value
      - .offset:         4
        .size:           4
        .value_kind:     by_value
      - .offset:         8
        .size:           4
        .value_kind:     by_value
      - .offset:         16
        .size:           8
        .value_kind:     by_value
      - .address_space:  global
        .offset:         24
        .size:           8
        .value_kind:     global_buffer
      - .offset:         32
        .size:           4
        .value_kind:     by_value
      - .offset:         40
        .size:           8
        .value_kind:     by_value
      - .address_space:  global
        .offset:         48
        .size:           8
        .value_kind:     global_buffer
      - .offset:         56
        .size:           4
        .value_kind:     by_value
      - .offset:         64
        .size:           8
        .value_kind:     by_value
      - .offset:         72
        .size:           8
        .value_kind:     by_value
      - .address_space:  global
        .offset:         80
        .size:           8
        .value_kind:     global_buffer
      - .offset:         88
        .size:           4
        .value_kind:     by_value
      - .offset:         96
        .size:           8
        .value_kind:     by_value
      - .address_space:  global
        .offset:         104
        .size:           8
        .value_kind:     global_buffer
      - .offset:         112
        .size:           4
        .value_kind:     by_value
      - .offset:         120
        .size:           8
        .value_kind:     by_value
      - .offset:         128
        .size:           4
        .value_kind:     by_value
      - .offset:         132
        .size:           4
        .value_kind:     by_value
    .group_segment_fixed_size: 20480
    .kernarg_segment_align: 8
    .kernarg_segment_size: 136
    .language:       OpenCL C
    .language_version:
      - 2
      - 0
    .max_flat_workgroup_size: 256
    .name:           _ZN12_GLOBAL__N_120geam_min_plus_kernelId15HIP_vector_typeIdLj2EEdLi32ELi8ELi256ELi64ELi4ELi64ELi4ELi4ELi64ELc78ELc78ELb1ELb1ELb1EdKPKdKPdEEviiiT16_PT17_ilSA_ilS8_SA_ilPT18_ili26rocblas_geam_ex_operation_
    .private_segment_fixed_size: 0
    .sgpr_count:     46
    .sgpr_spill_count: 0
    .symbol:         _ZN12_GLOBAL__N_120geam_min_plus_kernelId15HIP_vector_typeIdLj2EEdLi32ELi8ELi256ELi64ELi4ELi64ELi4ELi4ELi64ELc78ELc78ELb1ELb1ELb1EdKPKdKPdEEviiiT16_PT17_ilSA_ilS8_SA_ilPT18_ili26rocblas_geam_ex_operation_.kd
    .uniform_work_group_size: 1
    .uses_dynamic_stack: false
    .vgpr_count:     158
    .vgpr_spill_count: 0
    .wavefront_size: 64
  - .agpr_count:     0
    .args:
      - .offset:         0
        .size:           4
        .value_kind:     by_value
      - .offset:         4
        .size:           4
        .value_kind:     by_value
      - .offset:         8
        .size:           4
        .value_kind:     by_value
      - .offset:         16
        .size:           8
        .value_kind:     by_value
      - .address_space:  global
        .offset:         24
        .size:           8
        .value_kind:     global_buffer
      - .offset:         32
        .size:           4
        .value_kind:     by_value
      - .offset:         40
        .size:           8
        .value_kind:     by_value
      - .address_space:  global
        .offset:         48
        .size:           8
        .value_kind:     global_buffer
      - .offset:         56
        .size:           4
        .value_kind:     by_value
      - .offset:         64
        .size:           8
        .value_kind:     by_value
      - .offset:         72
        .size:           8
        .value_kind:     by_value
      - .address_space:  global
        .offset:         80
        .size:           8
        .value_kind:     global_buffer
      - .offset:         88
        .size:           4
        .value_kind:     by_value
      - .offset:         96
        .size:           8
        .value_kind:     by_value
      - .address_space:  global
        .offset:         104
        .size:           8
        .value_kind:     global_buffer
      - .offset:         112
        .size:           4
        .value_kind:     by_value
      - .offset:         120
        .size:           8
        .value_kind:     by_value
      - .offset:         128
        .size:           4
        .value_kind:     by_value
      - .offset:         132
        .size:           4
        .value_kind:     by_value
    .group_segment_fixed_size: 20480
    .kernarg_segment_align: 8
    .kernarg_segment_size: 136
    .language:       OpenCL C
    .language_version:
      - 2
      - 0
    .max_flat_workgroup_size: 256
    .name:           _ZN12_GLOBAL__N_120geam_min_plus_kernelId15HIP_vector_typeIdLj2EEdLi32ELi8ELi256ELi64ELi4ELi64ELi4ELi4ELi64ELc78ELc78ELb0ELb1ELb1EdKPKdKPdEEviiiT16_PT17_ilSA_ilS8_SA_ilPT18_ili26rocblas_geam_ex_operation_
    .private_segment_fixed_size: 0
    .sgpr_count:     50
    .sgpr_spill_count: 0
    .symbol:         _ZN12_GLOBAL__N_120geam_min_plus_kernelId15HIP_vector_typeIdLj2EEdLi32ELi8ELi256ELi64ELi4ELi64ELi4ELi4ELi64ELc78ELc78ELb0ELb1ELb1EdKPKdKPdEEviiiT16_PT17_ilSA_ilS8_SA_ilPT18_ili26rocblas_geam_ex_operation_.kd
    .uniform_work_group_size: 1
    .uses_dynamic_stack: false
    .vgpr_count:     160
    .vgpr_spill_count: 0
    .wavefront_size: 64
  - .agpr_count:     0
    .args:
      - .offset:         0
        .size:           4
        .value_kind:     by_value
      - .offset:         4
        .size:           4
        .value_kind:     by_value
      - .offset:         8
        .size:           4
        .value_kind:     by_value
      - .address_space:  global
        .offset:         16
        .size:           8
        .value_kind:     global_buffer
      - .address_space:  global
        .offset:         24
        .size:           8
        .value_kind:     global_buffer
      - .offset:         32
        .size:           4
        .value_kind:     by_value
      - .offset:         40
        .size:           8
        .value_kind:     by_value
      - .address_space:  global
        .offset:         48
        .size:           8
        .value_kind:     global_buffer
      - .offset:         56
        .size:           4
        .value_kind:     by_value
      - .offset:         64
        .size:           8
        .value_kind:     by_value
      - .address_space:  global
        .offset:         72
        .size:           8
        .value_kind:     global_buffer
      - .address_space:  global
        .offset:         80
        .size:           8
        .value_kind:     global_buffer
      - .offset:         88
        .size:           4
        .value_kind:     by_value
      - .offset:         96
        .size:           8
        .value_kind:     by_value
      - .address_space:  global
        .offset:         104
        .size:           8
        .value_kind:     global_buffer
      - .offset:         112
        .size:           4
        .value_kind:     by_value
      - .offset:         120
        .size:           8
        .value_kind:     by_value
      - .offset:         128
        .size:           4
        .value_kind:     by_value
      - .offset:         132
        .size:           4
        .value_kind:     by_value
    .group_segment_fixed_size: 16384
    .kernarg_segment_align: 8
    .kernarg_segment_size: 136
    .language:       OpenCL C
    .language_version:
      - 2
      - 0
    .max_flat_workgroup_size: 256
    .name:           _ZN12_GLOBAL__N_120geam_min_plus_kernelId15HIP_vector_typeIdLj2EEdLi32ELi8ELi128ELi128ELi4ELi4ELi64ELi4ELi64ELc84ELc78ELb0ELb0ELb1EPKdKS4_KPdEEviiiT16_PT17_ilSA_ilS8_SA_ilPT18_ili26rocblas_geam_ex_operation_
    .private_segment_fixed_size: 0
    .sgpr_count:     34
    .sgpr_spill_count: 0
    .symbol:         _ZN12_GLOBAL__N_120geam_min_plus_kernelId15HIP_vector_typeIdLj2EEdLi32ELi8ELi128ELi128ELi4ELi4ELi64ELi4ELi64ELc84ELc78ELb0ELb0ELb1EPKdKS4_KPdEEviiiT16_PT17_ilSA_ilS8_SA_ilPT18_ili26rocblas_geam_ex_operation_.kd
    .uniform_work_group_size: 1
    .uses_dynamic_stack: false
    .vgpr_count:     174
    .vgpr_spill_count: 0
    .wavefront_size: 64
  - .agpr_count:     0
    .args:
      - .offset:         0
        .size:           4
        .value_kind:     by_value
      - .offset:         4
        .size:           4
        .value_kind:     by_value
      - .offset:         8
        .size:           4
        .value_kind:     by_value
      - .offset:         16
        .size:           8
        .value_kind:     by_value
      - .address_space:  global
        .offset:         24
        .size:           8
        .value_kind:     global_buffer
      - .offset:         32
        .size:           4
        .value_kind:     by_value
      - .offset:         40
        .size:           8
        .value_kind:     by_value
      - .address_space:  global
        .offset:         48
        .size:           8
        .value_kind:     global_buffer
      - .offset:         56
        .size:           4
        .value_kind:     by_value
      - .offset:         64
        .size:           8
        .value_kind:     by_value
      - .offset:         72
        .size:           8
        .value_kind:     by_value
      - .address_space:  global
        .offset:         80
        .size:           8
        .value_kind:     global_buffer
      - .offset:         88
        .size:           4
        .value_kind:     by_value
      - .offset:         96
        .size:           8
        .value_kind:     by_value
      - .address_space:  global
        .offset:         104
        .size:           8
        .value_kind:     global_buffer
      - .offset:         112
        .size:           4
        .value_kind:     by_value
      - .offset:         120
        .size:           8
        .value_kind:     by_value
      - .offset:         128
        .size:           4
        .value_kind:     by_value
      - .offset:         132
        .size:           4
        .value_kind:     by_value
    .group_segment_fixed_size: 16384
    .kernarg_segment_align: 8
    .kernarg_segment_size: 136
    .language:       OpenCL C
    .language_version:
      - 2
      - 0
    .max_flat_workgroup_size: 256
    .name:           _ZN12_GLOBAL__N_120geam_min_plus_kernelId15HIP_vector_typeIdLj2EEdLi32ELi8ELi128ELi128ELi4ELi4ELi64ELi4ELi64ELc84ELc78ELb1ELb0ELb1EdKPKdKPdEEviiiT16_PT17_ilSA_ilS8_SA_ilPT18_ili26rocblas_geam_ex_operation_
    .private_segment_fixed_size: 0
    .sgpr_count:     28
    .sgpr_spill_count: 0
    .symbol:         _ZN12_GLOBAL__N_120geam_min_plus_kernelId15HIP_vector_typeIdLj2EEdLi32ELi8ELi128ELi128ELi4ELi4ELi64ELi4ELi64ELc84ELc78ELb1ELb0ELb1EdKPKdKPdEEviiiT16_PT17_ilSA_ilS8_SA_ilPT18_ili26rocblas_geam_ex_operation_.kd
    .uniform_work_group_size: 1
    .uses_dynamic_stack: false
    .vgpr_count:     182
    .vgpr_spill_count: 0
    .wavefront_size: 64
  - .agpr_count:     0
    .args:
      - .offset:         0
        .size:           4
        .value_kind:     by_value
      - .offset:         4
        .size:           4
        .value_kind:     by_value
      - .offset:         8
        .size:           4
        .value_kind:     by_value
      - .offset:         16
        .size:           8
        .value_kind:     by_value
      - .address_space:  global
        .offset:         24
        .size:           8
        .value_kind:     global_buffer
      - .offset:         32
        .size:           4
        .value_kind:     by_value
      - .offset:         40
        .size:           8
        .value_kind:     by_value
      - .address_space:  global
        .offset:         48
        .size:           8
        .value_kind:     global_buffer
      - .offset:         56
        .size:           4
        .value_kind:     by_value
      - .offset:         64
        .size:           8
        .value_kind:     by_value
      - .offset:         72
        .size:           8
        .value_kind:     by_value
      - .address_space:  global
        .offset:         80
        .size:           8
        .value_kind:     global_buffer
      - .offset:         88
        .size:           4
        .value_kind:     by_value
      - .offset:         96
        .size:           8
        .value_kind:     by_value
      - .address_space:  global
        .offset:         104
        .size:           8
        .value_kind:     global_buffer
      - .offset:         112
        .size:           4
        .value_kind:     by_value
      - .offset:         120
        .size:           8
        .value_kind:     by_value
      - .offset:         128
        .size:           4
        .value_kind:     by_value
      - .offset:         132
        .size:           4
        .value_kind:     by_value
    .group_segment_fixed_size: 16384
    .kernarg_segment_align: 8
    .kernarg_segment_size: 136
    .language:       OpenCL C
    .language_version:
      - 2
      - 0
    .max_flat_workgroup_size: 256
    .name:           _ZN12_GLOBAL__N_120geam_min_plus_kernelId15HIP_vector_typeIdLj2EEdLi32ELi8ELi128ELi128ELi4ELi4ELi64ELi4ELi64ELc84ELc78ELb0ELb0ELb1EdKPKdKPdEEviiiT16_PT17_ilSA_ilS8_SA_ilPT18_ili26rocblas_geam_ex_operation_
    .private_segment_fixed_size: 0
    .sgpr_count:     35
    .sgpr_spill_count: 0
    .symbol:         _ZN12_GLOBAL__N_120geam_min_plus_kernelId15HIP_vector_typeIdLj2EEdLi32ELi8ELi128ELi128ELi4ELi4ELi64ELi4ELi64ELc84ELc78ELb0ELb0ELb1EdKPKdKPdEEviiiT16_PT17_ilSA_ilS8_SA_ilPT18_ili26rocblas_geam_ex_operation_.kd
    .uniform_work_group_size: 1
    .uses_dynamic_stack: false
    .vgpr_count:     174
    .vgpr_spill_count: 0
    .wavefront_size: 64
  - .agpr_count:     0
    .args:
      - .offset:         0
        .size:           4
        .value_kind:     by_value
      - .offset:         4
        .size:           4
        .value_kind:     by_value
      - .offset:         8
        .size:           4
        .value_kind:     by_value
      - .address_space:  global
        .offset:         16
        .size:           8
        .value_kind:     global_buffer
      - .address_space:  global
        .offset:         24
        .size:           8
        .value_kind:     global_buffer
      - .offset:         32
        .size:           4
        .value_kind:     by_value
      - .offset:         40
        .size:           8
        .value_kind:     by_value
      - .address_space:  global
        .offset:         48
        .size:           8
        .value_kind:     global_buffer
      - .offset:         56
        .size:           4
        .value_kind:     by_value
      - .offset:         64
        .size:           8
        .value_kind:     by_value
      - .address_space:  global
        .offset:         72
        .size:           8
        .value_kind:     global_buffer
      - .address_space:  global
        .offset:         80
        .size:           8
        .value_kind:     global_buffer
      - .offset:         88
        .size:           4
        .value_kind:     by_value
      - .offset:         96
        .size:           8
        .value_kind:     by_value
      - .address_space:  global
        .offset:         104
        .size:           8
        .value_kind:     global_buffer
      - .offset:         112
        .size:           4
        .value_kind:     by_value
      - .offset:         120
        .size:           8
        .value_kind:     by_value
      - .offset:         128
        .size:           4
        .value_kind:     by_value
      - .offset:         132
        .size:           4
        .value_kind:     by_value
    .group_segment_fixed_size: 16384
    .kernarg_segment_align: 8
    .kernarg_segment_size: 136
    .language:       OpenCL C
    .language_version:
      - 2
      - 0
    .max_flat_workgroup_size: 256
    .name:           _ZN12_GLOBAL__N_120geam_min_plus_kernelId15HIP_vector_typeIdLj2EEdLi32ELi8ELi128ELi128ELi4ELi4ELi64ELi4ELi64ELc84ELc78ELb0ELb1ELb1EPKdKS4_KPdEEviiiT16_PT17_ilSA_ilS8_SA_ilPT18_ili26rocblas_geam_ex_operation_
    .private_segment_fixed_size: 0
    .sgpr_count:     48
    .sgpr_spill_count: 0
    .symbol:         _ZN12_GLOBAL__N_120geam_min_plus_kernelId15HIP_vector_typeIdLj2EEdLi32ELi8ELi128ELi128ELi4ELi4ELi64ELi4ELi64ELc84ELc78ELb0ELb1ELb1EPKdKS4_KPdEEviiiT16_PT17_ilSA_ilS8_SA_ilPT18_ili26rocblas_geam_ex_operation_.kd
    .uniform_work_group_size: 1
    .uses_dynamic_stack: false
    .vgpr_count:     174
    .vgpr_spill_count: 0
    .wavefront_size: 64
  - .agpr_count:     0
    .args:
      - .offset:         0
        .size:           4
        .value_kind:     by_value
      - .offset:         4
        .size:           4
        .value_kind:     by_value
      - .offset:         8
        .size:           4
        .value_kind:     by_value
      - .offset:         16
        .size:           8
        .value_kind:     by_value
      - .address_space:  global
        .offset:         24
        .size:           8
        .value_kind:     global_buffer
      - .offset:         32
        .size:           4
        .value_kind:     by_value
      - .offset:         40
        .size:           8
        .value_kind:     by_value
      - .address_space:  global
        .offset:         48
        .size:           8
        .value_kind:     global_buffer
      - .offset:         56
        .size:           4
        .value_kind:     by_value
      - .offset:         64
        .size:           8
        .value_kind:     by_value
      - .offset:         72
        .size:           8
        .value_kind:     by_value
      - .address_space:  global
        .offset:         80
        .size:           8
        .value_kind:     global_buffer
      - .offset:         88
        .size:           4
        .value_kind:     by_value
      - .offset:         96
        .size:           8
        .value_kind:     by_value
      - .address_space:  global
        .offset:         104
        .size:           8
        .value_kind:     global_buffer
      - .offset:         112
        .size:           4
        .value_kind:     by_value
      - .offset:         120
        .size:           8
        .value_kind:     by_value
      - .offset:         128
        .size:           4
        .value_kind:     by_value
      - .offset:         132
        .size:           4
        .value_kind:     by_value
    .group_segment_fixed_size: 16384
    .kernarg_segment_align: 8
    .kernarg_segment_size: 136
    .language:       OpenCL C
    .language_version:
      - 2
      - 0
    .max_flat_workgroup_size: 256
    .name:           _ZN12_GLOBAL__N_120geam_min_plus_kernelId15HIP_vector_typeIdLj2EEdLi32ELi8ELi128ELi128ELi4ELi4ELi64ELi4ELi64ELc84ELc78ELb1ELb1ELb1EdKPKdKPdEEviiiT16_PT17_ilSA_ilS8_SA_ilPT18_ili26rocblas_geam_ex_operation_
    .private_segment_fixed_size: 0
    .sgpr_count:     44
    .sgpr_spill_count: 0
    .symbol:         _ZN12_GLOBAL__N_120geam_min_plus_kernelId15HIP_vector_typeIdLj2EEdLi32ELi8ELi128ELi128ELi4ELi4ELi64ELi4ELi64ELc84ELc78ELb1ELb1ELb1EdKPKdKPdEEviiiT16_PT17_ilSA_ilS8_SA_ilPT18_ili26rocblas_geam_ex_operation_.kd
    .uniform_work_group_size: 1
    .uses_dynamic_stack: false
    .vgpr_count:     182
    .vgpr_spill_count: 0
    .wavefront_size: 64
  - .agpr_count:     0
    .args:
      - .offset:         0
        .size:           4
        .value_kind:     by_value
      - .offset:         4
        .size:           4
        .value_kind:     by_value
      - .offset:         8
        .size:           4
        .value_kind:     by_value
      - .offset:         16
        .size:           8
        .value_kind:     by_value
      - .address_space:  global
        .offset:         24
        .size:           8
        .value_kind:     global_buffer
      - .offset:         32
        .size:           4
        .value_kind:     by_value
      - .offset:         40
        .size:           8
        .value_kind:     by_value
      - .address_space:  global
        .offset:         48
        .size:           8
        .value_kind:     global_buffer
      - .offset:         56
        .size:           4
        .value_kind:     by_value
      - .offset:         64
        .size:           8
        .value_kind:     by_value
      - .offset:         72
        .size:           8
        .value_kind:     by_value
      - .address_space:  global
        .offset:         80
        .size:           8
        .value_kind:     global_buffer
      - .offset:         88
        .size:           4
        .value_kind:     by_value
      - .offset:         96
        .size:           8
        .value_kind:     by_value
      - .address_space:  global
        .offset:         104
        .size:           8
        .value_kind:     global_buffer
      - .offset:         112
        .size:           4
        .value_kind:     by_value
      - .offset:         120
        .size:           8
        .value_kind:     by_value
      - .offset:         128
        .size:           4
        .value_kind:     by_value
      - .offset:         132
        .size:           4
        .value_kind:     by_value
    .group_segment_fixed_size: 16384
    .kernarg_segment_align: 8
    .kernarg_segment_size: 136
    .language:       OpenCL C
    .language_version:
      - 2
      - 0
    .max_flat_workgroup_size: 256
    .name:           _ZN12_GLOBAL__N_120geam_min_plus_kernelId15HIP_vector_typeIdLj2EEdLi32ELi8ELi128ELi128ELi4ELi4ELi64ELi4ELi64ELc84ELc78ELb0ELb1ELb1EdKPKdKPdEEviiiT16_PT17_ilSA_ilS8_SA_ilPT18_ili26rocblas_geam_ex_operation_
    .private_segment_fixed_size: 0
    .sgpr_count:     48
    .sgpr_spill_count: 0
    .symbol:         _ZN12_GLOBAL__N_120geam_min_plus_kernelId15HIP_vector_typeIdLj2EEdLi32ELi8ELi128ELi128ELi4ELi4ELi64ELi4ELi64ELc84ELc78ELb0ELb1ELb1EdKPKdKPdEEviiiT16_PT17_ilSA_ilS8_SA_ilPT18_ili26rocblas_geam_ex_operation_.kd
    .uniform_work_group_size: 1
    .uses_dynamic_stack: false
    .vgpr_count:     174
    .vgpr_spill_count: 0
    .wavefront_size: 64
  - .agpr_count:     0
    .args:
      - .offset:         0
        .size:           4
        .value_kind:     by_value
      - .offset:         4
        .size:           4
        .value_kind:     by_value
      - .offset:         8
        .size:           4
        .value_kind:     by_value
      - .address_space:  global
        .offset:         16
        .size:           8
        .value_kind:     global_buffer
      - .address_space:  global
        .offset:         24
        .size:           8
        .value_kind:     global_buffer
      - .offset:         32
        .size:           4
        .value_kind:     by_value
      - .offset:         40
        .size:           8
        .value_kind:     by_value
      - .address_space:  global
        .offset:         48
        .size:           8
        .value_kind:     global_buffer
      - .offset:         56
        .size:           4
        .value_kind:     by_value
      - .offset:         64
        .size:           8
        .value_kind:     by_value
      - .address_space:  global
        .offset:         72
        .size:           8
        .value_kind:     global_buffer
      - .address_space:  global
        .offset:         80
        .size:           8
        .value_kind:     global_buffer
      - .offset:         88
        .size:           4
        .value_kind:     by_value
      - .offset:         96
        .size:           8
        .value_kind:     by_value
      - .address_space:  global
        .offset:         104
        .size:           8
        .value_kind:     global_buffer
      - .offset:         112
        .size:           4
        .value_kind:     by_value
      - .offset:         120
        .size:           8
        .value_kind:     by_value
      - .offset:         128
        .size:           4
        .value_kind:     by_value
      - .offset:         132
        .size:           4
        .value_kind:     by_value
    .group_segment_fixed_size: 20480
    .kernarg_segment_align: 8
    .kernarg_segment_size: 136
    .language:       OpenCL C
    .language_version:
      - 2
      - 0
    .max_flat_workgroup_size: 256
    .name:           _ZN12_GLOBAL__N_120geam_min_plus_kernelId15HIP_vector_typeIdLj2EEdLi8ELi32ELi64ELi256ELi4ELi64ELi4ELi64ELi4ELc78ELc84ELb0ELb0ELb1EPKdKS4_KPdEEviiiT16_PT17_ilSA_ilS8_SA_ilPT18_ili26rocblas_geam_ex_operation_
    .private_segment_fixed_size: 0
    .sgpr_count:     36
    .sgpr_spill_count: 0
    .symbol:         _ZN12_GLOBAL__N_120geam_min_plus_kernelId15HIP_vector_typeIdLj2EEdLi8ELi32ELi64ELi256ELi4ELi64ELi4ELi64ELi4ELc78ELc84ELb0ELb0ELb1EPKdKS4_KPdEEviiiT16_PT17_ilSA_ilS8_SA_ilPT18_ili26rocblas_geam_ex_operation_.kd
    .uniform_work_group_size: 1
    .uses_dynamic_stack: false
    .vgpr_count:     154
    .vgpr_spill_count: 0
    .wavefront_size: 64
  - .agpr_count:     0
    .args:
      - .offset:         0
        .size:           4
        .value_kind:     by_value
      - .offset:         4
        .size:           4
        .value_kind:     by_value
      - .offset:         8
        .size:           4
        .value_kind:     by_value
      - .offset:         16
        .size:           8
        .value_kind:     by_value
      - .address_space:  global
        .offset:         24
        .size:           8
        .value_kind:     global_buffer
      - .offset:         32
        .size:           4
        .value_kind:     by_value
      - .offset:         40
        .size:           8
        .value_kind:     by_value
      - .address_space:  global
        .offset:         48
        .size:           8
        .value_kind:     global_buffer
      - .offset:         56
        .size:           4
        .value_kind:     by_value
      - .offset:         64
        .size:           8
        .value_kind:     by_value
      - .offset:         72
        .size:           8
        .value_kind:     by_value
      - .address_space:  global
        .offset:         80
        .size:           8
        .value_kind:     global_buffer
      - .offset:         88
        .size:           4
        .value_kind:     by_value
      - .offset:         96
        .size:           8
        .value_kind:     by_value
      - .address_space:  global
        .offset:         104
        .size:           8
        .value_kind:     global_buffer
      - .offset:         112
        .size:           4
        .value_kind:     by_value
      - .offset:         120
        .size:           8
        .value_kind:     by_value
      - .offset:         128
        .size:           4
        .value_kind:     by_value
      - .offset:         132
        .size:           4
        .value_kind:     by_value
    .group_segment_fixed_size: 20480
    .kernarg_segment_align: 8
    .kernarg_segment_size: 136
    .language:       OpenCL C
    .language_version:
      - 2
      - 0
    .max_flat_workgroup_size: 256
    .name:           _ZN12_GLOBAL__N_120geam_min_plus_kernelId15HIP_vector_typeIdLj2EEdLi8ELi32ELi64ELi256ELi4ELi64ELi4ELi64ELi4ELc78ELc84ELb1ELb0ELb1EdKPKdKPdEEviiiT16_PT17_ilSA_ilS8_SA_ilPT18_ili26rocblas_geam_ex_operation_
    .private_segment_fixed_size: 0
    .sgpr_count:     31
    .sgpr_spill_count: 0
    .symbol:         _ZN12_GLOBAL__N_120geam_min_plus_kernelId15HIP_vector_typeIdLj2EEdLi8ELi32ELi64ELi256ELi4ELi64ELi4ELi64ELi4ELc78ELc84ELb1ELb0ELb1EdKPKdKPdEEviiiT16_PT17_ilSA_ilS8_SA_ilPT18_ili26rocblas_geam_ex_operation_.kd
    .uniform_work_group_size: 1
    .uses_dynamic_stack: false
    .vgpr_count:     154
    .vgpr_spill_count: 0
    .wavefront_size: 64
  - .agpr_count:     0
    .args:
      - .offset:         0
        .size:           4
        .value_kind:     by_value
      - .offset:         4
        .size:           4
        .value_kind:     by_value
      - .offset:         8
        .size:           4
        .value_kind:     by_value
      - .offset:         16
        .size:           8
        .value_kind:     by_value
      - .address_space:  global
        .offset:         24
        .size:           8
        .value_kind:     global_buffer
      - .offset:         32
        .size:           4
        .value_kind:     by_value
      - .offset:         40
        .size:           8
        .value_kind:     by_value
      - .address_space:  global
        .offset:         48
        .size:           8
        .value_kind:     global_buffer
      - .offset:         56
        .size:           4
        .value_kind:     by_value
      - .offset:         64
        .size:           8
        .value_kind:     by_value
      - .offset:         72
        .size:           8
        .value_kind:     by_value
      - .address_space:  global
        .offset:         80
        .size:           8
        .value_kind:     global_buffer
      - .offset:         88
        .size:           4
        .value_kind:     by_value
      - .offset:         96
        .size:           8
        .value_kind:     by_value
      - .address_space:  global
        .offset:         104
        .size:           8
        .value_kind:     global_buffer
      - .offset:         112
        .size:           4
        .value_kind:     by_value
      - .offset:         120
        .size:           8
        .value_kind:     by_value
      - .offset:         128
        .size:           4
        .value_kind:     by_value
      - .offset:         132
        .size:           4
        .value_kind:     by_value
    .group_segment_fixed_size: 20480
    .kernarg_segment_align: 8
    .kernarg_segment_size: 136
    .language:       OpenCL C
    .language_version:
      - 2
      - 0
    .max_flat_workgroup_size: 256
    .name:           _ZN12_GLOBAL__N_120geam_min_plus_kernelId15HIP_vector_typeIdLj2EEdLi8ELi32ELi64ELi256ELi4ELi64ELi4ELi64ELi4ELc78ELc84ELb0ELb0ELb1EdKPKdKPdEEviiiT16_PT17_ilSA_ilS8_SA_ilPT18_ili26rocblas_geam_ex_operation_
    .private_segment_fixed_size: 0
    .sgpr_count:     34
    .sgpr_spill_count: 0
    .symbol:         _ZN12_GLOBAL__N_120geam_min_plus_kernelId15HIP_vector_typeIdLj2EEdLi8ELi32ELi64ELi256ELi4ELi64ELi4ELi64ELi4ELc78ELc84ELb0ELb0ELb1EdKPKdKPdEEviiiT16_PT17_ilSA_ilS8_SA_ilPT18_ili26rocblas_geam_ex_operation_.kd
    .uniform_work_group_size: 1
    .uses_dynamic_stack: false
    .vgpr_count:     154
    .vgpr_spill_count: 0
    .wavefront_size: 64
  - .agpr_count:     0
    .args:
      - .offset:         0
        .size:           4
        .value_kind:     by_value
      - .offset:         4
        .size:           4
        .value_kind:     by_value
      - .offset:         8
        .size:           4
        .value_kind:     by_value
      - .address_space:  global
        .offset:         16
        .size:           8
        .value_kind:     global_buffer
      - .address_space:  global
        .offset:         24
        .size:           8
        .value_kind:     global_buffer
      - .offset:         32
        .size:           4
        .value_kind:     by_value
      - .offset:         40
        .size:           8
        .value_kind:     by_value
      - .address_space:  global
        .offset:         48
        .size:           8
        .value_kind:     global_buffer
      - .offset:         56
        .size:           4
        .value_kind:     by_value
      - .offset:         64
        .size:           8
        .value_kind:     by_value
      - .address_space:  global
        .offset:         72
        .size:           8
        .value_kind:     global_buffer
      - .address_space:  global
        .offset:         80
        .size:           8
        .value_kind:     global_buffer
      - .offset:         88
        .size:           4
        .value_kind:     by_value
      - .offset:         96
        .size:           8
        .value_kind:     by_value
      - .address_space:  global
        .offset:         104
        .size:           8
        .value_kind:     global_buffer
      - .offset:         112
        .size:           4
        .value_kind:     by_value
      - .offset:         120
        .size:           8
        .value_kind:     by_value
      - .offset:         128
        .size:           4
        .value_kind:     by_value
      - .offset:         132
        .size:           4
        .value_kind:     by_value
    .group_segment_fixed_size: 20480
    .kernarg_segment_align: 8
    .kernarg_segment_size: 136
    .language:       OpenCL C
    .language_version:
      - 2
      - 0
    .max_flat_workgroup_size: 256
    .name:           _ZN12_GLOBAL__N_120geam_min_plus_kernelId15HIP_vector_typeIdLj2EEdLi8ELi32ELi64ELi256ELi4ELi64ELi4ELi64ELi4ELc78ELc84ELb0ELb1ELb1EPKdKS4_KPdEEviiiT16_PT17_ilSA_ilS8_SA_ilPT18_ili26rocblas_geam_ex_operation_
    .private_segment_fixed_size: 0
    .sgpr_count:     52
    .sgpr_spill_count: 0
    .symbol:         _ZN12_GLOBAL__N_120geam_min_plus_kernelId15HIP_vector_typeIdLj2EEdLi8ELi32ELi64ELi256ELi4ELi64ELi4ELi64ELi4ELc78ELc84ELb0ELb1ELb1EPKdKS4_KPdEEviiiT16_PT17_ilSA_ilS8_SA_ilPT18_ili26rocblas_geam_ex_operation_.kd
    .uniform_work_group_size: 1
    .uses_dynamic_stack: false
    .vgpr_count:     154
    .vgpr_spill_count: 0
    .wavefront_size: 64
  - .agpr_count:     0
    .args:
      - .offset:         0
        .size:           4
        .value_kind:     by_value
      - .offset:         4
        .size:           4
        .value_kind:     by_value
      - .offset:         8
        .size:           4
        .value_kind:     by_value
      - .offset:         16
        .size:           8
        .value_kind:     by_value
      - .address_space:  global
        .offset:         24
        .size:           8
        .value_kind:     global_buffer
      - .offset:         32
        .size:           4
        .value_kind:     by_value
      - .offset:         40
        .size:           8
        .value_kind:     by_value
      - .address_space:  global
        .offset:         48
        .size:           8
        .value_kind:     global_buffer
      - .offset:         56
        .size:           4
        .value_kind:     by_value
      - .offset:         64
        .size:           8
        .value_kind:     by_value
      - .offset:         72
        .size:           8
        .value_kind:     by_value
      - .address_space:  global
        .offset:         80
        .size:           8
        .value_kind:     global_buffer
      - .offset:         88
        .size:           4
        .value_kind:     by_value
      - .offset:         96
        .size:           8
        .value_kind:     by_value
      - .address_space:  global
        .offset:         104
        .size:           8
        .value_kind:     global_buffer
      - .offset:         112
        .size:           4
        .value_kind:     by_value
      - .offset:         120
        .size:           8
        .value_kind:     by_value
      - .offset:         128
        .size:           4
        .value_kind:     by_value
      - .offset:         132
        .size:           4
        .value_kind:     by_value
    .group_segment_fixed_size: 20480
    .kernarg_segment_align: 8
    .kernarg_segment_size: 136
    .language:       OpenCL C
    .language_version:
      - 2
      - 0
    .max_flat_workgroup_size: 256
    .name:           _ZN12_GLOBAL__N_120geam_min_plus_kernelId15HIP_vector_typeIdLj2EEdLi8ELi32ELi64ELi256ELi4ELi64ELi4ELi64ELi4ELc78ELc84ELb1ELb1ELb1EdKPKdKPdEEviiiT16_PT17_ilSA_ilS8_SA_ilPT18_ili26rocblas_geam_ex_operation_
    .private_segment_fixed_size: 0
    .sgpr_count:     48
    .sgpr_spill_count: 0
    .symbol:         _ZN12_GLOBAL__N_120geam_min_plus_kernelId15HIP_vector_typeIdLj2EEdLi8ELi32ELi64ELi256ELi4ELi64ELi4ELi64ELi4ELc78ELc84ELb1ELb1ELb1EdKPKdKPdEEviiiT16_PT17_ilSA_ilS8_SA_ilPT18_ili26rocblas_geam_ex_operation_.kd
    .uniform_work_group_size: 1
    .uses_dynamic_stack: false
    .vgpr_count:     154
    .vgpr_spill_count: 0
    .wavefront_size: 64
  - .agpr_count:     0
    .args:
      - .offset:         0
        .size:           4
        .value_kind:     by_value
      - .offset:         4
        .size:           4
        .value_kind:     by_value
      - .offset:         8
        .size:           4
        .value_kind:     by_value
      - .offset:         16
        .size:           8
        .value_kind:     by_value
      - .address_space:  global
        .offset:         24
        .size:           8
        .value_kind:     global_buffer
      - .offset:         32
        .size:           4
        .value_kind:     by_value
      - .offset:         40
        .size:           8
        .value_kind:     by_value
      - .address_space:  global
        .offset:         48
        .size:           8
        .value_kind:     global_buffer
      - .offset:         56
        .size:           4
        .value_kind:     by_value
      - .offset:         64
        .size:           8
        .value_kind:     by_value
      - .offset:         72
        .size:           8
        .value_kind:     by_value
      - .address_space:  global
        .offset:         80
        .size:           8
        .value_kind:     global_buffer
      - .offset:         88
        .size:           4
        .value_kind:     by_value
      - .offset:         96
        .size:           8
        .value_kind:     by_value
      - .address_space:  global
        .offset:         104
        .size:           8
        .value_kind:     global_buffer
      - .offset:         112
        .size:           4
        .value_kind:     by_value
      - .offset:         120
        .size:           8
        .value_kind:     by_value
      - .offset:         128
        .size:           4
        .value_kind:     by_value
      - .offset:         132
        .size:           4
        .value_kind:     by_value
    .group_segment_fixed_size: 20480
    .kernarg_segment_align: 8
    .kernarg_segment_size: 136
    .language:       OpenCL C
    .language_version:
      - 2
      - 0
    .max_flat_workgroup_size: 256
    .name:           _ZN12_GLOBAL__N_120geam_min_plus_kernelId15HIP_vector_typeIdLj2EEdLi8ELi32ELi64ELi256ELi4ELi64ELi4ELi64ELi4ELc78ELc84ELb0ELb1ELb1EdKPKdKPdEEviiiT16_PT17_ilSA_ilS8_SA_ilPT18_ili26rocblas_geam_ex_operation_
    .private_segment_fixed_size: 0
    .sgpr_count:     52
    .sgpr_spill_count: 0
    .symbol:         _ZN12_GLOBAL__N_120geam_min_plus_kernelId15HIP_vector_typeIdLj2EEdLi8ELi32ELi64ELi256ELi4ELi64ELi4ELi64ELi4ELc78ELc84ELb0ELb1ELb1EdKPKdKPdEEviiiT16_PT17_ilSA_ilS8_SA_ilPT18_ili26rocblas_geam_ex_operation_.kd
    .uniform_work_group_size: 1
    .uses_dynamic_stack: false
    .vgpr_count:     154
    .vgpr_spill_count: 0
    .wavefront_size: 64
  - .agpr_count:     0
    .args:
      - .offset:         0
        .size:           4
        .value_kind:     by_value
      - .offset:         4
        .size:           4
        .value_kind:     by_value
      - .offset:         8
        .size:           4
        .value_kind:     by_value
      - .address_space:  global
        .offset:         16
        .size:           8
        .value_kind:     global_buffer
      - .address_space:  global
        .offset:         24
        .size:           8
        .value_kind:     global_buffer
      - .offset:         32
        .size:           4
        .value_kind:     by_value
      - .offset:         40
        .size:           8
        .value_kind:     by_value
      - .address_space:  global
        .offset:         48
        .size:           8
        .value_kind:     global_buffer
      - .offset:         56
        .size:           4
        .value_kind:     by_value
      - .offset:         64
        .size:           8
        .value_kind:     by_value
      - .address_space:  global
        .offset:         72
        .size:           8
        .value_kind:     global_buffer
      - .address_space:  global
        .offset:         80
        .size:           8
        .value_kind:     global_buffer
      - .offset:         88
        .size:           4
        .value_kind:     by_value
      - .offset:         96
        .size:           8
        .value_kind:     by_value
      - .address_space:  global
        .offset:         104
        .size:           8
        .value_kind:     global_buffer
      - .offset:         112
        .size:           4
        .value_kind:     by_value
      - .offset:         120
        .size:           8
        .value_kind:     by_value
      - .offset:         128
        .size:           4
        .value_kind:     by_value
      - .offset:         132
        .size:           4
        .value_kind:     by_value
    .group_segment_fixed_size: 20480
    .kernarg_segment_align: 8
    .kernarg_segment_size: 136
    .language:       OpenCL C
    .language_version:
      - 2
      - 0
    .max_flat_workgroup_size: 256
    .name:           _ZN12_GLOBAL__N_120geam_min_plus_kernelId15HIP_vector_typeIdLj2EEdLi8ELi32ELi64ELi256ELi4ELi4ELi64ELi64ELi4ELc84ELc84ELb0ELb0ELb1EPKdKS4_KPdEEviiiT16_PT17_ilSA_ilS8_SA_ilPT18_ili26rocblas_geam_ex_operation_
    .private_segment_fixed_size: 0
    .sgpr_count:     34
    .sgpr_spill_count: 0
    .symbol:         _ZN12_GLOBAL__N_120geam_min_plus_kernelId15HIP_vector_typeIdLj2EEdLi8ELi32ELi64ELi256ELi4ELi4ELi64ELi64ELi4ELc84ELc84ELb0ELb0ELb1EPKdKS4_KPdEEviiiT16_PT17_ilSA_ilS8_SA_ilPT18_ili26rocblas_geam_ex_operation_.kd
    .uniform_work_group_size: 1
    .uses_dynamic_stack: false
    .vgpr_count:     160
    .vgpr_spill_count: 0
    .wavefront_size: 64
  - .agpr_count:     0
    .args:
      - .offset:         0
        .size:           4
        .value_kind:     by_value
      - .offset:         4
        .size:           4
        .value_kind:     by_value
      - .offset:         8
        .size:           4
        .value_kind:     by_value
      - .offset:         16
        .size:           8
        .value_kind:     by_value
      - .address_space:  global
        .offset:         24
        .size:           8
        .value_kind:     global_buffer
      - .offset:         32
        .size:           4
        .value_kind:     by_value
      - .offset:         40
        .size:           8
        .value_kind:     by_value
      - .address_space:  global
        .offset:         48
        .size:           8
        .value_kind:     global_buffer
      - .offset:         56
        .size:           4
        .value_kind:     by_value
      - .offset:         64
        .size:           8
        .value_kind:     by_value
      - .offset:         72
        .size:           8
        .value_kind:     by_value
      - .address_space:  global
        .offset:         80
        .size:           8
        .value_kind:     global_buffer
      - .offset:         88
        .size:           4
        .value_kind:     by_value
      - .offset:         96
        .size:           8
        .value_kind:     by_value
      - .address_space:  global
        .offset:         104
        .size:           8
        .value_kind:     global_buffer
      - .offset:         112
        .size:           4
        .value_kind:     by_value
      - .offset:         120
        .size:           8
        .value_kind:     by_value
      - .offset:         128
        .size:           4
        .value_kind:     by_value
      - .offset:         132
        .size:           4
        .value_kind:     by_value
    .group_segment_fixed_size: 20480
    .kernarg_segment_align: 8
    .kernarg_segment_size: 136
    .language:       OpenCL C
    .language_version:
      - 2
      - 0
    .max_flat_workgroup_size: 256
    .name:           _ZN12_GLOBAL__N_120geam_min_plus_kernelId15HIP_vector_typeIdLj2EEdLi8ELi32ELi64ELi256ELi4ELi4ELi64ELi64ELi4ELc84ELc84ELb1ELb0ELb1EdKPKdKPdEEviiiT16_PT17_ilSA_ilS8_SA_ilPT18_ili26rocblas_geam_ex_operation_
    .private_segment_fixed_size: 0
    .sgpr_count:     29
    .sgpr_spill_count: 0
    .symbol:         _ZN12_GLOBAL__N_120geam_min_plus_kernelId15HIP_vector_typeIdLj2EEdLi8ELi32ELi64ELi256ELi4ELi4ELi64ELi64ELi4ELc84ELc84ELb1ELb0ELb1EdKPKdKPdEEviiiT16_PT17_ilSA_ilS8_SA_ilPT18_ili26rocblas_geam_ex_operation_.kd
    .uniform_work_group_size: 1
    .uses_dynamic_stack: false
    .vgpr_count:     160
    .vgpr_spill_count: 0
    .wavefront_size: 64
  - .agpr_count:     0
    .args:
      - .offset:         0
        .size:           4
        .value_kind:     by_value
      - .offset:         4
        .size:           4
        .value_kind:     by_value
      - .offset:         8
        .size:           4
        .value_kind:     by_value
      - .offset:         16
        .size:           8
        .value_kind:     by_value
      - .address_space:  global
        .offset:         24
        .size:           8
        .value_kind:     global_buffer
      - .offset:         32
        .size:           4
        .value_kind:     by_value
      - .offset:         40
        .size:           8
        .value_kind:     by_value
      - .address_space:  global
        .offset:         48
        .size:           8
        .value_kind:     global_buffer
      - .offset:         56
        .size:           4
        .value_kind:     by_value
      - .offset:         64
        .size:           8
        .value_kind:     by_value
      - .offset:         72
        .size:           8
        .value_kind:     by_value
      - .address_space:  global
        .offset:         80
        .size:           8
        .value_kind:     global_buffer
      - .offset:         88
        .size:           4
        .value_kind:     by_value
      - .offset:         96
        .size:           8
        .value_kind:     by_value
      - .address_space:  global
        .offset:         104
        .size:           8
        .value_kind:     global_buffer
      - .offset:         112
        .size:           4
        .value_kind:     by_value
      - .offset:         120
        .size:           8
        .value_kind:     by_value
      - .offset:         128
        .size:           4
        .value_kind:     by_value
      - .offset:         132
        .size:           4
        .value_kind:     by_value
    .group_segment_fixed_size: 20480
    .kernarg_segment_align: 8
    .kernarg_segment_size: 136
    .language:       OpenCL C
    .language_version:
      - 2
      - 0
    .max_flat_workgroup_size: 256
    .name:           _ZN12_GLOBAL__N_120geam_min_plus_kernelId15HIP_vector_typeIdLj2EEdLi8ELi32ELi64ELi256ELi4ELi4ELi64ELi64ELi4ELc84ELc84ELb0ELb0ELb1EdKPKdKPdEEviiiT16_PT17_ilSA_ilS8_SA_ilPT18_ili26rocblas_geam_ex_operation_
    .private_segment_fixed_size: 0
    .sgpr_count:     35
    .sgpr_spill_count: 0
    .symbol:         _ZN12_GLOBAL__N_120geam_min_plus_kernelId15HIP_vector_typeIdLj2EEdLi8ELi32ELi64ELi256ELi4ELi4ELi64ELi64ELi4ELc84ELc84ELb0ELb0ELb1EdKPKdKPdEEviiiT16_PT17_ilSA_ilS8_SA_ilPT18_ili26rocblas_geam_ex_operation_.kd
    .uniform_work_group_size: 1
    .uses_dynamic_stack: false
    .vgpr_count:     160
    .vgpr_spill_count: 0
    .wavefront_size: 64
  - .agpr_count:     0
    .args:
      - .offset:         0
        .size:           4
        .value_kind:     by_value
      - .offset:         4
        .size:           4
        .value_kind:     by_value
      - .offset:         8
        .size:           4
        .value_kind:     by_value
      - .address_space:  global
        .offset:         16
        .size:           8
        .value_kind:     global_buffer
      - .address_space:  global
        .offset:         24
        .size:           8
        .value_kind:     global_buffer
      - .offset:         32
        .size:           4
        .value_kind:     by_value
      - .offset:         40
        .size:           8
        .value_kind:     by_value
      - .address_space:  global
        .offset:         48
        .size:           8
        .value_kind:     global_buffer
      - .offset:         56
        .size:           4
        .value_kind:     by_value
      - .offset:         64
        .size:           8
        .value_kind:     by_value
      - .address_space:  global
        .offset:         72
        .size:           8
        .value_kind:     global_buffer
      - .address_space:  global
        .offset:         80
        .size:           8
        .value_kind:     global_buffer
      - .offset:         88
        .size:           4
        .value_kind:     by_value
      - .offset:         96
        .size:           8
        .value_kind:     by_value
      - .address_space:  global
        .offset:         104
        .size:           8
        .value_kind:     global_buffer
      - .offset:         112
        .size:           4
        .value_kind:     by_value
      - .offset:         120
        .size:           8
        .value_kind:     by_value
      - .offset:         128
        .size:           4
        .value_kind:     by_value
      - .offset:         132
        .size:           4
        .value_kind:     by_value
    .group_segment_fixed_size: 20480
    .kernarg_segment_align: 8
    .kernarg_segment_size: 136
    .language:       OpenCL C
    .language_version:
      - 2
      - 0
    .max_flat_workgroup_size: 256
    .name:           _ZN12_GLOBAL__N_120geam_min_plus_kernelId15HIP_vector_typeIdLj2EEdLi8ELi32ELi64ELi256ELi4ELi4ELi64ELi64ELi4ELc84ELc84ELb0ELb1ELb1EPKdKS4_KPdEEviiiT16_PT17_ilSA_ilS8_SA_ilPT18_ili26rocblas_geam_ex_operation_
    .private_segment_fixed_size: 0
    .sgpr_count:     50
    .sgpr_spill_count: 0
    .symbol:         _ZN12_GLOBAL__N_120geam_min_plus_kernelId15HIP_vector_typeIdLj2EEdLi8ELi32ELi64ELi256ELi4ELi4ELi64ELi64ELi4ELc84ELc84ELb0ELb1ELb1EPKdKS4_KPdEEviiiT16_PT17_ilSA_ilS8_SA_ilPT18_ili26rocblas_geam_ex_operation_.kd
    .uniform_work_group_size: 1
    .uses_dynamic_stack: false
    .vgpr_count:     160
    .vgpr_spill_count: 0
    .wavefront_size: 64
  - .agpr_count:     0
    .args:
      - .offset:         0
        .size:           4
        .value_kind:     by_value
      - .offset:         4
        .size:           4
        .value_kind:     by_value
      - .offset:         8
        .size:           4
        .value_kind:     by_value
      - .offset:         16
        .size:           8
        .value_kind:     by_value
      - .address_space:  global
        .offset:         24
        .size:           8
        .value_kind:     global_buffer
      - .offset:         32
        .size:           4
        .value_kind:     by_value
      - .offset:         40
        .size:           8
        .value_kind:     by_value
      - .address_space:  global
        .offset:         48
        .size:           8
        .value_kind:     global_buffer
      - .offset:         56
        .size:           4
        .value_kind:     by_value
      - .offset:         64
        .size:           8
        .value_kind:     by_value
      - .offset:         72
        .size:           8
        .value_kind:     by_value
      - .address_space:  global
        .offset:         80
        .size:           8
        .value_kind:     global_buffer
      - .offset:         88
        .size:           4
        .value_kind:     by_value
      - .offset:         96
        .size:           8
        .value_kind:     by_value
      - .address_space:  global
        .offset:         104
        .size:           8
        .value_kind:     global_buffer
      - .offset:         112
        .size:           4
        .value_kind:     by_value
      - .offset:         120
        .size:           8
        .value_kind:     by_value
      - .offset:         128
        .size:           4
        .value_kind:     by_value
      - .offset:         132
        .size:           4
        .value_kind:     by_value
    .group_segment_fixed_size: 20480
    .kernarg_segment_align: 8
    .kernarg_segment_size: 136
    .language:       OpenCL C
    .language_version:
      - 2
      - 0
    .max_flat_workgroup_size: 256
    .name:           _ZN12_GLOBAL__N_120geam_min_plus_kernelId15HIP_vector_typeIdLj2EEdLi8ELi32ELi64ELi256ELi4ELi4ELi64ELi64ELi4ELc84ELc84ELb1ELb1ELb1EdKPKdKPdEEviiiT16_PT17_ilSA_ilS8_SA_ilPT18_ili26rocblas_geam_ex_operation_
    .private_segment_fixed_size: 0
    .sgpr_count:     46
    .sgpr_spill_count: 0
    .symbol:         _ZN12_GLOBAL__N_120geam_min_plus_kernelId15HIP_vector_typeIdLj2EEdLi8ELi32ELi64ELi256ELi4ELi4ELi64ELi64ELi4ELc84ELc84ELb1ELb1ELb1EdKPKdKPdEEviiiT16_PT17_ilSA_ilS8_SA_ilPT18_ili26rocblas_geam_ex_operation_.kd
    .uniform_work_group_size: 1
    .uses_dynamic_stack: false
    .vgpr_count:     158
    .vgpr_spill_count: 0
    .wavefront_size: 64
  - .agpr_count:     0
    .args:
      - .offset:         0
        .size:           4
        .value_kind:     by_value
      - .offset:         4
        .size:           4
        .value_kind:     by_value
      - .offset:         8
        .size:           4
        .value_kind:     by_value
      - .offset:         16
        .size:           8
        .value_kind:     by_value
      - .address_space:  global
        .offset:         24
        .size:           8
        .value_kind:     global_buffer
      - .offset:         32
        .size:           4
        .value_kind:     by_value
      - .offset:         40
        .size:           8
        .value_kind:     by_value
      - .address_space:  global
        .offset:         48
        .size:           8
        .value_kind:     global_buffer
      - .offset:         56
        .size:           4
        .value_kind:     by_value
      - .offset:         64
        .size:           8
        .value_kind:     by_value
      - .offset:         72
        .size:           8
        .value_kind:     by_value
      - .address_space:  global
        .offset:         80
        .size:           8
        .value_kind:     global_buffer
      - .offset:         88
        .size:           4
        .value_kind:     by_value
      - .offset:         96
        .size:           8
        .value_kind:     by_value
      - .address_space:  global
        .offset:         104
        .size:           8
        .value_kind:     global_buffer
      - .offset:         112
        .size:           4
        .value_kind:     by_value
      - .offset:         120
        .size:           8
        .value_kind:     by_value
      - .offset:         128
        .size:           4
        .value_kind:     by_value
      - .offset:         132
        .size:           4
        .value_kind:     by_value
    .group_segment_fixed_size: 20480
    .kernarg_segment_align: 8
    .kernarg_segment_size: 136
    .language:       OpenCL C
    .language_version:
      - 2
      - 0
    .max_flat_workgroup_size: 256
    .name:           _ZN12_GLOBAL__N_120geam_min_plus_kernelId15HIP_vector_typeIdLj2EEdLi8ELi32ELi64ELi256ELi4ELi4ELi64ELi64ELi4ELc84ELc84ELb0ELb1ELb1EdKPKdKPdEEviiiT16_PT17_ilSA_ilS8_SA_ilPT18_ili26rocblas_geam_ex_operation_
    .private_segment_fixed_size: 0
    .sgpr_count:     50
    .sgpr_spill_count: 0
    .symbol:         _ZN12_GLOBAL__N_120geam_min_plus_kernelId15HIP_vector_typeIdLj2EEdLi8ELi32ELi64ELi256ELi4ELi4ELi64ELi64ELi4ELc84ELc84ELb0ELb1ELb1EdKPKdKPdEEviiiT16_PT17_ilSA_ilS8_SA_ilPT18_ili26rocblas_geam_ex_operation_.kd
    .uniform_work_group_size: 1
    .uses_dynamic_stack: false
    .vgpr_count:     160
    .vgpr_spill_count: 0
    .wavefront_size: 64
  - .agpr_count:     0
    .args:
      - .offset:         0
        .size:           4
        .value_kind:     by_value
      - .offset:         4
        .size:           4
        .value_kind:     by_value
      - .offset:         8
        .size:           4
        .value_kind:     by_value
      - .address_space:  global
        .offset:         16
        .size:           8
        .value_kind:     global_buffer
      - .address_space:  global
        .offset:         24
        .size:           8
        .value_kind:     global_buffer
      - .offset:         32
        .size:           4
        .value_kind:     by_value
      - .offset:         40
        .size:           8
        .value_kind:     by_value
      - .address_space:  global
        .offset:         48
        .size:           8
        .value_kind:     global_buffer
      - .offset:         56
        .size:           4
        .value_kind:     by_value
      - .offset:         64
        .size:           8
        .value_kind:     by_value
      - .address_space:  global
        .offset:         72
        .size:           8
        .value_kind:     global_buffer
      - .address_space:  global
        .offset:         80
        .size:           8
        .value_kind:     global_buffer
      - .offset:         88
        .size:           4
        .value_kind:     by_value
      - .offset:         96
        .size:           8
        .value_kind:     by_value
      - .address_space:  global
        .offset:         104
        .size:           8
        .value_kind:     global_buffer
      - .offset:         112
        .size:           4
        .value_kind:     by_value
      - .offset:         120
        .size:           8
        .value_kind:     by_value
      - .offset:         128
        .size:           4
        .value_kind:     by_value
      - .offset:         132
        .size:           4
        .value_kind:     by_value
    .group_segment_fixed_size: 16384
    .kernarg_segment_align: 8
    .kernarg_segment_size: 136
    .language:       OpenCL C
    .language_version:
      - 2
      - 0
    .max_flat_workgroup_size: 256
    .name:           _ZN12_GLOBAL__N_120geam_min_plus_kernelIdddLi4ELi64ELi128ELi128ELi4ELi64ELi4ELi4ELi64ELc78ELc78ELb0ELb0ELb0EPKdKS2_KPdEEviiiT16_PT17_ilS8_ilS6_S8_ilPT18_ili26rocblas_geam_ex_operation_
    .private_segment_fixed_size: 0
    .sgpr_count:     34
    .sgpr_spill_count: 0
    .symbol:         _ZN12_GLOBAL__N_120geam_min_plus_kernelIdddLi4ELi64ELi128ELi128ELi4ELi64ELi4ELi4ELi64ELc78ELc78ELb0ELb0ELb0EPKdKS2_KPdEEviiiT16_PT17_ilS8_ilS6_S8_ilPT18_ili26rocblas_geam_ex_operation_.kd
    .uniform_work_group_size: 1
    .uses_dynamic_stack: false
    .vgpr_count:     254
    .vgpr_spill_count: 0
    .wavefront_size: 64
  - .agpr_count:     0
    .args:
      - .offset:         0
        .size:           4
        .value_kind:     by_value
      - .offset:         4
        .size:           4
        .value_kind:     by_value
      - .offset:         8
        .size:           4
        .value_kind:     by_value
      - .offset:         16
        .size:           8
        .value_kind:     by_value
      - .address_space:  global
        .offset:         24
        .size:           8
        .value_kind:     global_buffer
      - .offset:         32
        .size:           4
        .value_kind:     by_value
      - .offset:         40
        .size:           8
        .value_kind:     by_value
      - .address_space:  global
        .offset:         48
        .size:           8
        .value_kind:     global_buffer
      - .offset:         56
        .size:           4
        .value_kind:     by_value
      - .offset:         64
        .size:           8
        .value_kind:     by_value
      - .offset:         72
        .size:           8
        .value_kind:     by_value
      - .address_space:  global
        .offset:         80
        .size:           8
        .value_kind:     global_buffer
      - .offset:         88
        .size:           4
        .value_kind:     by_value
      - .offset:         96
        .size:           8
        .value_kind:     by_value
      - .address_space:  global
        .offset:         104
        .size:           8
        .value_kind:     global_buffer
      - .offset:         112
        .size:           4
        .value_kind:     by_value
      - .offset:         120
        .size:           8
        .value_kind:     by_value
      - .offset:         128
        .size:           4
        .value_kind:     by_value
      - .offset:         132
        .size:           4
        .value_kind:     by_value
    .group_segment_fixed_size: 16384
    .kernarg_segment_align: 8
    .kernarg_segment_size: 136
    .language:       OpenCL C
    .language_version:
      - 2
      - 0
    .max_flat_workgroup_size: 256
    .name:           _ZN12_GLOBAL__N_120geam_min_plus_kernelIdddLi4ELi64ELi128ELi128ELi4ELi64ELi4ELi4ELi64ELc78ELc78ELb1ELb0ELb0EdKPKdKPdEEviiiT16_PT17_ilS8_ilS6_S8_ilPT18_ili26rocblas_geam_ex_operation_
    .private_segment_fixed_size: 0
    .sgpr_count:     30
    .sgpr_spill_count: 0
    .symbol:         _ZN12_GLOBAL__N_120geam_min_plus_kernelIdddLi4ELi64ELi128ELi128ELi4ELi64ELi4ELi4ELi64ELc78ELc78ELb1ELb0ELb0EdKPKdKPdEEviiiT16_PT17_ilS8_ilS6_S8_ilPT18_ili26rocblas_geam_ex_operation_.kd
    .uniform_work_group_size: 1
    .uses_dynamic_stack: false
    .vgpr_count:     256
    .vgpr_spill_count: 0
    .wavefront_size: 64
  - .agpr_count:     0
    .args:
      - .offset:         0
        .size:           4
        .value_kind:     by_value
      - .offset:         4
        .size:           4
        .value_kind:     by_value
      - .offset:         8
        .size:           4
        .value_kind:     by_value
      - .offset:         16
        .size:           8
        .value_kind:     by_value
      - .address_space:  global
        .offset:         24
        .size:           8
        .value_kind:     global_buffer
      - .offset:         32
        .size:           4
        .value_kind:     by_value
      - .offset:         40
        .size:           8
        .value_kind:     by_value
      - .address_space:  global
        .offset:         48
        .size:           8
        .value_kind:     global_buffer
      - .offset:         56
        .size:           4
        .value_kind:     by_value
      - .offset:         64
        .size:           8
        .value_kind:     by_value
      - .offset:         72
        .size:           8
        .value_kind:     by_value
      - .address_space:  global
        .offset:         80
        .size:           8
        .value_kind:     global_buffer
      - .offset:         88
        .size:           4
        .value_kind:     by_value
      - .offset:         96
        .size:           8
        .value_kind:     by_value
      - .address_space:  global
        .offset:         104
        .size:           8
        .value_kind:     global_buffer
      - .offset:         112
        .size:           4
        .value_kind:     by_value
      - .offset:         120
        .size:           8
        .value_kind:     by_value
      - .offset:         128
        .size:           4
        .value_kind:     by_value
      - .offset:         132
        .size:           4
        .value_kind:     by_value
    .group_segment_fixed_size: 16384
    .kernarg_segment_align: 8
    .kernarg_segment_size: 136
    .language:       OpenCL C
    .language_version:
      - 2
      - 0
    .max_flat_workgroup_size: 256
    .name:           _ZN12_GLOBAL__N_120geam_min_plus_kernelIdddLi4ELi64ELi128ELi128ELi4ELi64ELi4ELi4ELi64ELc78ELc78ELb0ELb0ELb0EdKPKdKPdEEviiiT16_PT17_ilS8_ilS6_S8_ilPT18_ili26rocblas_geam_ex_operation_
    .private_segment_fixed_size: 0
    .sgpr_count:     35
    .sgpr_spill_count: 0
    .symbol:         _ZN12_GLOBAL__N_120geam_min_plus_kernelIdddLi4ELi64ELi128ELi128ELi4ELi64ELi4ELi4ELi64ELc78ELc78ELb0ELb0ELb0EdKPKdKPdEEviiiT16_PT17_ilS8_ilS6_S8_ilPT18_ili26rocblas_geam_ex_operation_.kd
    .uniform_work_group_size: 1
    .uses_dynamic_stack: false
    .vgpr_count:     254
    .vgpr_spill_count: 0
    .wavefront_size: 64
  - .agpr_count:     0
    .args:
      - .offset:         0
        .size:           4
        .value_kind:     by_value
      - .offset:         4
        .size:           4
        .value_kind:     by_value
      - .offset:         8
        .size:           4
        .value_kind:     by_value
      - .address_space:  global
        .offset:         16
        .size:           8
        .value_kind:     global_buffer
      - .address_space:  global
        .offset:         24
        .size:           8
        .value_kind:     global_buffer
      - .offset:         32
        .size:           4
        .value_kind:     by_value
      - .offset:         40
        .size:           8
        .value_kind:     by_value
      - .address_space:  global
        .offset:         48
        .size:           8
        .value_kind:     global_buffer
      - .offset:         56
        .size:           4
        .value_kind:     by_value
      - .offset:         64
        .size:           8
        .value_kind:     by_value
      - .address_space:  global
        .offset:         72
        .size:           8
        .value_kind:     global_buffer
      - .address_space:  global
        .offset:         80
        .size:           8
        .value_kind:     global_buffer
      - .offset:         88
        .size:           4
        .value_kind:     by_value
      - .offset:         96
        .size:           8
        .value_kind:     by_value
      - .address_space:  global
        .offset:         104
        .size:           8
        .value_kind:     global_buffer
      - .offset:         112
        .size:           4
        .value_kind:     by_value
      - .offset:         120
        .size:           8
        .value_kind:     by_value
      - .offset:         128
        .size:           4
        .value_kind:     by_value
      - .offset:         132
        .size:           4
        .value_kind:     by_value
    .group_segment_fixed_size: 16384
    .kernarg_segment_align: 8
    .kernarg_segment_size: 136
    .language:       OpenCL C
    .language_version:
      - 2
      - 0
    .max_flat_workgroup_size: 256
    .name:           _ZN12_GLOBAL__N_120geam_min_plus_kernelIdddLi4ELi64ELi128ELi128ELi4ELi64ELi4ELi4ELi64ELc78ELc78ELb0ELb1ELb0EPKdKS2_KPdEEviiiT16_PT17_ilS8_ilS6_S8_ilPT18_ili26rocblas_geam_ex_operation_
    .private_segment_fixed_size: 0
    .sgpr_count:     88
    .sgpr_spill_count: 0
    .symbol:         _ZN12_GLOBAL__N_120geam_min_plus_kernelIdddLi4ELi64ELi128ELi128ELi4ELi64ELi4ELi4ELi64ELc78ELc78ELb0ELb1ELb0EPKdKS2_KPdEEviiiT16_PT17_ilS8_ilS6_S8_ilPT18_ili26rocblas_geam_ex_operation_.kd
    .uniform_work_group_size: 1
    .uses_dynamic_stack: false
    .vgpr_count:     254
    .vgpr_spill_count: 0
    .wavefront_size: 64
  - .agpr_count:     0
    .args:
      - .offset:         0
        .size:           4
        .value_kind:     by_value
      - .offset:         4
        .size:           4
        .value_kind:     by_value
      - .offset:         8
        .size:           4
        .value_kind:     by_value
      - .offset:         16
        .size:           8
        .value_kind:     by_value
      - .address_space:  global
        .offset:         24
        .size:           8
        .value_kind:     global_buffer
      - .offset:         32
        .size:           4
        .value_kind:     by_value
      - .offset:         40
        .size:           8
        .value_kind:     by_value
      - .address_space:  global
        .offset:         48
        .size:           8
        .value_kind:     global_buffer
      - .offset:         56
        .size:           4
        .value_kind:     by_value
      - .offset:         64
        .size:           8
        .value_kind:     by_value
      - .offset:         72
        .size:           8
        .value_kind:     by_value
      - .address_space:  global
        .offset:         80
        .size:           8
        .value_kind:     global_buffer
      - .offset:         88
        .size:           4
        .value_kind:     by_value
      - .offset:         96
        .size:           8
        .value_kind:     by_value
      - .address_space:  global
        .offset:         104
        .size:           8
        .value_kind:     global_buffer
      - .offset:         112
        .size:           4
        .value_kind:     by_value
      - .offset:         120
        .size:           8
        .value_kind:     by_value
      - .offset:         128
        .size:           4
        .value_kind:     by_value
      - .offset:         132
        .size:           4
        .value_kind:     by_value
    .group_segment_fixed_size: 16384
    .kernarg_segment_align: 8
    .kernarg_segment_size: 136
    .language:       OpenCL C
    .language_version:
      - 2
      - 0
    .max_flat_workgroup_size: 256
    .name:           _ZN12_GLOBAL__N_120geam_min_plus_kernelIdddLi4ELi64ELi128ELi128ELi4ELi64ELi4ELi4ELi64ELc78ELc78ELb1ELb1ELb0EdKPKdKPdEEviiiT16_PT17_ilS8_ilS6_S8_ilPT18_ili26rocblas_geam_ex_operation_
    .private_segment_fixed_size: 0
    .sgpr_count:     88
    .sgpr_spill_count: 0
    .symbol:         _ZN12_GLOBAL__N_120geam_min_plus_kernelIdddLi4ELi64ELi128ELi128ELi4ELi64ELi4ELi4ELi64ELc78ELc78ELb1ELb1ELb0EdKPKdKPdEEviiiT16_PT17_ilS8_ilS6_S8_ilPT18_ili26rocblas_geam_ex_operation_.kd
    .uniform_work_group_size: 1
    .uses_dynamic_stack: false
    .vgpr_count:     252
    .vgpr_spill_count: 0
    .wavefront_size: 64
  - .agpr_count:     0
    .args:
      - .offset:         0
        .size:           4
        .value_kind:     by_value
      - .offset:         4
        .size:           4
        .value_kind:     by_value
      - .offset:         8
        .size:           4
        .value_kind:     by_value
      - .offset:         16
        .size:           8
        .value_kind:     by_value
      - .address_space:  global
        .offset:         24
        .size:           8
        .value_kind:     global_buffer
      - .offset:         32
        .size:           4
        .value_kind:     by_value
      - .offset:         40
        .size:           8
        .value_kind:     by_value
      - .address_space:  global
        .offset:         48
        .size:           8
        .value_kind:     global_buffer
      - .offset:         56
        .size:           4
        .value_kind:     by_value
      - .offset:         64
        .size:           8
        .value_kind:     by_value
      - .offset:         72
        .size:           8
        .value_kind:     by_value
      - .address_space:  global
        .offset:         80
        .size:           8
        .value_kind:     global_buffer
      - .offset:         88
        .size:           4
        .value_kind:     by_value
      - .offset:         96
        .size:           8
        .value_kind:     by_value
      - .address_space:  global
        .offset:         104
        .size:           8
        .value_kind:     global_buffer
      - .offset:         112
        .size:           4
        .value_kind:     by_value
      - .offset:         120
        .size:           8
        .value_kind:     by_value
      - .offset:         128
        .size:           4
        .value_kind:     by_value
      - .offset:         132
        .size:           4
        .value_kind:     by_value
    .group_segment_fixed_size: 16384
    .kernarg_segment_align: 8
    .kernarg_segment_size: 136
    .language:       OpenCL C
    .language_version:
      - 2
      - 0
    .max_flat_workgroup_size: 256
    .name:           _ZN12_GLOBAL__N_120geam_min_plus_kernelIdddLi4ELi64ELi128ELi128ELi4ELi64ELi4ELi4ELi64ELc78ELc78ELb0ELb1ELb0EdKPKdKPdEEviiiT16_PT17_ilS8_ilS6_S8_ilPT18_ili26rocblas_geam_ex_operation_
    .private_segment_fixed_size: 0
    .sgpr_count:     88
    .sgpr_spill_count: 0
    .symbol:         _ZN12_GLOBAL__N_120geam_min_plus_kernelIdddLi4ELi64ELi128ELi128ELi4ELi64ELi4ELi4ELi64ELc78ELc78ELb0ELb1ELb0EdKPKdKPdEEviiiT16_PT17_ilS8_ilS6_S8_ilPT18_ili26rocblas_geam_ex_operation_.kd
    .uniform_work_group_size: 1
    .uses_dynamic_stack: false
    .vgpr_count:     254
    .vgpr_spill_count: 0
    .wavefront_size: 64
  - .agpr_count:     0
    .args:
      - .offset:         0
        .size:           4
        .value_kind:     by_value
      - .offset:         4
        .size:           4
        .value_kind:     by_value
      - .offset:         8
        .size:           4
        .value_kind:     by_value
      - .address_space:  global
        .offset:         16
        .size:           8
        .value_kind:     global_buffer
      - .address_space:  global
        .offset:         24
        .size:           8
        .value_kind:     global_buffer
      - .offset:         32
        .size:           4
        .value_kind:     by_value
      - .offset:         40
        .size:           8
        .value_kind:     by_value
      - .address_space:  global
        .offset:         48
        .size:           8
        .value_kind:     global_buffer
      - .offset:         56
        .size:           4
        .value_kind:     by_value
      - .offset:         64
        .size:           8
        .value_kind:     by_value
      - .address_space:  global
        .offset:         72
        .size:           8
        .value_kind:     global_buffer
      - .address_space:  global
        .offset:         80
        .size:           8
        .value_kind:     global_buffer
      - .offset:         88
        .size:           4
        .value_kind:     by_value
      - .offset:         96
        .size:           8
        .value_kind:     by_value
      - .address_space:  global
        .offset:         104
        .size:           8
        .value_kind:     global_buffer
      - .offset:         112
        .size:           4
        .value_kind:     by_value
      - .offset:         120
        .size:           8
        .value_kind:     by_value
      - .offset:         128
        .size:           4
        .value_kind:     by_value
      - .offset:         132
        .size:           4
        .value_kind:     by_value
    .group_segment_fixed_size: 16384
    .kernarg_segment_align: 8
    .kernarg_segment_size: 136
    .language:       OpenCL C
    .language_version:
      - 2
      - 0
    .max_flat_workgroup_size: 256
    .name:           _ZN12_GLOBAL__N_120geam_min_plus_kernelIdddLi4ELi64ELi128ELi128ELi4ELi4ELi64ELi4ELi64ELc84ELc78ELb0ELb0ELb0EPKdKS2_KPdEEviiiT16_PT17_ilS8_ilS6_S8_ilPT18_ili26rocblas_geam_ex_operation_
    .private_segment_fixed_size: 0
    .sgpr_count:     34
    .sgpr_spill_count: 0
    .symbol:         _ZN12_GLOBAL__N_120geam_min_plus_kernelIdddLi4ELi64ELi128ELi128ELi4ELi4ELi64ELi4ELi64ELc84ELc78ELb0ELb0ELb0EPKdKS2_KPdEEviiiT16_PT17_ilS8_ilS6_S8_ilPT18_ili26rocblas_geam_ex_operation_.kd
    .uniform_work_group_size: 1
    .uses_dynamic_stack: false
    .vgpr_count:     250
    .vgpr_spill_count: 0
    .wavefront_size: 64
  - .agpr_count:     0
    .args:
      - .offset:         0
        .size:           4
        .value_kind:     by_value
      - .offset:         4
        .size:           4
        .value_kind:     by_value
      - .offset:         8
        .size:           4
        .value_kind:     by_value
      - .offset:         16
        .size:           8
        .value_kind:     by_value
      - .address_space:  global
        .offset:         24
        .size:           8
        .value_kind:     global_buffer
      - .offset:         32
        .size:           4
        .value_kind:     by_value
      - .offset:         40
        .size:           8
        .value_kind:     by_value
      - .address_space:  global
        .offset:         48
        .size:           8
        .value_kind:     global_buffer
      - .offset:         56
        .size:           4
        .value_kind:     by_value
      - .offset:         64
        .size:           8
        .value_kind:     by_value
      - .offset:         72
        .size:           8
        .value_kind:     by_value
      - .address_space:  global
        .offset:         80
        .size:           8
        .value_kind:     global_buffer
      - .offset:         88
        .size:           4
        .value_kind:     by_value
      - .offset:         96
        .size:           8
        .value_kind:     by_value
      - .address_space:  global
        .offset:         104
        .size:           8
        .value_kind:     global_buffer
      - .offset:         112
        .size:           4
        .value_kind:     by_value
      - .offset:         120
        .size:           8
        .value_kind:     by_value
      - .offset:         128
        .size:           4
        .value_kind:     by_value
      - .offset:         132
        .size:           4
        .value_kind:     by_value
    .group_segment_fixed_size: 16384
    .kernarg_segment_align: 8
    .kernarg_segment_size: 136
    .language:       OpenCL C
    .language_version:
      - 2
      - 0
    .max_flat_workgroup_size: 256
    .name:           _ZN12_GLOBAL__N_120geam_min_plus_kernelIdddLi4ELi64ELi128ELi128ELi4ELi4ELi64ELi4ELi64ELc84ELc78ELb1ELb0ELb0EdKPKdKPdEEviiiT16_PT17_ilS8_ilS6_S8_ilPT18_ili26rocblas_geam_ex_operation_
    .private_segment_fixed_size: 0
    .sgpr_count:     28
    .sgpr_spill_count: 0
    .symbol:         _ZN12_GLOBAL__N_120geam_min_plus_kernelIdddLi4ELi64ELi128ELi128ELi4ELi4ELi64ELi4ELi64ELc84ELc78ELb1ELb0ELb0EdKPKdKPdEEviiiT16_PT17_ilS8_ilS6_S8_ilPT18_ili26rocblas_geam_ex_operation_.kd
    .uniform_work_group_size: 1
    .uses_dynamic_stack: false
    .vgpr_count:     254
    .vgpr_spill_count: 0
    .wavefront_size: 64
  - .agpr_count:     0
    .args:
      - .offset:         0
        .size:           4
        .value_kind:     by_value
      - .offset:         4
        .size:           4
        .value_kind:     by_value
      - .offset:         8
        .size:           4
        .value_kind:     by_value
      - .offset:         16
        .size:           8
        .value_kind:     by_value
      - .address_space:  global
        .offset:         24
        .size:           8
        .value_kind:     global_buffer
      - .offset:         32
        .size:           4
        .value_kind:     by_value
      - .offset:         40
        .size:           8
        .value_kind:     by_value
      - .address_space:  global
        .offset:         48
        .size:           8
        .value_kind:     global_buffer
      - .offset:         56
        .size:           4
        .value_kind:     by_value
      - .offset:         64
        .size:           8
        .value_kind:     by_value
      - .offset:         72
        .size:           8
        .value_kind:     by_value
      - .address_space:  global
        .offset:         80
        .size:           8
        .value_kind:     global_buffer
      - .offset:         88
        .size:           4
        .value_kind:     by_value
      - .offset:         96
        .size:           8
        .value_kind:     by_value
      - .address_space:  global
        .offset:         104
        .size:           8
        .value_kind:     global_buffer
      - .offset:         112
        .size:           4
        .value_kind:     by_value
      - .offset:         120
        .size:           8
        .value_kind:     by_value
      - .offset:         128
        .size:           4
        .value_kind:     by_value
      - .offset:         132
        .size:           4
        .value_kind:     by_value
    .group_segment_fixed_size: 16384
    .kernarg_segment_align: 8
    .kernarg_segment_size: 136
    .language:       OpenCL C
    .language_version:
      - 2
      - 0
    .max_flat_workgroup_size: 256
    .name:           _ZN12_GLOBAL__N_120geam_min_plus_kernelIdddLi4ELi64ELi128ELi128ELi4ELi4ELi64ELi4ELi64ELc84ELc78ELb0ELb0ELb0EdKPKdKPdEEviiiT16_PT17_ilS8_ilS6_S8_ilPT18_ili26rocblas_geam_ex_operation_
    .private_segment_fixed_size: 0
    .sgpr_count:     35
    .sgpr_spill_count: 0
    .symbol:         _ZN12_GLOBAL__N_120geam_min_plus_kernelIdddLi4ELi64ELi128ELi128ELi4ELi4ELi64ELi4ELi64ELc84ELc78ELb0ELb0ELb0EdKPKdKPdEEviiiT16_PT17_ilS8_ilS6_S8_ilPT18_ili26rocblas_geam_ex_operation_.kd
    .uniform_work_group_size: 1
    .uses_dynamic_stack: false
    .vgpr_count:     250
    .vgpr_spill_count: 0
    .wavefront_size: 64
  - .agpr_count:     0
    .args:
      - .offset:         0
        .size:           4
        .value_kind:     by_value
      - .offset:         4
        .size:           4
        .value_kind:     by_value
      - .offset:         8
        .size:           4
        .value_kind:     by_value
      - .address_space:  global
        .offset:         16
        .size:           8
        .value_kind:     global_buffer
      - .address_space:  global
        .offset:         24
        .size:           8
        .value_kind:     global_buffer
      - .offset:         32
        .size:           4
        .value_kind:     by_value
      - .offset:         40
        .size:           8
        .value_kind:     by_value
      - .address_space:  global
        .offset:         48
        .size:           8
        .value_kind:     global_buffer
      - .offset:         56
        .size:           4
        .value_kind:     by_value
      - .offset:         64
        .size:           8
        .value_kind:     by_value
      - .address_space:  global
        .offset:         72
        .size:           8
        .value_kind:     global_buffer
      - .address_space:  global
        .offset:         80
        .size:           8
        .value_kind:     global_buffer
      - .offset:         88
        .size:           4
        .value_kind:     by_value
      - .offset:         96
        .size:           8
        .value_kind:     by_value
      - .address_space:  global
        .offset:         104
        .size:           8
        .value_kind:     global_buffer
      - .offset:         112
        .size:           4
        .value_kind:     by_value
      - .offset:         120
        .size:           8
        .value_kind:     by_value
      - .offset:         128
        .size:           4
        .value_kind:     by_value
      - .offset:         132
        .size:           4
        .value_kind:     by_value
    .group_segment_fixed_size: 16384
    .kernarg_segment_align: 8
    .kernarg_segment_size: 136
    .language:       OpenCL C
    .language_version:
      - 2
      - 0
    .max_flat_workgroup_size: 256
    .name:           _ZN12_GLOBAL__N_120geam_min_plus_kernelIdddLi4ELi64ELi128ELi128ELi4ELi4ELi64ELi4ELi64ELc84ELc78ELb0ELb1ELb0EPKdKS2_KPdEEviiiT16_PT17_ilS8_ilS6_S8_ilPT18_ili26rocblas_geam_ex_operation_
    .private_segment_fixed_size: 0
    .sgpr_count:     88
    .sgpr_spill_count: 0
    .symbol:         _ZN12_GLOBAL__N_120geam_min_plus_kernelIdddLi4ELi64ELi128ELi128ELi4ELi4ELi64ELi4ELi64ELc84ELc78ELb0ELb1ELb0EPKdKS2_KPdEEviiiT16_PT17_ilS8_ilS6_S8_ilPT18_ili26rocblas_geam_ex_operation_.kd
    .uniform_work_group_size: 1
    .uses_dynamic_stack: false
    .vgpr_count:     250
    .vgpr_spill_count: 0
    .wavefront_size: 64
  - .agpr_count:     0
    .args:
      - .offset:         0
        .size:           4
        .value_kind:     by_value
      - .offset:         4
        .size:           4
        .value_kind:     by_value
      - .offset:         8
        .size:           4
        .value_kind:     by_value
      - .offset:         16
        .size:           8
        .value_kind:     by_value
      - .address_space:  global
        .offset:         24
        .size:           8
        .value_kind:     global_buffer
      - .offset:         32
        .size:           4
        .value_kind:     by_value
      - .offset:         40
        .size:           8
        .value_kind:     by_value
      - .address_space:  global
        .offset:         48
        .size:           8
        .value_kind:     global_buffer
      - .offset:         56
        .size:           4
        .value_kind:     by_value
      - .offset:         64
        .size:           8
        .value_kind:     by_value
      - .offset:         72
        .size:           8
        .value_kind:     by_value
      - .address_space:  global
        .offset:         80
        .size:           8
        .value_kind:     global_buffer
      - .offset:         88
        .size:           4
        .value_kind:     by_value
      - .offset:         96
        .size:           8
        .value_kind:     by_value
      - .address_space:  global
        .offset:         104
        .size:           8
        .value_kind:     global_buffer
      - .offset:         112
        .size:           4
        .value_kind:     by_value
      - .offset:         120
        .size:           8
        .value_kind:     by_value
      - .offset:         128
        .size:           4
        .value_kind:     by_value
      - .offset:         132
        .size:           4
        .value_kind:     by_value
    .group_segment_fixed_size: 16384
    .kernarg_segment_align: 8
    .kernarg_segment_size: 136
    .language:       OpenCL C
    .language_version:
      - 2
      - 0
    .max_flat_workgroup_size: 256
    .name:           _ZN12_GLOBAL__N_120geam_min_plus_kernelIdddLi4ELi64ELi128ELi128ELi4ELi4ELi64ELi4ELi64ELc84ELc78ELb1ELb1ELb0EdKPKdKPdEEviiiT16_PT17_ilS8_ilS6_S8_ilPT18_ili26rocblas_geam_ex_operation_
    .private_segment_fixed_size: 0
    .sgpr_count:     88
    .sgpr_spill_count: 0
    .symbol:         _ZN12_GLOBAL__N_120geam_min_plus_kernelIdddLi4ELi64ELi128ELi128ELi4ELi4ELi64ELi4ELi64ELc84ELc78ELb1ELb1ELb0EdKPKdKPdEEviiiT16_PT17_ilS8_ilS6_S8_ilPT18_ili26rocblas_geam_ex_operation_.kd
    .uniform_work_group_size: 1
    .uses_dynamic_stack: false
    .vgpr_count:     250
    .vgpr_spill_count: 0
    .wavefront_size: 64
  - .agpr_count:     0
    .args:
      - .offset:         0
        .size:           4
        .value_kind:     by_value
      - .offset:         4
        .size:           4
        .value_kind:     by_value
      - .offset:         8
        .size:           4
        .value_kind:     by_value
      - .offset:         16
        .size:           8
        .value_kind:     by_value
      - .address_space:  global
        .offset:         24
        .size:           8
        .value_kind:     global_buffer
      - .offset:         32
        .size:           4
        .value_kind:     by_value
      - .offset:         40
        .size:           8
        .value_kind:     by_value
      - .address_space:  global
        .offset:         48
        .size:           8
        .value_kind:     global_buffer
      - .offset:         56
        .size:           4
        .value_kind:     by_value
      - .offset:         64
        .size:           8
        .value_kind:     by_value
      - .offset:         72
        .size:           8
        .value_kind:     by_value
      - .address_space:  global
        .offset:         80
        .size:           8
        .value_kind:     global_buffer
      - .offset:         88
        .size:           4
        .value_kind:     by_value
      - .offset:         96
        .size:           8
        .value_kind:     by_value
      - .address_space:  global
        .offset:         104
        .size:           8
        .value_kind:     global_buffer
      - .offset:         112
        .size:           4
        .value_kind:     by_value
      - .offset:         120
        .size:           8
        .value_kind:     by_value
      - .offset:         128
        .size:           4
        .value_kind:     by_value
      - .offset:         132
        .size:           4
        .value_kind:     by_value
    .group_segment_fixed_size: 16384
    .kernarg_segment_align: 8
    .kernarg_segment_size: 136
    .language:       OpenCL C
    .language_version:
      - 2
      - 0
    .max_flat_workgroup_size: 256
    .name:           _ZN12_GLOBAL__N_120geam_min_plus_kernelIdddLi4ELi64ELi128ELi128ELi4ELi4ELi64ELi4ELi64ELc84ELc78ELb0ELb1ELb0EdKPKdKPdEEviiiT16_PT17_ilS8_ilS6_S8_ilPT18_ili26rocblas_geam_ex_operation_
    .private_segment_fixed_size: 0
    .sgpr_count:     88
    .sgpr_spill_count: 0
    .symbol:         _ZN12_GLOBAL__N_120geam_min_plus_kernelIdddLi4ELi64ELi128ELi128ELi4ELi4ELi64ELi4ELi64ELc84ELc78ELb0ELb1ELb0EdKPKdKPdEEviiiT16_PT17_ilS8_ilS6_S8_ilPT18_ili26rocblas_geam_ex_operation_.kd
    .uniform_work_group_size: 1
    .uses_dynamic_stack: false
    .vgpr_count:     250
    .vgpr_spill_count: 0
    .wavefront_size: 64
  - .agpr_count:     0
    .args:
      - .offset:         0
        .size:           4
        .value_kind:     by_value
      - .offset:         4
        .size:           4
        .value_kind:     by_value
      - .offset:         8
        .size:           4
        .value_kind:     by_value
      - .address_space:  global
        .offset:         16
        .size:           8
        .value_kind:     global_buffer
      - .address_space:  global
        .offset:         24
        .size:           8
        .value_kind:     global_buffer
      - .offset:         32
        .size:           4
        .value_kind:     by_value
      - .offset:         40
        .size:           8
        .value_kind:     by_value
      - .address_space:  global
        .offset:         48
        .size:           8
        .value_kind:     global_buffer
      - .offset:         56
        .size:           4
        .value_kind:     by_value
      - .offset:         64
        .size:           8
        .value_kind:     by_value
      - .address_space:  global
        .offset:         72
        .size:           8
        .value_kind:     global_buffer
      - .address_space:  global
        .offset:         80
        .size:           8
        .value_kind:     global_buffer
      - .offset:         88
        .size:           4
        .value_kind:     by_value
      - .offset:         96
        .size:           8
        .value_kind:     by_value
      - .address_space:  global
        .offset:         104
        .size:           8
        .value_kind:     global_buffer
      - .offset:         112
        .size:           4
        .value_kind:     by_value
      - .offset:         120
        .size:           8
        .value_kind:     by_value
      - .offset:         128
        .size:           4
        .value_kind:     by_value
      - .offset:         132
        .size:           4
        .value_kind:     by_value
    .group_segment_fixed_size: 16384
    .kernarg_segment_align: 8
    .kernarg_segment_size: 136
    .language:       OpenCL C
    .language_version:
      - 2
      - 0
    .max_flat_workgroup_size: 256
    .name:           _ZN12_GLOBAL__N_120geam_min_plus_kernelIdddLi4ELi64ELi128ELi128ELi4ELi64ELi4ELi64ELi4ELc78ELc84ELb0ELb0ELb0EPKdKS2_KPdEEviiiT16_PT17_ilS8_ilS6_S8_ilPT18_ili26rocblas_geam_ex_operation_
    .private_segment_fixed_size: 0
    .sgpr_count:     34
    .sgpr_spill_count: 0
    .symbol:         _ZN12_GLOBAL__N_120geam_min_plus_kernelIdddLi4ELi64ELi128ELi128ELi4ELi64ELi4ELi64ELi4ELc78ELc84ELb0ELb0ELb0EPKdKS2_KPdEEviiiT16_PT17_ilS8_ilS6_S8_ilPT18_ili26rocblas_geam_ex_operation_.kd
    .uniform_work_group_size: 1
    .uses_dynamic_stack: false
    .vgpr_count:     252
    .vgpr_spill_count: 0
    .wavefront_size: 64
  - .agpr_count:     0
    .args:
      - .offset:         0
        .size:           4
        .value_kind:     by_value
      - .offset:         4
        .size:           4
        .value_kind:     by_value
      - .offset:         8
        .size:           4
        .value_kind:     by_value
      - .offset:         16
        .size:           8
        .value_kind:     by_value
      - .address_space:  global
        .offset:         24
        .size:           8
        .value_kind:     global_buffer
      - .offset:         32
        .size:           4
        .value_kind:     by_value
      - .offset:         40
        .size:           8
        .value_kind:     by_value
      - .address_space:  global
        .offset:         48
        .size:           8
        .value_kind:     global_buffer
      - .offset:         56
        .size:           4
        .value_kind:     by_value
      - .offset:         64
        .size:           8
        .value_kind:     by_value
      - .offset:         72
        .size:           8
        .value_kind:     by_value
      - .address_space:  global
        .offset:         80
        .size:           8
        .value_kind:     global_buffer
      - .offset:         88
        .size:           4
        .value_kind:     by_value
      - .offset:         96
        .size:           8
        .value_kind:     by_value
      - .address_space:  global
        .offset:         104
        .size:           8
        .value_kind:     global_buffer
      - .offset:         112
        .size:           4
        .value_kind:     by_value
      - .offset:         120
        .size:           8
        .value_kind:     by_value
      - .offset:         128
        .size:           4
        .value_kind:     by_value
      - .offset:         132
        .size:           4
        .value_kind:     by_value
    .group_segment_fixed_size: 16384
    .kernarg_segment_align: 8
    .kernarg_segment_size: 136
    .language:       OpenCL C
    .language_version:
      - 2
      - 0
    .max_flat_workgroup_size: 256
    .name:           _ZN12_GLOBAL__N_120geam_min_plus_kernelIdddLi4ELi64ELi128ELi128ELi4ELi64ELi4ELi64ELi4ELc78ELc84ELb1ELb0ELb0EdKPKdKPdEEviiiT16_PT17_ilS8_ilS6_S8_ilPT18_ili26rocblas_geam_ex_operation_
    .private_segment_fixed_size: 0
    .sgpr_count:     30
    .sgpr_spill_count: 0
    .symbol:         _ZN12_GLOBAL__N_120geam_min_plus_kernelIdddLi4ELi64ELi128ELi128ELi4ELi64ELi4ELi64ELi4ELc78ELc84ELb1ELb0ELb0EdKPKdKPdEEviiiT16_PT17_ilS8_ilS6_S8_ilPT18_ili26rocblas_geam_ex_operation_.kd
    .uniform_work_group_size: 1
    .uses_dynamic_stack: false
    .vgpr_count:     252
    .vgpr_spill_count: 0
    .wavefront_size: 64
  - .agpr_count:     0
    .args:
      - .offset:         0
        .size:           4
        .value_kind:     by_value
      - .offset:         4
        .size:           4
        .value_kind:     by_value
      - .offset:         8
        .size:           4
        .value_kind:     by_value
      - .offset:         16
        .size:           8
        .value_kind:     by_value
      - .address_space:  global
        .offset:         24
        .size:           8
        .value_kind:     global_buffer
      - .offset:         32
        .size:           4
        .value_kind:     by_value
      - .offset:         40
        .size:           8
        .value_kind:     by_value
      - .address_space:  global
        .offset:         48
        .size:           8
        .value_kind:     global_buffer
      - .offset:         56
        .size:           4
        .value_kind:     by_value
      - .offset:         64
        .size:           8
        .value_kind:     by_value
      - .offset:         72
        .size:           8
        .value_kind:     by_value
      - .address_space:  global
        .offset:         80
        .size:           8
        .value_kind:     global_buffer
      - .offset:         88
        .size:           4
        .value_kind:     by_value
      - .offset:         96
        .size:           8
        .value_kind:     by_value
      - .address_space:  global
        .offset:         104
        .size:           8
        .value_kind:     global_buffer
      - .offset:         112
        .size:           4
        .value_kind:     by_value
      - .offset:         120
        .size:           8
        .value_kind:     by_value
      - .offset:         128
        .size:           4
        .value_kind:     by_value
      - .offset:         132
        .size:           4
        .value_kind:     by_value
    .group_segment_fixed_size: 16384
    .kernarg_segment_align: 8
    .kernarg_segment_size: 136
    .language:       OpenCL C
    .language_version:
      - 2
      - 0
    .max_flat_workgroup_size: 256
    .name:           _ZN12_GLOBAL__N_120geam_min_plus_kernelIdddLi4ELi64ELi128ELi128ELi4ELi64ELi4ELi64ELi4ELc78ELc84ELb0ELb0ELb0EdKPKdKPdEEviiiT16_PT17_ilS8_ilS6_S8_ilPT18_ili26rocblas_geam_ex_operation_
    .private_segment_fixed_size: 0
    .sgpr_count:     35
    .sgpr_spill_count: 0
    .symbol:         _ZN12_GLOBAL__N_120geam_min_plus_kernelIdddLi4ELi64ELi128ELi128ELi4ELi64ELi4ELi64ELi4ELc78ELc84ELb0ELb0ELb0EdKPKdKPdEEviiiT16_PT17_ilS8_ilS6_S8_ilPT18_ili26rocblas_geam_ex_operation_.kd
    .uniform_work_group_size: 1
    .uses_dynamic_stack: false
    .vgpr_count:     252
    .vgpr_spill_count: 0
    .wavefront_size: 64
  - .agpr_count:     0
    .args:
      - .offset:         0
        .size:           4
        .value_kind:     by_value
      - .offset:         4
        .size:           4
        .value_kind:     by_value
      - .offset:         8
        .size:           4
        .value_kind:     by_value
      - .address_space:  global
        .offset:         16
        .size:           8
        .value_kind:     global_buffer
      - .address_space:  global
        .offset:         24
        .size:           8
        .value_kind:     global_buffer
      - .offset:         32
        .size:           4
        .value_kind:     by_value
      - .offset:         40
        .size:           8
        .value_kind:     by_value
      - .address_space:  global
        .offset:         48
        .size:           8
        .value_kind:     global_buffer
      - .offset:         56
        .size:           4
        .value_kind:     by_value
      - .offset:         64
        .size:           8
        .value_kind:     by_value
      - .address_space:  global
        .offset:         72
        .size:           8
        .value_kind:     global_buffer
      - .address_space:  global
        .offset:         80
        .size:           8
        .value_kind:     global_buffer
      - .offset:         88
        .size:           4
        .value_kind:     by_value
      - .offset:         96
        .size:           8
        .value_kind:     by_value
      - .address_space:  global
        .offset:         104
        .size:           8
        .value_kind:     global_buffer
      - .offset:         112
        .size:           4
        .value_kind:     by_value
      - .offset:         120
        .size:           8
        .value_kind:     by_value
      - .offset:         128
        .size:           4
        .value_kind:     by_value
      - .offset:         132
        .size:           4
        .value_kind:     by_value
    .group_segment_fixed_size: 16384
    .kernarg_segment_align: 8
    .kernarg_segment_size: 136
    .language:       OpenCL C
    .language_version:
      - 2
      - 0
    .max_flat_workgroup_size: 256
    .name:           _ZN12_GLOBAL__N_120geam_min_plus_kernelIdddLi4ELi64ELi128ELi128ELi4ELi64ELi4ELi64ELi4ELc78ELc84ELb0ELb1ELb0EPKdKS2_KPdEEviiiT16_PT17_ilS8_ilS6_S8_ilPT18_ili26rocblas_geam_ex_operation_
    .private_segment_fixed_size: 0
    .sgpr_count:     88
    .sgpr_spill_count: 0
    .symbol:         _ZN12_GLOBAL__N_120geam_min_plus_kernelIdddLi4ELi64ELi128ELi128ELi4ELi64ELi4ELi64ELi4ELc78ELc84ELb0ELb1ELb0EPKdKS2_KPdEEviiiT16_PT17_ilS8_ilS6_S8_ilPT18_ili26rocblas_geam_ex_operation_.kd
    .uniform_work_group_size: 1
    .uses_dynamic_stack: false
    .vgpr_count:     252
    .vgpr_spill_count: 0
    .wavefront_size: 64
  - .agpr_count:     0
    .args:
      - .offset:         0
        .size:           4
        .value_kind:     by_value
      - .offset:         4
        .size:           4
        .value_kind:     by_value
      - .offset:         8
        .size:           4
        .value_kind:     by_value
      - .offset:         16
        .size:           8
        .value_kind:     by_value
      - .address_space:  global
        .offset:         24
        .size:           8
        .value_kind:     global_buffer
      - .offset:         32
        .size:           4
        .value_kind:     by_value
      - .offset:         40
        .size:           8
        .value_kind:     by_value
      - .address_space:  global
        .offset:         48
        .size:           8
        .value_kind:     global_buffer
      - .offset:         56
        .size:           4
        .value_kind:     by_value
      - .offset:         64
        .size:           8
        .value_kind:     by_value
      - .offset:         72
        .size:           8
        .value_kind:     by_value
      - .address_space:  global
        .offset:         80
        .size:           8
        .value_kind:     global_buffer
      - .offset:         88
        .size:           4
        .value_kind:     by_value
      - .offset:         96
        .size:           8
        .value_kind:     by_value
      - .address_space:  global
        .offset:         104
        .size:           8
        .value_kind:     global_buffer
      - .offset:         112
        .size:           4
        .value_kind:     by_value
      - .offset:         120
        .size:           8
        .value_kind:     by_value
      - .offset:         128
        .size:           4
        .value_kind:     by_value
      - .offset:         132
        .size:           4
        .value_kind:     by_value
    .group_segment_fixed_size: 16384
    .kernarg_segment_align: 8
    .kernarg_segment_size: 136
    .language:       OpenCL C
    .language_version:
      - 2
      - 0
    .max_flat_workgroup_size: 256
    .name:           _ZN12_GLOBAL__N_120geam_min_plus_kernelIdddLi4ELi64ELi128ELi128ELi4ELi64ELi4ELi64ELi4ELc78ELc84ELb1ELb1ELb0EdKPKdKPdEEviiiT16_PT17_ilS8_ilS6_S8_ilPT18_ili26rocblas_geam_ex_operation_
    .private_segment_fixed_size: 0
    .sgpr_count:     88
    .sgpr_spill_count: 0
    .symbol:         _ZN12_GLOBAL__N_120geam_min_plus_kernelIdddLi4ELi64ELi128ELi128ELi4ELi64ELi4ELi64ELi4ELc78ELc84ELb1ELb1ELb0EdKPKdKPdEEviiiT16_PT17_ilS8_ilS6_S8_ilPT18_ili26rocblas_geam_ex_operation_.kd
    .uniform_work_group_size: 1
    .uses_dynamic_stack: false
    .vgpr_count:     252
    .vgpr_spill_count: 0
    .wavefront_size: 64
  - .agpr_count:     0
    .args:
      - .offset:         0
        .size:           4
        .value_kind:     by_value
      - .offset:         4
        .size:           4
        .value_kind:     by_value
      - .offset:         8
        .size:           4
        .value_kind:     by_value
      - .offset:         16
        .size:           8
        .value_kind:     by_value
      - .address_space:  global
        .offset:         24
        .size:           8
        .value_kind:     global_buffer
      - .offset:         32
        .size:           4
        .value_kind:     by_value
      - .offset:         40
        .size:           8
        .value_kind:     by_value
      - .address_space:  global
        .offset:         48
        .size:           8
        .value_kind:     global_buffer
      - .offset:         56
        .size:           4
        .value_kind:     by_value
      - .offset:         64
        .size:           8
        .value_kind:     by_value
      - .offset:         72
        .size:           8
        .value_kind:     by_value
      - .address_space:  global
        .offset:         80
        .size:           8
        .value_kind:     global_buffer
      - .offset:         88
        .size:           4
        .value_kind:     by_value
      - .offset:         96
        .size:           8
        .value_kind:     by_value
      - .address_space:  global
        .offset:         104
        .size:           8
        .value_kind:     global_buffer
      - .offset:         112
        .size:           4
        .value_kind:     by_value
      - .offset:         120
        .size:           8
        .value_kind:     by_value
      - .offset:         128
        .size:           4
        .value_kind:     by_value
      - .offset:         132
        .size:           4
        .value_kind:     by_value
    .group_segment_fixed_size: 16384
    .kernarg_segment_align: 8
    .kernarg_segment_size: 136
    .language:       OpenCL C
    .language_version:
      - 2
      - 0
    .max_flat_workgroup_size: 256
    .name:           _ZN12_GLOBAL__N_120geam_min_plus_kernelIdddLi4ELi64ELi128ELi128ELi4ELi64ELi4ELi64ELi4ELc78ELc84ELb0ELb1ELb0EdKPKdKPdEEviiiT16_PT17_ilS8_ilS6_S8_ilPT18_ili26rocblas_geam_ex_operation_
    .private_segment_fixed_size: 0
    .sgpr_count:     88
    .sgpr_spill_count: 0
    .symbol:         _ZN12_GLOBAL__N_120geam_min_plus_kernelIdddLi4ELi64ELi128ELi128ELi4ELi64ELi4ELi64ELi4ELc78ELc84ELb0ELb1ELb0EdKPKdKPdEEviiiT16_PT17_ilS8_ilS6_S8_ilPT18_ili26rocblas_geam_ex_operation_.kd
    .uniform_work_group_size: 1
    .uses_dynamic_stack: false
    .vgpr_count:     252
    .vgpr_spill_count: 0
    .wavefront_size: 64
  - .agpr_count:     0
    .args:
      - .offset:         0
        .size:           4
        .value_kind:     by_value
      - .offset:         4
        .size:           4
        .value_kind:     by_value
      - .offset:         8
        .size:           4
        .value_kind:     by_value
      - .address_space:  global
        .offset:         16
        .size:           8
        .value_kind:     global_buffer
      - .address_space:  global
        .offset:         24
        .size:           8
        .value_kind:     global_buffer
      - .offset:         32
        .size:           4
        .value_kind:     by_value
      - .offset:         40
        .size:           8
        .value_kind:     by_value
      - .address_space:  global
        .offset:         48
        .size:           8
        .value_kind:     global_buffer
      - .offset:         56
        .size:           4
        .value_kind:     by_value
      - .offset:         64
        .size:           8
        .value_kind:     by_value
      - .address_space:  global
        .offset:         72
        .size:           8
        .value_kind:     global_buffer
      - .address_space:  global
        .offset:         80
        .size:           8
        .value_kind:     global_buffer
      - .offset:         88
        .size:           4
        .value_kind:     by_value
      - .offset:         96
        .size:           8
        .value_kind:     by_value
      - .address_space:  global
        .offset:         104
        .size:           8
        .value_kind:     global_buffer
      - .offset:         112
        .size:           4
        .value_kind:     by_value
      - .offset:         120
        .size:           8
        .value_kind:     by_value
      - .offset:         128
        .size:           4
        .value_kind:     by_value
      - .offset:         132
        .size:           4
        .value_kind:     by_value
    .group_segment_fixed_size: 16384
    .kernarg_segment_align: 8
    .kernarg_segment_size: 136
    .language:       OpenCL C
    .language_version:
      - 2
      - 0
    .max_flat_workgroup_size: 256
    .name:           _ZN12_GLOBAL__N_120geam_min_plus_kernelIdddLi4ELi64ELi128ELi128ELi4ELi4ELi64ELi64ELi4ELc84ELc84ELb0ELb0ELb0EPKdKS2_KPdEEviiiT16_PT17_ilS8_ilS6_S8_ilPT18_ili26rocblas_geam_ex_operation_
    .private_segment_fixed_size: 0
    .sgpr_count:     34
    .sgpr_spill_count: 0
    .symbol:         _ZN12_GLOBAL__N_120geam_min_plus_kernelIdddLi4ELi64ELi128ELi128ELi4ELi4ELi64ELi64ELi4ELc84ELc84ELb0ELb0ELb0EPKdKS2_KPdEEviiiT16_PT17_ilS8_ilS6_S8_ilPT18_ili26rocblas_geam_ex_operation_.kd
    .uniform_work_group_size: 1
    .uses_dynamic_stack: false
    .vgpr_count:     252
    .vgpr_spill_count: 0
    .wavefront_size: 64
  - .agpr_count:     0
    .args:
      - .offset:         0
        .size:           4
        .value_kind:     by_value
      - .offset:         4
        .size:           4
        .value_kind:     by_value
      - .offset:         8
        .size:           4
        .value_kind:     by_value
      - .offset:         16
        .size:           8
        .value_kind:     by_value
      - .address_space:  global
        .offset:         24
        .size:           8
        .value_kind:     global_buffer
      - .offset:         32
        .size:           4
        .value_kind:     by_value
      - .offset:         40
        .size:           8
        .value_kind:     by_value
      - .address_space:  global
        .offset:         48
        .size:           8
        .value_kind:     global_buffer
      - .offset:         56
        .size:           4
        .value_kind:     by_value
      - .offset:         64
        .size:           8
        .value_kind:     by_value
      - .offset:         72
        .size:           8
        .value_kind:     by_value
      - .address_space:  global
        .offset:         80
        .size:           8
        .value_kind:     global_buffer
      - .offset:         88
        .size:           4
        .value_kind:     by_value
      - .offset:         96
        .size:           8
        .value_kind:     by_value
      - .address_space:  global
        .offset:         104
        .size:           8
        .value_kind:     global_buffer
      - .offset:         112
        .size:           4
        .value_kind:     by_value
      - .offset:         120
        .size:           8
        .value_kind:     by_value
      - .offset:         128
        .size:           4
        .value_kind:     by_value
      - .offset:         132
        .size:           4
        .value_kind:     by_value
    .group_segment_fixed_size: 16384
    .kernarg_segment_align: 8
    .kernarg_segment_size: 136
    .language:       OpenCL C
    .language_version:
      - 2
      - 0
    .max_flat_workgroup_size: 256
    .name:           _ZN12_GLOBAL__N_120geam_min_plus_kernelIdddLi4ELi64ELi128ELi128ELi4ELi4ELi64ELi64ELi4ELc84ELc84ELb1ELb0ELb0EdKPKdKPdEEviiiT16_PT17_ilS8_ilS6_S8_ilPT18_ili26rocblas_geam_ex_operation_
    .private_segment_fixed_size: 0
    .sgpr_count:     30
    .sgpr_spill_count: 0
    .symbol:         _ZN12_GLOBAL__N_120geam_min_plus_kernelIdddLi4ELi64ELi128ELi128ELi4ELi4ELi64ELi64ELi4ELc84ELc84ELb1ELb0ELb0EdKPKdKPdEEviiiT16_PT17_ilS8_ilS6_S8_ilPT18_ili26rocblas_geam_ex_operation_.kd
    .uniform_work_group_size: 1
    .uses_dynamic_stack: false
    .vgpr_count:     254
    .vgpr_spill_count: 0
    .wavefront_size: 64
  - .agpr_count:     0
    .args:
      - .offset:         0
        .size:           4
        .value_kind:     by_value
      - .offset:         4
        .size:           4
        .value_kind:     by_value
      - .offset:         8
        .size:           4
        .value_kind:     by_value
      - .offset:         16
        .size:           8
        .value_kind:     by_value
      - .address_space:  global
        .offset:         24
        .size:           8
        .value_kind:     global_buffer
      - .offset:         32
        .size:           4
        .value_kind:     by_value
      - .offset:         40
        .size:           8
        .value_kind:     by_value
      - .address_space:  global
        .offset:         48
        .size:           8
        .value_kind:     global_buffer
      - .offset:         56
        .size:           4
        .value_kind:     by_value
      - .offset:         64
        .size:           8
        .value_kind:     by_value
      - .offset:         72
        .size:           8
        .value_kind:     by_value
      - .address_space:  global
        .offset:         80
        .size:           8
        .value_kind:     global_buffer
      - .offset:         88
        .size:           4
        .value_kind:     by_value
      - .offset:         96
        .size:           8
        .value_kind:     by_value
      - .address_space:  global
        .offset:         104
        .size:           8
        .value_kind:     global_buffer
      - .offset:         112
        .size:           4
        .value_kind:     by_value
      - .offset:         120
        .size:           8
        .value_kind:     by_value
      - .offset:         128
        .size:           4
        .value_kind:     by_value
      - .offset:         132
        .size:           4
        .value_kind:     by_value
    .group_segment_fixed_size: 16384
    .kernarg_segment_align: 8
    .kernarg_segment_size: 136
    .language:       OpenCL C
    .language_version:
      - 2
      - 0
    .max_flat_workgroup_size: 256
    .name:           _ZN12_GLOBAL__N_120geam_min_plus_kernelIdddLi4ELi64ELi128ELi128ELi4ELi4ELi64ELi64ELi4ELc84ELc84ELb0ELb0ELb0EdKPKdKPdEEviiiT16_PT17_ilS8_ilS6_S8_ilPT18_ili26rocblas_geam_ex_operation_
    .private_segment_fixed_size: 0
    .sgpr_count:     35
    .sgpr_spill_count: 0
    .symbol:         _ZN12_GLOBAL__N_120geam_min_plus_kernelIdddLi4ELi64ELi128ELi128ELi4ELi4ELi64ELi64ELi4ELc84ELc84ELb0ELb0ELb0EdKPKdKPdEEviiiT16_PT17_ilS8_ilS6_S8_ilPT18_ili26rocblas_geam_ex_operation_.kd
    .uniform_work_group_size: 1
    .uses_dynamic_stack: false
    .vgpr_count:     252
    .vgpr_spill_count: 0
    .wavefront_size: 64
  - .agpr_count:     0
    .args:
      - .offset:         0
        .size:           4
        .value_kind:     by_value
      - .offset:         4
        .size:           4
        .value_kind:     by_value
      - .offset:         8
        .size:           4
        .value_kind:     by_value
      - .address_space:  global
        .offset:         16
        .size:           8
        .value_kind:     global_buffer
      - .address_space:  global
        .offset:         24
        .size:           8
        .value_kind:     global_buffer
      - .offset:         32
        .size:           4
        .value_kind:     by_value
      - .offset:         40
        .size:           8
        .value_kind:     by_value
      - .address_space:  global
        .offset:         48
        .size:           8
        .value_kind:     global_buffer
      - .offset:         56
        .size:           4
        .value_kind:     by_value
      - .offset:         64
        .size:           8
        .value_kind:     by_value
      - .address_space:  global
        .offset:         72
        .size:           8
        .value_kind:     global_buffer
      - .address_space:  global
        .offset:         80
        .size:           8
        .value_kind:     global_buffer
      - .offset:         88
        .size:           4
        .value_kind:     by_value
      - .offset:         96
        .size:           8
        .value_kind:     by_value
      - .address_space:  global
        .offset:         104
        .size:           8
        .value_kind:     global_buffer
      - .offset:         112
        .size:           4
        .value_kind:     by_value
      - .offset:         120
        .size:           8
        .value_kind:     by_value
      - .offset:         128
        .size:           4
        .value_kind:     by_value
      - .offset:         132
        .size:           4
        .value_kind:     by_value
    .group_segment_fixed_size: 16384
    .kernarg_segment_align: 8
    .kernarg_segment_size: 136
    .language:       OpenCL C
    .language_version:
      - 2
      - 0
    .max_flat_workgroup_size: 256
    .name:           _ZN12_GLOBAL__N_120geam_min_plus_kernelIdddLi4ELi64ELi128ELi128ELi4ELi4ELi64ELi64ELi4ELc84ELc84ELb0ELb1ELb0EPKdKS2_KPdEEviiiT16_PT17_ilS8_ilS6_S8_ilPT18_ili26rocblas_geam_ex_operation_
    .private_segment_fixed_size: 0
    .sgpr_count:     88
    .sgpr_spill_count: 0
    .symbol:         _ZN12_GLOBAL__N_120geam_min_plus_kernelIdddLi4ELi64ELi128ELi128ELi4ELi4ELi64ELi64ELi4ELc84ELc84ELb0ELb1ELb0EPKdKS2_KPdEEviiiT16_PT17_ilS8_ilS6_S8_ilPT18_ili26rocblas_geam_ex_operation_.kd
    .uniform_work_group_size: 1
    .uses_dynamic_stack: false
    .vgpr_count:     254
    .vgpr_spill_count: 0
    .wavefront_size: 64
  - .agpr_count:     0
    .args:
      - .offset:         0
        .size:           4
        .value_kind:     by_value
      - .offset:         4
        .size:           4
        .value_kind:     by_value
      - .offset:         8
        .size:           4
        .value_kind:     by_value
      - .offset:         16
        .size:           8
        .value_kind:     by_value
      - .address_space:  global
        .offset:         24
        .size:           8
        .value_kind:     global_buffer
      - .offset:         32
        .size:           4
        .value_kind:     by_value
      - .offset:         40
        .size:           8
        .value_kind:     by_value
      - .address_space:  global
        .offset:         48
        .size:           8
        .value_kind:     global_buffer
      - .offset:         56
        .size:           4
        .value_kind:     by_value
      - .offset:         64
        .size:           8
        .value_kind:     by_value
      - .offset:         72
        .size:           8
        .value_kind:     by_value
      - .address_space:  global
        .offset:         80
        .size:           8
        .value_kind:     global_buffer
      - .offset:         88
        .size:           4
        .value_kind:     by_value
      - .offset:         96
        .size:           8
        .value_kind:     by_value
      - .address_space:  global
        .offset:         104
        .size:           8
        .value_kind:     global_buffer
      - .offset:         112
        .size:           4
        .value_kind:     by_value
      - .offset:         120
        .size:           8
        .value_kind:     by_value
      - .offset:         128
        .size:           4
        .value_kind:     by_value
      - .offset:         132
        .size:           4
        .value_kind:     by_value
    .group_segment_fixed_size: 16384
    .kernarg_segment_align: 8
    .kernarg_segment_size: 136
    .language:       OpenCL C
    .language_version:
      - 2
      - 0
    .max_flat_workgroup_size: 256
    .name:           _ZN12_GLOBAL__N_120geam_min_plus_kernelIdddLi4ELi64ELi128ELi128ELi4ELi4ELi64ELi64ELi4ELc84ELc84ELb1ELb1ELb0EdKPKdKPdEEviiiT16_PT17_ilS8_ilS6_S8_ilPT18_ili26rocblas_geam_ex_operation_
    .private_segment_fixed_size: 0
    .sgpr_count:     88
    .sgpr_spill_count: 0
    .symbol:         _ZN12_GLOBAL__N_120geam_min_plus_kernelIdddLi4ELi64ELi128ELi128ELi4ELi4ELi64ELi64ELi4ELc84ELc84ELb1ELb1ELb0EdKPKdKPdEEviiiT16_PT17_ilS8_ilS6_S8_ilPT18_ili26rocblas_geam_ex_operation_.kd
    .uniform_work_group_size: 1
    .uses_dynamic_stack: false
    .vgpr_count:     250
    .vgpr_spill_count: 0
    .wavefront_size: 64
  - .agpr_count:     0
    .args:
      - .offset:         0
        .size:           4
        .value_kind:     by_value
      - .offset:         4
        .size:           4
        .value_kind:     by_value
      - .offset:         8
        .size:           4
        .value_kind:     by_value
      - .offset:         16
        .size:           8
        .value_kind:     by_value
      - .address_space:  global
        .offset:         24
        .size:           8
        .value_kind:     global_buffer
      - .offset:         32
        .size:           4
        .value_kind:     by_value
      - .offset:         40
        .size:           8
        .value_kind:     by_value
      - .address_space:  global
        .offset:         48
        .size:           8
        .value_kind:     global_buffer
      - .offset:         56
        .size:           4
        .value_kind:     by_value
      - .offset:         64
        .size:           8
        .value_kind:     by_value
      - .offset:         72
        .size:           8
        .value_kind:     by_value
      - .address_space:  global
        .offset:         80
        .size:           8
        .value_kind:     global_buffer
      - .offset:         88
        .size:           4
        .value_kind:     by_value
      - .offset:         96
        .size:           8
        .value_kind:     by_value
      - .address_space:  global
        .offset:         104
        .size:           8
        .value_kind:     global_buffer
      - .offset:         112
        .size:           4
        .value_kind:     by_value
      - .offset:         120
        .size:           8
        .value_kind:     by_value
      - .offset:         128
        .size:           4
        .value_kind:     by_value
      - .offset:         132
        .size:           4
        .value_kind:     by_value
    .group_segment_fixed_size: 16384
    .kernarg_segment_align: 8
    .kernarg_segment_size: 136
    .language:       OpenCL C
    .language_version:
      - 2
      - 0
    .max_flat_workgroup_size: 256
    .name:           _ZN12_GLOBAL__N_120geam_min_plus_kernelIdddLi4ELi64ELi128ELi128ELi4ELi4ELi64ELi64ELi4ELc84ELc84ELb0ELb1ELb0EdKPKdKPdEEviiiT16_PT17_ilS8_ilS6_S8_ilPT18_ili26rocblas_geam_ex_operation_
    .private_segment_fixed_size: 0
    .sgpr_count:     88
    .sgpr_spill_count: 0
    .symbol:         _ZN12_GLOBAL__N_120geam_min_plus_kernelIdddLi4ELi64ELi128ELi128ELi4ELi4ELi64ELi64ELi4ELc84ELc84ELb0ELb1ELb0EdKPKdKPdEEviiiT16_PT17_ilS8_ilS6_S8_ilPT18_ili26rocblas_geam_ex_operation_.kd
    .uniform_work_group_size: 1
    .uses_dynamic_stack: false
    .vgpr_count:     254
    .vgpr_spill_count: 0
    .wavefront_size: 64
  - .agpr_count:     0
    .args:
      - .offset:         0
        .size:           4
        .value_kind:     by_value
      - .offset:         4
        .size:           4
        .value_kind:     by_value
      - .offset:         8
        .size:           8
        .value_kind:     by_value
      - .address_space:  global
        .offset:         16
        .size:           8
        .value_kind:     global_buffer
      - .offset:         24
        .size:           8
        .value_kind:     by_value
      - .offset:         32
        .size:           4
        .value_kind:     by_value
      - .offset:         40
        .size:           8
        .value_kind:     by_value
      - .address_space:  global
        .offset:         48
        .size:           8
        .value_kind:     global_buffer
      - .offset:         56
        .size:           8
        .value_kind:     by_value
      - .offset:         64
        .size:           4
        .value_kind:     by_value
      - .offset:         72
        .size:           8
        .value_kind:     by_value
    .group_segment_fixed_size: 0
    .kernarg_segment_align: 8
    .kernarg_segment_size: 80
    .language:       OpenCL C
    .language_version:
      - 2
      - 0
    .max_flat_workgroup_size: 1024
    .name:           _ZN12_GLOBAL__N_120geam_ex_scale_kernelILi32ELi32EddPKdPdEEviiT2_T3_lilT4_lil
    .private_segment_fixed_size: 0
    .sgpr_count:     27
    .sgpr_spill_count: 0
    .symbol:         _ZN12_GLOBAL__N_120geam_ex_scale_kernelILi32ELi32EddPKdPdEEviiT2_T3_lilT4_lil.kd
    .uniform_work_group_size: 1
    .uses_dynamic_stack: false
    .vgpr_count:     10
    .vgpr_spill_count: 0
    .wavefront_size: 64
  - .agpr_count:     0
    .args:
      - .offset:         0
        .size:           4
        .value_kind:     by_value
      - .offset:         4
        .size:           4
        .value_kind:     by_value
      - .address_space:  global
        .offset:         8
        .size:           8
        .value_kind:     global_buffer
      - .address_space:  global
        .offset:         16
        .size:           8
        .value_kind:     global_buffer
      - .offset:         24
        .size:           8
        .value_kind:     by_value
      - .offset:         32
        .size:           4
        .value_kind:     by_value
      - .offset:         40
        .size:           8
        .value_kind:     by_value
      - .address_space:  global
        .offset:         48
        .size:           8
        .value_kind:     global_buffer
      - .offset:         56
        .size:           8
        .value_kind:     by_value
      - .offset:         64
        .size:           4
        .value_kind:     by_value
      - .offset:         72
        .size:           8
        .value_kind:     by_value
    .group_segment_fixed_size: 0
    .kernarg_segment_align: 8
    .kernarg_segment_size: 80
    .language:       OpenCL C
    .language_version:
      - 2
      - 0
    .max_flat_workgroup_size: 1024
    .name:           _ZN12_GLOBAL__N_120geam_ex_scale_kernelILi32ELi32EdPKdS2_PdEEviiT2_T3_lilT4_lil
    .private_segment_fixed_size: 0
    .sgpr_count:     27
    .sgpr_spill_count: 0
    .symbol:         _ZN12_GLOBAL__N_120geam_ex_scale_kernelILi32ELi32EdPKdS2_PdEEviiT2_T3_lilT4_lil.kd
    .uniform_work_group_size: 1
    .uses_dynamic_stack: false
    .vgpr_count:     10
    .vgpr_spill_count: 0
    .wavefront_size: 64
  - .agpr_count:     0
    .args:
      - .offset:         0
        .size:           4
        .value_kind:     by_value
      - .offset:         4
        .size:           4
        .value_kind:     by_value
      - .offset:         8
        .size:           8
        .value_kind:     by_value
      - .address_space:  global
        .offset:         16
        .size:           8
        .value_kind:     global_buffer
      - .offset:         24
        .size:           8
        .value_kind:     by_value
      - .offset:         32
        .size:           4
        .value_kind:     by_value
      - .offset:         40
        .size:           8
        .value_kind:     by_value
      - .address_space:  global
        .offset:         48
        .size:           8
        .value_kind:     global_buffer
      - .offset:         56
        .size:           8
        .value_kind:     by_value
      - .offset:         64
        .size:           4
        .value_kind:     by_value
      - .offset:         72
        .size:           8
        .value_kind:     by_value
    .group_segment_fixed_size: 0
    .kernarg_segment_align: 8
    .kernarg_segment_size: 80
    .language:       OpenCL C
    .language_version:
      - 2
      - 0
    .max_flat_workgroup_size: 1024
    .name:           _ZN12_GLOBAL__N_120geam_ex_round_kernelILi32ELi32EddPKdPdEEviiT2_T3_lilT4_lil
    .private_segment_fixed_size: 0
    .sgpr_count:     27
    .sgpr_spill_count: 0
    .symbol:         _ZN12_GLOBAL__N_120geam_ex_round_kernelILi32ELi32EddPKdPdEEviiT2_T3_lilT4_lil.kd
    .uniform_work_group_size: 1
    .uses_dynamic_stack: false
    .vgpr_count:     10
    .vgpr_spill_count: 0
    .wavefront_size: 64
  - .agpr_count:     0
    .args:
      - .offset:         0
        .size:           4
        .value_kind:     by_value
      - .offset:         4
        .size:           4
        .value_kind:     by_value
      - .offset:         8
        .size:           4
        .value_kind:     by_value
      - .address_space:  global
        .offset:         16
        .size:           8
        .value_kind:     global_buffer
      - .address_space:  global
        .offset:         24
        .size:           8
        .value_kind:     global_buffer
      - .offset:         32
        .size:           4
        .value_kind:     by_value
      - .offset:         40
        .size:           8
        .value_kind:     by_value
      - .address_space:  global
        .offset:         48
        .size:           8
        .value_kind:     global_buffer
      - .offset:         56
        .size:           4
        .value_kind:     by_value
      - .offset:         64
        .size:           8
        .value_kind:     by_value
      - .address_space:  global
        .offset:         72
        .size:           8
        .value_kind:     global_buffer
      - .address_space:  global
        .offset:         80
        .size:           8
        .value_kind:     global_buffer
      - .offset:         88
        .size:           4
        .value_kind:     by_value
      - .offset:         96
        .size:           8
        .value_kind:     by_value
      - .address_space:  global
        .offset:         104
        .size:           8
        .value_kind:     global_buffer
      - .offset:         112
        .size:           4
        .value_kind:     by_value
      - .offset:         120
        .size:           8
        .value_kind:     by_value
      - .offset:         128
        .size:           4
        .value_kind:     by_value
      - .offset:         132
        .size:           4
        .value_kind:     by_value
    .group_segment_fixed_size: 20480
    .kernarg_segment_align: 8
    .kernarg_segment_size: 136
    .language:       OpenCL C
    .language_version:
      - 2
      - 0
    .max_flat_workgroup_size: 256
    .name:           _ZN12_GLOBAL__N_120geam_min_plus_kernelId15HIP_vector_typeIdLj2EEdLi32ELi8ELi256ELi64ELi4ELi64ELi4ELi4ELi64ELc78ELc78ELb0ELb0ELb1EPKdS3_dEEviiiT16_PT17_ilS7_ilS5_S7_ilPT18_ili26rocblas_geam_ex_operation_
    .private_segment_fixed_size: 0
    .sgpr_count:     34
    .sgpr_spill_count: 0
    .symbol:         _ZN12_GLOBAL__N_120geam_min_plus_kernelId15HIP_vector_typeIdLj2EEdLi32ELi8ELi256ELi64ELi4ELi64ELi4ELi4ELi64ELc78ELc78ELb0ELb0ELb1EPKdS3_dEEviiiT16_PT17_ilS7_ilS5_S7_ilPT18_ili26rocblas_geam_ex_operation_.kd
    .uniform_work_group_size: 1
    .uses_dynamic_stack: false
    .vgpr_count:     160
    .vgpr_spill_count: 0
    .wavefront_size: 64
  - .agpr_count:     0
    .args:
      - .offset:         0
        .size:           4
        .value_kind:     by_value
      - .offset:         4
        .size:           4
        .value_kind:     by_value
      - .offset:         8
        .size:           4
        .value_kind:     by_value
      - .offset:         16
        .size:           8
        .value_kind:     by_value
      - .address_space:  global
        .offset:         24
        .size:           8
        .value_kind:     global_buffer
      - .offset:         32
        .size:           4
        .value_kind:     by_value
      - .offset:         40
        .size:           8
        .value_kind:     by_value
      - .address_space:  global
        .offset:         48
        .size:           8
        .value_kind:     global_buffer
      - .offset:         56
        .size:           4
        .value_kind:     by_value
      - .offset:         64
        .size:           8
        .value_kind:     by_value
      - .offset:         72
        .size:           8
        .value_kind:     by_value
      - .address_space:  global
        .offset:         80
        .size:           8
        .value_kind:     global_buffer
      - .offset:         88
        .size:           4
        .value_kind:     by_value
      - .offset:         96
        .size:           8
        .value_kind:     by_value
      - .address_space:  global
        .offset:         104
        .size:           8
        .value_kind:     global_buffer
      - .offset:         112
        .size:           4
        .value_kind:     by_value
      - .offset:         120
        .size:           8
        .value_kind:     by_value
      - .offset:         128
        .size:           4
        .value_kind:     by_value
      - .offset:         132
        .size:           4
        .value_kind:     by_value
    .group_segment_fixed_size: 20480
    .kernarg_segment_align: 8
    .kernarg_segment_size: 136
    .language:       OpenCL C
    .language_version:
      - 2
      - 0
    .max_flat_workgroup_size: 256
    .name:           _ZN12_GLOBAL__N_120geam_min_plus_kernelId15HIP_vector_typeIdLj2EEdLi32ELi8ELi256ELi64ELi4ELi64ELi4ELi4ELi64ELc78ELc78ELb1ELb0ELb1EdKddEEviiiT16_PT17_ilS6_ilS4_S6_ilPT18_ili26rocblas_geam_ex_operation_
    .private_segment_fixed_size: 0
    .sgpr_count:     31
    .sgpr_spill_count: 0
    .symbol:         _ZN12_GLOBAL__N_120geam_min_plus_kernelId15HIP_vector_typeIdLj2EEdLi32ELi8ELi256ELi64ELi4ELi64ELi4ELi4ELi64ELc78ELc78ELb1ELb0ELb1EdKddEEviiiT16_PT17_ilS6_ilS4_S6_ilPT18_ili26rocblas_geam_ex_operation_.kd
    .uniform_work_group_size: 1
    .uses_dynamic_stack: false
    .vgpr_count:     160
    .vgpr_spill_count: 0
    .wavefront_size: 64
  - .agpr_count:     0
    .args:
      - .offset:         0
        .size:           4
        .value_kind:     by_value
      - .offset:         4
        .size:           4
        .value_kind:     by_value
      - .offset:         8
        .size:           4
        .value_kind:     by_value
      - .offset:         16
        .size:           8
        .value_kind:     by_value
      - .address_space:  global
        .offset:         24
        .size:           8
        .value_kind:     global_buffer
      - .offset:         32
        .size:           4
        .value_kind:     by_value
      - .offset:         40
        .size:           8
        .value_kind:     by_value
      - .address_space:  global
        .offset:         48
        .size:           8
        .value_kind:     global_buffer
      - .offset:         56
        .size:           4
        .value_kind:     by_value
      - .offset:         64
        .size:           8
        .value_kind:     by_value
      - .offset:         72
        .size:           8
        .value_kind:     by_value
      - .address_space:  global
        .offset:         80
        .size:           8
        .value_kind:     global_buffer
      - .offset:         88
        .size:           4
        .value_kind:     by_value
      - .offset:         96
        .size:           8
        .value_kind:     by_value
      - .address_space:  global
        .offset:         104
        .size:           8
        .value_kind:     global_buffer
      - .offset:         112
        .size:           4
        .value_kind:     by_value
      - .offset:         120
        .size:           8
        .value_kind:     by_value
      - .offset:         128
        .size:           4
        .value_kind:     by_value
      - .offset:         132
        .size:           4
        .value_kind:     by_value
    .group_segment_fixed_size: 20480
    .kernarg_segment_align: 8
    .kernarg_segment_size: 136
    .language:       OpenCL C
    .language_version:
      - 2
      - 0
    .max_flat_workgroup_size: 256
    .name:           _ZN12_GLOBAL__N_120geam_min_plus_kernelId15HIP_vector_typeIdLj2EEdLi32ELi8ELi256ELi64ELi4ELi64ELi4ELi4ELi64ELc78ELc78ELb0ELb0ELb1EdKddEEviiiT16_PT17_ilS6_ilS4_S6_ilPT18_ili26rocblas_geam_ex_operation_
    .private_segment_fixed_size: 0
    .sgpr_count:     35
    .sgpr_spill_count: 0
    .symbol:         _ZN12_GLOBAL__N_120geam_min_plus_kernelId15HIP_vector_typeIdLj2EEdLi32ELi8ELi256ELi64ELi4ELi64ELi4ELi4ELi64ELc78ELc78ELb0ELb0ELb1EdKddEEviiiT16_PT17_ilS6_ilS4_S6_ilPT18_ili26rocblas_geam_ex_operation_.kd
    .uniform_work_group_size: 1
    .uses_dynamic_stack: false
    .vgpr_count:     160
    .vgpr_spill_count: 0
    .wavefront_size: 64
  - .agpr_count:     0
    .args:
      - .offset:         0
        .size:           4
        .value_kind:     by_value
      - .offset:         4
        .size:           4
        .value_kind:     by_value
      - .offset:         8
        .size:           4
        .value_kind:     by_value
      - .address_space:  global
        .offset:         16
        .size:           8
        .value_kind:     global_buffer
      - .address_space:  global
        .offset:         24
        .size:           8
        .value_kind:     global_buffer
      - .offset:         32
        .size:           4
        .value_kind:     by_value
      - .offset:         40
        .size:           8
        .value_kind:     by_value
      - .address_space:  global
        .offset:         48
        .size:           8
        .value_kind:     global_buffer
      - .offset:         56
        .size:           4
        .value_kind:     by_value
      - .offset:         64
        .size:           8
        .value_kind:     by_value
      - .address_space:  global
        .offset:         72
        .size:           8
        .value_kind:     global_buffer
      - .address_space:  global
        .offset:         80
        .size:           8
        .value_kind:     global_buffer
      - .offset:         88
        .size:           4
        .value_kind:     by_value
      - .offset:         96
        .size:           8
        .value_kind:     by_value
      - .address_space:  global
        .offset:         104
        .size:           8
        .value_kind:     global_buffer
      - .offset:         112
        .size:           4
        .value_kind:     by_value
      - .offset:         120
        .size:           8
        .value_kind:     by_value
      - .offset:         128
        .size:           4
        .value_kind:     by_value
      - .offset:         132
        .size:           4
        .value_kind:     by_value
    .group_segment_fixed_size: 20480
    .kernarg_segment_align: 8
    .kernarg_segment_size: 136
    .language:       OpenCL C
    .language_version:
      - 2
      - 0
    .max_flat_workgroup_size: 256
    .name:           _ZN12_GLOBAL__N_120geam_min_plus_kernelId15HIP_vector_typeIdLj2EEdLi32ELi8ELi256ELi64ELi4ELi64ELi4ELi4ELi64ELc78ELc78ELb0ELb1ELb1EPKdS3_dEEviiiT16_PT17_ilS7_ilS5_S7_ilPT18_ili26rocblas_geam_ex_operation_
    .private_segment_fixed_size: 0
    .sgpr_count:     50
    .sgpr_spill_count: 0
    .symbol:         _ZN12_GLOBAL__N_120geam_min_plus_kernelId15HIP_vector_typeIdLj2EEdLi32ELi8ELi256ELi64ELi4ELi64ELi4ELi4ELi64ELc78ELc78ELb0ELb1ELb1EPKdS3_dEEviiiT16_PT17_ilS7_ilS5_S7_ilPT18_ili26rocblas_geam_ex_operation_.kd
    .uniform_work_group_size: 1
    .uses_dynamic_stack: false
    .vgpr_count:     160
    .vgpr_spill_count: 0
    .wavefront_size: 64
  - .agpr_count:     0
    .args:
      - .offset:         0
        .size:           4
        .value_kind:     by_value
      - .offset:         4
        .size:           4
        .value_kind:     by_value
      - .offset:         8
        .size:           4
        .value_kind:     by_value
      - .offset:         16
        .size:           8
        .value_kind:     by_value
      - .address_space:  global
        .offset:         24
        .size:           8
        .value_kind:     global_buffer
      - .offset:         32
        .size:           4
        .value_kind:     by_value
      - .offset:         40
        .size:           8
        .value_kind:     by_value
      - .address_space:  global
        .offset:         48
        .size:           8
        .value_kind:     global_buffer
      - .offset:         56
        .size:           4
        .value_kind:     by_value
      - .offset:         64
        .size:           8
        .value_kind:     by_value
      - .offset:         72
        .size:           8
        .value_kind:     by_value
      - .address_space:  global
        .offset:         80
        .size:           8
        .value_kind:     global_buffer
      - .offset:         88
        .size:           4
        .value_kind:     by_value
      - .offset:         96
        .size:           8
        .value_kind:     by_value
      - .address_space:  global
        .offset:         104
        .size:           8
        .value_kind:     global_buffer
      - .offset:         112
        .size:           4
        .value_kind:     by_value
      - .offset:         120
        .size:           8
        .value_kind:     by_value
      - .offset:         128
        .size:           4
        .value_kind:     by_value
      - .offset:         132
        .size:           4
        .value_kind:     by_value
    .group_segment_fixed_size: 20480
    .kernarg_segment_align: 8
    .kernarg_segment_size: 136
    .language:       OpenCL C
    .language_version:
      - 2
      - 0
    .max_flat_workgroup_size: 256
    .name:           _ZN12_GLOBAL__N_120geam_min_plus_kernelId15HIP_vector_typeIdLj2EEdLi32ELi8ELi256ELi64ELi4ELi64ELi4ELi4ELi64ELc78ELc78ELb1ELb1ELb1EdKddEEviiiT16_PT17_ilS6_ilS4_S6_ilPT18_ili26rocblas_geam_ex_operation_
    .private_segment_fixed_size: 0
    .sgpr_count:     48
    .sgpr_spill_count: 0
    .symbol:         _ZN12_GLOBAL__N_120geam_min_plus_kernelId15HIP_vector_typeIdLj2EEdLi32ELi8ELi256ELi64ELi4ELi64ELi4ELi4ELi64ELc78ELc78ELb1ELb1ELb1EdKddEEviiiT16_PT17_ilS6_ilS4_S6_ilPT18_ili26rocblas_geam_ex_operation_.kd
    .uniform_work_group_size: 1
    .uses_dynamic_stack: false
    .vgpr_count:     158
    .vgpr_spill_count: 0
    .wavefront_size: 64
  - .agpr_count:     0
    .args:
      - .offset:         0
        .size:           4
        .value_kind:     by_value
      - .offset:         4
        .size:           4
        .value_kind:     by_value
      - .offset:         8
        .size:           4
        .value_kind:     by_value
      - .offset:         16
        .size:           8
        .value_kind:     by_value
      - .address_space:  global
        .offset:         24
        .size:           8
        .value_kind:     global_buffer
      - .offset:         32
        .size:           4
        .value_kind:     by_value
      - .offset:         40
        .size:           8
        .value_kind:     by_value
      - .address_space:  global
        .offset:         48
        .size:           8
        .value_kind:     global_buffer
      - .offset:         56
        .size:           4
        .value_kind:     by_value
      - .offset:         64
        .size:           8
        .value_kind:     by_value
      - .offset:         72
        .size:           8
        .value_kind:     by_value
      - .address_space:  global
        .offset:         80
        .size:           8
        .value_kind:     global_buffer
      - .offset:         88
        .size:           4
        .value_kind:     by_value
      - .offset:         96
        .size:           8
        .value_kind:     by_value
      - .address_space:  global
        .offset:         104
        .size:           8
        .value_kind:     global_buffer
      - .offset:         112
        .size:           4
        .value_kind:     by_value
      - .offset:         120
        .size:           8
        .value_kind:     by_value
      - .offset:         128
        .size:           4
        .value_kind:     by_value
      - .offset:         132
        .size:           4
        .value_kind:     by_value
    .group_segment_fixed_size: 20480
    .kernarg_segment_align: 8
    .kernarg_segment_size: 136
    .language:       OpenCL C
    .language_version:
      - 2
      - 0
    .max_flat_workgroup_size: 256
    .name:           _ZN12_GLOBAL__N_120geam_min_plus_kernelId15HIP_vector_typeIdLj2EEdLi32ELi8ELi256ELi64ELi4ELi64ELi4ELi4ELi64ELc78ELc78ELb0ELb1ELb1EdKddEEviiiT16_PT17_ilS6_ilS4_S6_ilPT18_ili26rocblas_geam_ex_operation_
    .private_segment_fixed_size: 0
    .sgpr_count:     52
    .sgpr_spill_count: 0
    .symbol:         _ZN12_GLOBAL__N_120geam_min_plus_kernelId15HIP_vector_typeIdLj2EEdLi32ELi8ELi256ELi64ELi4ELi64ELi4ELi4ELi64ELc78ELc78ELb0ELb1ELb1EdKddEEviiiT16_PT17_ilS6_ilS4_S6_ilPT18_ili26rocblas_geam_ex_operation_.kd
    .uniform_work_group_size: 1
    .uses_dynamic_stack: false
    .vgpr_count:     160
    .vgpr_spill_count: 0
    .wavefront_size: 64
  - .agpr_count:     0
    .args:
      - .offset:         0
        .size:           4
        .value_kind:     by_value
      - .offset:         4
        .size:           4
        .value_kind:     by_value
      - .offset:         8
        .size:           4
        .value_kind:     by_value
      - .address_space:  global
        .offset:         16
        .size:           8
        .value_kind:     global_buffer
      - .address_space:  global
        .offset:         24
        .size:           8
        .value_kind:     global_buffer
      - .offset:         32
        .size:           4
        .value_kind:     by_value
      - .offset:         40
        .size:           8
        .value_kind:     by_value
      - .address_space:  global
        .offset:         48
        .size:           8
        .value_kind:     global_buffer
      - .offset:         56
        .size:           4
        .value_kind:     by_value
      - .offset:         64
        .size:           8
        .value_kind:     by_value
      - .address_space:  global
        .offset:         72
        .size:           8
        .value_kind:     global_buffer
      - .address_space:  global
        .offset:         80
        .size:           8
        .value_kind:     global_buffer
      - .offset:         88
        .size:           4
        .value_kind:     by_value
      - .offset:         96
        .size:           8
        .value_kind:     by_value
      - .address_space:  global
        .offset:         104
        .size:           8
        .value_kind:     global_buffer
      - .offset:         112
        .size:           4
        .value_kind:     by_value
      - .offset:         120
        .size:           8
        .value_kind:     by_value
      - .offset:         128
        .size:           4
        .value_kind:     by_value
      - .offset:         132
        .size:           4
        .value_kind:     by_value
    .group_segment_fixed_size: 16384
    .kernarg_segment_align: 8
    .kernarg_segment_size: 136
    .language:       OpenCL C
    .language_version:
      - 2
      - 0
    .max_flat_workgroup_size: 256
    .name:           _ZN12_GLOBAL__N_120geam_min_plus_kernelId15HIP_vector_typeIdLj2EEdLi32ELi8ELi128ELi128ELi4ELi4ELi64ELi4ELi64ELc84ELc78ELb0ELb0ELb1EPKdS3_dEEviiiT16_PT17_ilS7_ilS5_S7_ilPT18_ili26rocblas_geam_ex_operation_
    .private_segment_fixed_size: 0
    .sgpr_count:     34
    .sgpr_spill_count: 0
    .symbol:         _ZN12_GLOBAL__N_120geam_min_plus_kernelId15HIP_vector_typeIdLj2EEdLi32ELi8ELi128ELi128ELi4ELi4ELi64ELi4ELi64ELc84ELc78ELb0ELb0ELb1EPKdS3_dEEviiiT16_PT17_ilS7_ilS5_S7_ilPT18_ili26rocblas_geam_ex_operation_.kd
    .uniform_work_group_size: 1
    .uses_dynamic_stack: false
    .vgpr_count:     174
    .vgpr_spill_count: 0
    .wavefront_size: 64
  - .agpr_count:     0
    .args:
      - .offset:         0
        .size:           4
        .value_kind:     by_value
      - .offset:         4
        .size:           4
        .value_kind:     by_value
      - .offset:         8
        .size:           4
        .value_kind:     by_value
      - .offset:         16
        .size:           8
        .value_kind:     by_value
      - .address_space:  global
        .offset:         24
        .size:           8
        .value_kind:     global_buffer
      - .offset:         32
        .size:           4
        .value_kind:     by_value
      - .offset:         40
        .size:           8
        .value_kind:     by_value
      - .address_space:  global
        .offset:         48
        .size:           8
        .value_kind:     global_buffer
      - .offset:         56
        .size:           4
        .value_kind:     by_value
      - .offset:         64
        .size:           8
        .value_kind:     by_value
      - .offset:         72
        .size:           8
        .value_kind:     by_value
      - .address_space:  global
        .offset:         80
        .size:           8
        .value_kind:     global_buffer
      - .offset:         88
        .size:           4
        .value_kind:     by_value
      - .offset:         96
        .size:           8
        .value_kind:     by_value
      - .address_space:  global
        .offset:         104
        .size:           8
        .value_kind:     global_buffer
      - .offset:         112
        .size:           4
        .value_kind:     by_value
      - .offset:         120
        .size:           8
        .value_kind:     by_value
      - .offset:         128
        .size:           4
        .value_kind:     by_value
      - .offset:         132
        .size:           4
        .value_kind:     by_value
    .group_segment_fixed_size: 16384
    .kernarg_segment_align: 8
    .kernarg_segment_size: 136
    .language:       OpenCL C
    .language_version:
      - 2
      - 0
    .max_flat_workgroup_size: 256
    .name:           _ZN12_GLOBAL__N_120geam_min_plus_kernelId15HIP_vector_typeIdLj2EEdLi32ELi8ELi128ELi128ELi4ELi4ELi64ELi4ELi64ELc84ELc78ELb1ELb0ELb1EdKddEEviiiT16_PT17_ilS6_ilS4_S6_ilPT18_ili26rocblas_geam_ex_operation_
    .private_segment_fixed_size: 0
    .sgpr_count:     30
    .sgpr_spill_count: 0
    .symbol:         _ZN12_GLOBAL__N_120geam_min_plus_kernelId15HIP_vector_typeIdLj2EEdLi32ELi8ELi128ELi128ELi4ELi4ELi64ELi4ELi64ELc84ELc78ELb1ELb0ELb1EdKddEEviiiT16_PT17_ilS6_ilS4_S6_ilPT18_ili26rocblas_geam_ex_operation_.kd
    .uniform_work_group_size: 1
    .uses_dynamic_stack: false
    .vgpr_count:     182
    .vgpr_spill_count: 0
    .wavefront_size: 64
  - .agpr_count:     0
    .args:
      - .offset:         0
        .size:           4
        .value_kind:     by_value
      - .offset:         4
        .size:           4
        .value_kind:     by_value
      - .offset:         8
        .size:           4
        .value_kind:     by_value
      - .offset:         16
        .size:           8
        .value_kind:     by_value
      - .address_space:  global
        .offset:         24
        .size:           8
        .value_kind:     global_buffer
      - .offset:         32
        .size:           4
        .value_kind:     by_value
      - .offset:         40
        .size:           8
        .value_kind:     by_value
      - .address_space:  global
        .offset:         48
        .size:           8
        .value_kind:     global_buffer
      - .offset:         56
        .size:           4
        .value_kind:     by_value
      - .offset:         64
        .size:           8
        .value_kind:     by_value
      - .offset:         72
        .size:           8
        .value_kind:     by_value
      - .address_space:  global
        .offset:         80
        .size:           8
        .value_kind:     global_buffer
      - .offset:         88
        .size:           4
        .value_kind:     by_value
      - .offset:         96
        .size:           8
        .value_kind:     by_value
      - .address_space:  global
        .offset:         104
        .size:           8
        .value_kind:     global_buffer
      - .offset:         112
        .size:           4
        .value_kind:     by_value
      - .offset:         120
        .size:           8
        .value_kind:     by_value
      - .offset:         128
        .size:           4
        .value_kind:     by_value
      - .offset:         132
        .size:           4
        .value_kind:     by_value
    .group_segment_fixed_size: 16384
    .kernarg_segment_align: 8
    .kernarg_segment_size: 136
    .language:       OpenCL C
    .language_version:
      - 2
      - 0
    .max_flat_workgroup_size: 256
    .name:           _ZN12_GLOBAL__N_120geam_min_plus_kernelId15HIP_vector_typeIdLj2EEdLi32ELi8ELi128ELi128ELi4ELi4ELi64ELi4ELi64ELc84ELc78ELb0ELb0ELb1EdKddEEviiiT16_PT17_ilS6_ilS4_S6_ilPT18_ili26rocblas_geam_ex_operation_
    .private_segment_fixed_size: 0
    .sgpr_count:     35
    .sgpr_spill_count: 0
    .symbol:         _ZN12_GLOBAL__N_120geam_min_plus_kernelId15HIP_vector_typeIdLj2EEdLi32ELi8ELi128ELi128ELi4ELi4ELi64ELi4ELi64ELc84ELc78ELb0ELb0ELb1EdKddEEviiiT16_PT17_ilS6_ilS4_S6_ilPT18_ili26rocblas_geam_ex_operation_.kd
    .uniform_work_group_size: 1
    .uses_dynamic_stack: false
    .vgpr_count:     174
    .vgpr_spill_count: 0
    .wavefront_size: 64
  - .agpr_count:     0
    .args:
      - .offset:         0
        .size:           4
        .value_kind:     by_value
      - .offset:         4
        .size:           4
        .value_kind:     by_value
      - .offset:         8
        .size:           4
        .value_kind:     by_value
      - .address_space:  global
        .offset:         16
        .size:           8
        .value_kind:     global_buffer
      - .address_space:  global
        .offset:         24
        .size:           8
        .value_kind:     global_buffer
      - .offset:         32
        .size:           4
        .value_kind:     by_value
      - .offset:         40
        .size:           8
        .value_kind:     by_value
      - .address_space:  global
        .offset:         48
        .size:           8
        .value_kind:     global_buffer
      - .offset:         56
        .size:           4
        .value_kind:     by_value
      - .offset:         64
        .size:           8
        .value_kind:     by_value
      - .address_space:  global
        .offset:         72
        .size:           8
        .value_kind:     global_buffer
      - .address_space:  global
        .offset:         80
        .size:           8
        .value_kind:     global_buffer
      - .offset:         88
        .size:           4
        .value_kind:     by_value
      - .offset:         96
        .size:           8
        .value_kind:     by_value
      - .address_space:  global
        .offset:         104
        .size:           8
        .value_kind:     global_buffer
      - .offset:         112
        .size:           4
        .value_kind:     by_value
      - .offset:         120
        .size:           8
        .value_kind:     by_value
      - .offset:         128
        .size:           4
        .value_kind:     by_value
      - .offset:         132
        .size:           4
        .value_kind:     by_value
    .group_segment_fixed_size: 16384
    .kernarg_segment_align: 8
    .kernarg_segment_size: 136
    .language:       OpenCL C
    .language_version:
      - 2
      - 0
    .max_flat_workgroup_size: 256
    .name:           _ZN12_GLOBAL__N_120geam_min_plus_kernelId15HIP_vector_typeIdLj2EEdLi32ELi8ELi128ELi128ELi4ELi4ELi64ELi4ELi64ELc84ELc78ELb0ELb1ELb1EPKdS3_dEEviiiT16_PT17_ilS7_ilS5_S7_ilPT18_ili26rocblas_geam_ex_operation_
    .private_segment_fixed_size: 0
    .sgpr_count:     48
    .sgpr_spill_count: 0
    .symbol:         _ZN12_GLOBAL__N_120geam_min_plus_kernelId15HIP_vector_typeIdLj2EEdLi32ELi8ELi128ELi128ELi4ELi4ELi64ELi4ELi64ELc84ELc78ELb0ELb1ELb1EPKdS3_dEEviiiT16_PT17_ilS7_ilS5_S7_ilPT18_ili26rocblas_geam_ex_operation_.kd
    .uniform_work_group_size: 1
    .uses_dynamic_stack: false
    .vgpr_count:     174
    .vgpr_spill_count: 0
    .wavefront_size: 64
  - .agpr_count:     0
    .args:
      - .offset:         0
        .size:           4
        .value_kind:     by_value
      - .offset:         4
        .size:           4
        .value_kind:     by_value
      - .offset:         8
        .size:           4
        .value_kind:     by_value
      - .offset:         16
        .size:           8
        .value_kind:     by_value
      - .address_space:  global
        .offset:         24
        .size:           8
        .value_kind:     global_buffer
      - .offset:         32
        .size:           4
        .value_kind:     by_value
      - .offset:         40
        .size:           8
        .value_kind:     by_value
      - .address_space:  global
        .offset:         48
        .size:           8
        .value_kind:     global_buffer
      - .offset:         56
        .size:           4
        .value_kind:     by_value
      - .offset:         64
        .size:           8
        .value_kind:     by_value
      - .offset:         72
        .size:           8
        .value_kind:     by_value
      - .address_space:  global
        .offset:         80
        .size:           8
        .value_kind:     global_buffer
      - .offset:         88
        .size:           4
        .value_kind:     by_value
      - .offset:         96
        .size:           8
        .value_kind:     by_value
      - .address_space:  global
        .offset:         104
        .size:           8
        .value_kind:     global_buffer
      - .offset:         112
        .size:           4
        .value_kind:     by_value
      - .offset:         120
        .size:           8
        .value_kind:     by_value
      - .offset:         128
        .size:           4
        .value_kind:     by_value
      - .offset:         132
        .size:           4
        .value_kind:     by_value
    .group_segment_fixed_size: 16384
    .kernarg_segment_align: 8
    .kernarg_segment_size: 136
    .language:       OpenCL C
    .language_version:
      - 2
      - 0
    .max_flat_workgroup_size: 256
    .name:           _ZN12_GLOBAL__N_120geam_min_plus_kernelId15HIP_vector_typeIdLj2EEdLi32ELi8ELi128ELi128ELi4ELi4ELi64ELi4ELi64ELc84ELc78ELb1ELb1ELb1EdKddEEviiiT16_PT17_ilS6_ilS4_S6_ilPT18_ili26rocblas_geam_ex_operation_
    .private_segment_fixed_size: 0
    .sgpr_count:     46
    .sgpr_spill_count: 0
    .symbol:         _ZN12_GLOBAL__N_120geam_min_plus_kernelId15HIP_vector_typeIdLj2EEdLi32ELi8ELi128ELi128ELi4ELi4ELi64ELi4ELi64ELc84ELc78ELb1ELb1ELb1EdKddEEviiiT16_PT17_ilS6_ilS4_S6_ilPT18_ili26rocblas_geam_ex_operation_.kd
    .uniform_work_group_size: 1
    .uses_dynamic_stack: false
    .vgpr_count:     182
    .vgpr_spill_count: 0
    .wavefront_size: 64
  - .agpr_count:     0
    .args:
      - .offset:         0
        .size:           4
        .value_kind:     by_value
      - .offset:         4
        .size:           4
        .value_kind:     by_value
      - .offset:         8
        .size:           4
        .value_kind:     by_value
      - .offset:         16
        .size:           8
        .value_kind:     by_value
      - .address_space:  global
        .offset:         24
        .size:           8
        .value_kind:     global_buffer
      - .offset:         32
        .size:           4
        .value_kind:     by_value
      - .offset:         40
        .size:           8
        .value_kind:     by_value
      - .address_space:  global
        .offset:         48
        .size:           8
        .value_kind:     global_buffer
      - .offset:         56
        .size:           4
        .value_kind:     by_value
      - .offset:         64
        .size:           8
        .value_kind:     by_value
      - .offset:         72
        .size:           8
        .value_kind:     by_value
      - .address_space:  global
        .offset:         80
        .size:           8
        .value_kind:     global_buffer
      - .offset:         88
        .size:           4
        .value_kind:     by_value
      - .offset:         96
        .size:           8
        .value_kind:     by_value
      - .address_space:  global
        .offset:         104
        .size:           8
        .value_kind:     global_buffer
      - .offset:         112
        .size:           4
        .value_kind:     by_value
      - .offset:         120
        .size:           8
        .value_kind:     by_value
      - .offset:         128
        .size:           4
        .value_kind:     by_value
      - .offset:         132
        .size:           4
        .value_kind:     by_value
    .group_segment_fixed_size: 16384
    .kernarg_segment_align: 8
    .kernarg_segment_size: 136
    .language:       OpenCL C
    .language_version:
      - 2
      - 0
    .max_flat_workgroup_size: 256
    .name:           _ZN12_GLOBAL__N_120geam_min_plus_kernelId15HIP_vector_typeIdLj2EEdLi32ELi8ELi128ELi128ELi4ELi4ELi64ELi4ELi64ELc84ELc78ELb0ELb1ELb1EdKddEEviiiT16_PT17_ilS6_ilS4_S6_ilPT18_ili26rocblas_geam_ex_operation_
    .private_segment_fixed_size: 0
    .sgpr_count:     50
    .sgpr_spill_count: 0
    .symbol:         _ZN12_GLOBAL__N_120geam_min_plus_kernelId15HIP_vector_typeIdLj2EEdLi32ELi8ELi128ELi128ELi4ELi4ELi64ELi4ELi64ELc84ELc78ELb0ELb1ELb1EdKddEEviiiT16_PT17_ilS6_ilS4_S6_ilPT18_ili26rocblas_geam_ex_operation_.kd
    .uniform_work_group_size: 1
    .uses_dynamic_stack: false
    .vgpr_count:     174
    .vgpr_spill_count: 0
    .wavefront_size: 64
  - .agpr_count:     0
    .args:
      - .offset:         0
        .size:           4
        .value_kind:     by_value
      - .offset:         4
        .size:           4
        .value_kind:     by_value
      - .offset:         8
        .size:           4
        .value_kind:     by_value
      - .address_space:  global
        .offset:         16
        .size:           8
        .value_kind:     global_buffer
      - .address_space:  global
        .offset:         24
        .size:           8
        .value_kind:     global_buffer
      - .offset:         32
        .size:           4
        .value_kind:     by_value
      - .offset:         40
        .size:           8
        .value_kind:     by_value
      - .address_space:  global
        .offset:         48
        .size:           8
        .value_kind:     global_buffer
      - .offset:         56
        .size:           4
        .value_kind:     by_value
      - .offset:         64
        .size:           8
        .value_kind:     by_value
      - .address_space:  global
        .offset:         72
        .size:           8
        .value_kind:     global_buffer
      - .address_space:  global
        .offset:         80
        .size:           8
        .value_kind:     global_buffer
      - .offset:         88
        .size:           4
        .value_kind:     by_value
      - .offset:         96
        .size:           8
        .value_kind:     by_value
      - .address_space:  global
        .offset:         104
        .size:           8
        .value_kind:     global_buffer
      - .offset:         112
        .size:           4
        .value_kind:     by_value
      - .offset:         120
        .size:           8
        .value_kind:     by_value
      - .offset:         128
        .size:           4
        .value_kind:     by_value
      - .offset:         132
        .size:           4
        .value_kind:     by_value
    .group_segment_fixed_size: 20480
    .kernarg_segment_align: 8
    .kernarg_segment_size: 136
    .language:       OpenCL C
    .language_version:
      - 2
      - 0
    .max_flat_workgroup_size: 256
    .name:           _ZN12_GLOBAL__N_120geam_min_plus_kernelId15HIP_vector_typeIdLj2EEdLi8ELi32ELi64ELi256ELi4ELi64ELi4ELi64ELi4ELc78ELc84ELb0ELb0ELb1EPKdS3_dEEviiiT16_PT17_ilS7_ilS5_S7_ilPT18_ili26rocblas_geam_ex_operation_
    .private_segment_fixed_size: 0
    .sgpr_count:     37
    .sgpr_spill_count: 0
    .symbol:         _ZN12_GLOBAL__N_120geam_min_plus_kernelId15HIP_vector_typeIdLj2EEdLi8ELi32ELi64ELi256ELi4ELi64ELi4ELi64ELi4ELc78ELc84ELb0ELb0ELb1EPKdS3_dEEviiiT16_PT17_ilS7_ilS5_S7_ilPT18_ili26rocblas_geam_ex_operation_.kd
    .uniform_work_group_size: 1
    .uses_dynamic_stack: false
    .vgpr_count:     154
    .vgpr_spill_count: 0
    .wavefront_size: 64
  - .agpr_count:     0
    .args:
      - .offset:         0
        .size:           4
        .value_kind:     by_value
      - .offset:         4
        .size:           4
        .value_kind:     by_value
      - .offset:         8
        .size:           4
        .value_kind:     by_value
      - .offset:         16
        .size:           8
        .value_kind:     by_value
      - .address_space:  global
        .offset:         24
        .size:           8
        .value_kind:     global_buffer
      - .offset:         32
        .size:           4
        .value_kind:     by_value
      - .offset:         40
        .size:           8
        .value_kind:     by_value
      - .address_space:  global
        .offset:         48
        .size:           8
        .value_kind:     global_buffer
      - .offset:         56
        .size:           4
        .value_kind:     by_value
      - .offset:         64
        .size:           8
        .value_kind:     by_value
      - .offset:         72
        .size:           8
        .value_kind:     by_value
      - .address_space:  global
        .offset:         80
        .size:           8
        .value_kind:     global_buffer
      - .offset:         88
        .size:           4
        .value_kind:     by_value
      - .offset:         96
        .size:           8
        .value_kind:     by_value
      - .address_space:  global
        .offset:         104
        .size:           8
        .value_kind:     global_buffer
      - .offset:         112
        .size:           4
        .value_kind:     by_value
      - .offset:         120
        .size:           8
        .value_kind:     by_value
      - .offset:         128
        .size:           4
        .value_kind:     by_value
      - .offset:         132
        .size:           4
        .value_kind:     by_value
    .group_segment_fixed_size: 20480
    .kernarg_segment_align: 8
    .kernarg_segment_size: 136
    .language:       OpenCL C
    .language_version:
      - 2
      - 0
    .max_flat_workgroup_size: 256
    .name:           _ZN12_GLOBAL__N_120geam_min_plus_kernelId15HIP_vector_typeIdLj2EEdLi8ELi32ELi64ELi256ELi4ELi64ELi4ELi64ELi4ELc78ELc84ELb1ELb0ELb1EdKddEEviiiT16_PT17_ilS6_ilS4_S6_ilPT18_ili26rocblas_geam_ex_operation_
    .private_segment_fixed_size: 0
    .sgpr_count:     32
    .sgpr_spill_count: 0
    .symbol:         _ZN12_GLOBAL__N_120geam_min_plus_kernelId15HIP_vector_typeIdLj2EEdLi8ELi32ELi64ELi256ELi4ELi64ELi4ELi64ELi4ELc78ELc84ELb1ELb0ELb1EdKddEEviiiT16_PT17_ilS6_ilS4_S6_ilPT18_ili26rocblas_geam_ex_operation_.kd
    .uniform_work_group_size: 1
    .uses_dynamic_stack: false
    .vgpr_count:     154
    .vgpr_spill_count: 0
    .wavefront_size: 64
  - .agpr_count:     0
    .args:
      - .offset:         0
        .size:           4
        .value_kind:     by_value
      - .offset:         4
        .size:           4
        .value_kind:     by_value
      - .offset:         8
        .size:           4
        .value_kind:     by_value
      - .offset:         16
        .size:           8
        .value_kind:     by_value
      - .address_space:  global
        .offset:         24
        .size:           8
        .value_kind:     global_buffer
      - .offset:         32
        .size:           4
        .value_kind:     by_value
      - .offset:         40
        .size:           8
        .value_kind:     by_value
      - .address_space:  global
        .offset:         48
        .size:           8
        .value_kind:     global_buffer
      - .offset:         56
        .size:           4
        .value_kind:     by_value
      - .offset:         64
        .size:           8
        .value_kind:     by_value
      - .offset:         72
        .size:           8
        .value_kind:     by_value
      - .address_space:  global
        .offset:         80
        .size:           8
        .value_kind:     global_buffer
      - .offset:         88
        .size:           4
        .value_kind:     by_value
      - .offset:         96
        .size:           8
        .value_kind:     by_value
      - .address_space:  global
        .offset:         104
        .size:           8
        .value_kind:     global_buffer
      - .offset:         112
        .size:           4
        .value_kind:     by_value
      - .offset:         120
        .size:           8
        .value_kind:     by_value
      - .offset:         128
        .size:           4
        .value_kind:     by_value
      - .offset:         132
        .size:           4
        .value_kind:     by_value
    .group_segment_fixed_size: 20480
    .kernarg_segment_align: 8
    .kernarg_segment_size: 136
    .language:       OpenCL C
    .language_version:
      - 2
      - 0
    .max_flat_workgroup_size: 256
    .name:           _ZN12_GLOBAL__N_120geam_min_plus_kernelId15HIP_vector_typeIdLj2EEdLi8ELi32ELi64ELi256ELi4ELi64ELi4ELi64ELi4ELc78ELc84ELb0ELb0ELb1EdKddEEviiiT16_PT17_ilS6_ilS4_S6_ilPT18_ili26rocblas_geam_ex_operation_
    .private_segment_fixed_size: 0
    .sgpr_count:     36
    .sgpr_spill_count: 0
    .symbol:         _ZN12_GLOBAL__N_120geam_min_plus_kernelId15HIP_vector_typeIdLj2EEdLi8ELi32ELi64ELi256ELi4ELi64ELi4ELi64ELi4ELc78ELc84ELb0ELb0ELb1EdKddEEviiiT16_PT17_ilS6_ilS4_S6_ilPT18_ili26rocblas_geam_ex_operation_.kd
    .uniform_work_group_size: 1
    .uses_dynamic_stack: false
    .vgpr_count:     154
    .vgpr_spill_count: 0
    .wavefront_size: 64
  - .agpr_count:     0
    .args:
      - .offset:         0
        .size:           4
        .value_kind:     by_value
      - .offset:         4
        .size:           4
        .value_kind:     by_value
      - .offset:         8
        .size:           4
        .value_kind:     by_value
      - .address_space:  global
        .offset:         16
        .size:           8
        .value_kind:     global_buffer
      - .address_space:  global
        .offset:         24
        .size:           8
        .value_kind:     global_buffer
      - .offset:         32
        .size:           4
        .value_kind:     by_value
      - .offset:         40
        .size:           8
        .value_kind:     by_value
      - .address_space:  global
        .offset:         48
        .size:           8
        .value_kind:     global_buffer
      - .offset:         56
        .size:           4
        .value_kind:     by_value
      - .offset:         64
        .size:           8
        .value_kind:     by_value
      - .address_space:  global
        .offset:         72
        .size:           8
        .value_kind:     global_buffer
      - .address_space:  global
        .offset:         80
        .size:           8
        .value_kind:     global_buffer
      - .offset:         88
        .size:           4
        .value_kind:     by_value
      - .offset:         96
        .size:           8
        .value_kind:     by_value
      - .address_space:  global
        .offset:         104
        .size:           8
        .value_kind:     global_buffer
      - .offset:         112
        .size:           4
        .value_kind:     by_value
      - .offset:         120
        .size:           8
        .value_kind:     by_value
      - .offset:         128
        .size:           4
        .value_kind:     by_value
      - .offset:         132
        .size:           4
        .value_kind:     by_value
    .group_segment_fixed_size: 20480
    .kernarg_segment_align: 8
    .kernarg_segment_size: 136
    .language:       OpenCL C
    .language_version:
      - 2
      - 0
    .max_flat_workgroup_size: 256
    .name:           _ZN12_GLOBAL__N_120geam_min_plus_kernelId15HIP_vector_typeIdLj2EEdLi8ELi32ELi64ELi256ELi4ELi64ELi4ELi64ELi4ELc78ELc84ELb0ELb1ELb1EPKdS3_dEEviiiT16_PT17_ilS7_ilS5_S7_ilPT18_ili26rocblas_geam_ex_operation_
    .private_segment_fixed_size: 0
    .sgpr_count:     52
    .sgpr_spill_count: 0
    .symbol:         _ZN12_GLOBAL__N_120geam_min_plus_kernelId15HIP_vector_typeIdLj2EEdLi8ELi32ELi64ELi256ELi4ELi64ELi4ELi64ELi4ELc78ELc84ELb0ELb1ELb1EPKdS3_dEEviiiT16_PT17_ilS7_ilS5_S7_ilPT18_ili26rocblas_geam_ex_operation_.kd
    .uniform_work_group_size: 1
    .uses_dynamic_stack: false
    .vgpr_count:     154
    .vgpr_spill_count: 0
    .wavefront_size: 64
  - .agpr_count:     0
    .args:
      - .offset:         0
        .size:           4
        .value_kind:     by_value
      - .offset:         4
        .size:           4
        .value_kind:     by_value
      - .offset:         8
        .size:           4
        .value_kind:     by_value
      - .offset:         16
        .size:           8
        .value_kind:     by_value
      - .address_space:  global
        .offset:         24
        .size:           8
        .value_kind:     global_buffer
      - .offset:         32
        .size:           4
        .value_kind:     by_value
      - .offset:         40
        .size:           8
        .value_kind:     by_value
      - .address_space:  global
        .offset:         48
        .size:           8
        .value_kind:     global_buffer
      - .offset:         56
        .size:           4
        .value_kind:     by_value
      - .offset:         64
        .size:           8
        .value_kind:     by_value
      - .offset:         72
        .size:           8
        .value_kind:     by_value
      - .address_space:  global
        .offset:         80
        .size:           8
        .value_kind:     global_buffer
      - .offset:         88
        .size:           4
        .value_kind:     by_value
      - .offset:         96
        .size:           8
        .value_kind:     by_value
      - .address_space:  global
        .offset:         104
        .size:           8
        .value_kind:     global_buffer
      - .offset:         112
        .size:           4
        .value_kind:     by_value
      - .offset:         120
        .size:           8
        .value_kind:     by_value
      - .offset:         128
        .size:           4
        .value_kind:     by_value
      - .offset:         132
        .size:           4
        .value_kind:     by_value
    .group_segment_fixed_size: 20480
    .kernarg_segment_align: 8
    .kernarg_segment_size: 136
    .language:       OpenCL C
    .language_version:
      - 2
      - 0
    .max_flat_workgroup_size: 256
    .name:           _ZN12_GLOBAL__N_120geam_min_plus_kernelId15HIP_vector_typeIdLj2EEdLi8ELi32ELi64ELi256ELi4ELi64ELi4ELi64ELi4ELc78ELc84ELb1ELb1ELb1EdKddEEviiiT16_PT17_ilS6_ilS4_S6_ilPT18_ili26rocblas_geam_ex_operation_
    .private_segment_fixed_size: 0
    .sgpr_count:     50
    .sgpr_spill_count: 0
    .symbol:         _ZN12_GLOBAL__N_120geam_min_plus_kernelId15HIP_vector_typeIdLj2EEdLi8ELi32ELi64ELi256ELi4ELi64ELi4ELi64ELi4ELc78ELc84ELb1ELb1ELb1EdKddEEviiiT16_PT17_ilS6_ilS4_S6_ilPT18_ili26rocblas_geam_ex_operation_.kd
    .uniform_work_group_size: 1
    .uses_dynamic_stack: false
    .vgpr_count:     154
    .vgpr_spill_count: 0
    .wavefront_size: 64
  - .agpr_count:     0
    .args:
      - .offset:         0
        .size:           4
        .value_kind:     by_value
      - .offset:         4
        .size:           4
        .value_kind:     by_value
      - .offset:         8
        .size:           4
        .value_kind:     by_value
      - .offset:         16
        .size:           8
        .value_kind:     by_value
      - .address_space:  global
        .offset:         24
        .size:           8
        .value_kind:     global_buffer
      - .offset:         32
        .size:           4
        .value_kind:     by_value
      - .offset:         40
        .size:           8
        .value_kind:     by_value
      - .address_space:  global
        .offset:         48
        .size:           8
        .value_kind:     global_buffer
      - .offset:         56
        .size:           4
        .value_kind:     by_value
      - .offset:         64
        .size:           8
        .value_kind:     by_value
      - .offset:         72
        .size:           8
        .value_kind:     by_value
      - .address_space:  global
        .offset:         80
        .size:           8
        .value_kind:     global_buffer
      - .offset:         88
        .size:           4
        .value_kind:     by_value
      - .offset:         96
        .size:           8
        .value_kind:     by_value
      - .address_space:  global
        .offset:         104
        .size:           8
        .value_kind:     global_buffer
      - .offset:         112
        .size:           4
        .value_kind:     by_value
      - .offset:         120
        .size:           8
        .value_kind:     by_value
      - .offset:         128
        .size:           4
        .value_kind:     by_value
      - .offset:         132
        .size:           4
        .value_kind:     by_value
    .group_segment_fixed_size: 20480
    .kernarg_segment_align: 8
    .kernarg_segment_size: 136
    .language:       OpenCL C
    .language_version:
      - 2
      - 0
    .max_flat_workgroup_size: 256
    .name:           _ZN12_GLOBAL__N_120geam_min_plus_kernelId15HIP_vector_typeIdLj2EEdLi8ELi32ELi64ELi256ELi4ELi64ELi4ELi64ELi4ELc78ELc84ELb0ELb1ELb1EdKddEEviiiT16_PT17_ilS6_ilS4_S6_ilPT18_ili26rocblas_geam_ex_operation_
    .private_segment_fixed_size: 0
    .sgpr_count:     54
    .sgpr_spill_count: 0
    .symbol:         _ZN12_GLOBAL__N_120geam_min_plus_kernelId15HIP_vector_typeIdLj2EEdLi8ELi32ELi64ELi256ELi4ELi64ELi4ELi64ELi4ELc78ELc84ELb0ELb1ELb1EdKddEEviiiT16_PT17_ilS6_ilS4_S6_ilPT18_ili26rocblas_geam_ex_operation_.kd
    .uniform_work_group_size: 1
    .uses_dynamic_stack: false
    .vgpr_count:     154
    .vgpr_spill_count: 0
    .wavefront_size: 64
  - .agpr_count:     0
    .args:
      - .offset:         0
        .size:           4
        .value_kind:     by_value
      - .offset:         4
        .size:           4
        .value_kind:     by_value
      - .offset:         8
        .size:           4
        .value_kind:     by_value
      - .address_space:  global
        .offset:         16
        .size:           8
        .value_kind:     global_buffer
      - .address_space:  global
        .offset:         24
        .size:           8
        .value_kind:     global_buffer
      - .offset:         32
        .size:           4
        .value_kind:     by_value
      - .offset:         40
        .size:           8
        .value_kind:     by_value
      - .address_space:  global
        .offset:         48
        .size:           8
        .value_kind:     global_buffer
      - .offset:         56
        .size:           4
        .value_kind:     by_value
      - .offset:         64
        .size:           8
        .value_kind:     by_value
      - .address_space:  global
        .offset:         72
        .size:           8
        .value_kind:     global_buffer
      - .address_space:  global
        .offset:         80
        .size:           8
        .value_kind:     global_buffer
      - .offset:         88
        .size:           4
        .value_kind:     by_value
      - .offset:         96
        .size:           8
        .value_kind:     by_value
      - .address_space:  global
        .offset:         104
        .size:           8
        .value_kind:     global_buffer
      - .offset:         112
        .size:           4
        .value_kind:     by_value
      - .offset:         120
        .size:           8
        .value_kind:     by_value
      - .offset:         128
        .size:           4
        .value_kind:     by_value
      - .offset:         132
        .size:           4
        .value_kind:     by_value
    .group_segment_fixed_size: 20480
    .kernarg_segment_align: 8
    .kernarg_segment_size: 136
    .language:       OpenCL C
    .language_version:
      - 2
      - 0
    .max_flat_workgroup_size: 256
    .name:           _ZN12_GLOBAL__N_120geam_min_plus_kernelId15HIP_vector_typeIdLj2EEdLi8ELi32ELi64ELi256ELi4ELi4ELi64ELi64ELi4ELc84ELc84ELb0ELb0ELb1EPKdS3_dEEviiiT16_PT17_ilS7_ilS5_S7_ilPT18_ili26rocblas_geam_ex_operation_
    .private_segment_fixed_size: 0
    .sgpr_count:     34
    .sgpr_spill_count: 0
    .symbol:         _ZN12_GLOBAL__N_120geam_min_plus_kernelId15HIP_vector_typeIdLj2EEdLi8ELi32ELi64ELi256ELi4ELi4ELi64ELi64ELi4ELc84ELc84ELb0ELb0ELb1EPKdS3_dEEviiiT16_PT17_ilS7_ilS5_S7_ilPT18_ili26rocblas_geam_ex_operation_.kd
    .uniform_work_group_size: 1
    .uses_dynamic_stack: false
    .vgpr_count:     160
    .vgpr_spill_count: 0
    .wavefront_size: 64
  - .agpr_count:     0
    .args:
      - .offset:         0
        .size:           4
        .value_kind:     by_value
      - .offset:         4
        .size:           4
        .value_kind:     by_value
      - .offset:         8
        .size:           4
        .value_kind:     by_value
      - .offset:         16
        .size:           8
        .value_kind:     by_value
      - .address_space:  global
        .offset:         24
        .size:           8
        .value_kind:     global_buffer
      - .offset:         32
        .size:           4
        .value_kind:     by_value
      - .offset:         40
        .size:           8
        .value_kind:     by_value
      - .address_space:  global
        .offset:         48
        .size:           8
        .value_kind:     global_buffer
      - .offset:         56
        .size:           4
        .value_kind:     by_value
      - .offset:         64
        .size:           8
        .value_kind:     by_value
      - .offset:         72
        .size:           8
        .value_kind:     by_value
      - .address_space:  global
        .offset:         80
        .size:           8
        .value_kind:     global_buffer
      - .offset:         88
        .size:           4
        .value_kind:     by_value
      - .offset:         96
        .size:           8
        .value_kind:     by_value
      - .address_space:  global
        .offset:         104
        .size:           8
        .value_kind:     global_buffer
      - .offset:         112
        .size:           4
        .value_kind:     by_value
      - .offset:         120
        .size:           8
        .value_kind:     by_value
      - .offset:         128
        .size:           4
        .value_kind:     by_value
      - .offset:         132
        .size:           4
        .value_kind:     by_value
    .group_segment_fixed_size: 20480
    .kernarg_segment_align: 8
    .kernarg_segment_size: 136
    .language:       OpenCL C
    .language_version:
      - 2
      - 0
    .max_flat_workgroup_size: 256
    .name:           _ZN12_GLOBAL__N_120geam_min_plus_kernelId15HIP_vector_typeIdLj2EEdLi8ELi32ELi64ELi256ELi4ELi4ELi64ELi64ELi4ELc84ELc84ELb1ELb0ELb1EdKddEEviiiT16_PT17_ilS6_ilS4_S6_ilPT18_ili26rocblas_geam_ex_operation_
    .private_segment_fixed_size: 0
    .sgpr_count:     31
    .sgpr_spill_count: 0
    .symbol:         _ZN12_GLOBAL__N_120geam_min_plus_kernelId15HIP_vector_typeIdLj2EEdLi8ELi32ELi64ELi256ELi4ELi4ELi64ELi64ELi4ELc84ELc84ELb1ELb0ELb1EdKddEEviiiT16_PT17_ilS6_ilS4_S6_ilPT18_ili26rocblas_geam_ex_operation_.kd
    .uniform_work_group_size: 1
    .uses_dynamic_stack: false
    .vgpr_count:     160
    .vgpr_spill_count: 0
    .wavefront_size: 64
  - .agpr_count:     0
    .args:
      - .offset:         0
        .size:           4
        .value_kind:     by_value
      - .offset:         4
        .size:           4
        .value_kind:     by_value
      - .offset:         8
        .size:           4
        .value_kind:     by_value
      - .offset:         16
        .size:           8
        .value_kind:     by_value
      - .address_space:  global
        .offset:         24
        .size:           8
        .value_kind:     global_buffer
      - .offset:         32
        .size:           4
        .value_kind:     by_value
      - .offset:         40
        .size:           8
        .value_kind:     by_value
      - .address_space:  global
        .offset:         48
        .size:           8
        .value_kind:     global_buffer
      - .offset:         56
        .size:           4
        .value_kind:     by_value
      - .offset:         64
        .size:           8
        .value_kind:     by_value
      - .offset:         72
        .size:           8
        .value_kind:     by_value
      - .address_space:  global
        .offset:         80
        .size:           8
        .value_kind:     global_buffer
      - .offset:         88
        .size:           4
        .value_kind:     by_value
      - .offset:         96
        .size:           8
        .value_kind:     by_value
      - .address_space:  global
        .offset:         104
        .size:           8
        .value_kind:     global_buffer
      - .offset:         112
        .size:           4
        .value_kind:     by_value
      - .offset:         120
        .size:           8
        .value_kind:     by_value
      - .offset:         128
        .size:           4
        .value_kind:     by_value
      - .offset:         132
        .size:           4
        .value_kind:     by_value
    .group_segment_fixed_size: 20480
    .kernarg_segment_align: 8
    .kernarg_segment_size: 136
    .language:       OpenCL C
    .language_version:
      - 2
      - 0
    .max_flat_workgroup_size: 256
    .name:           _ZN12_GLOBAL__N_120geam_min_plus_kernelId15HIP_vector_typeIdLj2EEdLi8ELi32ELi64ELi256ELi4ELi4ELi64ELi64ELi4ELc84ELc84ELb0ELb0ELb1EdKddEEviiiT16_PT17_ilS6_ilS4_S6_ilPT18_ili26rocblas_geam_ex_operation_
    .private_segment_fixed_size: 0
    .sgpr_count:     35
    .sgpr_spill_count: 0
    .symbol:         _ZN12_GLOBAL__N_120geam_min_plus_kernelId15HIP_vector_typeIdLj2EEdLi8ELi32ELi64ELi256ELi4ELi4ELi64ELi64ELi4ELc84ELc84ELb0ELb0ELb1EdKddEEviiiT16_PT17_ilS6_ilS4_S6_ilPT18_ili26rocblas_geam_ex_operation_.kd
    .uniform_work_group_size: 1
    .uses_dynamic_stack: false
    .vgpr_count:     160
    .vgpr_spill_count: 0
    .wavefront_size: 64
  - .agpr_count:     0
    .args:
      - .offset:         0
        .size:           4
        .value_kind:     by_value
      - .offset:         4
        .size:           4
        .value_kind:     by_value
      - .offset:         8
        .size:           4
        .value_kind:     by_value
      - .address_space:  global
        .offset:         16
        .size:           8
        .value_kind:     global_buffer
      - .address_space:  global
        .offset:         24
        .size:           8
        .value_kind:     global_buffer
      - .offset:         32
        .size:           4
        .value_kind:     by_value
      - .offset:         40
        .size:           8
        .value_kind:     by_value
      - .address_space:  global
        .offset:         48
        .size:           8
        .value_kind:     global_buffer
      - .offset:         56
        .size:           4
        .value_kind:     by_value
      - .offset:         64
        .size:           8
        .value_kind:     by_value
      - .address_space:  global
        .offset:         72
        .size:           8
        .value_kind:     global_buffer
      - .address_space:  global
        .offset:         80
        .size:           8
        .value_kind:     global_buffer
      - .offset:         88
        .size:           4
        .value_kind:     by_value
      - .offset:         96
        .size:           8
        .value_kind:     by_value
      - .address_space:  global
        .offset:         104
        .size:           8
        .value_kind:     global_buffer
      - .offset:         112
        .size:           4
        .value_kind:     by_value
      - .offset:         120
        .size:           8
        .value_kind:     by_value
      - .offset:         128
        .size:           4
        .value_kind:     by_value
      - .offset:         132
        .size:           4
        .value_kind:     by_value
    .group_segment_fixed_size: 20480
    .kernarg_segment_align: 8
    .kernarg_segment_size: 136
    .language:       OpenCL C
    .language_version:
      - 2
      - 0
    .max_flat_workgroup_size: 256
    .name:           _ZN12_GLOBAL__N_120geam_min_plus_kernelId15HIP_vector_typeIdLj2EEdLi8ELi32ELi64ELi256ELi4ELi4ELi64ELi64ELi4ELc84ELc84ELb0ELb1ELb1EPKdS3_dEEviiiT16_PT17_ilS7_ilS5_S7_ilPT18_ili26rocblas_geam_ex_operation_
    .private_segment_fixed_size: 0
    .sgpr_count:     50
    .sgpr_spill_count: 0
    .symbol:         _ZN12_GLOBAL__N_120geam_min_plus_kernelId15HIP_vector_typeIdLj2EEdLi8ELi32ELi64ELi256ELi4ELi4ELi64ELi64ELi4ELc84ELc84ELb0ELb1ELb1EPKdS3_dEEviiiT16_PT17_ilS7_ilS5_S7_ilPT18_ili26rocblas_geam_ex_operation_.kd
    .uniform_work_group_size: 1
    .uses_dynamic_stack: false
    .vgpr_count:     160
    .vgpr_spill_count: 0
    .wavefront_size: 64
  - .agpr_count:     0
    .args:
      - .offset:         0
        .size:           4
        .value_kind:     by_value
      - .offset:         4
        .size:           4
        .value_kind:     by_value
      - .offset:         8
        .size:           4
        .value_kind:     by_value
      - .offset:         16
        .size:           8
        .value_kind:     by_value
      - .address_space:  global
        .offset:         24
        .size:           8
        .value_kind:     global_buffer
      - .offset:         32
        .size:           4
        .value_kind:     by_value
      - .offset:         40
        .size:           8
        .value_kind:     by_value
      - .address_space:  global
        .offset:         48
        .size:           8
        .value_kind:     global_buffer
      - .offset:         56
        .size:           4
        .value_kind:     by_value
      - .offset:         64
        .size:           8
        .value_kind:     by_value
      - .offset:         72
        .size:           8
        .value_kind:     by_value
      - .address_space:  global
        .offset:         80
        .size:           8
        .value_kind:     global_buffer
      - .offset:         88
        .size:           4
        .value_kind:     by_value
      - .offset:         96
        .size:           8
        .value_kind:     by_value
      - .address_space:  global
        .offset:         104
        .size:           8
        .value_kind:     global_buffer
      - .offset:         112
        .size:           4
        .value_kind:     by_value
      - .offset:         120
        .size:           8
        .value_kind:     by_value
      - .offset:         128
        .size:           4
        .value_kind:     by_value
      - .offset:         132
        .size:           4
        .value_kind:     by_value
    .group_segment_fixed_size: 20480
    .kernarg_segment_align: 8
    .kernarg_segment_size: 136
    .language:       OpenCL C
    .language_version:
      - 2
      - 0
    .max_flat_workgroup_size: 256
    .name:           _ZN12_GLOBAL__N_120geam_min_plus_kernelId15HIP_vector_typeIdLj2EEdLi8ELi32ELi64ELi256ELi4ELi4ELi64ELi64ELi4ELc84ELc84ELb1ELb1ELb1EdKddEEviiiT16_PT17_ilS6_ilS4_S6_ilPT18_ili26rocblas_geam_ex_operation_
    .private_segment_fixed_size: 0
    .sgpr_count:     48
    .sgpr_spill_count: 0
    .symbol:         _ZN12_GLOBAL__N_120geam_min_plus_kernelId15HIP_vector_typeIdLj2EEdLi8ELi32ELi64ELi256ELi4ELi4ELi64ELi64ELi4ELc84ELc84ELb1ELb1ELb1EdKddEEviiiT16_PT17_ilS6_ilS4_S6_ilPT18_ili26rocblas_geam_ex_operation_.kd
    .uniform_work_group_size: 1
    .uses_dynamic_stack: false
    .vgpr_count:     158
    .vgpr_spill_count: 0
    .wavefront_size: 64
  - .agpr_count:     0
    .args:
      - .offset:         0
        .size:           4
        .value_kind:     by_value
      - .offset:         4
        .size:           4
        .value_kind:     by_value
      - .offset:         8
        .size:           4
        .value_kind:     by_value
      - .offset:         16
        .size:           8
        .value_kind:     by_value
      - .address_space:  global
        .offset:         24
        .size:           8
        .value_kind:     global_buffer
      - .offset:         32
        .size:           4
        .value_kind:     by_value
      - .offset:         40
        .size:           8
        .value_kind:     by_value
      - .address_space:  global
        .offset:         48
        .size:           8
        .value_kind:     global_buffer
      - .offset:         56
        .size:           4
        .value_kind:     by_value
      - .offset:         64
        .size:           8
        .value_kind:     by_value
      - .offset:         72
        .size:           8
        .value_kind:     by_value
      - .address_space:  global
        .offset:         80
        .size:           8
        .value_kind:     global_buffer
      - .offset:         88
        .size:           4
        .value_kind:     by_value
      - .offset:         96
        .size:           8
        .value_kind:     by_value
      - .address_space:  global
        .offset:         104
        .size:           8
        .value_kind:     global_buffer
      - .offset:         112
        .size:           4
        .value_kind:     by_value
      - .offset:         120
        .size:           8
        .value_kind:     by_value
      - .offset:         128
        .size:           4
        .value_kind:     by_value
      - .offset:         132
        .size:           4
        .value_kind:     by_value
    .group_segment_fixed_size: 20480
    .kernarg_segment_align: 8
    .kernarg_segment_size: 136
    .language:       OpenCL C
    .language_version:
      - 2
      - 0
    .max_flat_workgroup_size: 256
    .name:           _ZN12_GLOBAL__N_120geam_min_plus_kernelId15HIP_vector_typeIdLj2EEdLi8ELi32ELi64ELi256ELi4ELi4ELi64ELi64ELi4ELc84ELc84ELb0ELb1ELb1EdKddEEviiiT16_PT17_ilS6_ilS4_S6_ilPT18_ili26rocblas_geam_ex_operation_
    .private_segment_fixed_size: 0
    .sgpr_count:     52
    .sgpr_spill_count: 0
    .symbol:         _ZN12_GLOBAL__N_120geam_min_plus_kernelId15HIP_vector_typeIdLj2EEdLi8ELi32ELi64ELi256ELi4ELi4ELi64ELi64ELi4ELc84ELc84ELb0ELb1ELb1EdKddEEviiiT16_PT17_ilS6_ilS4_S6_ilPT18_ili26rocblas_geam_ex_operation_.kd
    .uniform_work_group_size: 1
    .uses_dynamic_stack: false
    .vgpr_count:     160
    .vgpr_spill_count: 0
    .wavefront_size: 64
  - .agpr_count:     0
    .args:
      - .offset:         0
        .size:           4
        .value_kind:     by_value
      - .offset:         4
        .size:           4
        .value_kind:     by_value
      - .offset:         8
        .size:           4
        .value_kind:     by_value
      - .address_space:  global
        .offset:         16
        .size:           8
        .value_kind:     global_buffer
      - .address_space:  global
        .offset:         24
        .size:           8
        .value_kind:     global_buffer
      - .offset:         32
        .size:           4
        .value_kind:     by_value
      - .offset:         40
        .size:           8
        .value_kind:     by_value
      - .address_space:  global
        .offset:         48
        .size:           8
        .value_kind:     global_buffer
      - .offset:         56
        .size:           4
        .value_kind:     by_value
      - .offset:         64
        .size:           8
        .value_kind:     by_value
      - .address_space:  global
        .offset:         72
        .size:           8
        .value_kind:     global_buffer
      - .address_space:  global
        .offset:         80
        .size:           8
        .value_kind:     global_buffer
      - .offset:         88
        .size:           4
        .value_kind:     by_value
      - .offset:         96
        .size:           8
        .value_kind:     by_value
      - .address_space:  global
        .offset:         104
        .size:           8
        .value_kind:     global_buffer
      - .offset:         112
        .size:           4
        .value_kind:     by_value
      - .offset:         120
        .size:           8
        .value_kind:     by_value
      - .offset:         128
        .size:           4
        .value_kind:     by_value
      - .offset:         132
        .size:           4
        .value_kind:     by_value
    .group_segment_fixed_size: 16384
    .kernarg_segment_align: 8
    .kernarg_segment_size: 136
    .language:       OpenCL C
    .language_version:
      - 2
      - 0
    .max_flat_workgroup_size: 256
    .name:           _ZN12_GLOBAL__N_120geam_min_plus_kernelIdddLi4ELi64ELi128ELi128ELi4ELi64ELi4ELi4ELi64ELc78ELc78ELb0ELb0ELb0EPKdS1_dEEviiiT16_PT17_ilS5_ilS3_S5_ilPT18_ili26rocblas_geam_ex_operation_
    .private_segment_fixed_size: 0
    .sgpr_count:     34
    .sgpr_spill_count: 0
    .symbol:         _ZN12_GLOBAL__N_120geam_min_plus_kernelIdddLi4ELi64ELi128ELi128ELi4ELi64ELi4ELi4ELi64ELc78ELc78ELb0ELb0ELb0EPKdS1_dEEviiiT16_PT17_ilS5_ilS3_S5_ilPT18_ili26rocblas_geam_ex_operation_.kd
    .uniform_work_group_size: 1
    .uses_dynamic_stack: false
    .vgpr_count:     254
    .vgpr_spill_count: 0
    .wavefront_size: 64
  - .agpr_count:     0
    .args:
      - .offset:         0
        .size:           4
        .value_kind:     by_value
      - .offset:         4
        .size:           4
        .value_kind:     by_value
      - .offset:         8
        .size:           4
        .value_kind:     by_value
      - .offset:         16
        .size:           8
        .value_kind:     by_value
      - .address_space:  global
        .offset:         24
        .size:           8
        .value_kind:     global_buffer
      - .offset:         32
        .size:           4
        .value_kind:     by_value
      - .offset:         40
        .size:           8
        .value_kind:     by_value
      - .address_space:  global
        .offset:         48
        .size:           8
        .value_kind:     global_buffer
      - .offset:         56
        .size:           4
        .value_kind:     by_value
      - .offset:         64
        .size:           8
        .value_kind:     by_value
      - .offset:         72
        .size:           8
        .value_kind:     by_value
      - .address_space:  global
        .offset:         80
        .size:           8
        .value_kind:     global_buffer
      - .offset:         88
        .size:           4
        .value_kind:     by_value
      - .offset:         96
        .size:           8
        .value_kind:     by_value
      - .address_space:  global
        .offset:         104
        .size:           8
        .value_kind:     global_buffer
      - .offset:         112
        .size:           4
        .value_kind:     by_value
      - .offset:         120
        .size:           8
        .value_kind:     by_value
      - .offset:         128
        .size:           4
        .value_kind:     by_value
      - .offset:         132
        .size:           4
        .value_kind:     by_value
    .group_segment_fixed_size: 16384
    .kernarg_segment_align: 8
    .kernarg_segment_size: 136
    .language:       OpenCL C
    .language_version:
      - 2
      - 0
    .max_flat_workgroup_size: 256
    .name:           _ZN12_GLOBAL__N_120geam_min_plus_kernelIdddLi4ELi64ELi128ELi128ELi4ELi64ELi4ELi4ELi64ELc78ELc78ELb1ELb0ELb0EdKddEEviiiT16_PT17_ilS4_ilS2_S4_ilPT18_ili26rocblas_geam_ex_operation_
    .private_segment_fixed_size: 0
    .sgpr_count:     31
    .sgpr_spill_count: 0
    .symbol:         _ZN12_GLOBAL__N_120geam_min_plus_kernelIdddLi4ELi64ELi128ELi128ELi4ELi64ELi4ELi4ELi64ELc78ELc78ELb1ELb0ELb0EdKddEEviiiT16_PT17_ilS4_ilS2_S4_ilPT18_ili26rocblas_geam_ex_operation_.kd
    .uniform_work_group_size: 1
    .uses_dynamic_stack: false
    .vgpr_count:     256
    .vgpr_spill_count: 0
    .wavefront_size: 64
  - .agpr_count:     0
    .args:
      - .offset:         0
        .size:           4
        .value_kind:     by_value
      - .offset:         4
        .size:           4
        .value_kind:     by_value
      - .offset:         8
        .size:           4
        .value_kind:     by_value
      - .offset:         16
        .size:           8
        .value_kind:     by_value
      - .address_space:  global
        .offset:         24
        .size:           8
        .value_kind:     global_buffer
      - .offset:         32
        .size:           4
        .value_kind:     by_value
      - .offset:         40
        .size:           8
        .value_kind:     by_value
      - .address_space:  global
        .offset:         48
        .size:           8
        .value_kind:     global_buffer
      - .offset:         56
        .size:           4
        .value_kind:     by_value
      - .offset:         64
        .size:           8
        .value_kind:     by_value
      - .offset:         72
        .size:           8
        .value_kind:     by_value
      - .address_space:  global
        .offset:         80
        .size:           8
        .value_kind:     global_buffer
      - .offset:         88
        .size:           4
        .value_kind:     by_value
      - .offset:         96
        .size:           8
        .value_kind:     by_value
      - .address_space:  global
        .offset:         104
        .size:           8
        .value_kind:     global_buffer
      - .offset:         112
        .size:           4
        .value_kind:     by_value
      - .offset:         120
        .size:           8
        .value_kind:     by_value
      - .offset:         128
        .size:           4
        .value_kind:     by_value
      - .offset:         132
        .size:           4
        .value_kind:     by_value
    .group_segment_fixed_size: 16384
    .kernarg_segment_align: 8
    .kernarg_segment_size: 136
    .language:       OpenCL C
    .language_version:
      - 2
      - 0
    .max_flat_workgroup_size: 256
    .name:           _ZN12_GLOBAL__N_120geam_min_plus_kernelIdddLi4ELi64ELi128ELi128ELi4ELi64ELi4ELi4ELi64ELc78ELc78ELb0ELb0ELb0EdKddEEviiiT16_PT17_ilS4_ilS2_S4_ilPT18_ili26rocblas_geam_ex_operation_
    .private_segment_fixed_size: 0
    .sgpr_count:     36
    .sgpr_spill_count: 0
    .symbol:         _ZN12_GLOBAL__N_120geam_min_plus_kernelIdddLi4ELi64ELi128ELi128ELi4ELi64ELi4ELi4ELi64ELc78ELc78ELb0ELb0ELb0EdKddEEviiiT16_PT17_ilS4_ilS2_S4_ilPT18_ili26rocblas_geam_ex_operation_.kd
    .uniform_work_group_size: 1
    .uses_dynamic_stack: false
    .vgpr_count:     254
    .vgpr_spill_count: 0
    .wavefront_size: 64
  - .agpr_count:     0
    .args:
      - .offset:         0
        .size:           4
        .value_kind:     by_value
      - .offset:         4
        .size:           4
        .value_kind:     by_value
      - .offset:         8
        .size:           4
        .value_kind:     by_value
      - .address_space:  global
        .offset:         16
        .size:           8
        .value_kind:     global_buffer
      - .address_space:  global
        .offset:         24
        .size:           8
        .value_kind:     global_buffer
      - .offset:         32
        .size:           4
        .value_kind:     by_value
      - .offset:         40
        .size:           8
        .value_kind:     by_value
      - .address_space:  global
        .offset:         48
        .size:           8
        .value_kind:     global_buffer
      - .offset:         56
        .size:           4
        .value_kind:     by_value
      - .offset:         64
        .size:           8
        .value_kind:     by_value
      - .address_space:  global
        .offset:         72
        .size:           8
        .value_kind:     global_buffer
      - .address_space:  global
        .offset:         80
        .size:           8
        .value_kind:     global_buffer
      - .offset:         88
        .size:           4
        .value_kind:     by_value
      - .offset:         96
        .size:           8
        .value_kind:     by_value
      - .address_space:  global
        .offset:         104
        .size:           8
        .value_kind:     global_buffer
      - .offset:         112
        .size:           4
        .value_kind:     by_value
      - .offset:         120
        .size:           8
        .value_kind:     by_value
      - .offset:         128
        .size:           4
        .value_kind:     by_value
      - .offset:         132
        .size:           4
        .value_kind:     by_value
    .group_segment_fixed_size: 16384
    .kernarg_segment_align: 8
    .kernarg_segment_size: 136
    .language:       OpenCL C
    .language_version:
      - 2
      - 0
    .max_flat_workgroup_size: 256
    .name:           _ZN12_GLOBAL__N_120geam_min_plus_kernelIdddLi4ELi64ELi128ELi128ELi4ELi64ELi4ELi4ELi64ELc78ELc78ELb0ELb1ELb0EPKdS1_dEEviiiT16_PT17_ilS5_ilS3_S5_ilPT18_ili26rocblas_geam_ex_operation_
    .private_segment_fixed_size: 0
    .sgpr_count:     88
    .sgpr_spill_count: 0
    .symbol:         _ZN12_GLOBAL__N_120geam_min_plus_kernelIdddLi4ELi64ELi128ELi128ELi4ELi64ELi4ELi4ELi64ELc78ELc78ELb0ELb1ELb0EPKdS1_dEEviiiT16_PT17_ilS5_ilS3_S5_ilPT18_ili26rocblas_geam_ex_operation_.kd
    .uniform_work_group_size: 1
    .uses_dynamic_stack: false
    .vgpr_count:     254
    .vgpr_spill_count: 0
    .wavefront_size: 64
  - .agpr_count:     0
    .args:
      - .offset:         0
        .size:           4
        .value_kind:     by_value
      - .offset:         4
        .size:           4
        .value_kind:     by_value
      - .offset:         8
        .size:           4
        .value_kind:     by_value
      - .offset:         16
        .size:           8
        .value_kind:     by_value
      - .address_space:  global
        .offset:         24
        .size:           8
        .value_kind:     global_buffer
      - .offset:         32
        .size:           4
        .value_kind:     by_value
      - .offset:         40
        .size:           8
        .value_kind:     by_value
      - .address_space:  global
        .offset:         48
        .size:           8
        .value_kind:     global_buffer
      - .offset:         56
        .size:           4
        .value_kind:     by_value
      - .offset:         64
        .size:           8
        .value_kind:     by_value
      - .offset:         72
        .size:           8
        .value_kind:     by_value
      - .address_space:  global
        .offset:         80
        .size:           8
        .value_kind:     global_buffer
      - .offset:         88
        .size:           4
        .value_kind:     by_value
      - .offset:         96
        .size:           8
        .value_kind:     by_value
      - .address_space:  global
        .offset:         104
        .size:           8
        .value_kind:     global_buffer
      - .offset:         112
        .size:           4
        .value_kind:     by_value
      - .offset:         120
        .size:           8
        .value_kind:     by_value
      - .offset:         128
        .size:           4
        .value_kind:     by_value
      - .offset:         132
        .size:           4
        .value_kind:     by_value
    .group_segment_fixed_size: 16384
    .kernarg_segment_align: 8
    .kernarg_segment_size: 136
    .language:       OpenCL C
    .language_version:
      - 2
      - 0
    .max_flat_workgroup_size: 256
    .name:           _ZN12_GLOBAL__N_120geam_min_plus_kernelIdddLi4ELi64ELi128ELi128ELi4ELi64ELi4ELi4ELi64ELc78ELc78ELb1ELb1ELb0EdKddEEviiiT16_PT17_ilS4_ilS2_S4_ilPT18_ili26rocblas_geam_ex_operation_
    .private_segment_fixed_size: 0
    .sgpr_count:     88
    .sgpr_spill_count: 0
    .symbol:         _ZN12_GLOBAL__N_120geam_min_plus_kernelIdddLi4ELi64ELi128ELi128ELi4ELi64ELi4ELi4ELi64ELc78ELc78ELb1ELb1ELb0EdKddEEviiiT16_PT17_ilS4_ilS2_S4_ilPT18_ili26rocblas_geam_ex_operation_.kd
    .uniform_work_group_size: 1
    .uses_dynamic_stack: false
    .vgpr_count:     252
    .vgpr_spill_count: 0
    .wavefront_size: 64
  - .agpr_count:     0
    .args:
      - .offset:         0
        .size:           4
        .value_kind:     by_value
      - .offset:         4
        .size:           4
        .value_kind:     by_value
      - .offset:         8
        .size:           4
        .value_kind:     by_value
      - .offset:         16
        .size:           8
        .value_kind:     by_value
      - .address_space:  global
        .offset:         24
        .size:           8
        .value_kind:     global_buffer
      - .offset:         32
        .size:           4
        .value_kind:     by_value
      - .offset:         40
        .size:           8
        .value_kind:     by_value
      - .address_space:  global
        .offset:         48
        .size:           8
        .value_kind:     global_buffer
      - .offset:         56
        .size:           4
        .value_kind:     by_value
      - .offset:         64
        .size:           8
        .value_kind:     by_value
      - .offset:         72
        .size:           8
        .value_kind:     by_value
      - .address_space:  global
        .offset:         80
        .size:           8
        .value_kind:     global_buffer
      - .offset:         88
        .size:           4
        .value_kind:     by_value
      - .offset:         96
        .size:           8
        .value_kind:     by_value
      - .address_space:  global
        .offset:         104
        .size:           8
        .value_kind:     global_buffer
      - .offset:         112
        .size:           4
        .value_kind:     by_value
      - .offset:         120
        .size:           8
        .value_kind:     by_value
      - .offset:         128
        .size:           4
        .value_kind:     by_value
      - .offset:         132
        .size:           4
        .value_kind:     by_value
    .group_segment_fixed_size: 16384
    .kernarg_segment_align: 8
    .kernarg_segment_size: 136
    .language:       OpenCL C
    .language_version:
      - 2
      - 0
    .max_flat_workgroup_size: 256
    .name:           _ZN12_GLOBAL__N_120geam_min_plus_kernelIdddLi4ELi64ELi128ELi128ELi4ELi64ELi4ELi4ELi64ELc78ELc78ELb0ELb1ELb0EdKddEEviiiT16_PT17_ilS4_ilS2_S4_ilPT18_ili26rocblas_geam_ex_operation_
    .private_segment_fixed_size: 0
    .sgpr_count:     88
    .sgpr_spill_count: 0
    .symbol:         _ZN12_GLOBAL__N_120geam_min_plus_kernelIdddLi4ELi64ELi128ELi128ELi4ELi64ELi4ELi4ELi64ELc78ELc78ELb0ELb1ELb0EdKddEEviiiT16_PT17_ilS4_ilS2_S4_ilPT18_ili26rocblas_geam_ex_operation_.kd
    .uniform_work_group_size: 1
    .uses_dynamic_stack: false
    .vgpr_count:     254
    .vgpr_spill_count: 0
    .wavefront_size: 64
  - .agpr_count:     0
    .args:
      - .offset:         0
        .size:           4
        .value_kind:     by_value
      - .offset:         4
        .size:           4
        .value_kind:     by_value
      - .offset:         8
        .size:           4
        .value_kind:     by_value
      - .address_space:  global
        .offset:         16
        .size:           8
        .value_kind:     global_buffer
      - .address_space:  global
        .offset:         24
        .size:           8
        .value_kind:     global_buffer
      - .offset:         32
        .size:           4
        .value_kind:     by_value
      - .offset:         40
        .size:           8
        .value_kind:     by_value
      - .address_space:  global
        .offset:         48
        .size:           8
        .value_kind:     global_buffer
      - .offset:         56
        .size:           4
        .value_kind:     by_value
      - .offset:         64
        .size:           8
        .value_kind:     by_value
      - .address_space:  global
        .offset:         72
        .size:           8
        .value_kind:     global_buffer
      - .address_space:  global
        .offset:         80
        .size:           8
        .value_kind:     global_buffer
      - .offset:         88
        .size:           4
        .value_kind:     by_value
      - .offset:         96
        .size:           8
        .value_kind:     by_value
      - .address_space:  global
        .offset:         104
        .size:           8
        .value_kind:     global_buffer
      - .offset:         112
        .size:           4
        .value_kind:     by_value
      - .offset:         120
        .size:           8
        .value_kind:     by_value
      - .offset:         128
        .size:           4
        .value_kind:     by_value
      - .offset:         132
        .size:           4
        .value_kind:     by_value
    .group_segment_fixed_size: 16384
    .kernarg_segment_align: 8
    .kernarg_segment_size: 136
    .language:       OpenCL C
    .language_version:
      - 2
      - 0
    .max_flat_workgroup_size: 256
    .name:           _ZN12_GLOBAL__N_120geam_min_plus_kernelIdddLi4ELi64ELi128ELi128ELi4ELi4ELi64ELi4ELi64ELc84ELc78ELb0ELb0ELb0EPKdS1_dEEviiiT16_PT17_ilS5_ilS3_S5_ilPT18_ili26rocblas_geam_ex_operation_
    .private_segment_fixed_size: 0
    .sgpr_count:     34
    .sgpr_spill_count: 0
    .symbol:         _ZN12_GLOBAL__N_120geam_min_plus_kernelIdddLi4ELi64ELi128ELi128ELi4ELi4ELi64ELi4ELi64ELc84ELc78ELb0ELb0ELb0EPKdS1_dEEviiiT16_PT17_ilS5_ilS3_S5_ilPT18_ili26rocblas_geam_ex_operation_.kd
    .uniform_work_group_size: 1
    .uses_dynamic_stack: false
    .vgpr_count:     250
    .vgpr_spill_count: 0
    .wavefront_size: 64
  - .agpr_count:     0
    .args:
      - .offset:         0
        .size:           4
        .value_kind:     by_value
      - .offset:         4
        .size:           4
        .value_kind:     by_value
      - .offset:         8
        .size:           4
        .value_kind:     by_value
      - .offset:         16
        .size:           8
        .value_kind:     by_value
      - .address_space:  global
        .offset:         24
        .size:           8
        .value_kind:     global_buffer
      - .offset:         32
        .size:           4
        .value_kind:     by_value
      - .offset:         40
        .size:           8
        .value_kind:     by_value
      - .address_space:  global
        .offset:         48
        .size:           8
        .value_kind:     global_buffer
      - .offset:         56
        .size:           4
        .value_kind:     by_value
      - .offset:         64
        .size:           8
        .value_kind:     by_value
      - .offset:         72
        .size:           8
        .value_kind:     by_value
      - .address_space:  global
        .offset:         80
        .size:           8
        .value_kind:     global_buffer
      - .offset:         88
        .size:           4
        .value_kind:     by_value
      - .offset:         96
        .size:           8
        .value_kind:     by_value
      - .address_space:  global
        .offset:         104
        .size:           8
        .value_kind:     global_buffer
      - .offset:         112
        .size:           4
        .value_kind:     by_value
      - .offset:         120
        .size:           8
        .value_kind:     by_value
      - .offset:         128
        .size:           4
        .value_kind:     by_value
      - .offset:         132
        .size:           4
        .value_kind:     by_value
    .group_segment_fixed_size: 16384
    .kernarg_segment_align: 8
    .kernarg_segment_size: 136
    .language:       OpenCL C
    .language_version:
      - 2
      - 0
    .max_flat_workgroup_size: 256
    .name:           _ZN12_GLOBAL__N_120geam_min_plus_kernelIdddLi4ELi64ELi128ELi128ELi4ELi4ELi64ELi4ELi64ELc84ELc78ELb1ELb0ELb0EdKddEEviiiT16_PT17_ilS4_ilS2_S4_ilPT18_ili26rocblas_geam_ex_operation_
    .private_segment_fixed_size: 0
    .sgpr_count:     30
    .sgpr_spill_count: 0
    .symbol:         _ZN12_GLOBAL__N_120geam_min_plus_kernelIdddLi4ELi64ELi128ELi128ELi4ELi4ELi64ELi4ELi64ELc84ELc78ELb1ELb0ELb0EdKddEEviiiT16_PT17_ilS4_ilS2_S4_ilPT18_ili26rocblas_geam_ex_operation_.kd
    .uniform_work_group_size: 1
    .uses_dynamic_stack: false
    .vgpr_count:     254
    .vgpr_spill_count: 0
    .wavefront_size: 64
  - .agpr_count:     0
    .args:
      - .offset:         0
        .size:           4
        .value_kind:     by_value
      - .offset:         4
        .size:           4
        .value_kind:     by_value
      - .offset:         8
        .size:           4
        .value_kind:     by_value
      - .offset:         16
        .size:           8
        .value_kind:     by_value
      - .address_space:  global
        .offset:         24
        .size:           8
        .value_kind:     global_buffer
      - .offset:         32
        .size:           4
        .value_kind:     by_value
      - .offset:         40
        .size:           8
        .value_kind:     by_value
      - .address_space:  global
        .offset:         48
        .size:           8
        .value_kind:     global_buffer
      - .offset:         56
        .size:           4
        .value_kind:     by_value
      - .offset:         64
        .size:           8
        .value_kind:     by_value
      - .offset:         72
        .size:           8
        .value_kind:     by_value
      - .address_space:  global
        .offset:         80
        .size:           8
        .value_kind:     global_buffer
      - .offset:         88
        .size:           4
        .value_kind:     by_value
      - .offset:         96
        .size:           8
        .value_kind:     by_value
      - .address_space:  global
        .offset:         104
        .size:           8
        .value_kind:     global_buffer
      - .offset:         112
        .size:           4
        .value_kind:     by_value
      - .offset:         120
        .size:           8
        .value_kind:     by_value
      - .offset:         128
        .size:           4
        .value_kind:     by_value
      - .offset:         132
        .size:           4
        .value_kind:     by_value
    .group_segment_fixed_size: 16384
    .kernarg_segment_align: 8
    .kernarg_segment_size: 136
    .language:       OpenCL C
    .language_version:
      - 2
      - 0
    .max_flat_workgroup_size: 256
    .name:           _ZN12_GLOBAL__N_120geam_min_plus_kernelIdddLi4ELi64ELi128ELi128ELi4ELi4ELi64ELi4ELi64ELc84ELc78ELb0ELb0ELb0EdKddEEviiiT16_PT17_ilS4_ilS2_S4_ilPT18_ili26rocblas_geam_ex_operation_
    .private_segment_fixed_size: 0
    .sgpr_count:     36
    .sgpr_spill_count: 0
    .symbol:         _ZN12_GLOBAL__N_120geam_min_plus_kernelIdddLi4ELi64ELi128ELi128ELi4ELi4ELi64ELi4ELi64ELc84ELc78ELb0ELb0ELb0EdKddEEviiiT16_PT17_ilS4_ilS2_S4_ilPT18_ili26rocblas_geam_ex_operation_.kd
    .uniform_work_group_size: 1
    .uses_dynamic_stack: false
    .vgpr_count:     250
    .vgpr_spill_count: 0
    .wavefront_size: 64
  - .agpr_count:     0
    .args:
      - .offset:         0
        .size:           4
        .value_kind:     by_value
      - .offset:         4
        .size:           4
        .value_kind:     by_value
      - .offset:         8
        .size:           4
        .value_kind:     by_value
      - .address_space:  global
        .offset:         16
        .size:           8
        .value_kind:     global_buffer
      - .address_space:  global
        .offset:         24
        .size:           8
        .value_kind:     global_buffer
      - .offset:         32
        .size:           4
        .value_kind:     by_value
      - .offset:         40
        .size:           8
        .value_kind:     by_value
      - .address_space:  global
        .offset:         48
        .size:           8
        .value_kind:     global_buffer
      - .offset:         56
        .size:           4
        .value_kind:     by_value
      - .offset:         64
        .size:           8
        .value_kind:     by_value
      - .address_space:  global
        .offset:         72
        .size:           8
        .value_kind:     global_buffer
      - .address_space:  global
        .offset:         80
        .size:           8
        .value_kind:     global_buffer
      - .offset:         88
        .size:           4
        .value_kind:     by_value
      - .offset:         96
        .size:           8
        .value_kind:     by_value
      - .address_space:  global
        .offset:         104
        .size:           8
        .value_kind:     global_buffer
      - .offset:         112
        .size:           4
        .value_kind:     by_value
      - .offset:         120
        .size:           8
        .value_kind:     by_value
      - .offset:         128
        .size:           4
        .value_kind:     by_value
      - .offset:         132
        .size:           4
        .value_kind:     by_value
    .group_segment_fixed_size: 16384
    .kernarg_segment_align: 8
    .kernarg_segment_size: 136
    .language:       OpenCL C
    .language_version:
      - 2
      - 0
    .max_flat_workgroup_size: 256
    .name:           _ZN12_GLOBAL__N_120geam_min_plus_kernelIdddLi4ELi64ELi128ELi128ELi4ELi4ELi64ELi4ELi64ELc84ELc78ELb0ELb1ELb0EPKdS1_dEEviiiT16_PT17_ilS5_ilS3_S5_ilPT18_ili26rocblas_geam_ex_operation_
    .private_segment_fixed_size: 0
    .sgpr_count:     88
    .sgpr_spill_count: 0
    .symbol:         _ZN12_GLOBAL__N_120geam_min_plus_kernelIdddLi4ELi64ELi128ELi128ELi4ELi4ELi64ELi4ELi64ELc84ELc78ELb0ELb1ELb0EPKdS1_dEEviiiT16_PT17_ilS5_ilS3_S5_ilPT18_ili26rocblas_geam_ex_operation_.kd
    .uniform_work_group_size: 1
    .uses_dynamic_stack: false
    .vgpr_count:     250
    .vgpr_spill_count: 0
    .wavefront_size: 64
  - .agpr_count:     0
    .args:
      - .offset:         0
        .size:           4
        .value_kind:     by_value
      - .offset:         4
        .size:           4
        .value_kind:     by_value
      - .offset:         8
        .size:           4
        .value_kind:     by_value
      - .offset:         16
        .size:           8
        .value_kind:     by_value
      - .address_space:  global
        .offset:         24
        .size:           8
        .value_kind:     global_buffer
      - .offset:         32
        .size:           4
        .value_kind:     by_value
      - .offset:         40
        .size:           8
        .value_kind:     by_value
      - .address_space:  global
        .offset:         48
        .size:           8
        .value_kind:     global_buffer
      - .offset:         56
        .size:           4
        .value_kind:     by_value
      - .offset:         64
        .size:           8
        .value_kind:     by_value
      - .offset:         72
        .size:           8
        .value_kind:     by_value
      - .address_space:  global
        .offset:         80
        .size:           8
        .value_kind:     global_buffer
      - .offset:         88
        .size:           4
        .value_kind:     by_value
      - .offset:         96
        .size:           8
        .value_kind:     by_value
      - .address_space:  global
        .offset:         104
        .size:           8
        .value_kind:     global_buffer
      - .offset:         112
        .size:           4
        .value_kind:     by_value
      - .offset:         120
        .size:           8
        .value_kind:     by_value
      - .offset:         128
        .size:           4
        .value_kind:     by_value
      - .offset:         132
        .size:           4
        .value_kind:     by_value
    .group_segment_fixed_size: 16384
    .kernarg_segment_align: 8
    .kernarg_segment_size: 136
    .language:       OpenCL C
    .language_version:
      - 2
      - 0
    .max_flat_workgroup_size: 256
    .name:           _ZN12_GLOBAL__N_120geam_min_plus_kernelIdddLi4ELi64ELi128ELi128ELi4ELi4ELi64ELi4ELi64ELc84ELc78ELb1ELb1ELb0EdKddEEviiiT16_PT17_ilS4_ilS2_S4_ilPT18_ili26rocblas_geam_ex_operation_
    .private_segment_fixed_size: 0
    .sgpr_count:     88
    .sgpr_spill_count: 0
    .symbol:         _ZN12_GLOBAL__N_120geam_min_plus_kernelIdddLi4ELi64ELi128ELi128ELi4ELi4ELi64ELi4ELi64ELc84ELc78ELb1ELb1ELb0EdKddEEviiiT16_PT17_ilS4_ilS2_S4_ilPT18_ili26rocblas_geam_ex_operation_.kd
    .uniform_work_group_size: 1
    .uses_dynamic_stack: false
    .vgpr_count:     250
    .vgpr_spill_count: 0
    .wavefront_size: 64
  - .agpr_count:     0
    .args:
      - .offset:         0
        .size:           4
        .value_kind:     by_value
      - .offset:         4
        .size:           4
        .value_kind:     by_value
      - .offset:         8
        .size:           4
        .value_kind:     by_value
      - .offset:         16
        .size:           8
        .value_kind:     by_value
      - .address_space:  global
        .offset:         24
        .size:           8
        .value_kind:     global_buffer
      - .offset:         32
        .size:           4
        .value_kind:     by_value
      - .offset:         40
        .size:           8
        .value_kind:     by_value
      - .address_space:  global
        .offset:         48
        .size:           8
        .value_kind:     global_buffer
      - .offset:         56
        .size:           4
        .value_kind:     by_value
      - .offset:         64
        .size:           8
        .value_kind:     by_value
      - .offset:         72
        .size:           8
        .value_kind:     by_value
      - .address_space:  global
        .offset:         80
        .size:           8
        .value_kind:     global_buffer
      - .offset:         88
        .size:           4
        .value_kind:     by_value
      - .offset:         96
        .size:           8
        .value_kind:     by_value
      - .address_space:  global
        .offset:         104
        .size:           8
        .value_kind:     global_buffer
      - .offset:         112
        .size:           4
        .value_kind:     by_value
      - .offset:         120
        .size:           8
        .value_kind:     by_value
      - .offset:         128
        .size:           4
        .value_kind:     by_value
      - .offset:         132
        .size:           4
        .value_kind:     by_value
    .group_segment_fixed_size: 16384
    .kernarg_segment_align: 8
    .kernarg_segment_size: 136
    .language:       OpenCL C
    .language_version:
      - 2
      - 0
    .max_flat_workgroup_size: 256
    .name:           _ZN12_GLOBAL__N_120geam_min_plus_kernelIdddLi4ELi64ELi128ELi128ELi4ELi4ELi64ELi4ELi64ELc84ELc78ELb0ELb1ELb0EdKddEEviiiT16_PT17_ilS4_ilS2_S4_ilPT18_ili26rocblas_geam_ex_operation_
    .private_segment_fixed_size: 0
    .sgpr_count:     88
    .sgpr_spill_count: 0
    .symbol:         _ZN12_GLOBAL__N_120geam_min_plus_kernelIdddLi4ELi64ELi128ELi128ELi4ELi4ELi64ELi4ELi64ELc84ELc78ELb0ELb1ELb0EdKddEEviiiT16_PT17_ilS4_ilS2_S4_ilPT18_ili26rocblas_geam_ex_operation_.kd
    .uniform_work_group_size: 1
    .uses_dynamic_stack: false
    .vgpr_count:     250
    .vgpr_spill_count: 0
    .wavefront_size: 64
  - .agpr_count:     0
    .args:
      - .offset:         0
        .size:           4
        .value_kind:     by_value
      - .offset:         4
        .size:           4
        .value_kind:     by_value
      - .offset:         8
        .size:           4
        .value_kind:     by_value
      - .address_space:  global
        .offset:         16
        .size:           8
        .value_kind:     global_buffer
      - .address_space:  global
        .offset:         24
        .size:           8
        .value_kind:     global_buffer
      - .offset:         32
        .size:           4
        .value_kind:     by_value
      - .offset:         40
        .size:           8
        .value_kind:     by_value
      - .address_space:  global
        .offset:         48
        .size:           8
        .value_kind:     global_buffer
      - .offset:         56
        .size:           4
        .value_kind:     by_value
      - .offset:         64
        .size:           8
        .value_kind:     by_value
      - .address_space:  global
        .offset:         72
        .size:           8
        .value_kind:     global_buffer
      - .address_space:  global
        .offset:         80
        .size:           8
        .value_kind:     global_buffer
      - .offset:         88
        .size:           4
        .value_kind:     by_value
      - .offset:         96
        .size:           8
        .value_kind:     by_value
      - .address_space:  global
        .offset:         104
        .size:           8
        .value_kind:     global_buffer
      - .offset:         112
        .size:           4
        .value_kind:     by_value
      - .offset:         120
        .size:           8
        .value_kind:     by_value
      - .offset:         128
        .size:           4
        .value_kind:     by_value
      - .offset:         132
        .size:           4
        .value_kind:     by_value
    .group_segment_fixed_size: 16384
    .kernarg_segment_align: 8
    .kernarg_segment_size: 136
    .language:       OpenCL C
    .language_version:
      - 2
      - 0
    .max_flat_workgroup_size: 256
    .name:           _ZN12_GLOBAL__N_120geam_min_plus_kernelIdddLi4ELi64ELi128ELi128ELi4ELi64ELi4ELi64ELi4ELc78ELc84ELb0ELb0ELb0EPKdS1_dEEviiiT16_PT17_ilS5_ilS3_S5_ilPT18_ili26rocblas_geam_ex_operation_
    .private_segment_fixed_size: 0
    .sgpr_count:     34
    .sgpr_spill_count: 0
    .symbol:         _ZN12_GLOBAL__N_120geam_min_plus_kernelIdddLi4ELi64ELi128ELi128ELi4ELi64ELi4ELi64ELi4ELc78ELc84ELb0ELb0ELb0EPKdS1_dEEviiiT16_PT17_ilS5_ilS3_S5_ilPT18_ili26rocblas_geam_ex_operation_.kd
    .uniform_work_group_size: 1
    .uses_dynamic_stack: false
    .vgpr_count:     252
    .vgpr_spill_count: 0
    .wavefront_size: 64
  - .agpr_count:     0
    .args:
      - .offset:         0
        .size:           4
        .value_kind:     by_value
      - .offset:         4
        .size:           4
        .value_kind:     by_value
      - .offset:         8
        .size:           4
        .value_kind:     by_value
      - .offset:         16
        .size:           8
        .value_kind:     by_value
      - .address_space:  global
        .offset:         24
        .size:           8
        .value_kind:     global_buffer
      - .offset:         32
        .size:           4
        .value_kind:     by_value
      - .offset:         40
        .size:           8
        .value_kind:     by_value
      - .address_space:  global
        .offset:         48
        .size:           8
        .value_kind:     global_buffer
      - .offset:         56
        .size:           4
        .value_kind:     by_value
      - .offset:         64
        .size:           8
        .value_kind:     by_value
      - .offset:         72
        .size:           8
        .value_kind:     by_value
      - .address_space:  global
        .offset:         80
        .size:           8
        .value_kind:     global_buffer
      - .offset:         88
        .size:           4
        .value_kind:     by_value
      - .offset:         96
        .size:           8
        .value_kind:     by_value
      - .address_space:  global
        .offset:         104
        .size:           8
        .value_kind:     global_buffer
      - .offset:         112
        .size:           4
        .value_kind:     by_value
      - .offset:         120
        .size:           8
        .value_kind:     by_value
      - .offset:         128
        .size:           4
        .value_kind:     by_value
      - .offset:         132
        .size:           4
        .value_kind:     by_value
    .group_segment_fixed_size: 16384
    .kernarg_segment_align: 8
    .kernarg_segment_size: 136
    .language:       OpenCL C
    .language_version:
      - 2
      - 0
    .max_flat_workgroup_size: 256
    .name:           _ZN12_GLOBAL__N_120geam_min_plus_kernelIdddLi4ELi64ELi128ELi128ELi4ELi64ELi4ELi64ELi4ELc78ELc84ELb1ELb0ELb0EdKddEEviiiT16_PT17_ilS4_ilS2_S4_ilPT18_ili26rocblas_geam_ex_operation_
    .private_segment_fixed_size: 0
    .sgpr_count:     32
    .sgpr_spill_count: 0
    .symbol:         _ZN12_GLOBAL__N_120geam_min_plus_kernelIdddLi4ELi64ELi128ELi128ELi4ELi64ELi4ELi64ELi4ELc78ELc84ELb1ELb0ELb0EdKddEEviiiT16_PT17_ilS4_ilS2_S4_ilPT18_ili26rocblas_geam_ex_operation_.kd
    .uniform_work_group_size: 1
    .uses_dynamic_stack: false
    .vgpr_count:     252
    .vgpr_spill_count: 0
    .wavefront_size: 64
  - .agpr_count:     0
    .args:
      - .offset:         0
        .size:           4
        .value_kind:     by_value
      - .offset:         4
        .size:           4
        .value_kind:     by_value
      - .offset:         8
        .size:           4
        .value_kind:     by_value
      - .offset:         16
        .size:           8
        .value_kind:     by_value
      - .address_space:  global
        .offset:         24
        .size:           8
        .value_kind:     global_buffer
      - .offset:         32
        .size:           4
        .value_kind:     by_value
      - .offset:         40
        .size:           8
        .value_kind:     by_value
      - .address_space:  global
        .offset:         48
        .size:           8
        .value_kind:     global_buffer
      - .offset:         56
        .size:           4
        .value_kind:     by_value
      - .offset:         64
        .size:           8
        .value_kind:     by_value
      - .offset:         72
        .size:           8
        .value_kind:     by_value
      - .address_space:  global
        .offset:         80
        .size:           8
        .value_kind:     global_buffer
      - .offset:         88
        .size:           4
        .value_kind:     by_value
      - .offset:         96
        .size:           8
        .value_kind:     by_value
      - .address_space:  global
        .offset:         104
        .size:           8
        .value_kind:     global_buffer
      - .offset:         112
        .size:           4
        .value_kind:     by_value
      - .offset:         120
        .size:           8
        .value_kind:     by_value
      - .offset:         128
        .size:           4
        .value_kind:     by_value
      - .offset:         132
        .size:           4
        .value_kind:     by_value
    .group_segment_fixed_size: 16384
    .kernarg_segment_align: 8
    .kernarg_segment_size: 136
    .language:       OpenCL C
    .language_version:
      - 2
      - 0
    .max_flat_workgroup_size: 256
    .name:           _ZN12_GLOBAL__N_120geam_min_plus_kernelIdddLi4ELi64ELi128ELi128ELi4ELi64ELi4ELi64ELi4ELc78ELc84ELb0ELb0ELb0EdKddEEviiiT16_PT17_ilS4_ilS2_S4_ilPT18_ili26rocblas_geam_ex_operation_
    .private_segment_fixed_size: 0
    .sgpr_count:     36
    .sgpr_spill_count: 0
    .symbol:         _ZN12_GLOBAL__N_120geam_min_plus_kernelIdddLi4ELi64ELi128ELi128ELi4ELi64ELi4ELi64ELi4ELc78ELc84ELb0ELb0ELb0EdKddEEviiiT16_PT17_ilS4_ilS2_S4_ilPT18_ili26rocblas_geam_ex_operation_.kd
    .uniform_work_group_size: 1
    .uses_dynamic_stack: false
    .vgpr_count:     252
    .vgpr_spill_count: 0
    .wavefront_size: 64
  - .agpr_count:     0
    .args:
      - .offset:         0
        .size:           4
        .value_kind:     by_value
      - .offset:         4
        .size:           4
        .value_kind:     by_value
      - .offset:         8
        .size:           4
        .value_kind:     by_value
      - .address_space:  global
        .offset:         16
        .size:           8
        .value_kind:     global_buffer
      - .address_space:  global
        .offset:         24
        .size:           8
        .value_kind:     global_buffer
      - .offset:         32
        .size:           4
        .value_kind:     by_value
      - .offset:         40
        .size:           8
        .value_kind:     by_value
      - .address_space:  global
        .offset:         48
        .size:           8
        .value_kind:     global_buffer
      - .offset:         56
        .size:           4
        .value_kind:     by_value
      - .offset:         64
        .size:           8
        .value_kind:     by_value
      - .address_space:  global
        .offset:         72
        .size:           8
        .value_kind:     global_buffer
      - .address_space:  global
        .offset:         80
        .size:           8
        .value_kind:     global_buffer
      - .offset:         88
        .size:           4
        .value_kind:     by_value
      - .offset:         96
        .size:           8
        .value_kind:     by_value
      - .address_space:  global
        .offset:         104
        .size:           8
        .value_kind:     global_buffer
      - .offset:         112
        .size:           4
        .value_kind:     by_value
      - .offset:         120
        .size:           8
        .value_kind:     by_value
      - .offset:         128
        .size:           4
        .value_kind:     by_value
      - .offset:         132
        .size:           4
        .value_kind:     by_value
    .group_segment_fixed_size: 16384
    .kernarg_segment_align: 8
    .kernarg_segment_size: 136
    .language:       OpenCL C
    .language_version:
      - 2
      - 0
    .max_flat_workgroup_size: 256
    .name:           _ZN12_GLOBAL__N_120geam_min_plus_kernelIdddLi4ELi64ELi128ELi128ELi4ELi64ELi4ELi64ELi4ELc78ELc84ELb0ELb1ELb0EPKdS1_dEEviiiT16_PT17_ilS5_ilS3_S5_ilPT18_ili26rocblas_geam_ex_operation_
    .private_segment_fixed_size: 0
    .sgpr_count:     88
    .sgpr_spill_count: 0
    .symbol:         _ZN12_GLOBAL__N_120geam_min_plus_kernelIdddLi4ELi64ELi128ELi128ELi4ELi64ELi4ELi64ELi4ELc78ELc84ELb0ELb1ELb0EPKdS1_dEEviiiT16_PT17_ilS5_ilS3_S5_ilPT18_ili26rocblas_geam_ex_operation_.kd
    .uniform_work_group_size: 1
    .uses_dynamic_stack: false
    .vgpr_count:     252
    .vgpr_spill_count: 0
    .wavefront_size: 64
  - .agpr_count:     0
    .args:
      - .offset:         0
        .size:           4
        .value_kind:     by_value
      - .offset:         4
        .size:           4
        .value_kind:     by_value
      - .offset:         8
        .size:           4
        .value_kind:     by_value
      - .offset:         16
        .size:           8
        .value_kind:     by_value
      - .address_space:  global
        .offset:         24
        .size:           8
        .value_kind:     global_buffer
      - .offset:         32
        .size:           4
        .value_kind:     by_value
      - .offset:         40
        .size:           8
        .value_kind:     by_value
      - .address_space:  global
        .offset:         48
        .size:           8
        .value_kind:     global_buffer
      - .offset:         56
        .size:           4
        .value_kind:     by_value
      - .offset:         64
        .size:           8
        .value_kind:     by_value
      - .offset:         72
        .size:           8
        .value_kind:     by_value
      - .address_space:  global
        .offset:         80
        .size:           8
        .value_kind:     global_buffer
      - .offset:         88
        .size:           4
        .value_kind:     by_value
      - .offset:         96
        .size:           8
        .value_kind:     by_value
      - .address_space:  global
        .offset:         104
        .size:           8
        .value_kind:     global_buffer
      - .offset:         112
        .size:           4
        .value_kind:     by_value
      - .offset:         120
        .size:           8
        .value_kind:     by_value
      - .offset:         128
        .size:           4
        .value_kind:     by_value
      - .offset:         132
        .size:           4
        .value_kind:     by_value
    .group_segment_fixed_size: 16384
    .kernarg_segment_align: 8
    .kernarg_segment_size: 136
    .language:       OpenCL C
    .language_version:
      - 2
      - 0
    .max_flat_workgroup_size: 256
    .name:           _ZN12_GLOBAL__N_120geam_min_plus_kernelIdddLi4ELi64ELi128ELi128ELi4ELi64ELi4ELi64ELi4ELc78ELc84ELb1ELb1ELb0EdKddEEviiiT16_PT17_ilS4_ilS2_S4_ilPT18_ili26rocblas_geam_ex_operation_
    .private_segment_fixed_size: 0
    .sgpr_count:     88
    .sgpr_spill_count: 0
    .symbol:         _ZN12_GLOBAL__N_120geam_min_plus_kernelIdddLi4ELi64ELi128ELi128ELi4ELi64ELi4ELi64ELi4ELc78ELc84ELb1ELb1ELb0EdKddEEviiiT16_PT17_ilS4_ilS2_S4_ilPT18_ili26rocblas_geam_ex_operation_.kd
    .uniform_work_group_size: 1
    .uses_dynamic_stack: false
    .vgpr_count:     252
    .vgpr_spill_count: 0
    .wavefront_size: 64
  - .agpr_count:     0
    .args:
      - .offset:         0
        .size:           4
        .value_kind:     by_value
      - .offset:         4
        .size:           4
        .value_kind:     by_value
      - .offset:         8
        .size:           4
        .value_kind:     by_value
      - .offset:         16
        .size:           8
        .value_kind:     by_value
      - .address_space:  global
        .offset:         24
        .size:           8
        .value_kind:     global_buffer
      - .offset:         32
        .size:           4
        .value_kind:     by_value
      - .offset:         40
        .size:           8
        .value_kind:     by_value
      - .address_space:  global
        .offset:         48
        .size:           8
        .value_kind:     global_buffer
      - .offset:         56
        .size:           4
        .value_kind:     by_value
      - .offset:         64
        .size:           8
        .value_kind:     by_value
      - .offset:         72
        .size:           8
        .value_kind:     by_value
      - .address_space:  global
        .offset:         80
        .size:           8
        .value_kind:     global_buffer
      - .offset:         88
        .size:           4
        .value_kind:     by_value
      - .offset:         96
        .size:           8
        .value_kind:     by_value
      - .address_space:  global
        .offset:         104
        .size:           8
        .value_kind:     global_buffer
      - .offset:         112
        .size:           4
        .value_kind:     by_value
      - .offset:         120
        .size:           8
        .value_kind:     by_value
      - .offset:         128
        .size:           4
        .value_kind:     by_value
      - .offset:         132
        .size:           4
        .value_kind:     by_value
    .group_segment_fixed_size: 16384
    .kernarg_segment_align: 8
    .kernarg_segment_size: 136
    .language:       OpenCL C
    .language_version:
      - 2
      - 0
    .max_flat_workgroup_size: 256
    .name:           _ZN12_GLOBAL__N_120geam_min_plus_kernelIdddLi4ELi64ELi128ELi128ELi4ELi64ELi4ELi64ELi4ELc78ELc84ELb0ELb1ELb0EdKddEEviiiT16_PT17_ilS4_ilS2_S4_ilPT18_ili26rocblas_geam_ex_operation_
    .private_segment_fixed_size: 0
    .sgpr_count:     88
    .sgpr_spill_count: 0
    .symbol:         _ZN12_GLOBAL__N_120geam_min_plus_kernelIdddLi4ELi64ELi128ELi128ELi4ELi64ELi4ELi64ELi4ELc78ELc84ELb0ELb1ELb0EdKddEEviiiT16_PT17_ilS4_ilS2_S4_ilPT18_ili26rocblas_geam_ex_operation_.kd
    .uniform_work_group_size: 1
    .uses_dynamic_stack: false
    .vgpr_count:     252
    .vgpr_spill_count: 0
    .wavefront_size: 64
  - .agpr_count:     0
    .args:
      - .offset:         0
        .size:           4
        .value_kind:     by_value
      - .offset:         4
        .size:           4
        .value_kind:     by_value
      - .offset:         8
        .size:           4
        .value_kind:     by_value
      - .address_space:  global
        .offset:         16
        .size:           8
        .value_kind:     global_buffer
      - .address_space:  global
        .offset:         24
        .size:           8
        .value_kind:     global_buffer
      - .offset:         32
        .size:           4
        .value_kind:     by_value
      - .offset:         40
        .size:           8
        .value_kind:     by_value
      - .address_space:  global
        .offset:         48
        .size:           8
        .value_kind:     global_buffer
      - .offset:         56
        .size:           4
        .value_kind:     by_value
      - .offset:         64
        .size:           8
        .value_kind:     by_value
      - .address_space:  global
        .offset:         72
        .size:           8
        .value_kind:     global_buffer
      - .address_space:  global
        .offset:         80
        .size:           8
        .value_kind:     global_buffer
      - .offset:         88
        .size:           4
        .value_kind:     by_value
      - .offset:         96
        .size:           8
        .value_kind:     by_value
      - .address_space:  global
        .offset:         104
        .size:           8
        .value_kind:     global_buffer
      - .offset:         112
        .size:           4
        .value_kind:     by_value
      - .offset:         120
        .size:           8
        .value_kind:     by_value
      - .offset:         128
        .size:           4
        .value_kind:     by_value
      - .offset:         132
        .size:           4
        .value_kind:     by_value
    .group_segment_fixed_size: 16384
    .kernarg_segment_align: 8
    .kernarg_segment_size: 136
    .language:       OpenCL C
    .language_version:
      - 2
      - 0
    .max_flat_workgroup_size: 256
    .name:           _ZN12_GLOBAL__N_120geam_min_plus_kernelIdddLi4ELi64ELi128ELi128ELi4ELi4ELi64ELi64ELi4ELc84ELc84ELb0ELb0ELb0EPKdS1_dEEviiiT16_PT17_ilS5_ilS3_S5_ilPT18_ili26rocblas_geam_ex_operation_
    .private_segment_fixed_size: 0
    .sgpr_count:     34
    .sgpr_spill_count: 0
    .symbol:         _ZN12_GLOBAL__N_120geam_min_plus_kernelIdddLi4ELi64ELi128ELi128ELi4ELi4ELi64ELi64ELi4ELc84ELc84ELb0ELb0ELb0EPKdS1_dEEviiiT16_PT17_ilS5_ilS3_S5_ilPT18_ili26rocblas_geam_ex_operation_.kd
    .uniform_work_group_size: 1
    .uses_dynamic_stack: false
    .vgpr_count:     252
    .vgpr_spill_count: 0
    .wavefront_size: 64
  - .agpr_count:     0
    .args:
      - .offset:         0
        .size:           4
        .value_kind:     by_value
      - .offset:         4
        .size:           4
        .value_kind:     by_value
      - .offset:         8
        .size:           4
        .value_kind:     by_value
      - .offset:         16
        .size:           8
        .value_kind:     by_value
      - .address_space:  global
        .offset:         24
        .size:           8
        .value_kind:     global_buffer
      - .offset:         32
        .size:           4
        .value_kind:     by_value
      - .offset:         40
        .size:           8
        .value_kind:     by_value
      - .address_space:  global
        .offset:         48
        .size:           8
        .value_kind:     global_buffer
      - .offset:         56
        .size:           4
        .value_kind:     by_value
      - .offset:         64
        .size:           8
        .value_kind:     by_value
      - .offset:         72
        .size:           8
        .value_kind:     by_value
      - .address_space:  global
        .offset:         80
        .size:           8
        .value_kind:     global_buffer
      - .offset:         88
        .size:           4
        .value_kind:     by_value
      - .offset:         96
        .size:           8
        .value_kind:     by_value
      - .address_space:  global
        .offset:         104
        .size:           8
        .value_kind:     global_buffer
      - .offset:         112
        .size:           4
        .value_kind:     by_value
      - .offset:         120
        .size:           8
        .value_kind:     by_value
      - .offset:         128
        .size:           4
        .value_kind:     by_value
      - .offset:         132
        .size:           4
        .value_kind:     by_value
    .group_segment_fixed_size: 16384
    .kernarg_segment_align: 8
    .kernarg_segment_size: 136
    .language:       OpenCL C
    .language_version:
      - 2
      - 0
    .max_flat_workgroup_size: 256
    .name:           _ZN12_GLOBAL__N_120geam_min_plus_kernelIdddLi4ELi64ELi128ELi128ELi4ELi4ELi64ELi64ELi4ELc84ELc84ELb1ELb0ELb0EdKddEEviiiT16_PT17_ilS4_ilS2_S4_ilPT18_ili26rocblas_geam_ex_operation_
    .private_segment_fixed_size: 0
    .sgpr_count:     31
    .sgpr_spill_count: 0
    .symbol:         _ZN12_GLOBAL__N_120geam_min_plus_kernelIdddLi4ELi64ELi128ELi128ELi4ELi4ELi64ELi64ELi4ELc84ELc84ELb1ELb0ELb0EdKddEEviiiT16_PT17_ilS4_ilS2_S4_ilPT18_ili26rocblas_geam_ex_operation_.kd
    .uniform_work_group_size: 1
    .uses_dynamic_stack: false
    .vgpr_count:     254
    .vgpr_spill_count: 0
    .wavefront_size: 64
  - .agpr_count:     0
    .args:
      - .offset:         0
        .size:           4
        .value_kind:     by_value
      - .offset:         4
        .size:           4
        .value_kind:     by_value
      - .offset:         8
        .size:           4
        .value_kind:     by_value
      - .offset:         16
        .size:           8
        .value_kind:     by_value
      - .address_space:  global
        .offset:         24
        .size:           8
        .value_kind:     global_buffer
      - .offset:         32
        .size:           4
        .value_kind:     by_value
      - .offset:         40
        .size:           8
        .value_kind:     by_value
      - .address_space:  global
        .offset:         48
        .size:           8
        .value_kind:     global_buffer
      - .offset:         56
        .size:           4
        .value_kind:     by_value
      - .offset:         64
        .size:           8
        .value_kind:     by_value
      - .offset:         72
        .size:           8
        .value_kind:     by_value
      - .address_space:  global
        .offset:         80
        .size:           8
        .value_kind:     global_buffer
      - .offset:         88
        .size:           4
        .value_kind:     by_value
      - .offset:         96
        .size:           8
        .value_kind:     by_value
      - .address_space:  global
        .offset:         104
        .size:           8
        .value_kind:     global_buffer
      - .offset:         112
        .size:           4
        .value_kind:     by_value
      - .offset:         120
        .size:           8
        .value_kind:     by_value
      - .offset:         128
        .size:           4
        .value_kind:     by_value
      - .offset:         132
        .size:           4
        .value_kind:     by_value
    .group_segment_fixed_size: 16384
    .kernarg_segment_align: 8
    .kernarg_segment_size: 136
    .language:       OpenCL C
    .language_version:
      - 2
      - 0
    .max_flat_workgroup_size: 256
    .name:           _ZN12_GLOBAL__N_120geam_min_plus_kernelIdddLi4ELi64ELi128ELi128ELi4ELi4ELi64ELi64ELi4ELc84ELc84ELb0ELb0ELb0EdKddEEviiiT16_PT17_ilS4_ilS2_S4_ilPT18_ili26rocblas_geam_ex_operation_
    .private_segment_fixed_size: 0
    .sgpr_count:     36
    .sgpr_spill_count: 0
    .symbol:         _ZN12_GLOBAL__N_120geam_min_plus_kernelIdddLi4ELi64ELi128ELi128ELi4ELi4ELi64ELi64ELi4ELc84ELc84ELb0ELb0ELb0EdKddEEviiiT16_PT17_ilS4_ilS2_S4_ilPT18_ili26rocblas_geam_ex_operation_.kd
    .uniform_work_group_size: 1
    .uses_dynamic_stack: false
    .vgpr_count:     252
    .vgpr_spill_count: 0
    .wavefront_size: 64
  - .agpr_count:     0
    .args:
      - .offset:         0
        .size:           4
        .value_kind:     by_value
      - .offset:         4
        .size:           4
        .value_kind:     by_value
      - .offset:         8
        .size:           4
        .value_kind:     by_value
      - .address_space:  global
        .offset:         16
        .size:           8
        .value_kind:     global_buffer
      - .address_space:  global
        .offset:         24
        .size:           8
        .value_kind:     global_buffer
      - .offset:         32
        .size:           4
        .value_kind:     by_value
      - .offset:         40
        .size:           8
        .value_kind:     by_value
      - .address_space:  global
        .offset:         48
        .size:           8
        .value_kind:     global_buffer
      - .offset:         56
        .size:           4
        .value_kind:     by_value
      - .offset:         64
        .size:           8
        .value_kind:     by_value
      - .address_space:  global
        .offset:         72
        .size:           8
        .value_kind:     global_buffer
      - .address_space:  global
        .offset:         80
        .size:           8
        .value_kind:     global_buffer
      - .offset:         88
        .size:           4
        .value_kind:     by_value
      - .offset:         96
        .size:           8
        .value_kind:     by_value
      - .address_space:  global
        .offset:         104
        .size:           8
        .value_kind:     global_buffer
      - .offset:         112
        .size:           4
        .value_kind:     by_value
      - .offset:         120
        .size:           8
        .value_kind:     by_value
      - .offset:         128
        .size:           4
        .value_kind:     by_value
      - .offset:         132
        .size:           4
        .value_kind:     by_value
    .group_segment_fixed_size: 16384
    .kernarg_segment_align: 8
    .kernarg_segment_size: 136
    .language:       OpenCL C
    .language_version:
      - 2
      - 0
    .max_flat_workgroup_size: 256
    .name:           _ZN12_GLOBAL__N_120geam_min_plus_kernelIdddLi4ELi64ELi128ELi128ELi4ELi4ELi64ELi64ELi4ELc84ELc84ELb0ELb1ELb0EPKdS1_dEEviiiT16_PT17_ilS5_ilS3_S5_ilPT18_ili26rocblas_geam_ex_operation_
    .private_segment_fixed_size: 0
    .sgpr_count:     88
    .sgpr_spill_count: 0
    .symbol:         _ZN12_GLOBAL__N_120geam_min_plus_kernelIdddLi4ELi64ELi128ELi128ELi4ELi4ELi64ELi64ELi4ELc84ELc84ELb0ELb1ELb0EPKdS1_dEEviiiT16_PT17_ilS5_ilS3_S5_ilPT18_ili26rocblas_geam_ex_operation_.kd
    .uniform_work_group_size: 1
    .uses_dynamic_stack: false
    .vgpr_count:     254
    .vgpr_spill_count: 0
    .wavefront_size: 64
  - .agpr_count:     0
    .args:
      - .offset:         0
        .size:           4
        .value_kind:     by_value
      - .offset:         4
        .size:           4
        .value_kind:     by_value
      - .offset:         8
        .size:           4
        .value_kind:     by_value
      - .offset:         16
        .size:           8
        .value_kind:     by_value
      - .address_space:  global
        .offset:         24
        .size:           8
        .value_kind:     global_buffer
      - .offset:         32
        .size:           4
        .value_kind:     by_value
      - .offset:         40
        .size:           8
        .value_kind:     by_value
      - .address_space:  global
        .offset:         48
        .size:           8
        .value_kind:     global_buffer
      - .offset:         56
        .size:           4
        .value_kind:     by_value
      - .offset:         64
        .size:           8
        .value_kind:     by_value
      - .offset:         72
        .size:           8
        .value_kind:     by_value
      - .address_space:  global
        .offset:         80
        .size:           8
        .value_kind:     global_buffer
      - .offset:         88
        .size:           4
        .value_kind:     by_value
      - .offset:         96
        .size:           8
        .value_kind:     by_value
      - .address_space:  global
        .offset:         104
        .size:           8
        .value_kind:     global_buffer
      - .offset:         112
        .size:           4
        .value_kind:     by_value
      - .offset:         120
        .size:           8
        .value_kind:     by_value
      - .offset:         128
        .size:           4
        .value_kind:     by_value
      - .offset:         132
        .size:           4
        .value_kind:     by_value
    .group_segment_fixed_size: 16384
    .kernarg_segment_align: 8
    .kernarg_segment_size: 136
    .language:       OpenCL C
    .language_version:
      - 2
      - 0
    .max_flat_workgroup_size: 256
    .name:           _ZN12_GLOBAL__N_120geam_min_plus_kernelIdddLi4ELi64ELi128ELi128ELi4ELi4ELi64ELi64ELi4ELc84ELc84ELb1ELb1ELb0EdKddEEviiiT16_PT17_ilS4_ilS2_S4_ilPT18_ili26rocblas_geam_ex_operation_
    .private_segment_fixed_size: 0
    .sgpr_count:     88
    .sgpr_spill_count: 0
    .symbol:         _ZN12_GLOBAL__N_120geam_min_plus_kernelIdddLi4ELi64ELi128ELi128ELi4ELi4ELi64ELi64ELi4ELc84ELc84ELb1ELb1ELb0EdKddEEviiiT16_PT17_ilS4_ilS2_S4_ilPT18_ili26rocblas_geam_ex_operation_.kd
    .uniform_work_group_size: 1
    .uses_dynamic_stack: false
    .vgpr_count:     250
    .vgpr_spill_count: 0
    .wavefront_size: 64
  - .agpr_count:     0
    .args:
      - .offset:         0
        .size:           4
        .value_kind:     by_value
      - .offset:         4
        .size:           4
        .value_kind:     by_value
      - .offset:         8
        .size:           4
        .value_kind:     by_value
      - .offset:         16
        .size:           8
        .value_kind:     by_value
      - .address_space:  global
        .offset:         24
        .size:           8
        .value_kind:     global_buffer
      - .offset:         32
        .size:           4
        .value_kind:     by_value
      - .offset:         40
        .size:           8
        .value_kind:     by_value
      - .address_space:  global
        .offset:         48
        .size:           8
        .value_kind:     global_buffer
      - .offset:         56
        .size:           4
        .value_kind:     by_value
      - .offset:         64
        .size:           8
        .value_kind:     by_value
      - .offset:         72
        .size:           8
        .value_kind:     by_value
      - .address_space:  global
        .offset:         80
        .size:           8
        .value_kind:     global_buffer
      - .offset:         88
        .size:           4
        .value_kind:     by_value
      - .offset:         96
        .size:           8
        .value_kind:     by_value
      - .address_space:  global
        .offset:         104
        .size:           8
        .value_kind:     global_buffer
      - .offset:         112
        .size:           4
        .value_kind:     by_value
      - .offset:         120
        .size:           8
        .value_kind:     by_value
      - .offset:         128
        .size:           4
        .value_kind:     by_value
      - .offset:         132
        .size:           4
        .value_kind:     by_value
    .group_segment_fixed_size: 16384
    .kernarg_segment_align: 8
    .kernarg_segment_size: 136
    .language:       OpenCL C
    .language_version:
      - 2
      - 0
    .max_flat_workgroup_size: 256
    .name:           _ZN12_GLOBAL__N_120geam_min_plus_kernelIdddLi4ELi64ELi128ELi128ELi4ELi4ELi64ELi64ELi4ELc84ELc84ELb0ELb1ELb0EdKddEEviiiT16_PT17_ilS4_ilS2_S4_ilPT18_ili26rocblas_geam_ex_operation_
    .private_segment_fixed_size: 0
    .sgpr_count:     88
    .sgpr_spill_count: 0
    .symbol:         _ZN12_GLOBAL__N_120geam_min_plus_kernelIdddLi4ELi64ELi128ELi128ELi4ELi4ELi64ELi64ELi4ELc84ELc84ELb0ELb1ELb0EdKddEEviiiT16_PT17_ilS4_ilS2_S4_ilPT18_ili26rocblas_geam_ex_operation_.kd
    .uniform_work_group_size: 1
    .uses_dynamic_stack: false
    .vgpr_count:     254
    .vgpr_spill_count: 0
    .wavefront_size: 64
  - .agpr_count:     0
    .args:
      - .offset:         0
        .size:           4
        .value_kind:     by_value
      - .offset:         4
        .size:           4
        .value_kind:     by_value
      - .offset:         8
        .size:           2
        .value_kind:     by_value
      - .address_space:  global
        .offset:         16
        .size:           8
        .value_kind:     global_buffer
      - .offset:         24
        .size:           8
        .value_kind:     by_value
      - .offset:         32
        .size:           4
        .value_kind:     by_value
      - .offset:         40
        .size:           8
        .value_kind:     by_value
      - .address_space:  global
        .offset:         48
        .size:           8
        .value_kind:     global_buffer
      - .offset:         56
        .size:           8
        .value_kind:     by_value
      - .offset:         64
        .size:           4
        .value_kind:     by_value
      - .offset:         72
        .size:           8
        .value_kind:     by_value
    .group_segment_fixed_size: 0
    .kernarg_segment_align: 8
    .kernarg_segment_size: 80
    .language:       OpenCL C
    .language_version:
      - 2
      - 0
    .max_flat_workgroup_size: 1024
    .name:           _ZN12_GLOBAL__N_120geam_ex_scale_kernelILi32ELi32EDF16_DF16_PKPKDF16_PKPDF16_EEviiT2_T3_lilT4_lil
    .private_segment_fixed_size: 0
    .sgpr_count:     24
    .sgpr_spill_count: 0
    .symbol:         _ZN12_GLOBAL__N_120geam_ex_scale_kernelILi32ELi32EDF16_DF16_PKPKDF16_PKPDF16_EEviiT2_T3_lilT4_lil.kd
    .uniform_work_group_size: 1
    .uses_dynamic_stack: false
    .vgpr_count:     8
    .vgpr_spill_count: 0
    .wavefront_size: 64
  - .agpr_count:     0
    .args:
      - .offset:         0
        .size:           4
        .value_kind:     by_value
      - .offset:         4
        .size:           4
        .value_kind:     by_value
      - .address_space:  global
        .offset:         8
        .size:           8
        .value_kind:     global_buffer
      - .address_space:  global
        .offset:         16
        .size:           8
        .value_kind:     global_buffer
      - .offset:         24
        .size:           8
        .value_kind:     by_value
      - .offset:         32
        .size:           4
        .value_kind:     by_value
      - .offset:         40
        .size:           8
        .value_kind:     by_value
      - .address_space:  global
        .offset:         48
        .size:           8
        .value_kind:     global_buffer
      - .offset:         56
        .size:           8
        .value_kind:     by_value
      - .offset:         64
        .size:           4
        .value_kind:     by_value
      - .offset:         72
        .size:           8
        .value_kind:     by_value
    .group_segment_fixed_size: 0
    .kernarg_segment_align: 8
    .kernarg_segment_size: 80
    .language:       OpenCL C
    .language_version:
      - 2
      - 0
    .max_flat_workgroup_size: 1024
    .name:           _ZN12_GLOBAL__N_120geam_ex_scale_kernelILi32ELi32EDF16_PKDF16_PKS2_PKPDF16_EEviiT2_T3_lilT4_lil
    .private_segment_fixed_size: 0
    .sgpr_count:     22
    .sgpr_spill_count: 0
    .symbol:         _ZN12_GLOBAL__N_120geam_ex_scale_kernelILi32ELi32EDF16_PKDF16_PKS2_PKPDF16_EEviiT2_T3_lilT4_lil.kd
    .uniform_work_group_size: 1
    .uses_dynamic_stack: false
    .vgpr_count:     8
    .vgpr_spill_count: 0
    .wavefront_size: 64
  - .agpr_count:     0
    .args:
      - .offset:         0
        .size:           4
        .value_kind:     by_value
      - .offset:         4
        .size:           4
        .value_kind:     by_value
      - .offset:         8
        .size:           2
        .value_kind:     by_value
      - .address_space:  global
        .offset:         16
        .size:           8
        .value_kind:     global_buffer
      - .offset:         24
        .size:           8
        .value_kind:     by_value
      - .offset:         32
        .size:           4
        .value_kind:     by_value
      - .offset:         40
        .size:           8
        .value_kind:     by_value
      - .address_space:  global
        .offset:         48
        .size:           8
        .value_kind:     global_buffer
      - .offset:         56
        .size:           8
        .value_kind:     by_value
      - .offset:         64
        .size:           4
        .value_kind:     by_value
      - .offset:         72
        .size:           8
        .value_kind:     by_value
    .group_segment_fixed_size: 0
    .kernarg_segment_align: 8
    .kernarg_segment_size: 80
    .language:       OpenCL C
    .language_version:
      - 2
      - 0
    .max_flat_workgroup_size: 1024
    .name:           _ZN12_GLOBAL__N_120geam_ex_round_kernelILi32ELi32EDF16_DF16_PKPKDF16_PKPDF16_EEviiT2_T3_lilT4_lil
    .private_segment_fixed_size: 0
    .sgpr_count:     24
    .sgpr_spill_count: 0
    .symbol:         _ZN12_GLOBAL__N_120geam_ex_round_kernelILi32ELi32EDF16_DF16_PKPKDF16_PKPDF16_EEviiT2_T3_lilT4_lil.kd
    .uniform_work_group_size: 1
    .uses_dynamic_stack: false
    .vgpr_count:     10
    .vgpr_spill_count: 0
    .wavefront_size: 64
  - .agpr_count:     0
    .args:
      - .offset:         0
        .size:           4
        .value_kind:     by_value
      - .offset:         4
        .size:           4
        .value_kind:     by_value
      - .offset:         8
        .size:           4
        .value_kind:     by_value
      - .address_space:  global
        .offset:         16
        .size:           8
        .value_kind:     global_buffer
      - .address_space:  global
        .offset:         24
        .size:           8
        .value_kind:     global_buffer
      - .offset:         32
        .size:           4
        .value_kind:     by_value
      - .offset:         40
        .size:           8
        .value_kind:     by_value
      - .address_space:  global
        .offset:         48
        .size:           8
        .value_kind:     global_buffer
      - .offset:         56
        .size:           4
        .value_kind:     by_value
      - .offset:         64
        .size:           8
        .value_kind:     by_value
      - .address_space:  global
        .offset:         72
        .size:           8
        .value_kind:     global_buffer
      - .address_space:  global
        .offset:         80
        .size:           8
        .value_kind:     global_buffer
      - .offset:         88
        .size:           4
        .value_kind:     by_value
      - .offset:         96
        .size:           8
        .value_kind:     by_value
      - .address_space:  global
        .offset:         104
        .size:           8
        .value_kind:     global_buffer
      - .offset:         112
        .size:           4
        .value_kind:     by_value
      - .offset:         120
        .size:           8
        .value_kind:     by_value
      - .offset:         128
        .size:           4
        .value_kind:     by_value
      - .offset:         132
        .size:           4
        .value_kind:     by_value
    .group_segment_fixed_size: 5120
    .kernarg_segment_align: 8
    .kernarg_segment_size: 136
    .language:       OpenCL C
    .language_version:
      - 2
      - 0
    .max_flat_workgroup_size: 256
    .name:           _ZN12_GLOBAL__N_120geam_min_plus_kernelIDF16_Dv2_DF16_S1_Li32ELi8ELi256ELi64ELi4ELi64ELi4ELi4ELi64ELc78ELc78ELb0ELb0ELb1EPKDF16_KS3_KPDF16_EEviiiT16_PT17_ilS9_ilS7_S9_ilPT18_ili26rocblas_geam_ex_operation_
    .private_segment_fixed_size: 0
    .sgpr_count:     32
    .sgpr_spill_count: 0
    .symbol:         _ZN12_GLOBAL__N_120geam_min_plus_kernelIDF16_Dv2_DF16_S1_Li32ELi8ELi256ELi64ELi4ELi64ELi4ELi4ELi64ELc78ELc78ELb0ELb0ELb1EPKDF16_KS3_KPDF16_EEviiiT16_PT17_ilS9_ilS7_S9_ilPT18_ili26rocblas_geam_ex_operation_.kd
    .uniform_work_group_size: 1
    .uses_dynamic_stack: false
    .vgpr_count:     166
    .vgpr_spill_count: 0
    .wavefront_size: 64
  - .agpr_count:     0
    .args:
      - .offset:         0
        .size:           4
        .value_kind:     by_value
      - .offset:         4
        .size:           4
        .value_kind:     by_value
      - .offset:         8
        .size:           4
        .value_kind:     by_value
      - .offset:         12
        .size:           2
        .value_kind:     by_value
      - .address_space:  global
        .offset:         16
        .size:           8
        .value_kind:     global_buffer
      - .offset:         24
        .size:           4
        .value_kind:     by_value
      - .offset:         32
        .size:           8
        .value_kind:     by_value
      - .address_space:  global
        .offset:         40
        .size:           8
        .value_kind:     global_buffer
      - .offset:         48
        .size:           4
        .value_kind:     by_value
      - .offset:         56
        .size:           8
        .value_kind:     by_value
      - .offset:         64
        .size:           2
        .value_kind:     by_value
      - .address_space:  global
        .offset:         72
        .size:           8
        .value_kind:     global_buffer
      - .offset:         80
        .size:           4
        .value_kind:     by_value
      - .offset:         88
        .size:           8
        .value_kind:     by_value
      - .address_space:  global
        .offset:         96
        .size:           8
        .value_kind:     global_buffer
      - .offset:         104
        .size:           4
        .value_kind:     by_value
      - .offset:         112
        .size:           8
        .value_kind:     by_value
      - .offset:         120
        .size:           4
        .value_kind:     by_value
      - .offset:         124
        .size:           4
        .value_kind:     by_value
    .group_segment_fixed_size: 5120
    .kernarg_segment_align: 8
    .kernarg_segment_size: 128
    .language:       OpenCL C
    .language_version:
      - 2
      - 0
    .max_flat_workgroup_size: 256
    .name:           _ZN12_GLOBAL__N_120geam_min_plus_kernelIDF16_Dv2_DF16_S1_Li32ELi8ELi256ELi64ELi4ELi64ELi4ELi4ELi64ELc78ELc78ELb1ELb0ELb1EDF16_KPKDF16_KPDF16_EEviiiT16_PT17_ilS9_ilS7_S9_ilPT18_ili26rocblas_geam_ex_operation_
    .private_segment_fixed_size: 0
    .sgpr_count:     28
    .sgpr_spill_count: 0
    .symbol:         _ZN12_GLOBAL__N_120geam_min_plus_kernelIDF16_Dv2_DF16_S1_Li32ELi8ELi256ELi64ELi4ELi64ELi4ELi4ELi64ELc78ELc78ELb1ELb0ELb1EDF16_KPKDF16_KPDF16_EEviiiT16_PT17_ilS9_ilS7_S9_ilPT18_ili26rocblas_geam_ex_operation_.kd
    .uniform_work_group_size: 1
    .uses_dynamic_stack: false
    .vgpr_count:     122
    .vgpr_spill_count: 0
    .wavefront_size: 64
  - .agpr_count:     0
    .args:
      - .offset:         0
        .size:           4
        .value_kind:     by_value
      - .offset:         4
        .size:           4
        .value_kind:     by_value
      - .offset:         8
        .size:           4
        .value_kind:     by_value
      - .offset:         12
        .size:           2
        .value_kind:     by_value
      - .address_space:  global
        .offset:         16
        .size:           8
        .value_kind:     global_buffer
      - .offset:         24
        .size:           4
        .value_kind:     by_value
      - .offset:         32
        .size:           8
        .value_kind:     by_value
      - .address_space:  global
        .offset:         40
        .size:           8
        .value_kind:     global_buffer
      - .offset:         48
        .size:           4
        .value_kind:     by_value
      - .offset:         56
        .size:           8
        .value_kind:     by_value
      - .offset:         64
        .size:           2
        .value_kind:     by_value
      - .address_space:  global
        .offset:         72
        .size:           8
        .value_kind:     global_buffer
      - .offset:         80
        .size:           4
        .value_kind:     by_value
      - .offset:         88
        .size:           8
        .value_kind:     by_value
      - .address_space:  global
        .offset:         96
        .size:           8
        .value_kind:     global_buffer
      - .offset:         104
        .size:           4
        .value_kind:     by_value
      - .offset:         112
        .size:           8
        .value_kind:     by_value
      - .offset:         120
        .size:           4
        .value_kind:     by_value
      - .offset:         124
        .size:           4
        .value_kind:     by_value
    .group_segment_fixed_size: 5120
    .kernarg_segment_align: 8
    .kernarg_segment_size: 128
    .language:       OpenCL C
    .language_version:
      - 2
      - 0
    .max_flat_workgroup_size: 256
    .name:           _ZN12_GLOBAL__N_120geam_min_plus_kernelIDF16_Dv2_DF16_S1_Li32ELi8ELi256ELi64ELi4ELi64ELi4ELi4ELi64ELc78ELc78ELb0ELb0ELb1EDF16_KPKDF16_KPDF16_EEviiiT16_PT17_ilS9_ilS7_S9_ilPT18_ili26rocblas_geam_ex_operation_
    .private_segment_fixed_size: 0
    .sgpr_count:     34
    .sgpr_spill_count: 0
    .symbol:         _ZN12_GLOBAL__N_120geam_min_plus_kernelIDF16_Dv2_DF16_S1_Li32ELi8ELi256ELi64ELi4ELi64ELi4ELi4ELi64ELc78ELc78ELb0ELb0ELb1EDF16_KPKDF16_KPDF16_EEviiiT16_PT17_ilS9_ilS7_S9_ilPT18_ili26rocblas_geam_ex_operation_.kd
    .uniform_work_group_size: 1
    .uses_dynamic_stack: false
    .vgpr_count:     164
    .vgpr_spill_count: 0
    .wavefront_size: 64
  - .agpr_count:     0
    .args:
      - .offset:         0
        .size:           4
        .value_kind:     by_value
      - .offset:         4
        .size:           4
        .value_kind:     by_value
      - .offset:         8
        .size:           4
        .value_kind:     by_value
      - .address_space:  global
        .offset:         16
        .size:           8
        .value_kind:     global_buffer
      - .address_space:  global
        .offset:         24
        .size:           8
        .value_kind:     global_buffer
      - .offset:         32
        .size:           4
        .value_kind:     by_value
      - .offset:         40
        .size:           8
        .value_kind:     by_value
      - .address_space:  global
        .offset:         48
        .size:           8
        .value_kind:     global_buffer
      - .offset:         56
        .size:           4
        .value_kind:     by_value
      - .offset:         64
        .size:           8
        .value_kind:     by_value
      - .address_space:  global
        .offset:         72
        .size:           8
        .value_kind:     global_buffer
      - .address_space:  global
        .offset:         80
        .size:           8
        .value_kind:     global_buffer
      - .offset:         88
        .size:           4
        .value_kind:     by_value
      - .offset:         96
        .size:           8
        .value_kind:     by_value
      - .address_space:  global
        .offset:         104
        .size:           8
        .value_kind:     global_buffer
      - .offset:         112
        .size:           4
        .value_kind:     by_value
      - .offset:         120
        .size:           8
        .value_kind:     by_value
      - .offset:         128
        .size:           4
        .value_kind:     by_value
      - .offset:         132
        .size:           4
        .value_kind:     by_value
    .group_segment_fixed_size: 5120
    .kernarg_segment_align: 8
    .kernarg_segment_size: 136
    .language:       OpenCL C
    .language_version:
      - 2
      - 0
    .max_flat_workgroup_size: 256
    .name:           _ZN12_GLOBAL__N_120geam_min_plus_kernelIDF16_Dv2_DF16_S1_Li32ELi8ELi256ELi64ELi4ELi64ELi4ELi4ELi64ELc78ELc78ELb0ELb1ELb1EPKDF16_KS3_KPDF16_EEviiiT16_PT17_ilS9_ilS7_S9_ilPT18_ili26rocblas_geam_ex_operation_
    .private_segment_fixed_size: 0
    .sgpr_count:     44
    .sgpr_spill_count: 0
    .symbol:         _ZN12_GLOBAL__N_120geam_min_plus_kernelIDF16_Dv2_DF16_S1_Li32ELi8ELi256ELi64ELi4ELi64ELi4ELi4ELi64ELc78ELc78ELb0ELb1ELb1EPKDF16_KS3_KPDF16_EEviiiT16_PT17_ilS9_ilS7_S9_ilPT18_ili26rocblas_geam_ex_operation_.kd
    .uniform_work_group_size: 1
    .uses_dynamic_stack: false
    .vgpr_count:     171
    .vgpr_spill_count: 0
    .wavefront_size: 64
  - .agpr_count:     0
    .args:
      - .offset:         0
        .size:           4
        .value_kind:     by_value
      - .offset:         4
        .size:           4
        .value_kind:     by_value
      - .offset:         8
        .size:           4
        .value_kind:     by_value
      - .offset:         12
        .size:           2
        .value_kind:     by_value
      - .address_space:  global
        .offset:         16
        .size:           8
        .value_kind:     global_buffer
      - .offset:         24
        .size:           4
        .value_kind:     by_value
      - .offset:         32
        .size:           8
        .value_kind:     by_value
      - .address_space:  global
        .offset:         40
        .size:           8
        .value_kind:     global_buffer
      - .offset:         48
        .size:           4
        .value_kind:     by_value
      - .offset:         56
        .size:           8
        .value_kind:     by_value
      - .offset:         64
        .size:           2
        .value_kind:     by_value
      - .address_space:  global
        .offset:         72
        .size:           8
        .value_kind:     global_buffer
      - .offset:         80
        .size:           4
        .value_kind:     by_value
      - .offset:         88
        .size:           8
        .value_kind:     by_value
      - .address_space:  global
        .offset:         96
        .size:           8
        .value_kind:     global_buffer
      - .offset:         104
        .size:           4
        .value_kind:     by_value
      - .offset:         112
        .size:           8
        .value_kind:     by_value
      - .offset:         120
        .size:           4
        .value_kind:     by_value
      - .offset:         124
        .size:           4
        .value_kind:     by_value
    .group_segment_fixed_size: 5120
    .kernarg_segment_align: 8
    .kernarg_segment_size: 128
    .language:       OpenCL C
    .language_version:
      - 2
      - 0
    .max_flat_workgroup_size: 256
    .name:           _ZN12_GLOBAL__N_120geam_min_plus_kernelIDF16_Dv2_DF16_S1_Li32ELi8ELi256ELi64ELi4ELi64ELi4ELi4ELi64ELc78ELc78ELb1ELb1ELb1EDF16_KPKDF16_KPDF16_EEviiiT16_PT17_ilS9_ilS7_S9_ilPT18_ili26rocblas_geam_ex_operation_
    .private_segment_fixed_size: 0
    .sgpr_count:     42
    .sgpr_spill_count: 0
    .symbol:         _ZN12_GLOBAL__N_120geam_min_plus_kernelIDF16_Dv2_DF16_S1_Li32ELi8ELi256ELi64ELi4ELi64ELi4ELi4ELi64ELc78ELc78ELb1ELb1ELb1EDF16_KPKDF16_KPDF16_EEviiiT16_PT17_ilS9_ilS7_S9_ilPT18_ili26rocblas_geam_ex_operation_.kd
    .uniform_work_group_size: 1
    .uses_dynamic_stack: false
    .vgpr_count:     166
    .vgpr_spill_count: 0
    .wavefront_size: 64
  - .agpr_count:     0
    .args:
      - .offset:         0
        .size:           4
        .value_kind:     by_value
      - .offset:         4
        .size:           4
        .value_kind:     by_value
      - .offset:         8
        .size:           4
        .value_kind:     by_value
      - .offset:         12
        .size:           2
        .value_kind:     by_value
      - .address_space:  global
        .offset:         16
        .size:           8
        .value_kind:     global_buffer
      - .offset:         24
        .size:           4
        .value_kind:     by_value
      - .offset:         32
        .size:           8
        .value_kind:     by_value
      - .address_space:  global
        .offset:         40
        .size:           8
        .value_kind:     global_buffer
      - .offset:         48
        .size:           4
        .value_kind:     by_value
      - .offset:         56
        .size:           8
        .value_kind:     by_value
      - .offset:         64
        .size:           2
        .value_kind:     by_value
      - .address_space:  global
        .offset:         72
        .size:           8
        .value_kind:     global_buffer
      - .offset:         80
        .size:           4
        .value_kind:     by_value
      - .offset:         88
        .size:           8
        .value_kind:     by_value
      - .address_space:  global
        .offset:         96
        .size:           8
        .value_kind:     global_buffer
      - .offset:         104
        .size:           4
        .value_kind:     by_value
      - .offset:         112
        .size:           8
        .value_kind:     by_value
      - .offset:         120
        .size:           4
        .value_kind:     by_value
      - .offset:         124
        .size:           4
        .value_kind:     by_value
    .group_segment_fixed_size: 5120
    .kernarg_segment_align: 8
    .kernarg_segment_size: 128
    .language:       OpenCL C
    .language_version:
      - 2
      - 0
    .max_flat_workgroup_size: 256
    .name:           _ZN12_GLOBAL__N_120geam_min_plus_kernelIDF16_Dv2_DF16_S1_Li32ELi8ELi256ELi64ELi4ELi64ELi4ELi4ELi64ELc78ELc78ELb0ELb1ELb1EDF16_KPKDF16_KPDF16_EEviiiT16_PT17_ilS9_ilS7_S9_ilPT18_ili26rocblas_geam_ex_operation_
    .private_segment_fixed_size: 0
    .sgpr_count:     46
    .sgpr_spill_count: 0
    .symbol:         _ZN12_GLOBAL__N_120geam_min_plus_kernelIDF16_Dv2_DF16_S1_Li32ELi8ELi256ELi64ELi4ELi64ELi4ELi4ELi64ELc78ELc78ELb0ELb1ELb1EDF16_KPKDF16_KPDF16_EEviiiT16_PT17_ilS9_ilS7_S9_ilPT18_ili26rocblas_geam_ex_operation_.kd
    .uniform_work_group_size: 1
    .uses_dynamic_stack: false
    .vgpr_count:     169
    .vgpr_spill_count: 0
    .wavefront_size: 64
  - .agpr_count:     0
    .args:
      - .offset:         0
        .size:           4
        .value_kind:     by_value
      - .offset:         4
        .size:           4
        .value_kind:     by_value
      - .offset:         8
        .size:           4
        .value_kind:     by_value
      - .address_space:  global
        .offset:         16
        .size:           8
        .value_kind:     global_buffer
      - .address_space:  global
        .offset:         24
        .size:           8
        .value_kind:     global_buffer
      - .offset:         32
        .size:           4
        .value_kind:     by_value
      - .offset:         40
        .size:           8
        .value_kind:     by_value
      - .address_space:  global
        .offset:         48
        .size:           8
        .value_kind:     global_buffer
      - .offset:         56
        .size:           4
        .value_kind:     by_value
      - .offset:         64
        .size:           8
        .value_kind:     by_value
      - .address_space:  global
        .offset:         72
        .size:           8
        .value_kind:     global_buffer
      - .address_space:  global
        .offset:         80
        .size:           8
        .value_kind:     global_buffer
      - .offset:         88
        .size:           4
        .value_kind:     by_value
      - .offset:         96
        .size:           8
        .value_kind:     by_value
      - .address_space:  global
        .offset:         104
        .size:           8
        .value_kind:     global_buffer
      - .offset:         112
        .size:           4
        .value_kind:     by_value
      - .offset:         120
        .size:           8
        .value_kind:     by_value
      - .offset:         128
        .size:           4
        .value_kind:     by_value
      - .offset:         132
        .size:           4
        .value_kind:     by_value
    .group_segment_fixed_size: 4096
    .kernarg_segment_align: 8
    .kernarg_segment_size: 136
    .language:       OpenCL C
    .language_version:
      - 2
      - 0
    .max_flat_workgroup_size: 256
    .name:           _ZN12_GLOBAL__N_120geam_min_plus_kernelIDF16_Dv2_DF16_S1_Li32ELi8ELi128ELi128ELi4ELi4ELi64ELi4ELi64ELc84ELc78ELb0ELb0ELb1EPKDF16_KS3_KPDF16_EEviiiT16_PT17_ilS9_ilS7_S9_ilPT18_ili26rocblas_geam_ex_operation_
    .private_segment_fixed_size: 0
    .sgpr_count:     32
    .sgpr_spill_count: 0
    .symbol:         _ZN12_GLOBAL__N_120geam_min_plus_kernelIDF16_Dv2_DF16_S1_Li32ELi8ELi128ELi128ELi4ELi4ELi64ELi4ELi64ELc84ELc78ELb0ELb0ELb1EPKDF16_KS3_KPDF16_EEviiiT16_PT17_ilS9_ilS7_S9_ilPT18_ili26rocblas_geam_ex_operation_.kd
    .uniform_work_group_size: 1
    .uses_dynamic_stack: false
    .vgpr_count:     170
    .vgpr_spill_count: 0
    .wavefront_size: 64
  - .agpr_count:     0
    .args:
      - .offset:         0
        .size:           4
        .value_kind:     by_value
      - .offset:         4
        .size:           4
        .value_kind:     by_value
      - .offset:         8
        .size:           4
        .value_kind:     by_value
      - .offset:         12
        .size:           2
        .value_kind:     by_value
      - .address_space:  global
        .offset:         16
        .size:           8
        .value_kind:     global_buffer
      - .offset:         24
        .size:           4
        .value_kind:     by_value
      - .offset:         32
        .size:           8
        .value_kind:     by_value
      - .address_space:  global
        .offset:         40
        .size:           8
        .value_kind:     global_buffer
      - .offset:         48
        .size:           4
        .value_kind:     by_value
      - .offset:         56
        .size:           8
        .value_kind:     by_value
      - .offset:         64
        .size:           2
        .value_kind:     by_value
      - .address_space:  global
        .offset:         72
        .size:           8
        .value_kind:     global_buffer
      - .offset:         80
        .size:           4
        .value_kind:     by_value
      - .offset:         88
        .size:           8
        .value_kind:     by_value
      - .address_space:  global
        .offset:         96
        .size:           8
        .value_kind:     global_buffer
      - .offset:         104
        .size:           4
        .value_kind:     by_value
      - .offset:         112
        .size:           8
        .value_kind:     by_value
      - .offset:         120
        .size:           4
        .value_kind:     by_value
      - .offset:         124
        .size:           4
        .value_kind:     by_value
    .group_segment_fixed_size: 4096
    .kernarg_segment_align: 8
    .kernarg_segment_size: 128
    .language:       OpenCL C
    .language_version:
      - 2
      - 0
    .max_flat_workgroup_size: 256
    .name:           _ZN12_GLOBAL__N_120geam_min_plus_kernelIDF16_Dv2_DF16_S1_Li32ELi8ELi128ELi128ELi4ELi4ELi64ELi4ELi64ELc84ELc78ELb1ELb0ELb1EDF16_KPKDF16_KPDF16_EEviiiT16_PT17_ilS9_ilS7_S9_ilPT18_ili26rocblas_geam_ex_operation_
    .private_segment_fixed_size: 0
    .sgpr_count:     28
    .sgpr_spill_count: 0
    .symbol:         _ZN12_GLOBAL__N_120geam_min_plus_kernelIDF16_Dv2_DF16_S1_Li32ELi8ELi128ELi128ELi4ELi4ELi64ELi4ELi64ELc84ELc78ELb1ELb0ELb1EDF16_KPKDF16_KPDF16_EEviiiT16_PT17_ilS9_ilS7_S9_ilPT18_ili26rocblas_geam_ex_operation_.kd
    .uniform_work_group_size: 1
    .uses_dynamic_stack: false
    .vgpr_count:     137
    .vgpr_spill_count: 0
    .wavefront_size: 64
  - .agpr_count:     0
    .args:
      - .offset:         0
        .size:           4
        .value_kind:     by_value
      - .offset:         4
        .size:           4
        .value_kind:     by_value
      - .offset:         8
        .size:           4
        .value_kind:     by_value
      - .offset:         12
        .size:           2
        .value_kind:     by_value
      - .address_space:  global
        .offset:         16
        .size:           8
        .value_kind:     global_buffer
      - .offset:         24
        .size:           4
        .value_kind:     by_value
      - .offset:         32
        .size:           8
        .value_kind:     by_value
      - .address_space:  global
        .offset:         40
        .size:           8
        .value_kind:     global_buffer
      - .offset:         48
        .size:           4
        .value_kind:     by_value
      - .offset:         56
        .size:           8
        .value_kind:     by_value
      - .offset:         64
        .size:           2
        .value_kind:     by_value
      - .address_space:  global
        .offset:         72
        .size:           8
        .value_kind:     global_buffer
      - .offset:         80
        .size:           4
        .value_kind:     by_value
      - .offset:         88
        .size:           8
        .value_kind:     by_value
      - .address_space:  global
        .offset:         96
        .size:           8
        .value_kind:     global_buffer
      - .offset:         104
        .size:           4
        .value_kind:     by_value
      - .offset:         112
        .size:           8
        .value_kind:     by_value
      - .offset:         120
        .size:           4
        .value_kind:     by_value
      - .offset:         124
        .size:           4
        .value_kind:     by_value
    .group_segment_fixed_size: 4096
    .kernarg_segment_align: 8
    .kernarg_segment_size: 128
    .language:       OpenCL C
    .language_version:
      - 2
      - 0
    .max_flat_workgroup_size: 256
    .name:           _ZN12_GLOBAL__N_120geam_min_plus_kernelIDF16_Dv2_DF16_S1_Li32ELi8ELi128ELi128ELi4ELi4ELi64ELi4ELi64ELc84ELc78ELb0ELb0ELb1EDF16_KPKDF16_KPDF16_EEviiiT16_PT17_ilS9_ilS7_S9_ilPT18_ili26rocblas_geam_ex_operation_
    .private_segment_fixed_size: 0
    .sgpr_count:     32
    .sgpr_spill_count: 0
    .symbol:         _ZN12_GLOBAL__N_120geam_min_plus_kernelIDF16_Dv2_DF16_S1_Li32ELi8ELi128ELi128ELi4ELi4ELi64ELi4ELi64ELc84ELc78ELb0ELb0ELb1EDF16_KPKDF16_KPDF16_EEviiiT16_PT17_ilS9_ilS7_S9_ilPT18_ili26rocblas_geam_ex_operation_.kd
    .uniform_work_group_size: 1
    .uses_dynamic_stack: false
    .vgpr_count:     168
    .vgpr_spill_count: 0
    .wavefront_size: 64
  - .agpr_count:     0
    .args:
      - .offset:         0
        .size:           4
        .value_kind:     by_value
      - .offset:         4
        .size:           4
        .value_kind:     by_value
      - .offset:         8
        .size:           4
        .value_kind:     by_value
      - .address_space:  global
        .offset:         16
        .size:           8
        .value_kind:     global_buffer
      - .address_space:  global
        .offset:         24
        .size:           8
        .value_kind:     global_buffer
      - .offset:         32
        .size:           4
        .value_kind:     by_value
      - .offset:         40
        .size:           8
        .value_kind:     by_value
      - .address_space:  global
        .offset:         48
        .size:           8
        .value_kind:     global_buffer
      - .offset:         56
        .size:           4
        .value_kind:     by_value
      - .offset:         64
        .size:           8
        .value_kind:     by_value
      - .address_space:  global
        .offset:         72
        .size:           8
        .value_kind:     global_buffer
      - .address_space:  global
        .offset:         80
        .size:           8
        .value_kind:     global_buffer
      - .offset:         88
        .size:           4
        .value_kind:     by_value
      - .offset:         96
        .size:           8
        .value_kind:     by_value
      - .address_space:  global
        .offset:         104
        .size:           8
        .value_kind:     global_buffer
      - .offset:         112
        .size:           4
        .value_kind:     by_value
      - .offset:         120
        .size:           8
        .value_kind:     by_value
      - .offset:         128
        .size:           4
        .value_kind:     by_value
      - .offset:         132
        .size:           4
        .value_kind:     by_value
    .group_segment_fixed_size: 4096
    .kernarg_segment_align: 8
    .kernarg_segment_size: 136
    .language:       OpenCL C
    .language_version:
      - 2
      - 0
    .max_flat_workgroup_size: 256
    .name:           _ZN12_GLOBAL__N_120geam_min_plus_kernelIDF16_Dv2_DF16_S1_Li32ELi8ELi128ELi128ELi4ELi4ELi64ELi4ELi64ELc84ELc78ELb0ELb1ELb1EPKDF16_KS3_KPDF16_EEviiiT16_PT17_ilS9_ilS7_S9_ilPT18_ili26rocblas_geam_ex_operation_
    .private_segment_fixed_size: 0
    .sgpr_count:     42
    .sgpr_spill_count: 0
    .symbol:         _ZN12_GLOBAL__N_120geam_min_plus_kernelIDF16_Dv2_DF16_S1_Li32ELi8ELi128ELi128ELi4ELi4ELi64ELi4ELi64ELc84ELc78ELb0ELb1ELb1EPKDF16_KS3_KPDF16_EEviiiT16_PT17_ilS9_ilS7_S9_ilPT18_ili26rocblas_geam_ex_operation_.kd
    .uniform_work_group_size: 1
    .uses_dynamic_stack: false
    .vgpr_count:     169
    .vgpr_spill_count: 0
    .wavefront_size: 64
  - .agpr_count:     0
    .args:
      - .offset:         0
        .size:           4
        .value_kind:     by_value
      - .offset:         4
        .size:           4
        .value_kind:     by_value
      - .offset:         8
        .size:           4
        .value_kind:     by_value
      - .offset:         12
        .size:           2
        .value_kind:     by_value
      - .address_space:  global
        .offset:         16
        .size:           8
        .value_kind:     global_buffer
      - .offset:         24
        .size:           4
        .value_kind:     by_value
      - .offset:         32
        .size:           8
        .value_kind:     by_value
      - .address_space:  global
        .offset:         40
        .size:           8
        .value_kind:     global_buffer
      - .offset:         48
        .size:           4
        .value_kind:     by_value
      - .offset:         56
        .size:           8
        .value_kind:     by_value
      - .offset:         64
        .size:           2
        .value_kind:     by_value
      - .address_space:  global
        .offset:         72
        .size:           8
        .value_kind:     global_buffer
      - .offset:         80
        .size:           4
        .value_kind:     by_value
      - .offset:         88
        .size:           8
        .value_kind:     by_value
      - .address_space:  global
        .offset:         96
        .size:           8
        .value_kind:     global_buffer
      - .offset:         104
        .size:           4
        .value_kind:     by_value
      - .offset:         112
        .size:           8
        .value_kind:     by_value
      - .offset:         120
        .size:           4
        .value_kind:     by_value
      - .offset:         124
        .size:           4
        .value_kind:     by_value
    .group_segment_fixed_size: 4096
    .kernarg_segment_align: 8
    .kernarg_segment_size: 128
    .language:       OpenCL C
    .language_version:
      - 2
      - 0
    .max_flat_workgroup_size: 256
    .name:           _ZN12_GLOBAL__N_120geam_min_plus_kernelIDF16_Dv2_DF16_S1_Li32ELi8ELi128ELi128ELi4ELi4ELi64ELi4ELi64ELc84ELc78ELb1ELb1ELb1EDF16_KPKDF16_KPDF16_EEviiiT16_PT17_ilS9_ilS7_S9_ilPT18_ili26rocblas_geam_ex_operation_
    .private_segment_fixed_size: 0
    .sgpr_count:     42
    .sgpr_spill_count: 0
    .symbol:         _ZN12_GLOBAL__N_120geam_min_plus_kernelIDF16_Dv2_DF16_S1_Li32ELi8ELi128ELi128ELi4ELi4ELi64ELi4ELi64ELc84ELc78ELb1ELb1ELb1EDF16_KPKDF16_KPDF16_EEviiiT16_PT17_ilS9_ilS7_S9_ilPT18_ili26rocblas_geam_ex_operation_.kd
    .uniform_work_group_size: 1
    .uses_dynamic_stack: false
    .vgpr_count:     165
    .vgpr_spill_count: 0
    .wavefront_size: 64
  - .agpr_count:     0
    .args:
      - .offset:         0
        .size:           4
        .value_kind:     by_value
      - .offset:         4
        .size:           4
        .value_kind:     by_value
      - .offset:         8
        .size:           4
        .value_kind:     by_value
      - .offset:         12
        .size:           2
        .value_kind:     by_value
      - .address_space:  global
        .offset:         16
        .size:           8
        .value_kind:     global_buffer
      - .offset:         24
        .size:           4
        .value_kind:     by_value
      - .offset:         32
        .size:           8
        .value_kind:     by_value
      - .address_space:  global
        .offset:         40
        .size:           8
        .value_kind:     global_buffer
      - .offset:         48
        .size:           4
        .value_kind:     by_value
      - .offset:         56
        .size:           8
        .value_kind:     by_value
      - .offset:         64
        .size:           2
        .value_kind:     by_value
      - .address_space:  global
        .offset:         72
        .size:           8
        .value_kind:     global_buffer
      - .offset:         80
        .size:           4
        .value_kind:     by_value
      - .offset:         88
        .size:           8
        .value_kind:     by_value
      - .address_space:  global
        .offset:         96
        .size:           8
        .value_kind:     global_buffer
      - .offset:         104
        .size:           4
        .value_kind:     by_value
      - .offset:         112
        .size:           8
        .value_kind:     by_value
      - .offset:         120
        .size:           4
        .value_kind:     by_value
      - .offset:         124
        .size:           4
        .value_kind:     by_value
    .group_segment_fixed_size: 4096
    .kernarg_segment_align: 8
    .kernarg_segment_size: 128
    .language:       OpenCL C
    .language_version:
      - 2
      - 0
    .max_flat_workgroup_size: 256
    .name:           _ZN12_GLOBAL__N_120geam_min_plus_kernelIDF16_Dv2_DF16_S1_Li32ELi8ELi128ELi128ELi4ELi4ELi64ELi4ELi64ELc84ELc78ELb0ELb1ELb1EDF16_KPKDF16_KPDF16_EEviiiT16_PT17_ilS9_ilS7_S9_ilPT18_ili26rocblas_geam_ex_operation_
    .private_segment_fixed_size: 0
    .sgpr_count:     44
    .sgpr_spill_count: 0
    .symbol:         _ZN12_GLOBAL__N_120geam_min_plus_kernelIDF16_Dv2_DF16_S1_Li32ELi8ELi128ELi128ELi4ELi4ELi64ELi4ELi64ELc84ELc78ELb0ELb1ELb1EDF16_KPKDF16_KPDF16_EEviiiT16_PT17_ilS9_ilS7_S9_ilPT18_ili26rocblas_geam_ex_operation_.kd
    .uniform_work_group_size: 1
    .uses_dynamic_stack: false
    .vgpr_count:     167
    .vgpr_spill_count: 0
    .wavefront_size: 64
  - .agpr_count:     0
    .args:
      - .offset:         0
        .size:           4
        .value_kind:     by_value
      - .offset:         4
        .size:           4
        .value_kind:     by_value
      - .offset:         8
        .size:           4
        .value_kind:     by_value
      - .address_space:  global
        .offset:         16
        .size:           8
        .value_kind:     global_buffer
      - .address_space:  global
        .offset:         24
        .size:           8
        .value_kind:     global_buffer
      - .offset:         32
        .size:           4
        .value_kind:     by_value
      - .offset:         40
        .size:           8
        .value_kind:     by_value
      - .address_space:  global
        .offset:         48
        .size:           8
        .value_kind:     global_buffer
      - .offset:         56
        .size:           4
        .value_kind:     by_value
      - .offset:         64
        .size:           8
        .value_kind:     by_value
      - .address_space:  global
        .offset:         72
        .size:           8
        .value_kind:     global_buffer
      - .address_space:  global
        .offset:         80
        .size:           8
        .value_kind:     global_buffer
      - .offset:         88
        .size:           4
        .value_kind:     by_value
      - .offset:         96
        .size:           8
        .value_kind:     by_value
      - .address_space:  global
        .offset:         104
        .size:           8
        .value_kind:     global_buffer
      - .offset:         112
        .size:           4
        .value_kind:     by_value
      - .offset:         120
        .size:           8
        .value_kind:     by_value
      - .offset:         128
        .size:           4
        .value_kind:     by_value
      - .offset:         132
        .size:           4
        .value_kind:     by_value
    .group_segment_fixed_size: 5120
    .kernarg_segment_align: 8
    .kernarg_segment_size: 136
    .language:       OpenCL C
    .language_version:
      - 2
      - 0
    .max_flat_workgroup_size: 256
    .name:           _ZN12_GLOBAL__N_120geam_min_plus_kernelIDF16_Dv2_DF16_S1_Li8ELi32ELi64ELi256ELi4ELi64ELi4ELi64ELi4ELc78ELc84ELb0ELb0ELb1EPKDF16_KS3_KPDF16_EEviiiT16_PT17_ilS9_ilS7_S9_ilPT18_ili26rocblas_geam_ex_operation_
    .private_segment_fixed_size: 0
    .sgpr_count:     34
    .sgpr_spill_count: 0
    .symbol:         _ZN12_GLOBAL__N_120geam_min_plus_kernelIDF16_Dv2_DF16_S1_Li8ELi32ELi64ELi256ELi4ELi64ELi4ELi64ELi4ELc78ELc84ELb0ELb0ELb1EPKDF16_KS3_KPDF16_EEviiiT16_PT17_ilS9_ilS7_S9_ilPT18_ili26rocblas_geam_ex_operation_.kd
    .uniform_work_group_size: 1
    .uses_dynamic_stack: false
    .vgpr_count:     173
    .vgpr_spill_count: 0
    .wavefront_size: 64
  - .agpr_count:     0
    .args:
      - .offset:         0
        .size:           4
        .value_kind:     by_value
      - .offset:         4
        .size:           4
        .value_kind:     by_value
      - .offset:         8
        .size:           4
        .value_kind:     by_value
      - .offset:         12
        .size:           2
        .value_kind:     by_value
      - .address_space:  global
        .offset:         16
        .size:           8
        .value_kind:     global_buffer
      - .offset:         24
        .size:           4
        .value_kind:     by_value
      - .offset:         32
        .size:           8
        .value_kind:     by_value
      - .address_space:  global
        .offset:         40
        .size:           8
        .value_kind:     global_buffer
      - .offset:         48
        .size:           4
        .value_kind:     by_value
      - .offset:         56
        .size:           8
        .value_kind:     by_value
      - .offset:         64
        .size:           2
        .value_kind:     by_value
      - .address_space:  global
        .offset:         72
        .size:           8
        .value_kind:     global_buffer
      - .offset:         80
        .size:           4
        .value_kind:     by_value
      - .offset:         88
        .size:           8
        .value_kind:     by_value
      - .address_space:  global
        .offset:         96
        .size:           8
        .value_kind:     global_buffer
      - .offset:         104
        .size:           4
        .value_kind:     by_value
      - .offset:         112
        .size:           8
        .value_kind:     by_value
      - .offset:         120
        .size:           4
        .value_kind:     by_value
      - .offset:         124
        .size:           4
        .value_kind:     by_value
    .group_segment_fixed_size: 5120
    .kernarg_segment_align: 8
    .kernarg_segment_size: 128
    .language:       OpenCL C
    .language_version:
      - 2
      - 0
    .max_flat_workgroup_size: 256
    .name:           _ZN12_GLOBAL__N_120geam_min_plus_kernelIDF16_Dv2_DF16_S1_Li8ELi32ELi64ELi256ELi4ELi64ELi4ELi64ELi4ELc78ELc84ELb1ELb0ELb1EDF16_KPKDF16_KPDF16_EEviiiT16_PT17_ilS9_ilS7_S9_ilPT18_ili26rocblas_geam_ex_operation_
    .private_segment_fixed_size: 0
    .sgpr_count:     30
    .sgpr_spill_count: 0
    .symbol:         _ZN12_GLOBAL__N_120geam_min_plus_kernelIDF16_Dv2_DF16_S1_Li8ELi32ELi64ELi256ELi4ELi64ELi4ELi64ELi4ELc78ELc84ELb1ELb0ELb1EDF16_KPKDF16_KPDF16_EEviiiT16_PT17_ilS9_ilS7_S9_ilPT18_ili26rocblas_geam_ex_operation_.kd
    .uniform_work_group_size: 1
    .uses_dynamic_stack: false
    .vgpr_count:     126
    .vgpr_spill_count: 0
    .wavefront_size: 64
  - .agpr_count:     0
    .args:
      - .offset:         0
        .size:           4
        .value_kind:     by_value
      - .offset:         4
        .size:           4
        .value_kind:     by_value
      - .offset:         8
        .size:           4
        .value_kind:     by_value
      - .offset:         12
        .size:           2
        .value_kind:     by_value
      - .address_space:  global
        .offset:         16
        .size:           8
        .value_kind:     global_buffer
      - .offset:         24
        .size:           4
        .value_kind:     by_value
      - .offset:         32
        .size:           8
        .value_kind:     by_value
      - .address_space:  global
        .offset:         40
        .size:           8
        .value_kind:     global_buffer
      - .offset:         48
        .size:           4
        .value_kind:     by_value
      - .offset:         56
        .size:           8
        .value_kind:     by_value
      - .offset:         64
        .size:           2
        .value_kind:     by_value
      - .address_space:  global
        .offset:         72
        .size:           8
        .value_kind:     global_buffer
      - .offset:         80
        .size:           4
        .value_kind:     by_value
      - .offset:         88
        .size:           8
        .value_kind:     by_value
      - .address_space:  global
        .offset:         96
        .size:           8
        .value_kind:     global_buffer
      - .offset:         104
        .size:           4
        .value_kind:     by_value
      - .offset:         112
        .size:           8
        .value_kind:     by_value
      - .offset:         120
        .size:           4
        .value_kind:     by_value
      - .offset:         124
        .size:           4
        .value_kind:     by_value
    .group_segment_fixed_size: 5120
    .kernarg_segment_align: 8
    .kernarg_segment_size: 128
    .language:       OpenCL C
    .language_version:
      - 2
      - 0
    .max_flat_workgroup_size: 256
    .name:           _ZN12_GLOBAL__N_120geam_min_plus_kernelIDF16_Dv2_DF16_S1_Li8ELi32ELi64ELi256ELi4ELi64ELi4ELi64ELi4ELc78ELc84ELb0ELb0ELb1EDF16_KPKDF16_KPDF16_EEviiiT16_PT17_ilS9_ilS7_S9_ilPT18_ili26rocblas_geam_ex_operation_
    .private_segment_fixed_size: 0
    .sgpr_count:     37
    .sgpr_spill_count: 0
    .symbol:         _ZN12_GLOBAL__N_120geam_min_plus_kernelIDF16_Dv2_DF16_S1_Li8ELi32ELi64ELi256ELi4ELi64ELi4ELi64ELi4ELc78ELc84ELb0ELb0ELb1EDF16_KPKDF16_KPDF16_EEviiiT16_PT17_ilS9_ilS7_S9_ilPT18_ili26rocblas_geam_ex_operation_.kd
    .uniform_work_group_size: 1
    .uses_dynamic_stack: false
    .vgpr_count:     171
    .vgpr_spill_count: 0
    .wavefront_size: 64
  - .agpr_count:     0
    .args:
      - .offset:         0
        .size:           4
        .value_kind:     by_value
      - .offset:         4
        .size:           4
        .value_kind:     by_value
      - .offset:         8
        .size:           4
        .value_kind:     by_value
      - .address_space:  global
        .offset:         16
        .size:           8
        .value_kind:     global_buffer
      - .address_space:  global
        .offset:         24
        .size:           8
        .value_kind:     global_buffer
      - .offset:         32
        .size:           4
        .value_kind:     by_value
      - .offset:         40
        .size:           8
        .value_kind:     by_value
      - .address_space:  global
        .offset:         48
        .size:           8
        .value_kind:     global_buffer
      - .offset:         56
        .size:           4
        .value_kind:     by_value
      - .offset:         64
        .size:           8
        .value_kind:     by_value
      - .address_space:  global
        .offset:         72
        .size:           8
        .value_kind:     global_buffer
      - .address_space:  global
        .offset:         80
        .size:           8
        .value_kind:     global_buffer
      - .offset:         88
        .size:           4
        .value_kind:     by_value
      - .offset:         96
        .size:           8
        .value_kind:     by_value
      - .address_space:  global
        .offset:         104
        .size:           8
        .value_kind:     global_buffer
      - .offset:         112
        .size:           4
        .value_kind:     by_value
      - .offset:         120
        .size:           8
        .value_kind:     by_value
      - .offset:         128
        .size:           4
        .value_kind:     by_value
      - .offset:         132
        .size:           4
        .value_kind:     by_value
    .group_segment_fixed_size: 5120
    .kernarg_segment_align: 8
    .kernarg_segment_size: 136
    .language:       OpenCL C
    .language_version:
      - 2
      - 0
    .max_flat_workgroup_size: 256
    .name:           _ZN12_GLOBAL__N_120geam_min_plus_kernelIDF16_Dv2_DF16_S1_Li8ELi32ELi64ELi256ELi4ELi64ELi4ELi64ELi4ELc78ELc84ELb0ELb1ELb1EPKDF16_KS3_KPDF16_EEviiiT16_PT17_ilS9_ilS7_S9_ilPT18_ili26rocblas_geam_ex_operation_
    .private_segment_fixed_size: 0
    .sgpr_count:     48
    .sgpr_spill_count: 0
    .symbol:         _ZN12_GLOBAL__N_120geam_min_plus_kernelIDF16_Dv2_DF16_S1_Li8ELi32ELi64ELi256ELi4ELi64ELi4ELi64ELi4ELc78ELc84ELb0ELb1ELb1EPKDF16_KS3_KPDF16_EEviiiT16_PT17_ilS9_ilS7_S9_ilPT18_ili26rocblas_geam_ex_operation_.kd
    .uniform_work_group_size: 1
    .uses_dynamic_stack: false
    .vgpr_count:     177
    .vgpr_spill_count: 0
    .wavefront_size: 64
  - .agpr_count:     0
    .args:
      - .offset:         0
        .size:           4
        .value_kind:     by_value
      - .offset:         4
        .size:           4
        .value_kind:     by_value
      - .offset:         8
        .size:           4
        .value_kind:     by_value
      - .offset:         12
        .size:           2
        .value_kind:     by_value
      - .address_space:  global
        .offset:         16
        .size:           8
        .value_kind:     global_buffer
      - .offset:         24
        .size:           4
        .value_kind:     by_value
      - .offset:         32
        .size:           8
        .value_kind:     by_value
      - .address_space:  global
        .offset:         40
        .size:           8
        .value_kind:     global_buffer
      - .offset:         48
        .size:           4
        .value_kind:     by_value
      - .offset:         56
        .size:           8
        .value_kind:     by_value
      - .offset:         64
        .size:           2
        .value_kind:     by_value
      - .address_space:  global
        .offset:         72
        .size:           8
        .value_kind:     global_buffer
      - .offset:         80
        .size:           4
        .value_kind:     by_value
      - .offset:         88
        .size:           8
        .value_kind:     by_value
      - .address_space:  global
        .offset:         96
        .size:           8
        .value_kind:     global_buffer
      - .offset:         104
        .size:           4
        .value_kind:     by_value
      - .offset:         112
        .size:           8
        .value_kind:     by_value
      - .offset:         120
        .size:           4
        .value_kind:     by_value
      - .offset:         124
        .size:           4
        .value_kind:     by_value
    .group_segment_fixed_size: 5120
    .kernarg_segment_align: 8
    .kernarg_segment_size: 128
    .language:       OpenCL C
    .language_version:
      - 2
      - 0
    .max_flat_workgroup_size: 256
    .name:           _ZN12_GLOBAL__N_120geam_min_plus_kernelIDF16_Dv2_DF16_S1_Li8ELi32ELi64ELi256ELi4ELi64ELi4ELi64ELi4ELc78ELc84ELb1ELb1ELb1EDF16_KPKDF16_KPDF16_EEviiiT16_PT17_ilS9_ilS7_S9_ilPT18_ili26rocblas_geam_ex_operation_
    .private_segment_fixed_size: 0
    .sgpr_count:     44
    .sgpr_spill_count: 0
    .symbol:         _ZN12_GLOBAL__N_120geam_min_plus_kernelIDF16_Dv2_DF16_S1_Li8ELi32ELi64ELi256ELi4ELi64ELi4ELi64ELi4ELc78ELc84ELb1ELb1ELb1EDF16_KPKDF16_KPDF16_EEviiiT16_PT17_ilS9_ilS7_S9_ilPT18_ili26rocblas_geam_ex_operation_.kd
    .uniform_work_group_size: 1
    .uses_dynamic_stack: false
    .vgpr_count:     172
    .vgpr_spill_count: 0
    .wavefront_size: 64
  - .agpr_count:     0
    .args:
      - .offset:         0
        .size:           4
        .value_kind:     by_value
      - .offset:         4
        .size:           4
        .value_kind:     by_value
      - .offset:         8
        .size:           4
        .value_kind:     by_value
      - .offset:         12
        .size:           2
        .value_kind:     by_value
      - .address_space:  global
        .offset:         16
        .size:           8
        .value_kind:     global_buffer
      - .offset:         24
        .size:           4
        .value_kind:     by_value
      - .offset:         32
        .size:           8
        .value_kind:     by_value
      - .address_space:  global
        .offset:         40
        .size:           8
        .value_kind:     global_buffer
      - .offset:         48
        .size:           4
        .value_kind:     by_value
      - .offset:         56
        .size:           8
        .value_kind:     by_value
      - .offset:         64
        .size:           2
        .value_kind:     by_value
      - .address_space:  global
        .offset:         72
        .size:           8
        .value_kind:     global_buffer
      - .offset:         80
        .size:           4
        .value_kind:     by_value
      - .offset:         88
        .size:           8
        .value_kind:     by_value
      - .address_space:  global
        .offset:         96
        .size:           8
        .value_kind:     global_buffer
      - .offset:         104
        .size:           4
        .value_kind:     by_value
      - .offset:         112
        .size:           8
        .value_kind:     by_value
      - .offset:         120
        .size:           4
        .value_kind:     by_value
      - .offset:         124
        .size:           4
        .value_kind:     by_value
    .group_segment_fixed_size: 5120
    .kernarg_segment_align: 8
    .kernarg_segment_size: 128
    .language:       OpenCL C
    .language_version:
      - 2
      - 0
    .max_flat_workgroup_size: 256
    .name:           _ZN12_GLOBAL__N_120geam_min_plus_kernelIDF16_Dv2_DF16_S1_Li8ELi32ELi64ELi256ELi4ELi64ELi4ELi64ELi4ELc78ELc84ELb0ELb1ELb1EDF16_KPKDF16_KPDF16_EEviiiT16_PT17_ilS9_ilS7_S9_ilPT18_ili26rocblas_geam_ex_operation_
    .private_segment_fixed_size: 0
    .sgpr_count:     50
    .sgpr_spill_count: 0
    .symbol:         _ZN12_GLOBAL__N_120geam_min_plus_kernelIDF16_Dv2_DF16_S1_Li8ELi32ELi64ELi256ELi4ELi64ELi4ELi64ELi4ELc78ELc84ELb0ELb1ELb1EDF16_KPKDF16_KPDF16_EEviiiT16_PT17_ilS9_ilS7_S9_ilPT18_ili26rocblas_geam_ex_operation_.kd
    .uniform_work_group_size: 1
    .uses_dynamic_stack: false
    .vgpr_count:     175
    .vgpr_spill_count: 0
    .wavefront_size: 64
  - .agpr_count:     0
    .args:
      - .offset:         0
        .size:           4
        .value_kind:     by_value
      - .offset:         4
        .size:           4
        .value_kind:     by_value
      - .offset:         8
        .size:           4
        .value_kind:     by_value
      - .address_space:  global
        .offset:         16
        .size:           8
        .value_kind:     global_buffer
      - .address_space:  global
        .offset:         24
        .size:           8
        .value_kind:     global_buffer
      - .offset:         32
        .size:           4
        .value_kind:     by_value
      - .offset:         40
        .size:           8
        .value_kind:     by_value
      - .address_space:  global
        .offset:         48
        .size:           8
        .value_kind:     global_buffer
      - .offset:         56
        .size:           4
        .value_kind:     by_value
      - .offset:         64
        .size:           8
        .value_kind:     by_value
      - .address_space:  global
        .offset:         72
        .size:           8
        .value_kind:     global_buffer
      - .address_space:  global
        .offset:         80
        .size:           8
        .value_kind:     global_buffer
      - .offset:         88
        .size:           4
        .value_kind:     by_value
      - .offset:         96
        .size:           8
        .value_kind:     by_value
      - .address_space:  global
        .offset:         104
        .size:           8
        .value_kind:     global_buffer
      - .offset:         112
        .size:           4
        .value_kind:     by_value
      - .offset:         120
        .size:           8
        .value_kind:     by_value
      - .offset:         128
        .size:           4
        .value_kind:     by_value
      - .offset:         132
        .size:           4
        .value_kind:     by_value
    .group_segment_fixed_size: 5120
    .kernarg_segment_align: 8
    .kernarg_segment_size: 136
    .language:       OpenCL C
    .language_version:
      - 2
      - 0
    .max_flat_workgroup_size: 256
    .name:           _ZN12_GLOBAL__N_120geam_min_plus_kernelIDF16_Dv2_DF16_S1_Li8ELi32ELi64ELi256ELi4ELi4ELi64ELi64ELi4ELc84ELc84ELb0ELb0ELb1EPKDF16_KS3_KPDF16_EEviiiT16_PT17_ilS9_ilS7_S9_ilPT18_ili26rocblas_geam_ex_operation_
    .private_segment_fixed_size: 0
    .sgpr_count:     32
    .sgpr_spill_count: 0
    .symbol:         _ZN12_GLOBAL__N_120geam_min_plus_kernelIDF16_Dv2_DF16_S1_Li8ELi32ELi64ELi256ELi4ELi4ELi64ELi64ELi4ELc84ELc84ELb0ELb0ELb1EPKDF16_KS3_KPDF16_EEviiiT16_PT17_ilS9_ilS7_S9_ilPT18_ili26rocblas_geam_ex_operation_.kd
    .uniform_work_group_size: 1
    .uses_dynamic_stack: false
    .vgpr_count:     168
    .vgpr_spill_count: 0
    .wavefront_size: 64
  - .agpr_count:     0
    .args:
      - .offset:         0
        .size:           4
        .value_kind:     by_value
      - .offset:         4
        .size:           4
        .value_kind:     by_value
      - .offset:         8
        .size:           4
        .value_kind:     by_value
      - .offset:         12
        .size:           2
        .value_kind:     by_value
      - .address_space:  global
        .offset:         16
        .size:           8
        .value_kind:     global_buffer
      - .offset:         24
        .size:           4
        .value_kind:     by_value
      - .offset:         32
        .size:           8
        .value_kind:     by_value
      - .address_space:  global
        .offset:         40
        .size:           8
        .value_kind:     global_buffer
      - .offset:         48
        .size:           4
        .value_kind:     by_value
      - .offset:         56
        .size:           8
        .value_kind:     by_value
      - .offset:         64
        .size:           2
        .value_kind:     by_value
      - .address_space:  global
        .offset:         72
        .size:           8
        .value_kind:     global_buffer
      - .offset:         80
        .size:           4
        .value_kind:     by_value
      - .offset:         88
        .size:           8
        .value_kind:     by_value
      - .address_space:  global
        .offset:         96
        .size:           8
        .value_kind:     global_buffer
      - .offset:         104
        .size:           4
        .value_kind:     by_value
      - .offset:         112
        .size:           8
        .value_kind:     by_value
      - .offset:         120
        .size:           4
        .value_kind:     by_value
      - .offset:         124
        .size:           4
        .value_kind:     by_value
    .group_segment_fixed_size: 5120
    .kernarg_segment_align: 8
    .kernarg_segment_size: 128
    .language:       OpenCL C
    .language_version:
      - 2
      - 0
    .max_flat_workgroup_size: 256
    .name:           _ZN12_GLOBAL__N_120geam_min_plus_kernelIDF16_Dv2_DF16_S1_Li8ELi32ELi64ELi256ELi4ELi4ELi64ELi64ELi4ELc84ELc84ELb1ELb0ELb1EDF16_KPKDF16_KPDF16_EEviiiT16_PT17_ilS9_ilS7_S9_ilPT18_ili26rocblas_geam_ex_operation_
    .private_segment_fixed_size: 0
    .sgpr_count:     28
    .sgpr_spill_count: 0
    .symbol:         _ZN12_GLOBAL__N_120geam_min_plus_kernelIDF16_Dv2_DF16_S1_Li8ELi32ELi64ELi256ELi4ELi4ELi64ELi64ELi4ELc84ELc84ELb1ELb0ELb1EDF16_KPKDF16_KPDF16_EEviiiT16_PT17_ilS9_ilS7_S9_ilPT18_ili26rocblas_geam_ex_operation_.kd
    .uniform_work_group_size: 1
    .uses_dynamic_stack: false
    .vgpr_count:     122
    .vgpr_spill_count: 0
    .wavefront_size: 64
  - .agpr_count:     0
    .args:
      - .offset:         0
        .size:           4
        .value_kind:     by_value
      - .offset:         4
        .size:           4
        .value_kind:     by_value
      - .offset:         8
        .size:           4
        .value_kind:     by_value
      - .offset:         12
        .size:           2
        .value_kind:     by_value
      - .address_space:  global
        .offset:         16
        .size:           8
        .value_kind:     global_buffer
      - .offset:         24
        .size:           4
        .value_kind:     by_value
      - .offset:         32
        .size:           8
        .value_kind:     by_value
      - .address_space:  global
        .offset:         40
        .size:           8
        .value_kind:     global_buffer
      - .offset:         48
        .size:           4
        .value_kind:     by_value
      - .offset:         56
        .size:           8
        .value_kind:     by_value
      - .offset:         64
        .size:           2
        .value_kind:     by_value
      - .address_space:  global
        .offset:         72
        .size:           8
        .value_kind:     global_buffer
      - .offset:         80
        .size:           4
        .value_kind:     by_value
      - .offset:         88
        .size:           8
        .value_kind:     by_value
      - .address_space:  global
        .offset:         96
        .size:           8
        .value_kind:     global_buffer
      - .offset:         104
        .size:           4
        .value_kind:     by_value
      - .offset:         112
        .size:           8
        .value_kind:     by_value
      - .offset:         120
        .size:           4
        .value_kind:     by_value
      - .offset:         124
        .size:           4
        .value_kind:     by_value
    .group_segment_fixed_size: 5120
    .kernarg_segment_align: 8
    .kernarg_segment_size: 128
    .language:       OpenCL C
    .language_version:
      - 2
      - 0
    .max_flat_workgroup_size: 256
    .name:           _ZN12_GLOBAL__N_120geam_min_plus_kernelIDF16_Dv2_DF16_S1_Li8ELi32ELi64ELi256ELi4ELi4ELi64ELi64ELi4ELc84ELc84ELb0ELb0ELb1EDF16_KPKDF16_KPDF16_EEviiiT16_PT17_ilS9_ilS7_S9_ilPT18_ili26rocblas_geam_ex_operation_
    .private_segment_fixed_size: 0
    .sgpr_count:     34
    .sgpr_spill_count: 0
    .symbol:         _ZN12_GLOBAL__N_120geam_min_plus_kernelIDF16_Dv2_DF16_S1_Li8ELi32ELi64ELi256ELi4ELi4ELi64ELi64ELi4ELc84ELc84ELb0ELb0ELb1EDF16_KPKDF16_KPDF16_EEviiiT16_PT17_ilS9_ilS7_S9_ilPT18_ili26rocblas_geam_ex_operation_.kd
    .uniform_work_group_size: 1
    .uses_dynamic_stack: false
    .vgpr_count:     166
    .vgpr_spill_count: 0
    .wavefront_size: 64
  - .agpr_count:     0
    .args:
      - .offset:         0
        .size:           4
        .value_kind:     by_value
      - .offset:         4
        .size:           4
        .value_kind:     by_value
      - .offset:         8
        .size:           4
        .value_kind:     by_value
      - .address_space:  global
        .offset:         16
        .size:           8
        .value_kind:     global_buffer
      - .address_space:  global
        .offset:         24
        .size:           8
        .value_kind:     global_buffer
      - .offset:         32
        .size:           4
        .value_kind:     by_value
      - .offset:         40
        .size:           8
        .value_kind:     by_value
      - .address_space:  global
        .offset:         48
        .size:           8
        .value_kind:     global_buffer
      - .offset:         56
        .size:           4
        .value_kind:     by_value
      - .offset:         64
        .size:           8
        .value_kind:     by_value
      - .address_space:  global
        .offset:         72
        .size:           8
        .value_kind:     global_buffer
      - .address_space:  global
        .offset:         80
        .size:           8
        .value_kind:     global_buffer
      - .offset:         88
        .size:           4
        .value_kind:     by_value
      - .offset:         96
        .size:           8
        .value_kind:     by_value
      - .address_space:  global
        .offset:         104
        .size:           8
        .value_kind:     global_buffer
      - .offset:         112
        .size:           4
        .value_kind:     by_value
      - .offset:         120
        .size:           8
        .value_kind:     by_value
      - .offset:         128
        .size:           4
        .value_kind:     by_value
      - .offset:         132
        .size:           4
        .value_kind:     by_value
    .group_segment_fixed_size: 5120
    .kernarg_segment_align: 8
    .kernarg_segment_size: 136
    .language:       OpenCL C
    .language_version:
      - 2
      - 0
    .max_flat_workgroup_size: 256
    .name:           _ZN12_GLOBAL__N_120geam_min_plus_kernelIDF16_Dv2_DF16_S1_Li8ELi32ELi64ELi256ELi4ELi4ELi64ELi64ELi4ELc84ELc84ELb0ELb1ELb1EPKDF16_KS3_KPDF16_EEviiiT16_PT17_ilS9_ilS7_S9_ilPT18_ili26rocblas_geam_ex_operation_
    .private_segment_fixed_size: 0
    .sgpr_count:     44
    .sgpr_spill_count: 0
    .symbol:         _ZN12_GLOBAL__N_120geam_min_plus_kernelIDF16_Dv2_DF16_S1_Li8ELi32ELi64ELi256ELi4ELi4ELi64ELi64ELi4ELc84ELc84ELb0ELb1ELb1EPKDF16_KS3_KPDF16_EEviiiT16_PT17_ilS9_ilS7_S9_ilPT18_ili26rocblas_geam_ex_operation_.kd
    .uniform_work_group_size: 1
    .uses_dynamic_stack: false
    .vgpr_count:     174
    .vgpr_spill_count: 0
    .wavefront_size: 64
  - .agpr_count:     0
    .args:
      - .offset:         0
        .size:           4
        .value_kind:     by_value
      - .offset:         4
        .size:           4
        .value_kind:     by_value
      - .offset:         8
        .size:           4
        .value_kind:     by_value
      - .offset:         12
        .size:           2
        .value_kind:     by_value
      - .address_space:  global
        .offset:         16
        .size:           8
        .value_kind:     global_buffer
      - .offset:         24
        .size:           4
        .value_kind:     by_value
      - .offset:         32
        .size:           8
        .value_kind:     by_value
      - .address_space:  global
        .offset:         40
        .size:           8
        .value_kind:     global_buffer
      - .offset:         48
        .size:           4
        .value_kind:     by_value
      - .offset:         56
        .size:           8
        .value_kind:     by_value
      - .offset:         64
        .size:           2
        .value_kind:     by_value
      - .address_space:  global
        .offset:         72
        .size:           8
        .value_kind:     global_buffer
      - .offset:         80
        .size:           4
        .value_kind:     by_value
      - .offset:         88
        .size:           8
        .value_kind:     by_value
      - .address_space:  global
        .offset:         96
        .size:           8
        .value_kind:     global_buffer
      - .offset:         104
        .size:           4
        .value_kind:     by_value
      - .offset:         112
        .size:           8
        .value_kind:     by_value
      - .offset:         120
        .size:           4
        .value_kind:     by_value
      - .offset:         124
        .size:           4
        .value_kind:     by_value
    .group_segment_fixed_size: 5120
    .kernarg_segment_align: 8
    .kernarg_segment_size: 128
    .language:       OpenCL C
    .language_version:
      - 2
      - 0
    .max_flat_workgroup_size: 256
    .name:           _ZN12_GLOBAL__N_120geam_min_plus_kernelIDF16_Dv2_DF16_S1_Li8ELi32ELi64ELi256ELi4ELi4ELi64ELi64ELi4ELc84ELc84ELb1ELb1ELb1EDF16_KPKDF16_KPDF16_EEviiiT16_PT17_ilS9_ilS7_S9_ilPT18_ili26rocblas_geam_ex_operation_
    .private_segment_fixed_size: 0
    .sgpr_count:     44
    .sgpr_spill_count: 0
    .symbol:         _ZN12_GLOBAL__N_120geam_min_plus_kernelIDF16_Dv2_DF16_S1_Li8ELi32ELi64ELi256ELi4ELi4ELi64ELi64ELi4ELc84ELc84ELb1ELb1ELb1EDF16_KPKDF16_KPDF16_EEviiiT16_PT17_ilS9_ilS7_S9_ilPT18_ili26rocblas_geam_ex_operation_.kd
    .uniform_work_group_size: 1
    .uses_dynamic_stack: false
    .vgpr_count:     169
    .vgpr_spill_count: 0
    .wavefront_size: 64
  - .agpr_count:     0
    .args:
      - .offset:         0
        .size:           4
        .value_kind:     by_value
      - .offset:         4
        .size:           4
        .value_kind:     by_value
      - .offset:         8
        .size:           4
        .value_kind:     by_value
      - .offset:         12
        .size:           2
        .value_kind:     by_value
      - .address_space:  global
        .offset:         16
        .size:           8
        .value_kind:     global_buffer
      - .offset:         24
        .size:           4
        .value_kind:     by_value
      - .offset:         32
        .size:           8
        .value_kind:     by_value
      - .address_space:  global
        .offset:         40
        .size:           8
        .value_kind:     global_buffer
      - .offset:         48
        .size:           4
        .value_kind:     by_value
      - .offset:         56
        .size:           8
        .value_kind:     by_value
      - .offset:         64
        .size:           2
        .value_kind:     by_value
      - .address_space:  global
        .offset:         72
        .size:           8
        .value_kind:     global_buffer
      - .offset:         80
        .size:           4
        .value_kind:     by_value
      - .offset:         88
        .size:           8
        .value_kind:     by_value
      - .address_space:  global
        .offset:         96
        .size:           8
        .value_kind:     global_buffer
      - .offset:         104
        .size:           4
        .value_kind:     by_value
      - .offset:         112
        .size:           8
        .value_kind:     by_value
      - .offset:         120
        .size:           4
        .value_kind:     by_value
      - .offset:         124
        .size:           4
        .value_kind:     by_value
    .group_segment_fixed_size: 5120
    .kernarg_segment_align: 8
    .kernarg_segment_size: 128
    .language:       OpenCL C
    .language_version:
      - 2
      - 0
    .max_flat_workgroup_size: 256
    .name:           _ZN12_GLOBAL__N_120geam_min_plus_kernelIDF16_Dv2_DF16_S1_Li8ELi32ELi64ELi256ELi4ELi4ELi64ELi64ELi4ELc84ELc84ELb0ELb1ELb1EDF16_KPKDF16_KPDF16_EEviiiT16_PT17_ilS9_ilS7_S9_ilPT18_ili26rocblas_geam_ex_operation_
    .private_segment_fixed_size: 0
    .sgpr_count:     46
    .sgpr_spill_count: 0
    .symbol:         _ZN12_GLOBAL__N_120geam_min_plus_kernelIDF16_Dv2_DF16_S1_Li8ELi32ELi64ELi256ELi4ELi4ELi64ELi64ELi4ELc84ELc84ELb0ELb1ELb1EDF16_KPKDF16_KPDF16_EEviiiT16_PT17_ilS9_ilS7_S9_ilPT18_ili26rocblas_geam_ex_operation_.kd
    .uniform_work_group_size: 1
    .uses_dynamic_stack: false
    .vgpr_count:     172
    .vgpr_spill_count: 0
    .wavefront_size: 64
  - .agpr_count:     0
    .args:
      - .offset:         0
        .size:           4
        .value_kind:     by_value
      - .offset:         4
        .size:           4
        .value_kind:     by_value
      - .offset:         8
        .size:           4
        .value_kind:     by_value
      - .address_space:  global
        .offset:         16
        .size:           8
        .value_kind:     global_buffer
      - .address_space:  global
        .offset:         24
        .size:           8
        .value_kind:     global_buffer
      - .offset:         32
        .size:           4
        .value_kind:     by_value
      - .offset:         40
        .size:           8
        .value_kind:     by_value
      - .address_space:  global
        .offset:         48
        .size:           8
        .value_kind:     global_buffer
      - .offset:         56
        .size:           4
        .value_kind:     by_value
      - .offset:         64
        .size:           8
        .value_kind:     by_value
      - .address_space:  global
        .offset:         72
        .size:           8
        .value_kind:     global_buffer
      - .address_space:  global
        .offset:         80
        .size:           8
        .value_kind:     global_buffer
      - .offset:         88
        .size:           4
        .value_kind:     by_value
      - .offset:         96
        .size:           8
        .value_kind:     by_value
      - .address_space:  global
        .offset:         104
        .size:           8
        .value_kind:     global_buffer
      - .offset:         112
        .size:           4
        .value_kind:     by_value
      - .offset:         120
        .size:           8
        .value_kind:     by_value
      - .offset:         128
        .size:           4
        .value_kind:     by_value
      - .offset:         132
        .size:           4
        .value_kind:     by_value
    .group_segment_fixed_size: 3072
    .kernarg_segment_align: 8
    .kernarg_segment_size: 136
    .language:       OpenCL C
    .language_version:
      - 2
      - 0
    .max_flat_workgroup_size: 256
    .name:           _ZN12_GLOBAL__N_120geam_min_plus_kernelIDF16_Dv2_DF16_S1_Li8ELi32ELi64ELi128ELi4ELi64ELi4ELi4ELi64ELc78ELc78ELb0ELb0ELb0EPKDF16_KS3_KPDF16_EEviiiT16_PT17_ilS9_ilS7_S9_ilPT18_ili26rocblas_geam_ex_operation_
    .private_segment_fixed_size: 0
    .sgpr_count:     30
    .sgpr_spill_count: 0
    .symbol:         _ZN12_GLOBAL__N_120geam_min_plus_kernelIDF16_Dv2_DF16_S1_Li8ELi32ELi64ELi128ELi4ELi64ELi4ELi4ELi64ELc78ELc78ELb0ELb0ELb0EPKDF16_KS3_KPDF16_EEviiiT16_PT17_ilS9_ilS7_S9_ilPT18_ili26rocblas_geam_ex_operation_.kd
    .uniform_work_group_size: 1
    .uses_dynamic_stack: false
    .vgpr_count:     129
    .vgpr_spill_count: 0
    .wavefront_size: 64
  - .agpr_count:     0
    .args:
      - .offset:         0
        .size:           4
        .value_kind:     by_value
      - .offset:         4
        .size:           4
        .value_kind:     by_value
      - .offset:         8
        .size:           4
        .value_kind:     by_value
      - .offset:         12
        .size:           2
        .value_kind:     by_value
      - .address_space:  global
        .offset:         16
        .size:           8
        .value_kind:     global_buffer
      - .offset:         24
        .size:           4
        .value_kind:     by_value
      - .offset:         32
        .size:           8
        .value_kind:     by_value
      - .address_space:  global
        .offset:         40
        .size:           8
        .value_kind:     global_buffer
      - .offset:         48
        .size:           4
        .value_kind:     by_value
      - .offset:         56
        .size:           8
        .value_kind:     by_value
      - .offset:         64
        .size:           2
        .value_kind:     by_value
      - .address_space:  global
        .offset:         72
        .size:           8
        .value_kind:     global_buffer
      - .offset:         80
        .size:           4
        .value_kind:     by_value
      - .offset:         88
        .size:           8
        .value_kind:     by_value
      - .address_space:  global
        .offset:         96
        .size:           8
        .value_kind:     global_buffer
      - .offset:         104
        .size:           4
        .value_kind:     by_value
      - .offset:         112
        .size:           8
        .value_kind:     by_value
      - .offset:         120
        .size:           4
        .value_kind:     by_value
      - .offset:         124
        .size:           4
        .value_kind:     by_value
    .group_segment_fixed_size: 3072
    .kernarg_segment_align: 8
    .kernarg_segment_size: 128
    .language:       OpenCL C
    .language_version:
      - 2
      - 0
    .max_flat_workgroup_size: 256
    .name:           _ZN12_GLOBAL__N_120geam_min_plus_kernelIDF16_Dv2_DF16_S1_Li8ELi32ELi64ELi128ELi4ELi64ELi4ELi4ELi64ELc78ELc78ELb1ELb0ELb0EDF16_KPKDF16_KPDF16_EEviiiT16_PT17_ilS9_ilS7_S9_ilPT18_ili26rocblas_geam_ex_operation_
    .private_segment_fixed_size: 0
    .sgpr_count:     28
    .sgpr_spill_count: 0
    .symbol:         _ZN12_GLOBAL__N_120geam_min_plus_kernelIDF16_Dv2_DF16_S1_Li8ELi32ELi64ELi128ELi4ELi64ELi4ELi4ELi64ELc78ELc78ELb1ELb0ELb0EDF16_KPKDF16_KPDF16_EEviiiT16_PT17_ilS9_ilS7_S9_ilPT18_ili26rocblas_geam_ex_operation_.kd
    .uniform_work_group_size: 1
    .uses_dynamic_stack: false
    .vgpr_count:     125
    .vgpr_spill_count: 0
    .wavefront_size: 64
  - .agpr_count:     0
    .args:
      - .offset:         0
        .size:           4
        .value_kind:     by_value
      - .offset:         4
        .size:           4
        .value_kind:     by_value
      - .offset:         8
        .size:           4
        .value_kind:     by_value
      - .offset:         12
        .size:           2
        .value_kind:     by_value
      - .address_space:  global
        .offset:         16
        .size:           8
        .value_kind:     global_buffer
      - .offset:         24
        .size:           4
        .value_kind:     by_value
      - .offset:         32
        .size:           8
        .value_kind:     by_value
      - .address_space:  global
        .offset:         40
        .size:           8
        .value_kind:     global_buffer
      - .offset:         48
        .size:           4
        .value_kind:     by_value
      - .offset:         56
        .size:           8
        .value_kind:     by_value
      - .offset:         64
        .size:           2
        .value_kind:     by_value
      - .address_space:  global
        .offset:         72
        .size:           8
        .value_kind:     global_buffer
      - .offset:         80
        .size:           4
        .value_kind:     by_value
      - .offset:         88
        .size:           8
        .value_kind:     by_value
      - .address_space:  global
        .offset:         96
        .size:           8
        .value_kind:     global_buffer
      - .offset:         104
        .size:           4
        .value_kind:     by_value
      - .offset:         112
        .size:           8
        .value_kind:     by_value
      - .offset:         120
        .size:           4
        .value_kind:     by_value
      - .offset:         124
        .size:           4
        .value_kind:     by_value
    .group_segment_fixed_size: 3072
    .kernarg_segment_align: 8
    .kernarg_segment_size: 128
    .language:       OpenCL C
    .language_version:
      - 2
      - 0
    .max_flat_workgroup_size: 256
    .name:           _ZN12_GLOBAL__N_120geam_min_plus_kernelIDF16_Dv2_DF16_S1_Li8ELi32ELi64ELi128ELi4ELi64ELi4ELi4ELi64ELc78ELc78ELb0ELb0ELb0EDF16_KPKDF16_KPDF16_EEviiiT16_PT17_ilS9_ilS7_S9_ilPT18_ili26rocblas_geam_ex_operation_
    .private_segment_fixed_size: 0
    .sgpr_count:     34
    .sgpr_spill_count: 0
    .symbol:         _ZN12_GLOBAL__N_120geam_min_plus_kernelIDF16_Dv2_DF16_S1_Li8ELi32ELi64ELi128ELi4ELi64ELi4ELi4ELi64ELc78ELc78ELb0ELb0ELb0EDF16_KPKDF16_KPDF16_EEviiiT16_PT17_ilS9_ilS7_S9_ilPT18_ili26rocblas_geam_ex_operation_.kd
    .uniform_work_group_size: 1
    .uses_dynamic_stack: false
    .vgpr_count:     127
    .vgpr_spill_count: 0
    .wavefront_size: 64
  - .agpr_count:     0
    .args:
      - .offset:         0
        .size:           4
        .value_kind:     by_value
      - .offset:         4
        .size:           4
        .value_kind:     by_value
      - .offset:         8
        .size:           4
        .value_kind:     by_value
      - .address_space:  global
        .offset:         16
        .size:           8
        .value_kind:     global_buffer
      - .address_space:  global
        .offset:         24
        .size:           8
        .value_kind:     global_buffer
      - .offset:         32
        .size:           4
        .value_kind:     by_value
      - .offset:         40
        .size:           8
        .value_kind:     by_value
      - .address_space:  global
        .offset:         48
        .size:           8
        .value_kind:     global_buffer
      - .offset:         56
        .size:           4
        .value_kind:     by_value
      - .offset:         64
        .size:           8
        .value_kind:     by_value
      - .address_space:  global
        .offset:         72
        .size:           8
        .value_kind:     global_buffer
      - .address_space:  global
        .offset:         80
        .size:           8
        .value_kind:     global_buffer
      - .offset:         88
        .size:           4
        .value_kind:     by_value
      - .offset:         96
        .size:           8
        .value_kind:     by_value
      - .address_space:  global
        .offset:         104
        .size:           8
        .value_kind:     global_buffer
      - .offset:         112
        .size:           4
        .value_kind:     by_value
      - .offset:         120
        .size:           8
        .value_kind:     by_value
      - .offset:         128
        .size:           4
        .value_kind:     by_value
      - .offset:         132
        .size:           4
        .value_kind:     by_value
    .group_segment_fixed_size: 3072
    .kernarg_segment_align: 8
    .kernarg_segment_size: 136
    .language:       OpenCL C
    .language_version:
      - 2
      - 0
    .max_flat_workgroup_size: 256
    .name:           _ZN12_GLOBAL__N_120geam_min_plus_kernelIDF16_Dv2_DF16_S1_Li8ELi32ELi64ELi128ELi4ELi64ELi4ELi4ELi64ELc78ELc78ELb0ELb1ELb0EPKDF16_KS3_KPDF16_EEviiiT16_PT17_ilS9_ilS7_S9_ilPT18_ili26rocblas_geam_ex_operation_
    .private_segment_fixed_size: 0
    .sgpr_count:     40
    .sgpr_spill_count: 0
    .symbol:         _ZN12_GLOBAL__N_120geam_min_plus_kernelIDF16_Dv2_DF16_S1_Li8ELi32ELi64ELi128ELi4ELi64ELi4ELi4ELi64ELc78ELc78ELb0ELb1ELb0EPKDF16_KS3_KPDF16_EEviiiT16_PT17_ilS9_ilS7_S9_ilPT18_ili26rocblas_geam_ex_operation_.kd
    .uniform_work_group_size: 1
    .uses_dynamic_stack: false
    .vgpr_count:     128
    .vgpr_spill_count: 0
    .wavefront_size: 64
  - .agpr_count:     0
    .args:
      - .offset:         0
        .size:           4
        .value_kind:     by_value
      - .offset:         4
        .size:           4
        .value_kind:     by_value
      - .offset:         8
        .size:           4
        .value_kind:     by_value
      - .offset:         12
        .size:           2
        .value_kind:     by_value
      - .address_space:  global
        .offset:         16
        .size:           8
        .value_kind:     global_buffer
      - .offset:         24
        .size:           4
        .value_kind:     by_value
      - .offset:         32
        .size:           8
        .value_kind:     by_value
      - .address_space:  global
        .offset:         40
        .size:           8
        .value_kind:     global_buffer
      - .offset:         48
        .size:           4
        .value_kind:     by_value
      - .offset:         56
        .size:           8
        .value_kind:     by_value
      - .offset:         64
        .size:           2
        .value_kind:     by_value
      - .address_space:  global
        .offset:         72
        .size:           8
        .value_kind:     global_buffer
      - .offset:         80
        .size:           4
        .value_kind:     by_value
      - .offset:         88
        .size:           8
        .value_kind:     by_value
      - .address_space:  global
        .offset:         96
        .size:           8
        .value_kind:     global_buffer
      - .offset:         104
        .size:           4
        .value_kind:     by_value
      - .offset:         112
        .size:           8
        .value_kind:     by_value
      - .offset:         120
        .size:           4
        .value_kind:     by_value
      - .offset:         124
        .size:           4
        .value_kind:     by_value
    .group_segment_fixed_size: 3072
    .kernarg_segment_align: 8
    .kernarg_segment_size: 128
    .language:       OpenCL C
    .language_version:
      - 2
      - 0
    .max_flat_workgroup_size: 256
    .name:           _ZN12_GLOBAL__N_120geam_min_plus_kernelIDF16_Dv2_DF16_S1_Li8ELi32ELi64ELi128ELi4ELi64ELi4ELi4ELi64ELc78ELc78ELb1ELb1ELb0EDF16_KPKDF16_KPDF16_EEviiiT16_PT17_ilS9_ilS7_S9_ilPT18_ili26rocblas_geam_ex_operation_
    .private_segment_fixed_size: 0
    .sgpr_count:     42
    .sgpr_spill_count: 0
    .symbol:         _ZN12_GLOBAL__N_120geam_min_plus_kernelIDF16_Dv2_DF16_S1_Li8ELi32ELi64ELi128ELi4ELi64ELi4ELi4ELi64ELc78ELc78ELb1ELb1ELb0EDF16_KPKDF16_KPDF16_EEviiiT16_PT17_ilS9_ilS7_S9_ilPT18_ili26rocblas_geam_ex_operation_.kd
    .uniform_work_group_size: 1
    .uses_dynamic_stack: false
    .vgpr_count:     127
    .vgpr_spill_count: 0
    .wavefront_size: 64
  - .agpr_count:     0
    .args:
      - .offset:         0
        .size:           4
        .value_kind:     by_value
      - .offset:         4
        .size:           4
        .value_kind:     by_value
      - .offset:         8
        .size:           4
        .value_kind:     by_value
      - .offset:         12
        .size:           2
        .value_kind:     by_value
      - .address_space:  global
        .offset:         16
        .size:           8
        .value_kind:     global_buffer
      - .offset:         24
        .size:           4
        .value_kind:     by_value
      - .offset:         32
        .size:           8
        .value_kind:     by_value
      - .address_space:  global
        .offset:         40
        .size:           8
        .value_kind:     global_buffer
      - .offset:         48
        .size:           4
        .value_kind:     by_value
      - .offset:         56
        .size:           8
        .value_kind:     by_value
      - .offset:         64
        .size:           2
        .value_kind:     by_value
      - .address_space:  global
        .offset:         72
        .size:           8
        .value_kind:     global_buffer
      - .offset:         80
        .size:           4
        .value_kind:     by_value
      - .offset:         88
        .size:           8
        .value_kind:     by_value
      - .address_space:  global
        .offset:         96
        .size:           8
        .value_kind:     global_buffer
      - .offset:         104
        .size:           4
        .value_kind:     by_value
      - .offset:         112
        .size:           8
        .value_kind:     by_value
      - .offset:         120
        .size:           4
        .value_kind:     by_value
      - .offset:         124
        .size:           4
        .value_kind:     by_value
    .group_segment_fixed_size: 3072
    .kernarg_segment_align: 8
    .kernarg_segment_size: 128
    .language:       OpenCL C
    .language_version:
      - 2
      - 0
    .max_flat_workgroup_size: 256
    .name:           _ZN12_GLOBAL__N_120geam_min_plus_kernelIDF16_Dv2_DF16_S1_Li8ELi32ELi64ELi128ELi4ELi64ELi4ELi4ELi64ELc78ELc78ELb0ELb1ELb0EDF16_KPKDF16_KPDF16_EEviiiT16_PT17_ilS9_ilS7_S9_ilPT18_ili26rocblas_geam_ex_operation_
    .private_segment_fixed_size: 0
    .sgpr_count:     42
    .sgpr_spill_count: 0
    .symbol:         _ZN12_GLOBAL__N_120geam_min_plus_kernelIDF16_Dv2_DF16_S1_Li8ELi32ELi64ELi128ELi4ELi64ELi4ELi4ELi64ELc78ELc78ELb0ELb1ELb0EDF16_KPKDF16_KPDF16_EEviiiT16_PT17_ilS9_ilS7_S9_ilPT18_ili26rocblas_geam_ex_operation_.kd
    .uniform_work_group_size: 1
    .uses_dynamic_stack: false
    .vgpr_count:     126
    .vgpr_spill_count: 0
    .wavefront_size: 64
  - .agpr_count:     0
    .args:
      - .offset:         0
        .size:           4
        .value_kind:     by_value
      - .offset:         4
        .size:           4
        .value_kind:     by_value
      - .offset:         8
        .size:           4
        .value_kind:     by_value
      - .address_space:  global
        .offset:         16
        .size:           8
        .value_kind:     global_buffer
      - .address_space:  global
        .offset:         24
        .size:           8
        .value_kind:     global_buffer
      - .offset:         32
        .size:           4
        .value_kind:     by_value
      - .offset:         40
        .size:           8
        .value_kind:     by_value
      - .address_space:  global
        .offset:         48
        .size:           8
        .value_kind:     global_buffer
      - .offset:         56
        .size:           4
        .value_kind:     by_value
      - .offset:         64
        .size:           8
        .value_kind:     by_value
      - .address_space:  global
        .offset:         72
        .size:           8
        .value_kind:     global_buffer
      - .address_space:  global
        .offset:         80
        .size:           8
        .value_kind:     global_buffer
      - .offset:         88
        .size:           4
        .value_kind:     by_value
      - .offset:         96
        .size:           8
        .value_kind:     by_value
      - .address_space:  global
        .offset:         104
        .size:           8
        .value_kind:     global_buffer
      - .offset:         112
        .size:           4
        .value_kind:     by_value
      - .offset:         120
        .size:           8
        .value_kind:     by_value
      - .offset:         128
        .size:           4
        .value_kind:     by_value
      - .offset:         132
        .size:           4
        .value_kind:     by_value
    .group_segment_fixed_size: 3072
    .kernarg_segment_align: 8
    .kernarg_segment_size: 136
    .language:       OpenCL C
    .language_version:
      - 2
      - 0
    .max_flat_workgroup_size: 256
    .name:           _ZN12_GLOBAL__N_120geam_min_plus_kernelIDF16_Dv2_DF16_S1_Li8ELi32ELi64ELi128ELi4ELi4ELi64ELi4ELi64ELc84ELc78ELb0ELb0ELb0EPKDF16_KS3_KPDF16_EEviiiT16_PT17_ilS9_ilS7_S9_ilPT18_ili26rocblas_geam_ex_operation_
    .private_segment_fixed_size: 0
    .sgpr_count:     30
    .sgpr_spill_count: 0
    .symbol:         _ZN12_GLOBAL__N_120geam_min_plus_kernelIDF16_Dv2_DF16_S1_Li8ELi32ELi64ELi128ELi4ELi4ELi64ELi4ELi64ELc84ELc78ELb0ELb0ELb0EPKDF16_KS3_KPDF16_EEviiiT16_PT17_ilS9_ilS7_S9_ilPT18_ili26rocblas_geam_ex_operation_.kd
    .uniform_work_group_size: 1
    .uses_dynamic_stack: false
    .vgpr_count:     125
    .vgpr_spill_count: 0
    .wavefront_size: 64
  - .agpr_count:     0
    .args:
      - .offset:         0
        .size:           4
        .value_kind:     by_value
      - .offset:         4
        .size:           4
        .value_kind:     by_value
      - .offset:         8
        .size:           4
        .value_kind:     by_value
      - .offset:         12
        .size:           2
        .value_kind:     by_value
      - .address_space:  global
        .offset:         16
        .size:           8
        .value_kind:     global_buffer
      - .offset:         24
        .size:           4
        .value_kind:     by_value
      - .offset:         32
        .size:           8
        .value_kind:     by_value
      - .address_space:  global
        .offset:         40
        .size:           8
        .value_kind:     global_buffer
      - .offset:         48
        .size:           4
        .value_kind:     by_value
      - .offset:         56
        .size:           8
        .value_kind:     by_value
      - .offset:         64
        .size:           2
        .value_kind:     by_value
      - .address_space:  global
        .offset:         72
        .size:           8
        .value_kind:     global_buffer
      - .offset:         80
        .size:           4
        .value_kind:     by_value
      - .offset:         88
        .size:           8
        .value_kind:     by_value
      - .address_space:  global
        .offset:         96
        .size:           8
        .value_kind:     global_buffer
      - .offset:         104
        .size:           4
        .value_kind:     by_value
      - .offset:         112
        .size:           8
        .value_kind:     by_value
      - .offset:         120
        .size:           4
        .value_kind:     by_value
      - .offset:         124
        .size:           4
        .value_kind:     by_value
    .group_segment_fixed_size: 3072
    .kernarg_segment_align: 8
    .kernarg_segment_size: 128
    .language:       OpenCL C
    .language_version:
      - 2
      - 0
    .max_flat_workgroup_size: 256
    .name:           _ZN12_GLOBAL__N_120geam_min_plus_kernelIDF16_Dv2_DF16_S1_Li8ELi32ELi64ELi128ELi4ELi4ELi64ELi4ELi64ELc84ELc78ELb1ELb0ELb0EDF16_KPKDF16_KPDF16_EEviiiT16_PT17_ilS9_ilS7_S9_ilPT18_ili26rocblas_geam_ex_operation_
    .private_segment_fixed_size: 0
    .sgpr_count:     28
    .sgpr_spill_count: 0
    .symbol:         _ZN12_GLOBAL__N_120geam_min_plus_kernelIDF16_Dv2_DF16_S1_Li8ELi32ELi64ELi128ELi4ELi4ELi64ELi4ELi64ELc84ELc78ELb1ELb0ELb0EDF16_KPKDF16_KPDF16_EEviiiT16_PT17_ilS9_ilS7_S9_ilPT18_ili26rocblas_geam_ex_operation_.kd
    .uniform_work_group_size: 1
    .uses_dynamic_stack: false
    .vgpr_count:     121
    .vgpr_spill_count: 0
    .wavefront_size: 64
  - .agpr_count:     0
    .args:
      - .offset:         0
        .size:           4
        .value_kind:     by_value
      - .offset:         4
        .size:           4
        .value_kind:     by_value
      - .offset:         8
        .size:           4
        .value_kind:     by_value
      - .offset:         12
        .size:           2
        .value_kind:     by_value
      - .address_space:  global
        .offset:         16
        .size:           8
        .value_kind:     global_buffer
      - .offset:         24
        .size:           4
        .value_kind:     by_value
      - .offset:         32
        .size:           8
        .value_kind:     by_value
      - .address_space:  global
        .offset:         40
        .size:           8
        .value_kind:     global_buffer
      - .offset:         48
        .size:           4
        .value_kind:     by_value
      - .offset:         56
        .size:           8
        .value_kind:     by_value
      - .offset:         64
        .size:           2
        .value_kind:     by_value
      - .address_space:  global
        .offset:         72
        .size:           8
        .value_kind:     global_buffer
      - .offset:         80
        .size:           4
        .value_kind:     by_value
      - .offset:         88
        .size:           8
        .value_kind:     by_value
      - .address_space:  global
        .offset:         96
        .size:           8
        .value_kind:     global_buffer
      - .offset:         104
        .size:           4
        .value_kind:     by_value
      - .offset:         112
        .size:           8
        .value_kind:     by_value
      - .offset:         120
        .size:           4
        .value_kind:     by_value
      - .offset:         124
        .size:           4
        .value_kind:     by_value
    .group_segment_fixed_size: 3072
    .kernarg_segment_align: 8
    .kernarg_segment_size: 128
    .language:       OpenCL C
    .language_version:
      - 2
      - 0
    .max_flat_workgroup_size: 256
    .name:           _ZN12_GLOBAL__N_120geam_min_plus_kernelIDF16_Dv2_DF16_S1_Li8ELi32ELi64ELi128ELi4ELi4ELi64ELi4ELi64ELc84ELc78ELb0ELb0ELb0EDF16_KPKDF16_KPDF16_EEviiiT16_PT17_ilS9_ilS7_S9_ilPT18_ili26rocblas_geam_ex_operation_
    .private_segment_fixed_size: 0
    .sgpr_count:     32
    .sgpr_spill_count: 0
    .symbol:         _ZN12_GLOBAL__N_120geam_min_plus_kernelIDF16_Dv2_DF16_S1_Li8ELi32ELi64ELi128ELi4ELi4ELi64ELi4ELi64ELc84ELc78ELb0ELb0ELb0EDF16_KPKDF16_KPDF16_EEviiiT16_PT17_ilS9_ilS7_S9_ilPT18_ili26rocblas_geam_ex_operation_.kd
    .uniform_work_group_size: 1
    .uses_dynamic_stack: false
    .vgpr_count:     123
    .vgpr_spill_count: 0
    .wavefront_size: 64
  - .agpr_count:     0
    .args:
      - .offset:         0
        .size:           4
        .value_kind:     by_value
      - .offset:         4
        .size:           4
        .value_kind:     by_value
      - .offset:         8
        .size:           4
        .value_kind:     by_value
      - .address_space:  global
        .offset:         16
        .size:           8
        .value_kind:     global_buffer
      - .address_space:  global
        .offset:         24
        .size:           8
        .value_kind:     global_buffer
      - .offset:         32
        .size:           4
        .value_kind:     by_value
      - .offset:         40
        .size:           8
        .value_kind:     by_value
      - .address_space:  global
        .offset:         48
        .size:           8
        .value_kind:     global_buffer
      - .offset:         56
        .size:           4
        .value_kind:     by_value
      - .offset:         64
        .size:           8
        .value_kind:     by_value
      - .address_space:  global
        .offset:         72
        .size:           8
        .value_kind:     global_buffer
      - .address_space:  global
        .offset:         80
        .size:           8
        .value_kind:     global_buffer
      - .offset:         88
        .size:           4
        .value_kind:     by_value
      - .offset:         96
        .size:           8
        .value_kind:     by_value
      - .address_space:  global
        .offset:         104
        .size:           8
        .value_kind:     global_buffer
      - .offset:         112
        .size:           4
        .value_kind:     by_value
      - .offset:         120
        .size:           8
        .value_kind:     by_value
      - .offset:         128
        .size:           4
        .value_kind:     by_value
      - .offset:         132
        .size:           4
        .value_kind:     by_value
    .group_segment_fixed_size: 3072
    .kernarg_segment_align: 8
    .kernarg_segment_size: 136
    .language:       OpenCL C
    .language_version:
      - 2
      - 0
    .max_flat_workgroup_size: 256
    .name:           _ZN12_GLOBAL__N_120geam_min_plus_kernelIDF16_Dv2_DF16_S1_Li8ELi32ELi64ELi128ELi4ELi4ELi64ELi4ELi64ELc84ELc78ELb0ELb1ELb0EPKDF16_KS3_KPDF16_EEviiiT16_PT17_ilS9_ilS7_S9_ilPT18_ili26rocblas_geam_ex_operation_
    .private_segment_fixed_size: 0
    .sgpr_count:     42
    .sgpr_spill_count: 0
    .symbol:         _ZN12_GLOBAL__N_120geam_min_plus_kernelIDF16_Dv2_DF16_S1_Li8ELi32ELi64ELi128ELi4ELi4ELi64ELi4ELi64ELc84ELc78ELb0ELb1ELb0EPKDF16_KS3_KPDF16_EEviiiT16_PT17_ilS9_ilS7_S9_ilPT18_ili26rocblas_geam_ex_operation_.kd
    .uniform_work_group_size: 1
    .uses_dynamic_stack: false
    .vgpr_count:     122
    .vgpr_spill_count: 0
    .wavefront_size: 64
  - .agpr_count:     0
    .args:
      - .offset:         0
        .size:           4
        .value_kind:     by_value
      - .offset:         4
        .size:           4
        .value_kind:     by_value
      - .offset:         8
        .size:           4
        .value_kind:     by_value
      - .offset:         12
        .size:           2
        .value_kind:     by_value
      - .address_space:  global
        .offset:         16
        .size:           8
        .value_kind:     global_buffer
      - .offset:         24
        .size:           4
        .value_kind:     by_value
      - .offset:         32
        .size:           8
        .value_kind:     by_value
      - .address_space:  global
        .offset:         40
        .size:           8
        .value_kind:     global_buffer
      - .offset:         48
        .size:           4
        .value_kind:     by_value
      - .offset:         56
        .size:           8
        .value_kind:     by_value
      - .offset:         64
        .size:           2
        .value_kind:     by_value
      - .address_space:  global
        .offset:         72
        .size:           8
        .value_kind:     global_buffer
      - .offset:         80
        .size:           4
        .value_kind:     by_value
      - .offset:         88
        .size:           8
        .value_kind:     by_value
      - .address_space:  global
        .offset:         96
        .size:           8
        .value_kind:     global_buffer
      - .offset:         104
        .size:           4
        .value_kind:     by_value
      - .offset:         112
        .size:           8
        .value_kind:     by_value
      - .offset:         120
        .size:           4
        .value_kind:     by_value
      - .offset:         124
        .size:           4
        .value_kind:     by_value
    .group_segment_fixed_size: 3072
    .kernarg_segment_align: 8
    .kernarg_segment_size: 128
    .language:       OpenCL C
    .language_version:
      - 2
      - 0
    .max_flat_workgroup_size: 256
    .name:           _ZN12_GLOBAL__N_120geam_min_plus_kernelIDF16_Dv2_DF16_S1_Li8ELi32ELi64ELi128ELi4ELi4ELi64ELi4ELi64ELc84ELc78ELb1ELb1ELb0EDF16_KPKDF16_KPDF16_EEviiiT16_PT17_ilS9_ilS7_S9_ilPT18_ili26rocblas_geam_ex_operation_
    .private_segment_fixed_size: 0
    .sgpr_count:     42
    .sgpr_spill_count: 0
    .symbol:         _ZN12_GLOBAL__N_120geam_min_plus_kernelIDF16_Dv2_DF16_S1_Li8ELi32ELi64ELi128ELi4ELi4ELi64ELi4ELi64ELc84ELc78ELb1ELb1ELb0EDF16_KPKDF16_KPDF16_EEviiiT16_PT17_ilS9_ilS7_S9_ilPT18_ili26rocblas_geam_ex_operation_.kd
    .uniform_work_group_size: 1
    .uses_dynamic_stack: false
    .vgpr_count:     122
    .vgpr_spill_count: 0
    .wavefront_size: 64
  - .agpr_count:     0
    .args:
      - .offset:         0
        .size:           4
        .value_kind:     by_value
      - .offset:         4
        .size:           4
        .value_kind:     by_value
      - .offset:         8
        .size:           4
        .value_kind:     by_value
      - .offset:         12
        .size:           2
        .value_kind:     by_value
      - .address_space:  global
        .offset:         16
        .size:           8
        .value_kind:     global_buffer
      - .offset:         24
        .size:           4
        .value_kind:     by_value
      - .offset:         32
        .size:           8
        .value_kind:     by_value
      - .address_space:  global
        .offset:         40
        .size:           8
        .value_kind:     global_buffer
      - .offset:         48
        .size:           4
        .value_kind:     by_value
      - .offset:         56
        .size:           8
        .value_kind:     by_value
      - .offset:         64
        .size:           2
        .value_kind:     by_value
      - .address_space:  global
        .offset:         72
        .size:           8
        .value_kind:     global_buffer
      - .offset:         80
        .size:           4
        .value_kind:     by_value
      - .offset:         88
        .size:           8
        .value_kind:     by_value
      - .address_space:  global
        .offset:         96
        .size:           8
        .value_kind:     global_buffer
      - .offset:         104
        .size:           4
        .value_kind:     by_value
      - .offset:         112
        .size:           8
        .value_kind:     by_value
      - .offset:         120
        .size:           4
        .value_kind:     by_value
      - .offset:         124
        .size:           4
        .value_kind:     by_value
    .group_segment_fixed_size: 3072
    .kernarg_segment_align: 8
    .kernarg_segment_size: 128
    .language:       OpenCL C
    .language_version:
      - 2
      - 0
    .max_flat_workgroup_size: 256
    .name:           _ZN12_GLOBAL__N_120geam_min_plus_kernelIDF16_Dv2_DF16_S1_Li8ELi32ELi64ELi128ELi4ELi4ELi64ELi4ELi64ELc84ELc78ELb0ELb1ELb0EDF16_KPKDF16_KPDF16_EEviiiT16_PT17_ilS9_ilS7_S9_ilPT18_ili26rocblas_geam_ex_operation_
    .private_segment_fixed_size: 0
    .sgpr_count:     44
    .sgpr_spill_count: 0
    .symbol:         _ZN12_GLOBAL__N_120geam_min_plus_kernelIDF16_Dv2_DF16_S1_Li8ELi32ELi64ELi128ELi4ELi4ELi64ELi4ELi64ELc84ELc78ELb0ELb1ELb0EDF16_KPKDF16_KPDF16_EEviiiT16_PT17_ilS9_ilS7_S9_ilPT18_ili26rocblas_geam_ex_operation_.kd
    .uniform_work_group_size: 1
    .uses_dynamic_stack: false
    .vgpr_count:     120
    .vgpr_spill_count: 0
    .wavefront_size: 64
  - .agpr_count:     0
    .args:
      - .offset:         0
        .size:           4
        .value_kind:     by_value
      - .offset:         4
        .size:           4
        .value_kind:     by_value
      - .offset:         8
        .size:           4
        .value_kind:     by_value
      - .address_space:  global
        .offset:         16
        .size:           8
        .value_kind:     global_buffer
      - .address_space:  global
        .offset:         24
        .size:           8
        .value_kind:     global_buffer
      - .offset:         32
        .size:           4
        .value_kind:     by_value
      - .offset:         40
        .size:           8
        .value_kind:     by_value
      - .address_space:  global
        .offset:         48
        .size:           8
        .value_kind:     global_buffer
      - .offset:         56
        .size:           4
        .value_kind:     by_value
      - .offset:         64
        .size:           8
        .value_kind:     by_value
      - .address_space:  global
        .offset:         72
        .size:           8
        .value_kind:     global_buffer
      - .address_space:  global
        .offset:         80
        .size:           8
        .value_kind:     global_buffer
      - .offset:         88
        .size:           4
        .value_kind:     by_value
      - .offset:         96
        .size:           8
        .value_kind:     by_value
      - .address_space:  global
        .offset:         104
        .size:           8
        .value_kind:     global_buffer
      - .offset:         112
        .size:           4
        .value_kind:     by_value
      - .offset:         120
        .size:           8
        .value_kind:     by_value
      - .offset:         128
        .size:           4
        .value_kind:     by_value
      - .offset:         132
        .size:           4
        .value_kind:     by_value
    .group_segment_fixed_size: 3072
    .kernarg_segment_align: 8
    .kernarg_segment_size: 136
    .language:       OpenCL C
    .language_version:
      - 2
      - 0
    .max_flat_workgroup_size: 256
    .name:           _ZN12_GLOBAL__N_120geam_min_plus_kernelIDF16_Dv2_DF16_S1_Li8ELi32ELi64ELi128ELi4ELi64ELi4ELi64ELi4ELc78ELc84ELb0ELb0ELb0EPKDF16_KS3_KPDF16_EEviiiT16_PT17_ilS9_ilS7_S9_ilPT18_ili26rocblas_geam_ex_operation_
    .private_segment_fixed_size: 0
    .sgpr_count:     31
    .sgpr_spill_count: 0
    .symbol:         _ZN12_GLOBAL__N_120geam_min_plus_kernelIDF16_Dv2_DF16_S1_Li8ELi32ELi64ELi128ELi4ELi64ELi4ELi64ELi4ELc78ELc84ELb0ELb0ELb0EPKDF16_KS3_KPDF16_EEviiiT16_PT17_ilS9_ilS7_S9_ilPT18_ili26rocblas_geam_ex_operation_.kd
    .uniform_work_group_size: 1
    .uses_dynamic_stack: false
    .vgpr_count:     126
    .vgpr_spill_count: 0
    .wavefront_size: 64
  - .agpr_count:     0
    .args:
      - .offset:         0
        .size:           4
        .value_kind:     by_value
      - .offset:         4
        .size:           4
        .value_kind:     by_value
      - .offset:         8
        .size:           4
        .value_kind:     by_value
      - .offset:         12
        .size:           2
        .value_kind:     by_value
      - .address_space:  global
        .offset:         16
        .size:           8
        .value_kind:     global_buffer
      - .offset:         24
        .size:           4
        .value_kind:     by_value
      - .offset:         32
        .size:           8
        .value_kind:     by_value
      - .address_space:  global
        .offset:         40
        .size:           8
        .value_kind:     global_buffer
      - .offset:         48
        .size:           4
        .value_kind:     by_value
      - .offset:         56
        .size:           8
        .value_kind:     by_value
      - .offset:         64
        .size:           2
        .value_kind:     by_value
      - .address_space:  global
        .offset:         72
        .size:           8
        .value_kind:     global_buffer
      - .offset:         80
        .size:           4
        .value_kind:     by_value
      - .offset:         88
        .size:           8
        .value_kind:     by_value
      - .address_space:  global
        .offset:         96
        .size:           8
        .value_kind:     global_buffer
      - .offset:         104
        .size:           4
        .value_kind:     by_value
      - .offset:         112
        .size:           8
        .value_kind:     by_value
      - .offset:         120
        .size:           4
        .value_kind:     by_value
      - .offset:         124
        .size:           4
        .value_kind:     by_value
    .group_segment_fixed_size: 3072
    .kernarg_segment_align: 8
    .kernarg_segment_size: 128
    .language:       OpenCL C
    .language_version:
      - 2
      - 0
    .max_flat_workgroup_size: 256
    .name:           _ZN12_GLOBAL__N_120geam_min_plus_kernelIDF16_Dv2_DF16_S1_Li8ELi32ELi64ELi128ELi4ELi64ELi4ELi64ELi4ELc78ELc84ELb1ELb0ELb0EDF16_KPKDF16_KPDF16_EEviiiT16_PT17_ilS9_ilS7_S9_ilPT18_ili26rocblas_geam_ex_operation_
    .private_segment_fixed_size: 0
    .sgpr_count:     30
    .sgpr_spill_count: 0
    .symbol:         _ZN12_GLOBAL__N_120geam_min_plus_kernelIDF16_Dv2_DF16_S1_Li8ELi32ELi64ELi128ELi4ELi64ELi4ELi64ELi4ELc78ELc84ELb1ELb0ELb0EDF16_KPKDF16_KPDF16_EEviiiT16_PT17_ilS9_ilS7_S9_ilPT18_ili26rocblas_geam_ex_operation_.kd
    .uniform_work_group_size: 1
    .uses_dynamic_stack: false
    .vgpr_count:     87
    .vgpr_spill_count: 0
    .wavefront_size: 64
  - .agpr_count:     0
    .args:
      - .offset:         0
        .size:           4
        .value_kind:     by_value
      - .offset:         4
        .size:           4
        .value_kind:     by_value
      - .offset:         8
        .size:           4
        .value_kind:     by_value
      - .offset:         12
        .size:           2
        .value_kind:     by_value
      - .address_space:  global
        .offset:         16
        .size:           8
        .value_kind:     global_buffer
      - .offset:         24
        .size:           4
        .value_kind:     by_value
      - .offset:         32
        .size:           8
        .value_kind:     by_value
      - .address_space:  global
        .offset:         40
        .size:           8
        .value_kind:     global_buffer
      - .offset:         48
        .size:           4
        .value_kind:     by_value
      - .offset:         56
        .size:           8
        .value_kind:     by_value
      - .offset:         64
        .size:           2
        .value_kind:     by_value
      - .address_space:  global
        .offset:         72
        .size:           8
        .value_kind:     global_buffer
      - .offset:         80
        .size:           4
        .value_kind:     by_value
      - .offset:         88
        .size:           8
        .value_kind:     by_value
      - .address_space:  global
        .offset:         96
        .size:           8
        .value_kind:     global_buffer
      - .offset:         104
        .size:           4
        .value_kind:     by_value
      - .offset:         112
        .size:           8
        .value_kind:     by_value
      - .offset:         120
        .size:           4
        .value_kind:     by_value
      - .offset:         124
        .size:           4
        .value_kind:     by_value
    .group_segment_fixed_size: 3072
    .kernarg_segment_align: 8
    .kernarg_segment_size: 128
    .language:       OpenCL C
    .language_version:
      - 2
      - 0
    .max_flat_workgroup_size: 256
    .name:           _ZN12_GLOBAL__N_120geam_min_plus_kernelIDF16_Dv2_DF16_S1_Li8ELi32ELi64ELi128ELi4ELi64ELi4ELi64ELi4ELc78ELc84ELb0ELb0ELb0EDF16_KPKDF16_KPDF16_EEviiiT16_PT17_ilS9_ilS7_S9_ilPT18_ili26rocblas_geam_ex_operation_
    .private_segment_fixed_size: 0
    .sgpr_count:     34
    .sgpr_spill_count: 0
    .symbol:         _ZN12_GLOBAL__N_120geam_min_plus_kernelIDF16_Dv2_DF16_S1_Li8ELi32ELi64ELi128ELi4ELi64ELi4ELi64ELi4ELc78ELc84ELb0ELb0ELb0EDF16_KPKDF16_KPDF16_EEviiiT16_PT17_ilS9_ilS7_S9_ilPT18_ili26rocblas_geam_ex_operation_.kd
    .uniform_work_group_size: 1
    .uses_dynamic_stack: false
    .vgpr_count:     124
    .vgpr_spill_count: 0
    .wavefront_size: 64
  - .agpr_count:     0
    .args:
      - .offset:         0
        .size:           4
        .value_kind:     by_value
      - .offset:         4
        .size:           4
        .value_kind:     by_value
      - .offset:         8
        .size:           4
        .value_kind:     by_value
      - .address_space:  global
        .offset:         16
        .size:           8
        .value_kind:     global_buffer
      - .address_space:  global
        .offset:         24
        .size:           8
        .value_kind:     global_buffer
      - .offset:         32
        .size:           4
        .value_kind:     by_value
      - .offset:         40
        .size:           8
        .value_kind:     by_value
      - .address_space:  global
        .offset:         48
        .size:           8
        .value_kind:     global_buffer
      - .offset:         56
        .size:           4
        .value_kind:     by_value
      - .offset:         64
        .size:           8
        .value_kind:     by_value
      - .address_space:  global
        .offset:         72
        .size:           8
        .value_kind:     global_buffer
      - .address_space:  global
        .offset:         80
        .size:           8
        .value_kind:     global_buffer
      - .offset:         88
        .size:           4
        .value_kind:     by_value
      - .offset:         96
        .size:           8
        .value_kind:     by_value
      - .address_space:  global
        .offset:         104
        .size:           8
        .value_kind:     global_buffer
      - .offset:         112
        .size:           4
        .value_kind:     by_value
      - .offset:         120
        .size:           8
        .value_kind:     by_value
      - .offset:         128
        .size:           4
        .value_kind:     by_value
      - .offset:         132
        .size:           4
        .value_kind:     by_value
    .group_segment_fixed_size: 3072
    .kernarg_segment_align: 8
    .kernarg_segment_size: 136
    .language:       OpenCL C
    .language_version:
      - 2
      - 0
    .max_flat_workgroup_size: 256
    .name:           _ZN12_GLOBAL__N_120geam_min_plus_kernelIDF16_Dv2_DF16_S1_Li8ELi32ELi64ELi128ELi4ELi64ELi4ELi64ELi4ELc78ELc84ELb0ELb1ELb0EPKDF16_KS3_KPDF16_EEviiiT16_PT17_ilS9_ilS7_S9_ilPT18_ili26rocblas_geam_ex_operation_
    .private_segment_fixed_size: 0
    .sgpr_count:     42
    .sgpr_spill_count: 0
    .symbol:         _ZN12_GLOBAL__N_120geam_min_plus_kernelIDF16_Dv2_DF16_S1_Li8ELi32ELi64ELi128ELi4ELi64ELi4ELi64ELi4ELc78ELc84ELb0ELb1ELb0EPKDF16_KS3_KPDF16_EEviiiT16_PT17_ilS9_ilS7_S9_ilPT18_ili26rocblas_geam_ex_operation_.kd
    .uniform_work_group_size: 1
    .uses_dynamic_stack: false
    .vgpr_count:     125
    .vgpr_spill_count: 0
    .wavefront_size: 64
  - .agpr_count:     0
    .args:
      - .offset:         0
        .size:           4
        .value_kind:     by_value
      - .offset:         4
        .size:           4
        .value_kind:     by_value
      - .offset:         8
        .size:           4
        .value_kind:     by_value
      - .offset:         12
        .size:           2
        .value_kind:     by_value
      - .address_space:  global
        .offset:         16
        .size:           8
        .value_kind:     global_buffer
      - .offset:         24
        .size:           4
        .value_kind:     by_value
      - .offset:         32
        .size:           8
        .value_kind:     by_value
      - .address_space:  global
        .offset:         40
        .size:           8
        .value_kind:     global_buffer
      - .offset:         48
        .size:           4
        .value_kind:     by_value
      - .offset:         56
        .size:           8
        .value_kind:     by_value
      - .offset:         64
        .size:           2
        .value_kind:     by_value
      - .address_space:  global
        .offset:         72
        .size:           8
        .value_kind:     global_buffer
      - .offset:         80
        .size:           4
        .value_kind:     by_value
      - .offset:         88
        .size:           8
        .value_kind:     by_value
      - .address_space:  global
        .offset:         96
        .size:           8
        .value_kind:     global_buffer
      - .offset:         104
        .size:           4
        .value_kind:     by_value
      - .offset:         112
        .size:           8
        .value_kind:     by_value
      - .offset:         120
        .size:           4
        .value_kind:     by_value
      - .offset:         124
        .size:           4
        .value_kind:     by_value
    .group_segment_fixed_size: 3072
    .kernarg_segment_align: 8
    .kernarg_segment_size: 128
    .language:       OpenCL C
    .language_version:
      - 2
      - 0
    .max_flat_workgroup_size: 256
    .name:           _ZN12_GLOBAL__N_120geam_min_plus_kernelIDF16_Dv2_DF16_S1_Li8ELi32ELi64ELi128ELi4ELi64ELi4ELi64ELi4ELc78ELc84ELb1ELb1ELb0EDF16_KPKDF16_KPDF16_EEviiiT16_PT17_ilS9_ilS7_S9_ilPT18_ili26rocblas_geam_ex_operation_
    .private_segment_fixed_size: 0
    .sgpr_count:     42
    .sgpr_spill_count: 0
    .symbol:         _ZN12_GLOBAL__N_120geam_min_plus_kernelIDF16_Dv2_DF16_S1_Li8ELi32ELi64ELi128ELi4ELi64ELi4ELi64ELi4ELc78ELc84ELb1ELb1ELb0EDF16_KPKDF16_KPDF16_EEviiiT16_PT17_ilS9_ilS7_S9_ilPT18_ili26rocblas_geam_ex_operation_.kd
    .uniform_work_group_size: 1
    .uses_dynamic_stack: false
    .vgpr_count:     127
    .vgpr_spill_count: 0
    .wavefront_size: 64
  - .agpr_count:     0
    .args:
      - .offset:         0
        .size:           4
        .value_kind:     by_value
      - .offset:         4
        .size:           4
        .value_kind:     by_value
      - .offset:         8
        .size:           4
        .value_kind:     by_value
      - .offset:         12
        .size:           2
        .value_kind:     by_value
      - .address_space:  global
        .offset:         16
        .size:           8
        .value_kind:     global_buffer
      - .offset:         24
        .size:           4
        .value_kind:     by_value
      - .offset:         32
        .size:           8
        .value_kind:     by_value
      - .address_space:  global
        .offset:         40
        .size:           8
        .value_kind:     global_buffer
      - .offset:         48
        .size:           4
        .value_kind:     by_value
      - .offset:         56
        .size:           8
        .value_kind:     by_value
      - .offset:         64
        .size:           2
        .value_kind:     by_value
      - .address_space:  global
        .offset:         72
        .size:           8
        .value_kind:     global_buffer
      - .offset:         80
        .size:           4
        .value_kind:     by_value
      - .offset:         88
        .size:           8
        .value_kind:     by_value
      - .address_space:  global
        .offset:         96
        .size:           8
        .value_kind:     global_buffer
      - .offset:         104
        .size:           4
        .value_kind:     by_value
      - .offset:         112
        .size:           8
        .value_kind:     by_value
      - .offset:         120
        .size:           4
        .value_kind:     by_value
      - .offset:         124
        .size:           4
        .value_kind:     by_value
    .group_segment_fixed_size: 3072
    .kernarg_segment_align: 8
    .kernarg_segment_size: 128
    .language:       OpenCL C
    .language_version:
      - 2
      - 0
    .max_flat_workgroup_size: 256
    .name:           _ZN12_GLOBAL__N_120geam_min_plus_kernelIDF16_Dv2_DF16_S1_Li8ELi32ELi64ELi128ELi4ELi64ELi4ELi64ELi4ELc78ELc84ELb0ELb1ELb0EDF16_KPKDF16_KPDF16_EEviiiT16_PT17_ilS9_ilS7_S9_ilPT18_ili26rocblas_geam_ex_operation_
    .private_segment_fixed_size: 0
    .sgpr_count:     44
    .sgpr_spill_count: 0
    .symbol:         _ZN12_GLOBAL__N_120geam_min_plus_kernelIDF16_Dv2_DF16_S1_Li8ELi32ELi64ELi128ELi4ELi64ELi4ELi64ELi4ELc78ELc84ELb0ELb1ELb0EDF16_KPKDF16_KPDF16_EEviiiT16_PT17_ilS9_ilS7_S9_ilPT18_ili26rocblas_geam_ex_operation_.kd
    .uniform_work_group_size: 1
    .uses_dynamic_stack: false
    .vgpr_count:     123
    .vgpr_spill_count: 0
    .wavefront_size: 64
  - .agpr_count:     0
    .args:
      - .offset:         0
        .size:           4
        .value_kind:     by_value
      - .offset:         4
        .size:           4
        .value_kind:     by_value
      - .offset:         8
        .size:           4
        .value_kind:     by_value
      - .address_space:  global
        .offset:         16
        .size:           8
        .value_kind:     global_buffer
      - .address_space:  global
        .offset:         24
        .size:           8
        .value_kind:     global_buffer
      - .offset:         32
        .size:           4
        .value_kind:     by_value
      - .offset:         40
        .size:           8
        .value_kind:     by_value
      - .address_space:  global
        .offset:         48
        .size:           8
        .value_kind:     global_buffer
      - .offset:         56
        .size:           4
        .value_kind:     by_value
      - .offset:         64
        .size:           8
        .value_kind:     by_value
      - .address_space:  global
        .offset:         72
        .size:           8
        .value_kind:     global_buffer
      - .address_space:  global
        .offset:         80
        .size:           8
        .value_kind:     global_buffer
      - .offset:         88
        .size:           4
        .value_kind:     by_value
      - .offset:         96
        .size:           8
        .value_kind:     by_value
      - .address_space:  global
        .offset:         104
        .size:           8
        .value_kind:     global_buffer
      - .offset:         112
        .size:           4
        .value_kind:     by_value
      - .offset:         120
        .size:           8
        .value_kind:     by_value
      - .offset:         128
        .size:           4
        .value_kind:     by_value
      - .offset:         132
        .size:           4
        .value_kind:     by_value
    .group_segment_fixed_size: 3072
    .kernarg_segment_align: 8
    .kernarg_segment_size: 136
    .language:       OpenCL C
    .language_version:
      - 2
      - 0
    .max_flat_workgroup_size: 256
    .name:           _ZN12_GLOBAL__N_120geam_min_plus_kernelIDF16_Dv2_DF16_S1_Li8ELi32ELi64ELi128ELi4ELi4ELi64ELi64ELi4ELc84ELc84ELb0ELb0ELb0EPKDF16_KS3_KPDF16_EEviiiT16_PT17_ilS9_ilS7_S9_ilPT18_ili26rocblas_geam_ex_operation_
    .private_segment_fixed_size: 0
    .sgpr_count:     30
    .sgpr_spill_count: 0
    .symbol:         _ZN12_GLOBAL__N_120geam_min_plus_kernelIDF16_Dv2_DF16_S1_Li8ELi32ELi64ELi128ELi4ELi4ELi64ELi64ELi4ELc84ELc84ELb0ELb0ELb0EPKDF16_KS3_KPDF16_EEviiiT16_PT17_ilS9_ilS7_S9_ilPT18_ili26rocblas_geam_ex_operation_.kd
    .uniform_work_group_size: 1
    .uses_dynamic_stack: false
    .vgpr_count:     122
    .vgpr_spill_count: 0
    .wavefront_size: 64
  - .agpr_count:     0
    .args:
      - .offset:         0
        .size:           4
        .value_kind:     by_value
      - .offset:         4
        .size:           4
        .value_kind:     by_value
      - .offset:         8
        .size:           4
        .value_kind:     by_value
      - .offset:         12
        .size:           2
        .value_kind:     by_value
      - .address_space:  global
        .offset:         16
        .size:           8
        .value_kind:     global_buffer
      - .offset:         24
        .size:           4
        .value_kind:     by_value
      - .offset:         32
        .size:           8
        .value_kind:     by_value
      - .address_space:  global
        .offset:         40
        .size:           8
        .value_kind:     global_buffer
      - .offset:         48
        .size:           4
        .value_kind:     by_value
      - .offset:         56
        .size:           8
        .value_kind:     by_value
      - .offset:         64
        .size:           2
        .value_kind:     by_value
      - .address_space:  global
        .offset:         72
        .size:           8
        .value_kind:     global_buffer
      - .offset:         80
        .size:           4
        .value_kind:     by_value
      - .offset:         88
        .size:           8
        .value_kind:     by_value
      - .address_space:  global
        .offset:         96
        .size:           8
        .value_kind:     global_buffer
      - .offset:         104
        .size:           4
        .value_kind:     by_value
      - .offset:         112
        .size:           8
        .value_kind:     by_value
      - .offset:         120
        .size:           4
        .value_kind:     by_value
      - .offset:         124
        .size:           4
        .value_kind:     by_value
    .group_segment_fixed_size: 3072
    .kernarg_segment_align: 8
    .kernarg_segment_size: 128
    .language:       OpenCL C
    .language_version:
      - 2
      - 0
    .max_flat_workgroup_size: 256
    .name:           _ZN12_GLOBAL__N_120geam_min_plus_kernelIDF16_Dv2_DF16_S1_Li8ELi32ELi64ELi128ELi4ELi4ELi64ELi64ELi4ELc84ELc84ELb1ELb0ELb0EDF16_KPKDF16_KPDF16_EEviiiT16_PT17_ilS9_ilS7_S9_ilPT18_ili26rocblas_geam_ex_operation_
    .private_segment_fixed_size: 0
    .sgpr_count:     28
    .sgpr_spill_count: 0
    .symbol:         _ZN12_GLOBAL__N_120geam_min_plus_kernelIDF16_Dv2_DF16_S1_Li8ELi32ELi64ELi128ELi4ELi4ELi64ELi64ELi4ELc84ELc84ELb1ELb0ELb0EDF16_KPKDF16_KPDF16_EEviiiT16_PT17_ilS9_ilS7_S9_ilPT18_ili26rocblas_geam_ex_operation_.kd
    .uniform_work_group_size: 1
    .uses_dynamic_stack: false
    .vgpr_count:     83
    .vgpr_spill_count: 0
    .wavefront_size: 64
  - .agpr_count:     0
    .args:
      - .offset:         0
        .size:           4
        .value_kind:     by_value
      - .offset:         4
        .size:           4
        .value_kind:     by_value
      - .offset:         8
        .size:           4
        .value_kind:     by_value
      - .offset:         12
        .size:           2
        .value_kind:     by_value
      - .address_space:  global
        .offset:         16
        .size:           8
        .value_kind:     global_buffer
      - .offset:         24
        .size:           4
        .value_kind:     by_value
      - .offset:         32
        .size:           8
        .value_kind:     by_value
      - .address_space:  global
        .offset:         40
        .size:           8
        .value_kind:     global_buffer
      - .offset:         48
        .size:           4
        .value_kind:     by_value
      - .offset:         56
        .size:           8
        .value_kind:     by_value
      - .offset:         64
        .size:           2
        .value_kind:     by_value
      - .address_space:  global
        .offset:         72
        .size:           8
        .value_kind:     global_buffer
      - .offset:         80
        .size:           4
        .value_kind:     by_value
      - .offset:         88
        .size:           8
        .value_kind:     by_value
      - .address_space:  global
        .offset:         96
        .size:           8
        .value_kind:     global_buffer
      - .offset:         104
        .size:           4
        .value_kind:     by_value
      - .offset:         112
        .size:           8
        .value_kind:     by_value
      - .offset:         120
        .size:           4
        .value_kind:     by_value
      - .offset:         124
        .size:           4
        .value_kind:     by_value
    .group_segment_fixed_size: 3072
    .kernarg_segment_align: 8
    .kernarg_segment_size: 128
    .language:       OpenCL C
    .language_version:
      - 2
      - 0
    .max_flat_workgroup_size: 256
    .name:           _ZN12_GLOBAL__N_120geam_min_plus_kernelIDF16_Dv2_DF16_S1_Li8ELi32ELi64ELi128ELi4ELi4ELi64ELi64ELi4ELc84ELc84ELb0ELb0ELb0EDF16_KPKDF16_KPDF16_EEviiiT16_PT17_ilS9_ilS7_S9_ilPT18_ili26rocblas_geam_ex_operation_
    .private_segment_fixed_size: 0
    .sgpr_count:     32
    .sgpr_spill_count: 0
    .symbol:         _ZN12_GLOBAL__N_120geam_min_plus_kernelIDF16_Dv2_DF16_S1_Li8ELi32ELi64ELi128ELi4ELi4ELi64ELi64ELi4ELc84ELc84ELb0ELb0ELb0EDF16_KPKDF16_KPDF16_EEviiiT16_PT17_ilS9_ilS7_S9_ilPT18_ili26rocblas_geam_ex_operation_.kd
    .uniform_work_group_size: 1
    .uses_dynamic_stack: false
    .vgpr_count:     120
    .vgpr_spill_count: 0
    .wavefront_size: 64
  - .agpr_count:     0
    .args:
      - .offset:         0
        .size:           4
        .value_kind:     by_value
      - .offset:         4
        .size:           4
        .value_kind:     by_value
      - .offset:         8
        .size:           4
        .value_kind:     by_value
      - .address_space:  global
        .offset:         16
        .size:           8
        .value_kind:     global_buffer
      - .address_space:  global
        .offset:         24
        .size:           8
        .value_kind:     global_buffer
      - .offset:         32
        .size:           4
        .value_kind:     by_value
      - .offset:         40
        .size:           8
        .value_kind:     by_value
      - .address_space:  global
        .offset:         48
        .size:           8
        .value_kind:     global_buffer
      - .offset:         56
        .size:           4
        .value_kind:     by_value
      - .offset:         64
        .size:           8
        .value_kind:     by_value
      - .address_space:  global
        .offset:         72
        .size:           8
        .value_kind:     global_buffer
      - .address_space:  global
        .offset:         80
        .size:           8
        .value_kind:     global_buffer
      - .offset:         88
        .size:           4
        .value_kind:     by_value
      - .offset:         96
        .size:           8
        .value_kind:     by_value
      - .address_space:  global
        .offset:         104
        .size:           8
        .value_kind:     global_buffer
      - .offset:         112
        .size:           4
        .value_kind:     by_value
      - .offset:         120
        .size:           8
        .value_kind:     by_value
      - .offset:         128
        .size:           4
        .value_kind:     by_value
      - .offset:         132
        .size:           4
        .value_kind:     by_value
    .group_segment_fixed_size: 3072
    .kernarg_segment_align: 8
    .kernarg_segment_size: 136
    .language:       OpenCL C
    .language_version:
      - 2
      - 0
    .max_flat_workgroup_size: 256
    .name:           _ZN12_GLOBAL__N_120geam_min_plus_kernelIDF16_Dv2_DF16_S1_Li8ELi32ELi64ELi128ELi4ELi4ELi64ELi64ELi4ELc84ELc84ELb0ELb1ELb0EPKDF16_KS3_KPDF16_EEviiiT16_PT17_ilS9_ilS7_S9_ilPT18_ili26rocblas_geam_ex_operation_
    .private_segment_fixed_size: 0
    .sgpr_count:     44
    .sgpr_spill_count: 0
    .symbol:         _ZN12_GLOBAL__N_120geam_min_plus_kernelIDF16_Dv2_DF16_S1_Li8ELi32ELi64ELi128ELi4ELi4ELi64ELi64ELi4ELc84ELc84ELb0ELb1ELb0EPKDF16_KS3_KPDF16_EEviiiT16_PT17_ilS9_ilS7_S9_ilPT18_ili26rocblas_geam_ex_operation_.kd
    .uniform_work_group_size: 1
    .uses_dynamic_stack: false
    .vgpr_count:     121
    .vgpr_spill_count: 0
    .wavefront_size: 64
  - .agpr_count:     0
    .args:
      - .offset:         0
        .size:           4
        .value_kind:     by_value
      - .offset:         4
        .size:           4
        .value_kind:     by_value
      - .offset:         8
        .size:           4
        .value_kind:     by_value
      - .offset:         12
        .size:           2
        .value_kind:     by_value
      - .address_space:  global
        .offset:         16
        .size:           8
        .value_kind:     global_buffer
      - .offset:         24
        .size:           4
        .value_kind:     by_value
      - .offset:         32
        .size:           8
        .value_kind:     by_value
      - .address_space:  global
        .offset:         40
        .size:           8
        .value_kind:     global_buffer
      - .offset:         48
        .size:           4
        .value_kind:     by_value
      - .offset:         56
        .size:           8
        .value_kind:     by_value
      - .offset:         64
        .size:           2
        .value_kind:     by_value
      - .address_space:  global
        .offset:         72
        .size:           8
        .value_kind:     global_buffer
      - .offset:         80
        .size:           4
        .value_kind:     by_value
      - .offset:         88
        .size:           8
        .value_kind:     by_value
      - .address_space:  global
        .offset:         96
        .size:           8
        .value_kind:     global_buffer
      - .offset:         104
        .size:           4
        .value_kind:     by_value
      - .offset:         112
        .size:           8
        .value_kind:     by_value
      - .offset:         120
        .size:           4
        .value_kind:     by_value
      - .offset:         124
        .size:           4
        .value_kind:     by_value
    .group_segment_fixed_size: 3072
    .kernarg_segment_align: 8
    .kernarg_segment_size: 128
    .language:       OpenCL C
    .language_version:
      - 2
      - 0
    .max_flat_workgroup_size: 256
    .name:           _ZN12_GLOBAL__N_120geam_min_plus_kernelIDF16_Dv2_DF16_S1_Li8ELi32ELi64ELi128ELi4ELi4ELi64ELi64ELi4ELc84ELc84ELb1ELb1ELb0EDF16_KPKDF16_KPDF16_EEviiiT16_PT17_ilS9_ilS7_S9_ilPT18_ili26rocblas_geam_ex_operation_
    .private_segment_fixed_size: 0
    .sgpr_count:     42
    .sgpr_spill_count: 0
    .symbol:         _ZN12_GLOBAL__N_120geam_min_plus_kernelIDF16_Dv2_DF16_S1_Li8ELi32ELi64ELi128ELi4ELi4ELi64ELi64ELi4ELc84ELc84ELb1ELb1ELb0EDF16_KPKDF16_KPDF16_EEviiiT16_PT17_ilS9_ilS7_S9_ilPT18_ili26rocblas_geam_ex_operation_.kd
    .uniform_work_group_size: 1
    .uses_dynamic_stack: false
    .vgpr_count:     123
    .vgpr_spill_count: 0
    .wavefront_size: 64
  - .agpr_count:     0
    .args:
      - .offset:         0
        .size:           4
        .value_kind:     by_value
      - .offset:         4
        .size:           4
        .value_kind:     by_value
      - .offset:         8
        .size:           4
        .value_kind:     by_value
      - .offset:         12
        .size:           2
        .value_kind:     by_value
      - .address_space:  global
        .offset:         16
        .size:           8
        .value_kind:     global_buffer
      - .offset:         24
        .size:           4
        .value_kind:     by_value
      - .offset:         32
        .size:           8
        .value_kind:     by_value
      - .address_space:  global
        .offset:         40
        .size:           8
        .value_kind:     global_buffer
      - .offset:         48
        .size:           4
        .value_kind:     by_value
      - .offset:         56
        .size:           8
        .value_kind:     by_value
      - .offset:         64
        .size:           2
        .value_kind:     by_value
      - .address_space:  global
        .offset:         72
        .size:           8
        .value_kind:     global_buffer
      - .offset:         80
        .size:           4
        .value_kind:     by_value
      - .offset:         88
        .size:           8
        .value_kind:     by_value
      - .address_space:  global
        .offset:         96
        .size:           8
        .value_kind:     global_buffer
      - .offset:         104
        .size:           4
        .value_kind:     by_value
      - .offset:         112
        .size:           8
        .value_kind:     by_value
      - .offset:         120
        .size:           4
        .value_kind:     by_value
      - .offset:         124
        .size:           4
        .value_kind:     by_value
    .group_segment_fixed_size: 3072
    .kernarg_segment_align: 8
    .kernarg_segment_size: 128
    .language:       OpenCL C
    .language_version:
      - 2
      - 0
    .max_flat_workgroup_size: 256
    .name:           _ZN12_GLOBAL__N_120geam_min_plus_kernelIDF16_Dv2_DF16_S1_Li8ELi32ELi64ELi128ELi4ELi4ELi64ELi64ELi4ELc84ELc84ELb0ELb1ELb0EDF16_KPKDF16_KPDF16_EEviiiT16_PT17_ilS9_ilS7_S9_ilPT18_ili26rocblas_geam_ex_operation_
    .private_segment_fixed_size: 0
    .sgpr_count:     44
    .sgpr_spill_count: 0
    .symbol:         _ZN12_GLOBAL__N_120geam_min_plus_kernelIDF16_Dv2_DF16_S1_Li8ELi32ELi64ELi128ELi4ELi4ELi64ELi64ELi4ELc84ELc84ELb0ELb1ELb0EDF16_KPKDF16_KPDF16_EEviiiT16_PT17_ilS9_ilS7_S9_ilPT18_ili26rocblas_geam_ex_operation_.kd
    .uniform_work_group_size: 1
    .uses_dynamic_stack: false
    .vgpr_count:     119
    .vgpr_spill_count: 0
    .wavefront_size: 64
  - .agpr_count:     0
    .args:
      - .offset:         0
        .size:           4
        .value_kind:     by_value
      - .offset:         4
        .size:           4
        .value_kind:     by_value
      - .offset:         8
        .size:           2
        .value_kind:     by_value
      - .address_space:  global
        .offset:         16
        .size:           8
        .value_kind:     global_buffer
      - .offset:         24
        .size:           8
        .value_kind:     by_value
      - .offset:         32
        .size:           4
        .value_kind:     by_value
      - .offset:         40
        .size:           8
        .value_kind:     by_value
      - .address_space:  global
        .offset:         48
        .size:           8
        .value_kind:     global_buffer
      - .offset:         56
        .size:           8
        .value_kind:     by_value
      - .offset:         64
        .size:           4
        .value_kind:     by_value
      - .offset:         72
        .size:           8
        .value_kind:     by_value
    .group_segment_fixed_size: 0
    .kernarg_segment_align: 8
    .kernarg_segment_size: 80
    .language:       OpenCL C
    .language_version:
      - 2
      - 0
    .max_flat_workgroup_size: 1024
    .name:           _ZN12_GLOBAL__N_120geam_ex_scale_kernelILi32ELi32EDF16_DF16_PKDF16_PDF16_EEviiT2_T3_lilT4_lil
    .private_segment_fixed_size: 0
    .sgpr_count:     30
    .sgpr_spill_count: 0
    .symbol:         _ZN12_GLOBAL__N_120geam_ex_scale_kernelILi32ELi32EDF16_DF16_PKDF16_PDF16_EEviiT2_T3_lilT4_lil.kd
    .uniform_work_group_size: 1
    .uses_dynamic_stack: false
    .vgpr_count:     8
    .vgpr_spill_count: 0
    .wavefront_size: 64
  - .agpr_count:     0
    .args:
      - .offset:         0
        .size:           4
        .value_kind:     by_value
      - .offset:         4
        .size:           4
        .value_kind:     by_value
      - .address_space:  global
        .offset:         8
        .size:           8
        .value_kind:     global_buffer
      - .address_space:  global
        .offset:         16
        .size:           8
        .value_kind:     global_buffer
      - .offset:         24
        .size:           8
        .value_kind:     by_value
      - .offset:         32
        .size:           4
        .value_kind:     by_value
      - .offset:         40
        .size:           8
        .value_kind:     by_value
      - .address_space:  global
        .offset:         48
        .size:           8
        .value_kind:     global_buffer
      - .offset:         56
        .size:           8
        .value_kind:     by_value
      - .offset:         64
        .size:           4
        .value_kind:     by_value
      - .offset:         72
        .size:           8
        .value_kind:     by_value
    .group_segment_fixed_size: 0
    .kernarg_segment_align: 8
    .kernarg_segment_size: 80
    .language:       OpenCL C
    .language_version:
      - 2
      - 0
    .max_flat_workgroup_size: 1024
    .name:           _ZN12_GLOBAL__N_120geam_ex_scale_kernelILi32ELi32EDF16_PKDF16_S2_PDF16_EEviiT2_T3_lilT4_lil
    .private_segment_fixed_size: 0
    .sgpr_count:     25
    .sgpr_spill_count: 0
    .symbol:         _ZN12_GLOBAL__N_120geam_ex_scale_kernelILi32ELi32EDF16_PKDF16_S2_PDF16_EEviiT2_T3_lilT4_lil.kd
    .uniform_work_group_size: 1
    .uses_dynamic_stack: false
    .vgpr_count:     8
    .vgpr_spill_count: 0
    .wavefront_size: 64
  - .agpr_count:     0
    .args:
      - .offset:         0
        .size:           4
        .value_kind:     by_value
      - .offset:         4
        .size:           4
        .value_kind:     by_value
      - .offset:         8
        .size:           2
        .value_kind:     by_value
      - .address_space:  global
        .offset:         16
        .size:           8
        .value_kind:     global_buffer
      - .offset:         24
        .size:           8
        .value_kind:     by_value
      - .offset:         32
        .size:           4
        .value_kind:     by_value
      - .offset:         40
        .size:           8
        .value_kind:     by_value
      - .address_space:  global
        .offset:         48
        .size:           8
        .value_kind:     global_buffer
      - .offset:         56
        .size:           8
        .value_kind:     by_value
      - .offset:         64
        .size:           4
        .value_kind:     by_value
      - .offset:         72
        .size:           8
        .value_kind:     by_value
    .group_segment_fixed_size: 0
    .kernarg_segment_align: 8
    .kernarg_segment_size: 80
    .language:       OpenCL C
    .language_version:
      - 2
      - 0
    .max_flat_workgroup_size: 1024
    .name:           _ZN12_GLOBAL__N_120geam_ex_round_kernelILi32ELi32EDF16_DF16_PKDF16_PDF16_EEviiT2_T3_lilT4_lil
    .private_segment_fixed_size: 0
    .sgpr_count:     30
    .sgpr_spill_count: 0
    .symbol:         _ZN12_GLOBAL__N_120geam_ex_round_kernelILi32ELi32EDF16_DF16_PKDF16_PDF16_EEviiT2_T3_lilT4_lil.kd
    .uniform_work_group_size: 1
    .uses_dynamic_stack: false
    .vgpr_count:     10
    .vgpr_spill_count: 0
    .wavefront_size: 64
  - .agpr_count:     0
    .args:
      - .offset:         0
        .size:           4
        .value_kind:     by_value
      - .offset:         4
        .size:           4
        .value_kind:     by_value
      - .offset:         8
        .size:           4
        .value_kind:     by_value
      - .address_space:  global
        .offset:         16
        .size:           8
        .value_kind:     global_buffer
      - .address_space:  global
        .offset:         24
        .size:           8
        .value_kind:     global_buffer
      - .offset:         32
        .size:           4
        .value_kind:     by_value
      - .offset:         40
        .size:           8
        .value_kind:     by_value
      - .address_space:  global
        .offset:         48
        .size:           8
        .value_kind:     global_buffer
      - .offset:         56
        .size:           4
        .value_kind:     by_value
      - .offset:         64
        .size:           8
        .value_kind:     by_value
      - .address_space:  global
        .offset:         72
        .size:           8
        .value_kind:     global_buffer
      - .address_space:  global
        .offset:         80
        .size:           8
        .value_kind:     global_buffer
      - .offset:         88
        .size:           4
        .value_kind:     by_value
      - .offset:         96
        .size:           8
        .value_kind:     by_value
      - .address_space:  global
        .offset:         104
        .size:           8
        .value_kind:     global_buffer
      - .offset:         112
        .size:           4
        .value_kind:     by_value
      - .offset:         120
        .size:           8
        .value_kind:     by_value
      - .offset:         128
        .size:           4
        .value_kind:     by_value
      - .offset:         132
        .size:           4
        .value_kind:     by_value
    .group_segment_fixed_size: 5120
    .kernarg_segment_align: 8
    .kernarg_segment_size: 136
    .language:       OpenCL C
    .language_version:
      - 2
      - 0
    .max_flat_workgroup_size: 256
    .name:           _ZN12_GLOBAL__N_120geam_min_plus_kernelIDF16_Dv2_DF16_S1_Li32ELi8ELi256ELi64ELi4ELi64ELi4ELi4ELi64ELc78ELc78ELb0ELb0ELb1EPKDF16_S2_DF16_EEviiiT16_PT17_ilS6_ilS4_S6_ilPT18_ili26rocblas_geam_ex_operation_
    .private_segment_fixed_size: 0
    .sgpr_count:     34
    .sgpr_spill_count: 0
    .symbol:         _ZN12_GLOBAL__N_120geam_min_plus_kernelIDF16_Dv2_DF16_S1_Li32ELi8ELi256ELi64ELi4ELi64ELi4ELi4ELi64ELc78ELc78ELb0ELb0ELb1EPKDF16_S2_DF16_EEviiiT16_PT17_ilS6_ilS4_S6_ilPT18_ili26rocblas_geam_ex_operation_.kd
    .uniform_work_group_size: 1
    .uses_dynamic_stack: false
    .vgpr_count:     166
    .vgpr_spill_count: 0
    .wavefront_size: 64
  - .agpr_count:     0
    .args:
      - .offset:         0
        .size:           4
        .value_kind:     by_value
      - .offset:         4
        .size:           4
        .value_kind:     by_value
      - .offset:         8
        .size:           4
        .value_kind:     by_value
      - .offset:         12
        .size:           2
        .value_kind:     by_value
      - .address_space:  global
        .offset:         16
        .size:           8
        .value_kind:     global_buffer
      - .offset:         24
        .size:           4
        .value_kind:     by_value
      - .offset:         32
        .size:           8
        .value_kind:     by_value
      - .address_space:  global
        .offset:         40
        .size:           8
        .value_kind:     global_buffer
      - .offset:         48
        .size:           4
        .value_kind:     by_value
      - .offset:         56
        .size:           8
        .value_kind:     by_value
      - .offset:         64
        .size:           2
        .value_kind:     by_value
      - .address_space:  global
        .offset:         72
        .size:           8
        .value_kind:     global_buffer
      - .offset:         80
        .size:           4
        .value_kind:     by_value
      - .offset:         88
        .size:           8
        .value_kind:     by_value
      - .address_space:  global
        .offset:         96
        .size:           8
        .value_kind:     global_buffer
      - .offset:         104
        .size:           4
        .value_kind:     by_value
      - .offset:         112
        .size:           8
        .value_kind:     by_value
      - .offset:         120
        .size:           4
        .value_kind:     by_value
      - .offset:         124
        .size:           4
        .value_kind:     by_value
    .group_segment_fixed_size: 5120
    .kernarg_segment_align: 8
    .kernarg_segment_size: 128
    .language:       OpenCL C
    .language_version:
      - 2
      - 0
    .max_flat_workgroup_size: 256
    .name:           _ZN12_GLOBAL__N_120geam_min_plus_kernelIDF16_Dv2_DF16_S1_Li32ELi8ELi256ELi64ELi4ELi64ELi4ELi4ELi64ELc78ELc78ELb1ELb0ELb1EDF16_KDF16_DF16_EEviiiT16_PT17_ilS5_ilS3_S5_ilPT18_ili26rocblas_geam_ex_operation_
    .private_segment_fixed_size: 0
    .sgpr_count:     30
    .sgpr_spill_count: 0
    .symbol:         _ZN12_GLOBAL__N_120geam_min_plus_kernelIDF16_Dv2_DF16_S1_Li32ELi8ELi256ELi64ELi4ELi64ELi4ELi4ELi64ELc78ELc78ELb1ELb0ELb1EDF16_KDF16_DF16_EEviiiT16_PT17_ilS5_ilS3_S5_ilPT18_ili26rocblas_geam_ex_operation_.kd
    .uniform_work_group_size: 1
    .uses_dynamic_stack: false
    .vgpr_count:     122
    .vgpr_spill_count: 0
    .wavefront_size: 64
  - .agpr_count:     0
    .args:
      - .offset:         0
        .size:           4
        .value_kind:     by_value
      - .offset:         4
        .size:           4
        .value_kind:     by_value
      - .offset:         8
        .size:           4
        .value_kind:     by_value
      - .offset:         12
        .size:           2
        .value_kind:     by_value
      - .address_space:  global
        .offset:         16
        .size:           8
        .value_kind:     global_buffer
      - .offset:         24
        .size:           4
        .value_kind:     by_value
      - .offset:         32
        .size:           8
        .value_kind:     by_value
      - .address_space:  global
        .offset:         40
        .size:           8
        .value_kind:     global_buffer
      - .offset:         48
        .size:           4
        .value_kind:     by_value
      - .offset:         56
        .size:           8
        .value_kind:     by_value
      - .offset:         64
        .size:           2
        .value_kind:     by_value
      - .address_space:  global
        .offset:         72
        .size:           8
        .value_kind:     global_buffer
      - .offset:         80
        .size:           4
        .value_kind:     by_value
      - .offset:         88
        .size:           8
        .value_kind:     by_value
      - .address_space:  global
        .offset:         96
        .size:           8
        .value_kind:     global_buffer
      - .offset:         104
        .size:           4
        .value_kind:     by_value
      - .offset:         112
        .size:           8
        .value_kind:     by_value
      - .offset:         120
        .size:           4
        .value_kind:     by_value
      - .offset:         124
        .size:           4
        .value_kind:     by_value
    .group_segment_fixed_size: 5120
    .kernarg_segment_align: 8
    .kernarg_segment_size: 128
    .language:       OpenCL C
    .language_version:
      - 2
      - 0
    .max_flat_workgroup_size: 256
    .name:           _ZN12_GLOBAL__N_120geam_min_plus_kernelIDF16_Dv2_DF16_S1_Li32ELi8ELi256ELi64ELi4ELi64ELi4ELi4ELi64ELc78ELc78ELb0ELb0ELb1EDF16_KDF16_DF16_EEviiiT16_PT17_ilS5_ilS3_S5_ilPT18_ili26rocblas_geam_ex_operation_
    .private_segment_fixed_size: 0
    .sgpr_count:     36
    .sgpr_spill_count: 0
    .symbol:         _ZN12_GLOBAL__N_120geam_min_plus_kernelIDF16_Dv2_DF16_S1_Li32ELi8ELi256ELi64ELi4ELi64ELi4ELi4ELi64ELc78ELc78ELb0ELb0ELb1EDF16_KDF16_DF16_EEviiiT16_PT17_ilS5_ilS3_S5_ilPT18_ili26rocblas_geam_ex_operation_.kd
    .uniform_work_group_size: 1
    .uses_dynamic_stack: false
    .vgpr_count:     164
    .vgpr_spill_count: 0
    .wavefront_size: 64
  - .agpr_count:     0
    .args:
      - .offset:         0
        .size:           4
        .value_kind:     by_value
      - .offset:         4
        .size:           4
        .value_kind:     by_value
      - .offset:         8
        .size:           4
        .value_kind:     by_value
      - .address_space:  global
        .offset:         16
        .size:           8
        .value_kind:     global_buffer
      - .address_space:  global
        .offset:         24
        .size:           8
        .value_kind:     global_buffer
      - .offset:         32
        .size:           4
        .value_kind:     by_value
      - .offset:         40
        .size:           8
        .value_kind:     by_value
      - .address_space:  global
        .offset:         48
        .size:           8
        .value_kind:     global_buffer
      - .offset:         56
        .size:           4
        .value_kind:     by_value
      - .offset:         64
        .size:           8
        .value_kind:     by_value
      - .address_space:  global
        .offset:         72
        .size:           8
        .value_kind:     global_buffer
      - .address_space:  global
        .offset:         80
        .size:           8
        .value_kind:     global_buffer
      - .offset:         88
        .size:           4
        .value_kind:     by_value
      - .offset:         96
        .size:           8
        .value_kind:     by_value
      - .address_space:  global
        .offset:         104
        .size:           8
        .value_kind:     global_buffer
      - .offset:         112
        .size:           4
        .value_kind:     by_value
      - .offset:         120
        .size:           8
        .value_kind:     by_value
      - .offset:         128
        .size:           4
        .value_kind:     by_value
      - .offset:         132
        .size:           4
        .value_kind:     by_value
    .group_segment_fixed_size: 5120
    .kernarg_segment_align: 8
    .kernarg_segment_size: 136
    .language:       OpenCL C
    .language_version:
      - 2
      - 0
    .max_flat_workgroup_size: 256
    .name:           _ZN12_GLOBAL__N_120geam_min_plus_kernelIDF16_Dv2_DF16_S1_Li32ELi8ELi256ELi64ELi4ELi64ELi4ELi4ELi64ELc78ELc78ELb0ELb1ELb1EPKDF16_S2_DF16_EEviiiT16_PT17_ilS6_ilS4_S6_ilPT18_ili26rocblas_geam_ex_operation_
    .private_segment_fixed_size: 0
    .sgpr_count:     46
    .sgpr_spill_count: 0
    .symbol:         _ZN12_GLOBAL__N_120geam_min_plus_kernelIDF16_Dv2_DF16_S1_Li32ELi8ELi256ELi64ELi4ELi64ELi4ELi4ELi64ELc78ELc78ELb0ELb1ELb1EPKDF16_S2_DF16_EEviiiT16_PT17_ilS6_ilS4_S6_ilPT18_ili26rocblas_geam_ex_operation_.kd
    .uniform_work_group_size: 1
    .uses_dynamic_stack: false
    .vgpr_count:     171
    .vgpr_spill_count: 0
    .wavefront_size: 64
  - .agpr_count:     0
    .args:
      - .offset:         0
        .size:           4
        .value_kind:     by_value
      - .offset:         4
        .size:           4
        .value_kind:     by_value
      - .offset:         8
        .size:           4
        .value_kind:     by_value
      - .offset:         12
        .size:           2
        .value_kind:     by_value
      - .address_space:  global
        .offset:         16
        .size:           8
        .value_kind:     global_buffer
      - .offset:         24
        .size:           4
        .value_kind:     by_value
      - .offset:         32
        .size:           8
        .value_kind:     by_value
      - .address_space:  global
        .offset:         40
        .size:           8
        .value_kind:     global_buffer
      - .offset:         48
        .size:           4
        .value_kind:     by_value
      - .offset:         56
        .size:           8
        .value_kind:     by_value
      - .offset:         64
        .size:           2
        .value_kind:     by_value
      - .address_space:  global
        .offset:         72
        .size:           8
        .value_kind:     global_buffer
      - .offset:         80
        .size:           4
        .value_kind:     by_value
      - .offset:         88
        .size:           8
        .value_kind:     by_value
      - .address_space:  global
        .offset:         96
        .size:           8
        .value_kind:     global_buffer
      - .offset:         104
        .size:           4
        .value_kind:     by_value
      - .offset:         112
        .size:           8
        .value_kind:     by_value
      - .offset:         120
        .size:           4
        .value_kind:     by_value
      - .offset:         124
        .size:           4
        .value_kind:     by_value
    .group_segment_fixed_size: 5120
    .kernarg_segment_align: 8
    .kernarg_segment_size: 128
    .language:       OpenCL C
    .language_version:
      - 2
      - 0
    .max_flat_workgroup_size: 256
    .name:           _ZN12_GLOBAL__N_120geam_min_plus_kernelIDF16_Dv2_DF16_S1_Li32ELi8ELi256ELi64ELi4ELi64ELi4ELi4ELi64ELc78ELc78ELb1ELb1ELb1EDF16_KDF16_DF16_EEviiiT16_PT17_ilS5_ilS3_S5_ilPT18_ili26rocblas_geam_ex_operation_
    .private_segment_fixed_size: 0
    .sgpr_count:     44
    .sgpr_spill_count: 0
    .symbol:         _ZN12_GLOBAL__N_120geam_min_plus_kernelIDF16_Dv2_DF16_S1_Li32ELi8ELi256ELi64ELi4ELi64ELi4ELi4ELi64ELc78ELc78ELb1ELb1ELb1EDF16_KDF16_DF16_EEviiiT16_PT17_ilS5_ilS3_S5_ilPT18_ili26rocblas_geam_ex_operation_.kd
    .uniform_work_group_size: 1
    .uses_dynamic_stack: false
    .vgpr_count:     166
    .vgpr_spill_count: 0
    .wavefront_size: 64
  - .agpr_count:     0
    .args:
      - .offset:         0
        .size:           4
        .value_kind:     by_value
      - .offset:         4
        .size:           4
        .value_kind:     by_value
      - .offset:         8
        .size:           4
        .value_kind:     by_value
      - .offset:         12
        .size:           2
        .value_kind:     by_value
      - .address_space:  global
        .offset:         16
        .size:           8
        .value_kind:     global_buffer
      - .offset:         24
        .size:           4
        .value_kind:     by_value
      - .offset:         32
        .size:           8
        .value_kind:     by_value
      - .address_space:  global
        .offset:         40
        .size:           8
        .value_kind:     global_buffer
      - .offset:         48
        .size:           4
        .value_kind:     by_value
      - .offset:         56
        .size:           8
        .value_kind:     by_value
      - .offset:         64
        .size:           2
        .value_kind:     by_value
      - .address_space:  global
        .offset:         72
        .size:           8
        .value_kind:     global_buffer
      - .offset:         80
        .size:           4
        .value_kind:     by_value
      - .offset:         88
        .size:           8
        .value_kind:     by_value
      - .address_space:  global
        .offset:         96
        .size:           8
        .value_kind:     global_buffer
      - .offset:         104
        .size:           4
        .value_kind:     by_value
      - .offset:         112
        .size:           8
        .value_kind:     by_value
      - .offset:         120
        .size:           4
        .value_kind:     by_value
      - .offset:         124
        .size:           4
        .value_kind:     by_value
    .group_segment_fixed_size: 5120
    .kernarg_segment_align: 8
    .kernarg_segment_size: 128
    .language:       OpenCL C
    .language_version:
      - 2
      - 0
    .max_flat_workgroup_size: 256
    .name:           _ZN12_GLOBAL__N_120geam_min_plus_kernelIDF16_Dv2_DF16_S1_Li32ELi8ELi256ELi64ELi4ELi64ELi4ELi4ELi64ELc78ELc78ELb0ELb1ELb1EDF16_KDF16_DF16_EEviiiT16_PT17_ilS5_ilS3_S5_ilPT18_ili26rocblas_geam_ex_operation_
    .private_segment_fixed_size: 0
    .sgpr_count:     48
    .sgpr_spill_count: 0
    .symbol:         _ZN12_GLOBAL__N_120geam_min_plus_kernelIDF16_Dv2_DF16_S1_Li32ELi8ELi256ELi64ELi4ELi64ELi4ELi4ELi64ELc78ELc78ELb0ELb1ELb1EDF16_KDF16_DF16_EEviiiT16_PT17_ilS5_ilS3_S5_ilPT18_ili26rocblas_geam_ex_operation_.kd
    .uniform_work_group_size: 1
    .uses_dynamic_stack: false
    .vgpr_count:     169
    .vgpr_spill_count: 0
    .wavefront_size: 64
  - .agpr_count:     0
    .args:
      - .offset:         0
        .size:           4
        .value_kind:     by_value
      - .offset:         4
        .size:           4
        .value_kind:     by_value
      - .offset:         8
        .size:           4
        .value_kind:     by_value
      - .address_space:  global
        .offset:         16
        .size:           8
        .value_kind:     global_buffer
      - .address_space:  global
        .offset:         24
        .size:           8
        .value_kind:     global_buffer
      - .offset:         32
        .size:           4
        .value_kind:     by_value
      - .offset:         40
        .size:           8
        .value_kind:     by_value
      - .address_space:  global
        .offset:         48
        .size:           8
        .value_kind:     global_buffer
      - .offset:         56
        .size:           4
        .value_kind:     by_value
      - .offset:         64
        .size:           8
        .value_kind:     by_value
      - .address_space:  global
        .offset:         72
        .size:           8
        .value_kind:     global_buffer
      - .address_space:  global
        .offset:         80
        .size:           8
        .value_kind:     global_buffer
      - .offset:         88
        .size:           4
        .value_kind:     by_value
      - .offset:         96
        .size:           8
        .value_kind:     by_value
      - .address_space:  global
        .offset:         104
        .size:           8
        .value_kind:     global_buffer
      - .offset:         112
        .size:           4
        .value_kind:     by_value
      - .offset:         120
        .size:           8
        .value_kind:     by_value
      - .offset:         128
        .size:           4
        .value_kind:     by_value
      - .offset:         132
        .size:           4
        .value_kind:     by_value
    .group_segment_fixed_size: 4096
    .kernarg_segment_align: 8
    .kernarg_segment_size: 136
    .language:       OpenCL C
    .language_version:
      - 2
      - 0
    .max_flat_workgroup_size: 256
    .name:           _ZN12_GLOBAL__N_120geam_min_plus_kernelIDF16_Dv2_DF16_S1_Li32ELi8ELi128ELi128ELi4ELi4ELi64ELi4ELi64ELc84ELc78ELb0ELb0ELb1EPKDF16_S2_DF16_EEviiiT16_PT17_ilS6_ilS4_S6_ilPT18_ili26rocblas_geam_ex_operation_
    .private_segment_fixed_size: 0
    .sgpr_count:     32
    .sgpr_spill_count: 0
    .symbol:         _ZN12_GLOBAL__N_120geam_min_plus_kernelIDF16_Dv2_DF16_S1_Li32ELi8ELi128ELi128ELi4ELi4ELi64ELi4ELi64ELc84ELc78ELb0ELb0ELb1EPKDF16_S2_DF16_EEviiiT16_PT17_ilS6_ilS4_S6_ilPT18_ili26rocblas_geam_ex_operation_.kd
    .uniform_work_group_size: 1
    .uses_dynamic_stack: false
    .vgpr_count:     170
    .vgpr_spill_count: 0
    .wavefront_size: 64
  - .agpr_count:     0
    .args:
      - .offset:         0
        .size:           4
        .value_kind:     by_value
      - .offset:         4
        .size:           4
        .value_kind:     by_value
      - .offset:         8
        .size:           4
        .value_kind:     by_value
      - .offset:         12
        .size:           2
        .value_kind:     by_value
      - .address_space:  global
        .offset:         16
        .size:           8
        .value_kind:     global_buffer
      - .offset:         24
        .size:           4
        .value_kind:     by_value
      - .offset:         32
        .size:           8
        .value_kind:     by_value
      - .address_space:  global
        .offset:         40
        .size:           8
        .value_kind:     global_buffer
      - .offset:         48
        .size:           4
        .value_kind:     by_value
      - .offset:         56
        .size:           8
        .value_kind:     by_value
      - .offset:         64
        .size:           2
        .value_kind:     by_value
      - .address_space:  global
        .offset:         72
        .size:           8
        .value_kind:     global_buffer
      - .offset:         80
        .size:           4
        .value_kind:     by_value
      - .offset:         88
        .size:           8
        .value_kind:     by_value
      - .address_space:  global
        .offset:         96
        .size:           8
        .value_kind:     global_buffer
      - .offset:         104
        .size:           4
        .value_kind:     by_value
      - .offset:         112
        .size:           8
        .value_kind:     by_value
      - .offset:         120
        .size:           4
        .value_kind:     by_value
      - .offset:         124
        .size:           4
        .value_kind:     by_value
    .group_segment_fixed_size: 4096
    .kernarg_segment_align: 8
    .kernarg_segment_size: 128
    .language:       OpenCL C
    .language_version:
      - 2
      - 0
    .max_flat_workgroup_size: 256
    .name:           _ZN12_GLOBAL__N_120geam_min_plus_kernelIDF16_Dv2_DF16_S1_Li32ELi8ELi128ELi128ELi4ELi4ELi64ELi4ELi64ELc84ELc78ELb1ELb0ELb1EDF16_KDF16_DF16_EEviiiT16_PT17_ilS5_ilS3_S5_ilPT18_ili26rocblas_geam_ex_operation_
    .private_segment_fixed_size: 0
    .sgpr_count:     30
    .sgpr_spill_count: 0
    .symbol:         _ZN12_GLOBAL__N_120geam_min_plus_kernelIDF16_Dv2_DF16_S1_Li32ELi8ELi128ELi128ELi4ELi4ELi64ELi4ELi64ELc84ELc78ELb1ELb0ELb1EDF16_KDF16_DF16_EEviiiT16_PT17_ilS5_ilS3_S5_ilPT18_ili26rocblas_geam_ex_operation_.kd
    .uniform_work_group_size: 1
    .uses_dynamic_stack: false
    .vgpr_count:     137
    .vgpr_spill_count: 0
    .wavefront_size: 64
  - .agpr_count:     0
    .args:
      - .offset:         0
        .size:           4
        .value_kind:     by_value
      - .offset:         4
        .size:           4
        .value_kind:     by_value
      - .offset:         8
        .size:           4
        .value_kind:     by_value
      - .offset:         12
        .size:           2
        .value_kind:     by_value
      - .address_space:  global
        .offset:         16
        .size:           8
        .value_kind:     global_buffer
      - .offset:         24
        .size:           4
        .value_kind:     by_value
      - .offset:         32
        .size:           8
        .value_kind:     by_value
      - .address_space:  global
        .offset:         40
        .size:           8
        .value_kind:     global_buffer
      - .offset:         48
        .size:           4
        .value_kind:     by_value
      - .offset:         56
        .size:           8
        .value_kind:     by_value
      - .offset:         64
        .size:           2
        .value_kind:     by_value
      - .address_space:  global
        .offset:         72
        .size:           8
        .value_kind:     global_buffer
      - .offset:         80
        .size:           4
        .value_kind:     by_value
      - .offset:         88
        .size:           8
        .value_kind:     by_value
      - .address_space:  global
        .offset:         96
        .size:           8
        .value_kind:     global_buffer
      - .offset:         104
        .size:           4
        .value_kind:     by_value
      - .offset:         112
        .size:           8
        .value_kind:     by_value
      - .offset:         120
        .size:           4
        .value_kind:     by_value
      - .offset:         124
        .size:           4
        .value_kind:     by_value
    .group_segment_fixed_size: 4096
    .kernarg_segment_align: 8
    .kernarg_segment_size: 128
    .language:       OpenCL C
    .language_version:
      - 2
      - 0
    .max_flat_workgroup_size: 256
    .name:           _ZN12_GLOBAL__N_120geam_min_plus_kernelIDF16_Dv2_DF16_S1_Li32ELi8ELi128ELi128ELi4ELi4ELi64ELi4ELi64ELc84ELc78ELb0ELb0ELb1EDF16_KDF16_DF16_EEviiiT16_PT17_ilS5_ilS3_S5_ilPT18_ili26rocblas_geam_ex_operation_
    .private_segment_fixed_size: 0
    .sgpr_count:     34
    .sgpr_spill_count: 0
    .symbol:         _ZN12_GLOBAL__N_120geam_min_plus_kernelIDF16_Dv2_DF16_S1_Li32ELi8ELi128ELi128ELi4ELi4ELi64ELi4ELi64ELc84ELc78ELb0ELb0ELb1EDF16_KDF16_DF16_EEviiiT16_PT17_ilS5_ilS3_S5_ilPT18_ili26rocblas_geam_ex_operation_.kd
    .uniform_work_group_size: 1
    .uses_dynamic_stack: false
    .vgpr_count:     168
    .vgpr_spill_count: 0
    .wavefront_size: 64
  - .agpr_count:     0
    .args:
      - .offset:         0
        .size:           4
        .value_kind:     by_value
      - .offset:         4
        .size:           4
        .value_kind:     by_value
      - .offset:         8
        .size:           4
        .value_kind:     by_value
      - .address_space:  global
        .offset:         16
        .size:           8
        .value_kind:     global_buffer
      - .address_space:  global
        .offset:         24
        .size:           8
        .value_kind:     global_buffer
      - .offset:         32
        .size:           4
        .value_kind:     by_value
      - .offset:         40
        .size:           8
        .value_kind:     by_value
      - .address_space:  global
        .offset:         48
        .size:           8
        .value_kind:     global_buffer
      - .offset:         56
        .size:           4
        .value_kind:     by_value
      - .offset:         64
        .size:           8
        .value_kind:     by_value
      - .address_space:  global
        .offset:         72
        .size:           8
        .value_kind:     global_buffer
      - .address_space:  global
        .offset:         80
        .size:           8
        .value_kind:     global_buffer
      - .offset:         88
        .size:           4
        .value_kind:     by_value
      - .offset:         96
        .size:           8
        .value_kind:     by_value
      - .address_space:  global
        .offset:         104
        .size:           8
        .value_kind:     global_buffer
      - .offset:         112
        .size:           4
        .value_kind:     by_value
      - .offset:         120
        .size:           8
        .value_kind:     by_value
      - .offset:         128
        .size:           4
        .value_kind:     by_value
      - .offset:         132
        .size:           4
        .value_kind:     by_value
    .group_segment_fixed_size: 4096
    .kernarg_segment_align: 8
    .kernarg_segment_size: 136
    .language:       OpenCL C
    .language_version:
      - 2
      - 0
    .max_flat_workgroup_size: 256
    .name:           _ZN12_GLOBAL__N_120geam_min_plus_kernelIDF16_Dv2_DF16_S1_Li32ELi8ELi128ELi128ELi4ELi4ELi64ELi4ELi64ELc84ELc78ELb0ELb1ELb1EPKDF16_S2_DF16_EEviiiT16_PT17_ilS6_ilS4_S6_ilPT18_ili26rocblas_geam_ex_operation_
    .private_segment_fixed_size: 0
    .sgpr_count:     44
    .sgpr_spill_count: 0
    .symbol:         _ZN12_GLOBAL__N_120geam_min_plus_kernelIDF16_Dv2_DF16_S1_Li32ELi8ELi128ELi128ELi4ELi4ELi64ELi4ELi64ELc84ELc78ELb0ELb1ELb1EPKDF16_S2_DF16_EEviiiT16_PT17_ilS6_ilS4_S6_ilPT18_ili26rocblas_geam_ex_operation_.kd
    .uniform_work_group_size: 1
    .uses_dynamic_stack: false
    .vgpr_count:     169
    .vgpr_spill_count: 0
    .wavefront_size: 64
  - .agpr_count:     0
    .args:
      - .offset:         0
        .size:           4
        .value_kind:     by_value
      - .offset:         4
        .size:           4
        .value_kind:     by_value
      - .offset:         8
        .size:           4
        .value_kind:     by_value
      - .offset:         12
        .size:           2
        .value_kind:     by_value
      - .address_space:  global
        .offset:         16
        .size:           8
        .value_kind:     global_buffer
      - .offset:         24
        .size:           4
        .value_kind:     by_value
      - .offset:         32
        .size:           8
        .value_kind:     by_value
      - .address_space:  global
        .offset:         40
        .size:           8
        .value_kind:     global_buffer
      - .offset:         48
        .size:           4
        .value_kind:     by_value
      - .offset:         56
        .size:           8
        .value_kind:     by_value
      - .offset:         64
        .size:           2
        .value_kind:     by_value
      - .address_space:  global
        .offset:         72
        .size:           8
        .value_kind:     global_buffer
      - .offset:         80
        .size:           4
        .value_kind:     by_value
      - .offset:         88
        .size:           8
        .value_kind:     by_value
      - .address_space:  global
        .offset:         96
        .size:           8
        .value_kind:     global_buffer
      - .offset:         104
        .size:           4
        .value_kind:     by_value
      - .offset:         112
        .size:           8
        .value_kind:     by_value
      - .offset:         120
        .size:           4
        .value_kind:     by_value
      - .offset:         124
        .size:           4
        .value_kind:     by_value
    .group_segment_fixed_size: 4096
    .kernarg_segment_align: 8
    .kernarg_segment_size: 128
    .language:       OpenCL C
    .language_version:
      - 2
      - 0
    .max_flat_workgroup_size: 256
    .name:           _ZN12_GLOBAL__N_120geam_min_plus_kernelIDF16_Dv2_DF16_S1_Li32ELi8ELi128ELi128ELi4ELi4ELi64ELi4ELi64ELc84ELc78ELb1ELb1ELb1EDF16_KDF16_DF16_EEviiiT16_PT17_ilS5_ilS3_S5_ilPT18_ili26rocblas_geam_ex_operation_
    .private_segment_fixed_size: 0
    .sgpr_count:     42
    .sgpr_spill_count: 0
    .symbol:         _ZN12_GLOBAL__N_120geam_min_plus_kernelIDF16_Dv2_DF16_S1_Li32ELi8ELi128ELi128ELi4ELi4ELi64ELi4ELi64ELc84ELc78ELb1ELb1ELb1EDF16_KDF16_DF16_EEviiiT16_PT17_ilS5_ilS3_S5_ilPT18_ili26rocblas_geam_ex_operation_.kd
    .uniform_work_group_size: 1
    .uses_dynamic_stack: false
    .vgpr_count:     165
    .vgpr_spill_count: 0
    .wavefront_size: 64
  - .agpr_count:     0
    .args:
      - .offset:         0
        .size:           4
        .value_kind:     by_value
      - .offset:         4
        .size:           4
        .value_kind:     by_value
      - .offset:         8
        .size:           4
        .value_kind:     by_value
      - .offset:         12
        .size:           2
        .value_kind:     by_value
      - .address_space:  global
        .offset:         16
        .size:           8
        .value_kind:     global_buffer
      - .offset:         24
        .size:           4
        .value_kind:     by_value
      - .offset:         32
        .size:           8
        .value_kind:     by_value
      - .address_space:  global
        .offset:         40
        .size:           8
        .value_kind:     global_buffer
      - .offset:         48
        .size:           4
        .value_kind:     by_value
      - .offset:         56
        .size:           8
        .value_kind:     by_value
      - .offset:         64
        .size:           2
        .value_kind:     by_value
      - .address_space:  global
        .offset:         72
        .size:           8
        .value_kind:     global_buffer
      - .offset:         80
        .size:           4
        .value_kind:     by_value
      - .offset:         88
        .size:           8
        .value_kind:     by_value
      - .address_space:  global
        .offset:         96
        .size:           8
        .value_kind:     global_buffer
      - .offset:         104
        .size:           4
        .value_kind:     by_value
      - .offset:         112
        .size:           8
        .value_kind:     by_value
      - .offset:         120
        .size:           4
        .value_kind:     by_value
      - .offset:         124
        .size:           4
        .value_kind:     by_value
    .group_segment_fixed_size: 4096
    .kernarg_segment_align: 8
    .kernarg_segment_size: 128
    .language:       OpenCL C
    .language_version:
      - 2
      - 0
    .max_flat_workgroup_size: 256
    .name:           _ZN12_GLOBAL__N_120geam_min_plus_kernelIDF16_Dv2_DF16_S1_Li32ELi8ELi128ELi128ELi4ELi4ELi64ELi4ELi64ELc84ELc78ELb0ELb1ELb1EDF16_KDF16_DF16_EEviiiT16_PT17_ilS5_ilS3_S5_ilPT18_ili26rocblas_geam_ex_operation_
    .private_segment_fixed_size: 0
    .sgpr_count:     46
    .sgpr_spill_count: 0
    .symbol:         _ZN12_GLOBAL__N_120geam_min_plus_kernelIDF16_Dv2_DF16_S1_Li32ELi8ELi128ELi128ELi4ELi4ELi64ELi4ELi64ELc84ELc78ELb0ELb1ELb1EDF16_KDF16_DF16_EEviiiT16_PT17_ilS5_ilS3_S5_ilPT18_ili26rocblas_geam_ex_operation_.kd
    .uniform_work_group_size: 1
    .uses_dynamic_stack: false
    .vgpr_count:     167
    .vgpr_spill_count: 0
    .wavefront_size: 64
  - .agpr_count:     0
    .args:
      - .offset:         0
        .size:           4
        .value_kind:     by_value
      - .offset:         4
        .size:           4
        .value_kind:     by_value
      - .offset:         8
        .size:           4
        .value_kind:     by_value
      - .address_space:  global
        .offset:         16
        .size:           8
        .value_kind:     global_buffer
      - .address_space:  global
        .offset:         24
        .size:           8
        .value_kind:     global_buffer
      - .offset:         32
        .size:           4
        .value_kind:     by_value
      - .offset:         40
        .size:           8
        .value_kind:     by_value
      - .address_space:  global
        .offset:         48
        .size:           8
        .value_kind:     global_buffer
      - .offset:         56
        .size:           4
        .value_kind:     by_value
      - .offset:         64
        .size:           8
        .value_kind:     by_value
      - .address_space:  global
        .offset:         72
        .size:           8
        .value_kind:     global_buffer
      - .address_space:  global
        .offset:         80
        .size:           8
        .value_kind:     global_buffer
      - .offset:         88
        .size:           4
        .value_kind:     by_value
      - .offset:         96
        .size:           8
        .value_kind:     by_value
      - .address_space:  global
        .offset:         104
        .size:           8
        .value_kind:     global_buffer
      - .offset:         112
        .size:           4
        .value_kind:     by_value
      - .offset:         120
        .size:           8
        .value_kind:     by_value
      - .offset:         128
        .size:           4
        .value_kind:     by_value
      - .offset:         132
        .size:           4
        .value_kind:     by_value
    .group_segment_fixed_size: 5120
    .kernarg_segment_align: 8
    .kernarg_segment_size: 136
    .language:       OpenCL C
    .language_version:
      - 2
      - 0
    .max_flat_workgroup_size: 256
    .name:           _ZN12_GLOBAL__N_120geam_min_plus_kernelIDF16_Dv2_DF16_S1_Li8ELi32ELi64ELi256ELi4ELi64ELi4ELi64ELi4ELc78ELc84ELb0ELb0ELb1EPKDF16_S2_DF16_EEviiiT16_PT17_ilS6_ilS4_S6_ilPT18_ili26rocblas_geam_ex_operation_
    .private_segment_fixed_size: 0
    .sgpr_count:     36
    .sgpr_spill_count: 0
    .symbol:         _ZN12_GLOBAL__N_120geam_min_plus_kernelIDF16_Dv2_DF16_S1_Li8ELi32ELi64ELi256ELi4ELi64ELi4ELi64ELi4ELc78ELc84ELb0ELb0ELb1EPKDF16_S2_DF16_EEviiiT16_PT17_ilS6_ilS4_S6_ilPT18_ili26rocblas_geam_ex_operation_.kd
    .uniform_work_group_size: 1
    .uses_dynamic_stack: false
    .vgpr_count:     173
    .vgpr_spill_count: 0
    .wavefront_size: 64
  - .agpr_count:     0
    .args:
      - .offset:         0
        .size:           4
        .value_kind:     by_value
      - .offset:         4
        .size:           4
        .value_kind:     by_value
      - .offset:         8
        .size:           4
        .value_kind:     by_value
      - .offset:         12
        .size:           2
        .value_kind:     by_value
      - .address_space:  global
        .offset:         16
        .size:           8
        .value_kind:     global_buffer
      - .offset:         24
        .size:           4
        .value_kind:     by_value
      - .offset:         32
        .size:           8
        .value_kind:     by_value
      - .address_space:  global
        .offset:         40
        .size:           8
        .value_kind:     global_buffer
      - .offset:         48
        .size:           4
        .value_kind:     by_value
      - .offset:         56
        .size:           8
        .value_kind:     by_value
      - .offset:         64
        .size:           2
        .value_kind:     by_value
      - .address_space:  global
        .offset:         72
        .size:           8
        .value_kind:     global_buffer
      - .offset:         80
        .size:           4
        .value_kind:     by_value
      - .offset:         88
        .size:           8
        .value_kind:     by_value
      - .address_space:  global
        .offset:         96
        .size:           8
        .value_kind:     global_buffer
      - .offset:         104
        .size:           4
        .value_kind:     by_value
      - .offset:         112
        .size:           8
        .value_kind:     by_value
      - .offset:         120
        .size:           4
        .value_kind:     by_value
      - .offset:         124
        .size:           4
        .value_kind:     by_value
    .group_segment_fixed_size: 5120
    .kernarg_segment_align: 8
    .kernarg_segment_size: 128
    .language:       OpenCL C
    .language_version:
      - 2
      - 0
    .max_flat_workgroup_size: 256
    .name:           _ZN12_GLOBAL__N_120geam_min_plus_kernelIDF16_Dv2_DF16_S1_Li8ELi32ELi64ELi256ELi4ELi64ELi4ELi64ELi4ELc78ELc84ELb1ELb0ELb1EDF16_KDF16_DF16_EEviiiT16_PT17_ilS5_ilS3_S5_ilPT18_ili26rocblas_geam_ex_operation_
    .private_segment_fixed_size: 0
    .sgpr_count:     34
    .sgpr_spill_count: 0
    .symbol:         _ZN12_GLOBAL__N_120geam_min_plus_kernelIDF16_Dv2_DF16_S1_Li8ELi32ELi64ELi256ELi4ELi64ELi4ELi64ELi4ELc78ELc84ELb1ELb0ELb1EDF16_KDF16_DF16_EEviiiT16_PT17_ilS5_ilS3_S5_ilPT18_ili26rocblas_geam_ex_operation_.kd
    .uniform_work_group_size: 1
    .uses_dynamic_stack: false
    .vgpr_count:     126
    .vgpr_spill_count: 0
    .wavefront_size: 64
  - .agpr_count:     0
    .args:
      - .offset:         0
        .size:           4
        .value_kind:     by_value
      - .offset:         4
        .size:           4
        .value_kind:     by_value
      - .offset:         8
        .size:           4
        .value_kind:     by_value
      - .offset:         12
        .size:           2
        .value_kind:     by_value
      - .address_space:  global
        .offset:         16
        .size:           8
        .value_kind:     global_buffer
      - .offset:         24
        .size:           4
        .value_kind:     by_value
      - .offset:         32
        .size:           8
        .value_kind:     by_value
      - .address_space:  global
        .offset:         40
        .size:           8
        .value_kind:     global_buffer
      - .offset:         48
        .size:           4
        .value_kind:     by_value
      - .offset:         56
        .size:           8
        .value_kind:     by_value
      - .offset:         64
        .size:           2
        .value_kind:     by_value
      - .address_space:  global
        .offset:         72
        .size:           8
        .value_kind:     global_buffer
      - .offset:         80
        .size:           4
        .value_kind:     by_value
      - .offset:         88
        .size:           8
        .value_kind:     by_value
      - .address_space:  global
        .offset:         96
        .size:           8
        .value_kind:     global_buffer
      - .offset:         104
        .size:           4
        .value_kind:     by_value
      - .offset:         112
        .size:           8
        .value_kind:     by_value
      - .offset:         120
        .size:           4
        .value_kind:     by_value
      - .offset:         124
        .size:           4
        .value_kind:     by_value
    .group_segment_fixed_size: 5120
    .kernarg_segment_align: 8
    .kernarg_segment_size: 128
    .language:       OpenCL C
    .language_version:
      - 2
      - 0
    .max_flat_workgroup_size: 256
    .name:           _ZN12_GLOBAL__N_120geam_min_plus_kernelIDF16_Dv2_DF16_S1_Li8ELi32ELi64ELi256ELi4ELi64ELi4ELi64ELi4ELc78ELc84ELb0ELb0ELb1EDF16_KDF16_DF16_EEviiiT16_PT17_ilS5_ilS3_S5_ilPT18_ili26rocblas_geam_ex_operation_
    .private_segment_fixed_size: 0
    .sgpr_count:     38
    .sgpr_spill_count: 0
    .symbol:         _ZN12_GLOBAL__N_120geam_min_plus_kernelIDF16_Dv2_DF16_S1_Li8ELi32ELi64ELi256ELi4ELi64ELi4ELi64ELi4ELc78ELc84ELb0ELb0ELb1EDF16_KDF16_DF16_EEviiiT16_PT17_ilS5_ilS3_S5_ilPT18_ili26rocblas_geam_ex_operation_.kd
    .uniform_work_group_size: 1
    .uses_dynamic_stack: false
    .vgpr_count:     171
    .vgpr_spill_count: 0
    .wavefront_size: 64
  - .agpr_count:     0
    .args:
      - .offset:         0
        .size:           4
        .value_kind:     by_value
      - .offset:         4
        .size:           4
        .value_kind:     by_value
      - .offset:         8
        .size:           4
        .value_kind:     by_value
      - .address_space:  global
        .offset:         16
        .size:           8
        .value_kind:     global_buffer
      - .address_space:  global
        .offset:         24
        .size:           8
        .value_kind:     global_buffer
      - .offset:         32
        .size:           4
        .value_kind:     by_value
      - .offset:         40
        .size:           8
        .value_kind:     by_value
      - .address_space:  global
        .offset:         48
        .size:           8
        .value_kind:     global_buffer
      - .offset:         56
        .size:           4
        .value_kind:     by_value
      - .offset:         64
        .size:           8
        .value_kind:     by_value
      - .address_space:  global
        .offset:         72
        .size:           8
        .value_kind:     global_buffer
      - .address_space:  global
        .offset:         80
        .size:           8
        .value_kind:     global_buffer
      - .offset:         88
        .size:           4
        .value_kind:     by_value
      - .offset:         96
        .size:           8
        .value_kind:     by_value
      - .address_space:  global
        .offset:         104
        .size:           8
        .value_kind:     global_buffer
      - .offset:         112
        .size:           4
        .value_kind:     by_value
      - .offset:         120
        .size:           8
        .value_kind:     by_value
      - .offset:         128
        .size:           4
        .value_kind:     by_value
      - .offset:         132
        .size:           4
        .value_kind:     by_value
    .group_segment_fixed_size: 5120
    .kernarg_segment_align: 8
    .kernarg_segment_size: 136
    .language:       OpenCL C
    .language_version:
      - 2
      - 0
    .max_flat_workgroup_size: 256
    .name:           _ZN12_GLOBAL__N_120geam_min_plus_kernelIDF16_Dv2_DF16_S1_Li8ELi32ELi64ELi256ELi4ELi64ELi4ELi64ELi4ELc78ELc84ELb0ELb1ELb1EPKDF16_S2_DF16_EEviiiT16_PT17_ilS6_ilS4_S6_ilPT18_ili26rocblas_geam_ex_operation_
    .private_segment_fixed_size: 0
    .sgpr_count:     48
    .sgpr_spill_count: 0
    .symbol:         _ZN12_GLOBAL__N_120geam_min_plus_kernelIDF16_Dv2_DF16_S1_Li8ELi32ELi64ELi256ELi4ELi64ELi4ELi64ELi4ELc78ELc84ELb0ELb1ELb1EPKDF16_S2_DF16_EEviiiT16_PT17_ilS6_ilS4_S6_ilPT18_ili26rocblas_geam_ex_operation_.kd
    .uniform_work_group_size: 1
    .uses_dynamic_stack: false
    .vgpr_count:     177
    .vgpr_spill_count: 0
    .wavefront_size: 64
  - .agpr_count:     0
    .args:
      - .offset:         0
        .size:           4
        .value_kind:     by_value
      - .offset:         4
        .size:           4
        .value_kind:     by_value
      - .offset:         8
        .size:           4
        .value_kind:     by_value
      - .offset:         12
        .size:           2
        .value_kind:     by_value
      - .address_space:  global
        .offset:         16
        .size:           8
        .value_kind:     global_buffer
      - .offset:         24
        .size:           4
        .value_kind:     by_value
      - .offset:         32
        .size:           8
        .value_kind:     by_value
      - .address_space:  global
        .offset:         40
        .size:           8
        .value_kind:     global_buffer
      - .offset:         48
        .size:           4
        .value_kind:     by_value
      - .offset:         56
        .size:           8
        .value_kind:     by_value
      - .offset:         64
        .size:           2
        .value_kind:     by_value
      - .address_space:  global
        .offset:         72
        .size:           8
        .value_kind:     global_buffer
      - .offset:         80
        .size:           4
        .value_kind:     by_value
      - .offset:         88
        .size:           8
        .value_kind:     by_value
      - .address_space:  global
        .offset:         96
        .size:           8
        .value_kind:     global_buffer
      - .offset:         104
        .size:           4
        .value_kind:     by_value
      - .offset:         112
        .size:           8
        .value_kind:     by_value
      - .offset:         120
        .size:           4
        .value_kind:     by_value
      - .offset:         124
        .size:           4
        .value_kind:     by_value
    .group_segment_fixed_size: 5120
    .kernarg_segment_align: 8
    .kernarg_segment_size: 128
    .language:       OpenCL C
    .language_version:
      - 2
      - 0
    .max_flat_workgroup_size: 256
    .name:           _ZN12_GLOBAL__N_120geam_min_plus_kernelIDF16_Dv2_DF16_S1_Li8ELi32ELi64ELi256ELi4ELi64ELi4ELi64ELi4ELc78ELc84ELb1ELb1ELb1EDF16_KDF16_DF16_EEviiiT16_PT17_ilS5_ilS3_S5_ilPT18_ili26rocblas_geam_ex_operation_
    .private_segment_fixed_size: 0
    .sgpr_count:     46
    .sgpr_spill_count: 0
    .symbol:         _ZN12_GLOBAL__N_120geam_min_plus_kernelIDF16_Dv2_DF16_S1_Li8ELi32ELi64ELi256ELi4ELi64ELi4ELi64ELi4ELc78ELc84ELb1ELb1ELb1EDF16_KDF16_DF16_EEviiiT16_PT17_ilS5_ilS3_S5_ilPT18_ili26rocblas_geam_ex_operation_.kd
    .uniform_work_group_size: 1
    .uses_dynamic_stack: false
    .vgpr_count:     172
    .vgpr_spill_count: 0
    .wavefront_size: 64
  - .agpr_count:     0
    .args:
      - .offset:         0
        .size:           4
        .value_kind:     by_value
      - .offset:         4
        .size:           4
        .value_kind:     by_value
      - .offset:         8
        .size:           4
        .value_kind:     by_value
      - .offset:         12
        .size:           2
        .value_kind:     by_value
      - .address_space:  global
        .offset:         16
        .size:           8
        .value_kind:     global_buffer
      - .offset:         24
        .size:           4
        .value_kind:     by_value
      - .offset:         32
        .size:           8
        .value_kind:     by_value
      - .address_space:  global
        .offset:         40
        .size:           8
        .value_kind:     global_buffer
      - .offset:         48
        .size:           4
        .value_kind:     by_value
      - .offset:         56
        .size:           8
        .value_kind:     by_value
      - .offset:         64
        .size:           2
        .value_kind:     by_value
      - .address_space:  global
        .offset:         72
        .size:           8
        .value_kind:     global_buffer
      - .offset:         80
        .size:           4
        .value_kind:     by_value
      - .offset:         88
        .size:           8
        .value_kind:     by_value
      - .address_space:  global
        .offset:         96
        .size:           8
        .value_kind:     global_buffer
      - .offset:         104
        .size:           4
        .value_kind:     by_value
      - .offset:         112
        .size:           8
        .value_kind:     by_value
      - .offset:         120
        .size:           4
        .value_kind:     by_value
      - .offset:         124
        .size:           4
        .value_kind:     by_value
    .group_segment_fixed_size: 5120
    .kernarg_segment_align: 8
    .kernarg_segment_size: 128
    .language:       OpenCL C
    .language_version:
      - 2
      - 0
    .max_flat_workgroup_size: 256
    .name:           _ZN12_GLOBAL__N_120geam_min_plus_kernelIDF16_Dv2_DF16_S1_Li8ELi32ELi64ELi256ELi4ELi64ELi4ELi64ELi4ELc78ELc84ELb0ELb1ELb1EDF16_KDF16_DF16_EEviiiT16_PT17_ilS5_ilS3_S5_ilPT18_ili26rocblas_geam_ex_operation_
    .private_segment_fixed_size: 0
    .sgpr_count:     52
    .sgpr_spill_count: 0
    .symbol:         _ZN12_GLOBAL__N_120geam_min_plus_kernelIDF16_Dv2_DF16_S1_Li8ELi32ELi64ELi256ELi4ELi64ELi4ELi64ELi4ELc78ELc84ELb0ELb1ELb1EDF16_KDF16_DF16_EEviiiT16_PT17_ilS5_ilS3_S5_ilPT18_ili26rocblas_geam_ex_operation_.kd
    .uniform_work_group_size: 1
    .uses_dynamic_stack: false
    .vgpr_count:     175
    .vgpr_spill_count: 0
    .wavefront_size: 64
  - .agpr_count:     0
    .args:
      - .offset:         0
        .size:           4
        .value_kind:     by_value
      - .offset:         4
        .size:           4
        .value_kind:     by_value
      - .offset:         8
        .size:           4
        .value_kind:     by_value
      - .address_space:  global
        .offset:         16
        .size:           8
        .value_kind:     global_buffer
      - .address_space:  global
        .offset:         24
        .size:           8
        .value_kind:     global_buffer
      - .offset:         32
        .size:           4
        .value_kind:     by_value
      - .offset:         40
        .size:           8
        .value_kind:     by_value
      - .address_space:  global
        .offset:         48
        .size:           8
        .value_kind:     global_buffer
      - .offset:         56
        .size:           4
        .value_kind:     by_value
      - .offset:         64
        .size:           8
        .value_kind:     by_value
      - .address_space:  global
        .offset:         72
        .size:           8
        .value_kind:     global_buffer
      - .address_space:  global
        .offset:         80
        .size:           8
        .value_kind:     global_buffer
      - .offset:         88
        .size:           4
        .value_kind:     by_value
      - .offset:         96
        .size:           8
        .value_kind:     by_value
      - .address_space:  global
        .offset:         104
        .size:           8
        .value_kind:     global_buffer
      - .offset:         112
        .size:           4
        .value_kind:     by_value
      - .offset:         120
        .size:           8
        .value_kind:     by_value
      - .offset:         128
        .size:           4
        .value_kind:     by_value
      - .offset:         132
        .size:           4
        .value_kind:     by_value
    .group_segment_fixed_size: 5120
    .kernarg_segment_align: 8
    .kernarg_segment_size: 136
    .language:       OpenCL C
    .language_version:
      - 2
      - 0
    .max_flat_workgroup_size: 256
    .name:           _ZN12_GLOBAL__N_120geam_min_plus_kernelIDF16_Dv2_DF16_S1_Li8ELi32ELi64ELi256ELi4ELi4ELi64ELi64ELi4ELc84ELc84ELb0ELb0ELb1EPKDF16_S2_DF16_EEviiiT16_PT17_ilS6_ilS4_S6_ilPT18_ili26rocblas_geam_ex_operation_
    .private_segment_fixed_size: 0
    .sgpr_count:     32
    .sgpr_spill_count: 0
    .symbol:         _ZN12_GLOBAL__N_120geam_min_plus_kernelIDF16_Dv2_DF16_S1_Li8ELi32ELi64ELi256ELi4ELi4ELi64ELi64ELi4ELc84ELc84ELb0ELb0ELb1EPKDF16_S2_DF16_EEviiiT16_PT17_ilS6_ilS4_S6_ilPT18_ili26rocblas_geam_ex_operation_.kd
    .uniform_work_group_size: 1
    .uses_dynamic_stack: false
    .vgpr_count:     168
    .vgpr_spill_count: 0
    .wavefront_size: 64
  - .agpr_count:     0
    .args:
      - .offset:         0
        .size:           4
        .value_kind:     by_value
      - .offset:         4
        .size:           4
        .value_kind:     by_value
      - .offset:         8
        .size:           4
        .value_kind:     by_value
      - .offset:         12
        .size:           2
        .value_kind:     by_value
      - .address_space:  global
        .offset:         16
        .size:           8
        .value_kind:     global_buffer
      - .offset:         24
        .size:           4
        .value_kind:     by_value
      - .offset:         32
        .size:           8
        .value_kind:     by_value
      - .address_space:  global
        .offset:         40
        .size:           8
        .value_kind:     global_buffer
      - .offset:         48
        .size:           4
        .value_kind:     by_value
      - .offset:         56
        .size:           8
        .value_kind:     by_value
      - .offset:         64
        .size:           2
        .value_kind:     by_value
      - .address_space:  global
        .offset:         72
        .size:           8
        .value_kind:     global_buffer
      - .offset:         80
        .size:           4
        .value_kind:     by_value
      - .offset:         88
        .size:           8
        .value_kind:     by_value
      - .address_space:  global
        .offset:         96
        .size:           8
        .value_kind:     global_buffer
      - .offset:         104
        .size:           4
        .value_kind:     by_value
      - .offset:         112
        .size:           8
        .value_kind:     by_value
      - .offset:         120
        .size:           4
        .value_kind:     by_value
      - .offset:         124
        .size:           4
        .value_kind:     by_value
    .group_segment_fixed_size: 5120
    .kernarg_segment_align: 8
    .kernarg_segment_size: 128
    .language:       OpenCL C
    .language_version:
      - 2
      - 0
    .max_flat_workgroup_size: 256
    .name:           _ZN12_GLOBAL__N_120geam_min_plus_kernelIDF16_Dv2_DF16_S1_Li8ELi32ELi64ELi256ELi4ELi4ELi64ELi64ELi4ELc84ELc84ELb1ELb0ELb1EDF16_KDF16_DF16_EEviiiT16_PT17_ilS5_ilS3_S5_ilPT18_ili26rocblas_geam_ex_operation_
    .private_segment_fixed_size: 0
    .sgpr_count:     30
    .sgpr_spill_count: 0
    .symbol:         _ZN12_GLOBAL__N_120geam_min_plus_kernelIDF16_Dv2_DF16_S1_Li8ELi32ELi64ELi256ELi4ELi4ELi64ELi64ELi4ELc84ELc84ELb1ELb0ELb1EDF16_KDF16_DF16_EEviiiT16_PT17_ilS5_ilS3_S5_ilPT18_ili26rocblas_geam_ex_operation_.kd
    .uniform_work_group_size: 1
    .uses_dynamic_stack: false
    .vgpr_count:     122
    .vgpr_spill_count: 0
    .wavefront_size: 64
  - .agpr_count:     0
    .args:
      - .offset:         0
        .size:           4
        .value_kind:     by_value
      - .offset:         4
        .size:           4
        .value_kind:     by_value
      - .offset:         8
        .size:           4
        .value_kind:     by_value
      - .offset:         12
        .size:           2
        .value_kind:     by_value
      - .address_space:  global
        .offset:         16
        .size:           8
        .value_kind:     global_buffer
      - .offset:         24
        .size:           4
        .value_kind:     by_value
      - .offset:         32
        .size:           8
        .value_kind:     by_value
      - .address_space:  global
        .offset:         40
        .size:           8
        .value_kind:     global_buffer
      - .offset:         48
        .size:           4
        .value_kind:     by_value
      - .offset:         56
        .size:           8
        .value_kind:     by_value
      - .offset:         64
        .size:           2
        .value_kind:     by_value
      - .address_space:  global
        .offset:         72
        .size:           8
        .value_kind:     global_buffer
      - .offset:         80
        .size:           4
        .value_kind:     by_value
      - .offset:         88
        .size:           8
        .value_kind:     by_value
      - .address_space:  global
        .offset:         96
        .size:           8
        .value_kind:     global_buffer
      - .offset:         104
        .size:           4
        .value_kind:     by_value
      - .offset:         112
        .size:           8
        .value_kind:     by_value
      - .offset:         120
        .size:           4
        .value_kind:     by_value
      - .offset:         124
        .size:           4
        .value_kind:     by_value
    .group_segment_fixed_size: 5120
    .kernarg_segment_align: 8
    .kernarg_segment_size: 128
    .language:       OpenCL C
    .language_version:
      - 2
      - 0
    .max_flat_workgroup_size: 256
    .name:           _ZN12_GLOBAL__N_120geam_min_plus_kernelIDF16_Dv2_DF16_S1_Li8ELi32ELi64ELi256ELi4ELi4ELi64ELi64ELi4ELc84ELc84ELb0ELb0ELb1EDF16_KDF16_DF16_EEviiiT16_PT17_ilS5_ilS3_S5_ilPT18_ili26rocblas_geam_ex_operation_
    .private_segment_fixed_size: 0
    .sgpr_count:     36
    .sgpr_spill_count: 0
    .symbol:         _ZN12_GLOBAL__N_120geam_min_plus_kernelIDF16_Dv2_DF16_S1_Li8ELi32ELi64ELi256ELi4ELi4ELi64ELi64ELi4ELc84ELc84ELb0ELb0ELb1EDF16_KDF16_DF16_EEviiiT16_PT17_ilS5_ilS3_S5_ilPT18_ili26rocblas_geam_ex_operation_.kd
    .uniform_work_group_size: 1
    .uses_dynamic_stack: false
    .vgpr_count:     166
    .vgpr_spill_count: 0
    .wavefront_size: 64
  - .agpr_count:     0
    .args:
      - .offset:         0
        .size:           4
        .value_kind:     by_value
      - .offset:         4
        .size:           4
        .value_kind:     by_value
      - .offset:         8
        .size:           4
        .value_kind:     by_value
      - .address_space:  global
        .offset:         16
        .size:           8
        .value_kind:     global_buffer
      - .address_space:  global
        .offset:         24
        .size:           8
        .value_kind:     global_buffer
      - .offset:         32
        .size:           4
        .value_kind:     by_value
      - .offset:         40
        .size:           8
        .value_kind:     by_value
      - .address_space:  global
        .offset:         48
        .size:           8
        .value_kind:     global_buffer
      - .offset:         56
        .size:           4
        .value_kind:     by_value
      - .offset:         64
        .size:           8
        .value_kind:     by_value
      - .address_space:  global
        .offset:         72
        .size:           8
        .value_kind:     global_buffer
      - .address_space:  global
        .offset:         80
        .size:           8
        .value_kind:     global_buffer
      - .offset:         88
        .size:           4
        .value_kind:     by_value
      - .offset:         96
        .size:           8
        .value_kind:     by_value
      - .address_space:  global
        .offset:         104
        .size:           8
        .value_kind:     global_buffer
      - .offset:         112
        .size:           4
        .value_kind:     by_value
      - .offset:         120
        .size:           8
        .value_kind:     by_value
      - .offset:         128
        .size:           4
        .value_kind:     by_value
      - .offset:         132
        .size:           4
        .value_kind:     by_value
    .group_segment_fixed_size: 5120
    .kernarg_segment_align: 8
    .kernarg_segment_size: 136
    .language:       OpenCL C
    .language_version:
      - 2
      - 0
    .max_flat_workgroup_size: 256
    .name:           _ZN12_GLOBAL__N_120geam_min_plus_kernelIDF16_Dv2_DF16_S1_Li8ELi32ELi64ELi256ELi4ELi4ELi64ELi64ELi4ELc84ELc84ELb0ELb1ELb1EPKDF16_S2_DF16_EEviiiT16_PT17_ilS6_ilS4_S6_ilPT18_ili26rocblas_geam_ex_operation_
    .private_segment_fixed_size: 0
    .sgpr_count:     46
    .sgpr_spill_count: 0
    .symbol:         _ZN12_GLOBAL__N_120geam_min_plus_kernelIDF16_Dv2_DF16_S1_Li8ELi32ELi64ELi256ELi4ELi4ELi64ELi64ELi4ELc84ELc84ELb0ELb1ELb1EPKDF16_S2_DF16_EEviiiT16_PT17_ilS6_ilS4_S6_ilPT18_ili26rocblas_geam_ex_operation_.kd
    .uniform_work_group_size: 1
    .uses_dynamic_stack: false
    .vgpr_count:     174
    .vgpr_spill_count: 0
    .wavefront_size: 64
  - .agpr_count:     0
    .args:
      - .offset:         0
        .size:           4
        .value_kind:     by_value
      - .offset:         4
        .size:           4
        .value_kind:     by_value
      - .offset:         8
        .size:           4
        .value_kind:     by_value
      - .offset:         12
        .size:           2
        .value_kind:     by_value
      - .address_space:  global
        .offset:         16
        .size:           8
        .value_kind:     global_buffer
      - .offset:         24
        .size:           4
        .value_kind:     by_value
      - .offset:         32
        .size:           8
        .value_kind:     by_value
      - .address_space:  global
        .offset:         40
        .size:           8
        .value_kind:     global_buffer
      - .offset:         48
        .size:           4
        .value_kind:     by_value
      - .offset:         56
        .size:           8
        .value_kind:     by_value
      - .offset:         64
        .size:           2
        .value_kind:     by_value
      - .address_space:  global
        .offset:         72
        .size:           8
        .value_kind:     global_buffer
      - .offset:         80
        .size:           4
        .value_kind:     by_value
      - .offset:         88
        .size:           8
        .value_kind:     by_value
      - .address_space:  global
        .offset:         96
        .size:           8
        .value_kind:     global_buffer
      - .offset:         104
        .size:           4
        .value_kind:     by_value
      - .offset:         112
        .size:           8
        .value_kind:     by_value
      - .offset:         120
        .size:           4
        .value_kind:     by_value
      - .offset:         124
        .size:           4
        .value_kind:     by_value
    .group_segment_fixed_size: 5120
    .kernarg_segment_align: 8
    .kernarg_segment_size: 128
    .language:       OpenCL C
    .language_version:
      - 2
      - 0
    .max_flat_workgroup_size: 256
    .name:           _ZN12_GLOBAL__N_120geam_min_plus_kernelIDF16_Dv2_DF16_S1_Li8ELi32ELi64ELi256ELi4ELi4ELi64ELi64ELi4ELc84ELc84ELb1ELb1ELb1EDF16_KDF16_DF16_EEviiiT16_PT17_ilS5_ilS3_S5_ilPT18_ili26rocblas_geam_ex_operation_
    .private_segment_fixed_size: 0
    .sgpr_count:     46
    .sgpr_spill_count: 0
    .symbol:         _ZN12_GLOBAL__N_120geam_min_plus_kernelIDF16_Dv2_DF16_S1_Li8ELi32ELi64ELi256ELi4ELi4ELi64ELi64ELi4ELc84ELc84ELb1ELb1ELb1EDF16_KDF16_DF16_EEviiiT16_PT17_ilS5_ilS3_S5_ilPT18_ili26rocblas_geam_ex_operation_.kd
    .uniform_work_group_size: 1
    .uses_dynamic_stack: false
    .vgpr_count:     169
    .vgpr_spill_count: 0
    .wavefront_size: 64
  - .agpr_count:     0
    .args:
      - .offset:         0
        .size:           4
        .value_kind:     by_value
      - .offset:         4
        .size:           4
        .value_kind:     by_value
      - .offset:         8
        .size:           4
        .value_kind:     by_value
      - .offset:         12
        .size:           2
        .value_kind:     by_value
      - .address_space:  global
        .offset:         16
        .size:           8
        .value_kind:     global_buffer
      - .offset:         24
        .size:           4
        .value_kind:     by_value
      - .offset:         32
        .size:           8
        .value_kind:     by_value
      - .address_space:  global
        .offset:         40
        .size:           8
        .value_kind:     global_buffer
      - .offset:         48
        .size:           4
        .value_kind:     by_value
      - .offset:         56
        .size:           8
        .value_kind:     by_value
      - .offset:         64
        .size:           2
        .value_kind:     by_value
      - .address_space:  global
        .offset:         72
        .size:           8
        .value_kind:     global_buffer
      - .offset:         80
        .size:           4
        .value_kind:     by_value
      - .offset:         88
        .size:           8
        .value_kind:     by_value
      - .address_space:  global
        .offset:         96
        .size:           8
        .value_kind:     global_buffer
      - .offset:         104
        .size:           4
        .value_kind:     by_value
      - .offset:         112
        .size:           8
        .value_kind:     by_value
      - .offset:         120
        .size:           4
        .value_kind:     by_value
      - .offset:         124
        .size:           4
        .value_kind:     by_value
    .group_segment_fixed_size: 5120
    .kernarg_segment_align: 8
    .kernarg_segment_size: 128
    .language:       OpenCL C
    .language_version:
      - 2
      - 0
    .max_flat_workgroup_size: 256
    .name:           _ZN12_GLOBAL__N_120geam_min_plus_kernelIDF16_Dv2_DF16_S1_Li8ELi32ELi64ELi256ELi4ELi4ELi64ELi64ELi4ELc84ELc84ELb0ELb1ELb1EDF16_KDF16_DF16_EEviiiT16_PT17_ilS5_ilS3_S5_ilPT18_ili26rocblas_geam_ex_operation_
    .private_segment_fixed_size: 0
    .sgpr_count:     48
    .sgpr_spill_count: 0
    .symbol:         _ZN12_GLOBAL__N_120geam_min_plus_kernelIDF16_Dv2_DF16_S1_Li8ELi32ELi64ELi256ELi4ELi4ELi64ELi64ELi4ELc84ELc84ELb0ELb1ELb1EDF16_KDF16_DF16_EEviiiT16_PT17_ilS5_ilS3_S5_ilPT18_ili26rocblas_geam_ex_operation_.kd
    .uniform_work_group_size: 1
    .uses_dynamic_stack: false
    .vgpr_count:     172
    .vgpr_spill_count: 0
    .wavefront_size: 64
  - .agpr_count:     0
    .args:
      - .offset:         0
        .size:           4
        .value_kind:     by_value
      - .offset:         4
        .size:           4
        .value_kind:     by_value
      - .offset:         8
        .size:           4
        .value_kind:     by_value
      - .address_space:  global
        .offset:         16
        .size:           8
        .value_kind:     global_buffer
      - .address_space:  global
        .offset:         24
        .size:           8
        .value_kind:     global_buffer
      - .offset:         32
        .size:           4
        .value_kind:     by_value
      - .offset:         40
        .size:           8
        .value_kind:     by_value
      - .address_space:  global
        .offset:         48
        .size:           8
        .value_kind:     global_buffer
      - .offset:         56
        .size:           4
        .value_kind:     by_value
      - .offset:         64
        .size:           8
        .value_kind:     by_value
      - .address_space:  global
        .offset:         72
        .size:           8
        .value_kind:     global_buffer
      - .address_space:  global
        .offset:         80
        .size:           8
        .value_kind:     global_buffer
      - .offset:         88
        .size:           4
        .value_kind:     by_value
      - .offset:         96
        .size:           8
        .value_kind:     by_value
      - .address_space:  global
        .offset:         104
        .size:           8
        .value_kind:     global_buffer
      - .offset:         112
        .size:           4
        .value_kind:     by_value
      - .offset:         120
        .size:           8
        .value_kind:     by_value
      - .offset:         128
        .size:           4
        .value_kind:     by_value
      - .offset:         132
        .size:           4
        .value_kind:     by_value
    .group_segment_fixed_size: 3072
    .kernarg_segment_align: 8
    .kernarg_segment_size: 136
    .language:       OpenCL C
    .language_version:
      - 2
      - 0
    .max_flat_workgroup_size: 256
    .name:           _ZN12_GLOBAL__N_120geam_min_plus_kernelIDF16_Dv2_DF16_S1_Li8ELi32ELi64ELi128ELi4ELi64ELi4ELi4ELi64ELc78ELc78ELb0ELb0ELb0EPKDF16_S2_DF16_EEviiiT16_PT17_ilS6_ilS4_S6_ilPT18_ili26rocblas_geam_ex_operation_
    .private_segment_fixed_size: 0
    .sgpr_count:     32
    .sgpr_spill_count: 0
    .symbol:         _ZN12_GLOBAL__N_120geam_min_plus_kernelIDF16_Dv2_DF16_S1_Li8ELi32ELi64ELi128ELi4ELi64ELi4ELi4ELi64ELc78ELc78ELb0ELb0ELb0EPKDF16_S2_DF16_EEviiiT16_PT17_ilS6_ilS4_S6_ilPT18_ili26rocblas_geam_ex_operation_.kd
    .uniform_work_group_size: 1
    .uses_dynamic_stack: false
    .vgpr_count:     129
    .vgpr_spill_count: 0
    .wavefront_size: 64
  - .agpr_count:     0
    .args:
      - .offset:         0
        .size:           4
        .value_kind:     by_value
      - .offset:         4
        .size:           4
        .value_kind:     by_value
      - .offset:         8
        .size:           4
        .value_kind:     by_value
      - .offset:         12
        .size:           2
        .value_kind:     by_value
      - .address_space:  global
        .offset:         16
        .size:           8
        .value_kind:     global_buffer
      - .offset:         24
        .size:           4
        .value_kind:     by_value
      - .offset:         32
        .size:           8
        .value_kind:     by_value
      - .address_space:  global
        .offset:         40
        .size:           8
        .value_kind:     global_buffer
      - .offset:         48
        .size:           4
        .value_kind:     by_value
      - .offset:         56
        .size:           8
        .value_kind:     by_value
      - .offset:         64
        .size:           2
        .value_kind:     by_value
      - .address_space:  global
        .offset:         72
        .size:           8
        .value_kind:     global_buffer
      - .offset:         80
        .size:           4
        .value_kind:     by_value
      - .offset:         88
        .size:           8
        .value_kind:     by_value
      - .address_space:  global
        .offset:         96
        .size:           8
        .value_kind:     global_buffer
      - .offset:         104
        .size:           4
        .value_kind:     by_value
      - .offset:         112
        .size:           8
        .value_kind:     by_value
      - .offset:         120
        .size:           4
        .value_kind:     by_value
      - .offset:         124
        .size:           4
        .value_kind:     by_value
    .group_segment_fixed_size: 3072
    .kernarg_segment_align: 8
    .kernarg_segment_size: 128
    .language:       OpenCL C
    .language_version:
      - 2
      - 0
    .max_flat_workgroup_size: 256
    .name:           _ZN12_GLOBAL__N_120geam_min_plus_kernelIDF16_Dv2_DF16_S1_Li8ELi32ELi64ELi128ELi4ELi64ELi4ELi4ELi64ELc78ELc78ELb1ELb0ELb0EDF16_KDF16_DF16_EEviiiT16_PT17_ilS5_ilS3_S5_ilPT18_ili26rocblas_geam_ex_operation_
    .private_segment_fixed_size: 0
    .sgpr_count:     30
    .sgpr_spill_count: 0
    .symbol:         _ZN12_GLOBAL__N_120geam_min_plus_kernelIDF16_Dv2_DF16_S1_Li8ELi32ELi64ELi128ELi4ELi64ELi4ELi4ELi64ELc78ELc78ELb1ELb0ELb0EDF16_KDF16_DF16_EEviiiT16_PT17_ilS5_ilS3_S5_ilPT18_ili26rocblas_geam_ex_operation_.kd
    .uniform_work_group_size: 1
    .uses_dynamic_stack: false
    .vgpr_count:     88
    .vgpr_spill_count: 0
    .wavefront_size: 64
  - .agpr_count:     0
    .args:
      - .offset:         0
        .size:           4
        .value_kind:     by_value
      - .offset:         4
        .size:           4
        .value_kind:     by_value
      - .offset:         8
        .size:           4
        .value_kind:     by_value
      - .offset:         12
        .size:           2
        .value_kind:     by_value
      - .address_space:  global
        .offset:         16
        .size:           8
        .value_kind:     global_buffer
      - .offset:         24
        .size:           4
        .value_kind:     by_value
      - .offset:         32
        .size:           8
        .value_kind:     by_value
      - .address_space:  global
        .offset:         40
        .size:           8
        .value_kind:     global_buffer
      - .offset:         48
        .size:           4
        .value_kind:     by_value
      - .offset:         56
        .size:           8
        .value_kind:     by_value
      - .offset:         64
        .size:           2
        .value_kind:     by_value
      - .address_space:  global
        .offset:         72
        .size:           8
        .value_kind:     global_buffer
      - .offset:         80
        .size:           4
        .value_kind:     by_value
      - .offset:         88
        .size:           8
        .value_kind:     by_value
      - .address_space:  global
        .offset:         96
        .size:           8
        .value_kind:     global_buffer
      - .offset:         104
        .size:           4
        .value_kind:     by_value
      - .offset:         112
        .size:           8
        .value_kind:     by_value
      - .offset:         120
        .size:           4
        .value_kind:     by_value
      - .offset:         124
        .size:           4
        .value_kind:     by_value
    .group_segment_fixed_size: 3072
    .kernarg_segment_align: 8
    .kernarg_segment_size: 128
    .language:       OpenCL C
    .language_version:
      - 2
      - 0
    .max_flat_workgroup_size: 256
    .name:           _ZN12_GLOBAL__N_120geam_min_plus_kernelIDF16_Dv2_DF16_S1_Li8ELi32ELi64ELi128ELi4ELi64ELi4ELi4ELi64ELc78ELc78ELb0ELb0ELb0EDF16_KDF16_DF16_EEviiiT16_PT17_ilS5_ilS3_S5_ilPT18_ili26rocblas_geam_ex_operation_
    .private_segment_fixed_size: 0
    .sgpr_count:     35
    .sgpr_spill_count: 0
    .symbol:         _ZN12_GLOBAL__N_120geam_min_plus_kernelIDF16_Dv2_DF16_S1_Li8ELi32ELi64ELi128ELi4ELi64ELi4ELi4ELi64ELc78ELc78ELb0ELb0ELb0EDF16_KDF16_DF16_EEviiiT16_PT17_ilS5_ilS3_S5_ilPT18_ili26rocblas_geam_ex_operation_.kd
    .uniform_work_group_size: 1
    .uses_dynamic_stack: false
    .vgpr_count:     127
    .vgpr_spill_count: 0
    .wavefront_size: 64
  - .agpr_count:     0
    .args:
      - .offset:         0
        .size:           4
        .value_kind:     by_value
      - .offset:         4
        .size:           4
        .value_kind:     by_value
      - .offset:         8
        .size:           4
        .value_kind:     by_value
      - .address_space:  global
        .offset:         16
        .size:           8
        .value_kind:     global_buffer
      - .address_space:  global
        .offset:         24
        .size:           8
        .value_kind:     global_buffer
      - .offset:         32
        .size:           4
        .value_kind:     by_value
      - .offset:         40
        .size:           8
        .value_kind:     by_value
      - .address_space:  global
        .offset:         48
        .size:           8
        .value_kind:     global_buffer
      - .offset:         56
        .size:           4
        .value_kind:     by_value
      - .offset:         64
        .size:           8
        .value_kind:     by_value
      - .address_space:  global
        .offset:         72
        .size:           8
        .value_kind:     global_buffer
      - .address_space:  global
        .offset:         80
        .size:           8
        .value_kind:     global_buffer
      - .offset:         88
        .size:           4
        .value_kind:     by_value
      - .offset:         96
        .size:           8
        .value_kind:     by_value
      - .address_space:  global
        .offset:         104
        .size:           8
        .value_kind:     global_buffer
      - .offset:         112
        .size:           4
        .value_kind:     by_value
      - .offset:         120
        .size:           8
        .value_kind:     by_value
      - .offset:         128
        .size:           4
        .value_kind:     by_value
      - .offset:         132
        .size:           4
        .value_kind:     by_value
    .group_segment_fixed_size: 3072
    .kernarg_segment_align: 8
    .kernarg_segment_size: 136
    .language:       OpenCL C
    .language_version:
      - 2
      - 0
    .max_flat_workgroup_size: 256
    .name:           _ZN12_GLOBAL__N_120geam_min_plus_kernelIDF16_Dv2_DF16_S1_Li8ELi32ELi64ELi128ELi4ELi64ELi4ELi4ELi64ELc78ELc78ELb0ELb1ELb0EPKDF16_S2_DF16_EEviiiT16_PT17_ilS6_ilS4_S6_ilPT18_ili26rocblas_geam_ex_operation_
    .private_segment_fixed_size: 0
    .sgpr_count:     44
    .sgpr_spill_count: 0
    .symbol:         _ZN12_GLOBAL__N_120geam_min_plus_kernelIDF16_Dv2_DF16_S1_Li8ELi32ELi64ELi128ELi4ELi64ELi4ELi4ELi64ELc78ELc78ELb0ELb1ELb0EPKDF16_S2_DF16_EEviiiT16_PT17_ilS6_ilS4_S6_ilPT18_ili26rocblas_geam_ex_operation_.kd
    .uniform_work_group_size: 1
    .uses_dynamic_stack: false
    .vgpr_count:     128
    .vgpr_spill_count: 0
    .wavefront_size: 64
  - .agpr_count:     0
    .args:
      - .offset:         0
        .size:           4
        .value_kind:     by_value
      - .offset:         4
        .size:           4
        .value_kind:     by_value
      - .offset:         8
        .size:           4
        .value_kind:     by_value
      - .offset:         12
        .size:           2
        .value_kind:     by_value
      - .address_space:  global
        .offset:         16
        .size:           8
        .value_kind:     global_buffer
      - .offset:         24
        .size:           4
        .value_kind:     by_value
      - .offset:         32
        .size:           8
        .value_kind:     by_value
      - .address_space:  global
        .offset:         40
        .size:           8
        .value_kind:     global_buffer
      - .offset:         48
        .size:           4
        .value_kind:     by_value
      - .offset:         56
        .size:           8
        .value_kind:     by_value
      - .offset:         64
        .size:           2
        .value_kind:     by_value
      - .address_space:  global
        .offset:         72
        .size:           8
        .value_kind:     global_buffer
      - .offset:         80
        .size:           4
        .value_kind:     by_value
      - .offset:         88
        .size:           8
        .value_kind:     by_value
      - .address_space:  global
        .offset:         96
        .size:           8
        .value_kind:     global_buffer
      - .offset:         104
        .size:           4
        .value_kind:     by_value
      - .offset:         112
        .size:           8
        .value_kind:     by_value
      - .offset:         120
        .size:           4
        .value_kind:     by_value
      - .offset:         124
        .size:           4
        .value_kind:     by_value
    .group_segment_fixed_size: 3072
    .kernarg_segment_align: 8
    .kernarg_segment_size: 128
    .language:       OpenCL C
    .language_version:
      - 2
      - 0
    .max_flat_workgroup_size: 256
    .name:           _ZN12_GLOBAL__N_120geam_min_plus_kernelIDF16_Dv2_DF16_S1_Li8ELi32ELi64ELi128ELi4ELi64ELi4ELi4ELi64ELc78ELc78ELb1ELb1ELb0EDF16_KDF16_DF16_EEviiiT16_PT17_ilS5_ilS3_S5_ilPT18_ili26rocblas_geam_ex_operation_
    .private_segment_fixed_size: 0
    .sgpr_count:     42
    .sgpr_spill_count: 0
    .symbol:         _ZN12_GLOBAL__N_120geam_min_plus_kernelIDF16_Dv2_DF16_S1_Li8ELi32ELi64ELi128ELi4ELi64ELi4ELi4ELi64ELc78ELc78ELb1ELb1ELb0EDF16_KDF16_DF16_EEviiiT16_PT17_ilS5_ilS3_S5_ilPT18_ili26rocblas_geam_ex_operation_.kd
    .uniform_work_group_size: 1
    .uses_dynamic_stack: false
    .vgpr_count:     127
    .vgpr_spill_count: 0
    .wavefront_size: 64
  - .agpr_count:     0
    .args:
      - .offset:         0
        .size:           4
        .value_kind:     by_value
      - .offset:         4
        .size:           4
        .value_kind:     by_value
      - .offset:         8
        .size:           4
        .value_kind:     by_value
      - .offset:         12
        .size:           2
        .value_kind:     by_value
      - .address_space:  global
        .offset:         16
        .size:           8
        .value_kind:     global_buffer
      - .offset:         24
        .size:           4
        .value_kind:     by_value
      - .offset:         32
        .size:           8
        .value_kind:     by_value
      - .address_space:  global
        .offset:         40
        .size:           8
        .value_kind:     global_buffer
      - .offset:         48
        .size:           4
        .value_kind:     by_value
      - .offset:         56
        .size:           8
        .value_kind:     by_value
      - .offset:         64
        .size:           2
        .value_kind:     by_value
      - .address_space:  global
        .offset:         72
        .size:           8
        .value_kind:     global_buffer
      - .offset:         80
        .size:           4
        .value_kind:     by_value
      - .offset:         88
        .size:           8
        .value_kind:     by_value
      - .address_space:  global
        .offset:         96
        .size:           8
        .value_kind:     global_buffer
      - .offset:         104
        .size:           4
        .value_kind:     by_value
      - .offset:         112
        .size:           8
        .value_kind:     by_value
      - .offset:         120
        .size:           4
        .value_kind:     by_value
      - .offset:         124
        .size:           4
        .value_kind:     by_value
    .group_segment_fixed_size: 3072
    .kernarg_segment_align: 8
    .kernarg_segment_size: 128
    .language:       OpenCL C
    .language_version:
      - 2
      - 0
    .max_flat_workgroup_size: 256
    .name:           _ZN12_GLOBAL__N_120geam_min_plus_kernelIDF16_Dv2_DF16_S1_Li8ELi32ELi64ELi128ELi4ELi64ELi4ELi4ELi64ELc78ELc78ELb0ELb1ELb0EDF16_KDF16_DF16_EEviiiT16_PT17_ilS5_ilS3_S5_ilPT18_ili26rocblas_geam_ex_operation_
    .private_segment_fixed_size: 0
    .sgpr_count:     44
    .sgpr_spill_count: 0
    .symbol:         _ZN12_GLOBAL__N_120geam_min_plus_kernelIDF16_Dv2_DF16_S1_Li8ELi32ELi64ELi128ELi4ELi64ELi4ELi4ELi64ELc78ELc78ELb0ELb1ELb0EDF16_KDF16_DF16_EEviiiT16_PT17_ilS5_ilS3_S5_ilPT18_ili26rocblas_geam_ex_operation_.kd
    .uniform_work_group_size: 1
    .uses_dynamic_stack: false
    .vgpr_count:     126
    .vgpr_spill_count: 0
    .wavefront_size: 64
  - .agpr_count:     0
    .args:
      - .offset:         0
        .size:           4
        .value_kind:     by_value
      - .offset:         4
        .size:           4
        .value_kind:     by_value
      - .offset:         8
        .size:           4
        .value_kind:     by_value
      - .address_space:  global
        .offset:         16
        .size:           8
        .value_kind:     global_buffer
      - .address_space:  global
        .offset:         24
        .size:           8
        .value_kind:     global_buffer
      - .offset:         32
        .size:           4
        .value_kind:     by_value
      - .offset:         40
        .size:           8
        .value_kind:     by_value
      - .address_space:  global
        .offset:         48
        .size:           8
        .value_kind:     global_buffer
      - .offset:         56
        .size:           4
        .value_kind:     by_value
      - .offset:         64
        .size:           8
        .value_kind:     by_value
      - .address_space:  global
        .offset:         72
        .size:           8
        .value_kind:     global_buffer
      - .address_space:  global
        .offset:         80
        .size:           8
        .value_kind:     global_buffer
      - .offset:         88
        .size:           4
        .value_kind:     by_value
      - .offset:         96
        .size:           8
        .value_kind:     by_value
      - .address_space:  global
        .offset:         104
        .size:           8
        .value_kind:     global_buffer
      - .offset:         112
        .size:           4
        .value_kind:     by_value
      - .offset:         120
        .size:           8
        .value_kind:     by_value
      - .offset:         128
        .size:           4
        .value_kind:     by_value
      - .offset:         132
        .size:           4
        .value_kind:     by_value
    .group_segment_fixed_size: 3072
    .kernarg_segment_align: 8
    .kernarg_segment_size: 136
    .language:       OpenCL C
    .language_version:
      - 2
      - 0
    .max_flat_workgroup_size: 256
    .name:           _ZN12_GLOBAL__N_120geam_min_plus_kernelIDF16_Dv2_DF16_S1_Li8ELi32ELi64ELi128ELi4ELi4ELi64ELi4ELi64ELc84ELc78ELb0ELb0ELb0EPKDF16_S2_DF16_EEviiiT16_PT17_ilS6_ilS4_S6_ilPT18_ili26rocblas_geam_ex_operation_
    .private_segment_fixed_size: 0
    .sgpr_count:     30
    .sgpr_spill_count: 0
    .symbol:         _ZN12_GLOBAL__N_120geam_min_plus_kernelIDF16_Dv2_DF16_S1_Li8ELi32ELi64ELi128ELi4ELi4ELi64ELi4ELi64ELc84ELc78ELb0ELb0ELb0EPKDF16_S2_DF16_EEviiiT16_PT17_ilS6_ilS4_S6_ilPT18_ili26rocblas_geam_ex_operation_.kd
    .uniform_work_group_size: 1
    .uses_dynamic_stack: false
    .vgpr_count:     125
    .vgpr_spill_count: 0
    .wavefront_size: 64
  - .agpr_count:     0
    .args:
      - .offset:         0
        .size:           4
        .value_kind:     by_value
      - .offset:         4
        .size:           4
        .value_kind:     by_value
      - .offset:         8
        .size:           4
        .value_kind:     by_value
      - .offset:         12
        .size:           2
        .value_kind:     by_value
      - .address_space:  global
        .offset:         16
        .size:           8
        .value_kind:     global_buffer
      - .offset:         24
        .size:           4
        .value_kind:     by_value
      - .offset:         32
        .size:           8
        .value_kind:     by_value
      - .address_space:  global
        .offset:         40
        .size:           8
        .value_kind:     global_buffer
      - .offset:         48
        .size:           4
        .value_kind:     by_value
      - .offset:         56
        .size:           8
        .value_kind:     by_value
      - .offset:         64
        .size:           2
        .value_kind:     by_value
      - .address_space:  global
        .offset:         72
        .size:           8
        .value_kind:     global_buffer
      - .offset:         80
        .size:           4
        .value_kind:     by_value
      - .offset:         88
        .size:           8
        .value_kind:     by_value
      - .address_space:  global
        .offset:         96
        .size:           8
        .value_kind:     global_buffer
      - .offset:         104
        .size:           4
        .value_kind:     by_value
      - .offset:         112
        .size:           8
        .value_kind:     by_value
      - .offset:         120
        .size:           4
        .value_kind:     by_value
      - .offset:         124
        .size:           4
        .value_kind:     by_value
    .group_segment_fixed_size: 3072
    .kernarg_segment_align: 8
    .kernarg_segment_size: 128
    .language:       OpenCL C
    .language_version:
      - 2
      - 0
    .max_flat_workgroup_size: 256
    .name:           _ZN12_GLOBAL__N_120geam_min_plus_kernelIDF16_Dv2_DF16_S1_Li8ELi32ELi64ELi128ELi4ELi4ELi64ELi4ELi64ELc84ELc78ELb1ELb0ELb0EDF16_KDF16_DF16_EEviiiT16_PT17_ilS5_ilS3_S5_ilPT18_ili26rocblas_geam_ex_operation_
    .private_segment_fixed_size: 0
    .sgpr_count:     30
    .sgpr_spill_count: 0
    .symbol:         _ZN12_GLOBAL__N_120geam_min_plus_kernelIDF16_Dv2_DF16_S1_Li8ELi32ELi64ELi128ELi4ELi4ELi64ELi4ELi64ELc84ELc78ELb1ELb0ELb0EDF16_KDF16_DF16_EEviiiT16_PT17_ilS5_ilS3_S5_ilPT18_ili26rocblas_geam_ex_operation_.kd
    .uniform_work_group_size: 1
    .uses_dynamic_stack: false
    .vgpr_count:     86
    .vgpr_spill_count: 0
    .wavefront_size: 64
  - .agpr_count:     0
    .args:
      - .offset:         0
        .size:           4
        .value_kind:     by_value
      - .offset:         4
        .size:           4
        .value_kind:     by_value
      - .offset:         8
        .size:           4
        .value_kind:     by_value
      - .offset:         12
        .size:           2
        .value_kind:     by_value
      - .address_space:  global
        .offset:         16
        .size:           8
        .value_kind:     global_buffer
      - .offset:         24
        .size:           4
        .value_kind:     by_value
      - .offset:         32
        .size:           8
        .value_kind:     by_value
      - .address_space:  global
        .offset:         40
        .size:           8
        .value_kind:     global_buffer
      - .offset:         48
        .size:           4
        .value_kind:     by_value
      - .offset:         56
        .size:           8
        .value_kind:     by_value
      - .offset:         64
        .size:           2
        .value_kind:     by_value
      - .address_space:  global
        .offset:         72
        .size:           8
        .value_kind:     global_buffer
      - .offset:         80
        .size:           4
        .value_kind:     by_value
      - .offset:         88
        .size:           8
        .value_kind:     by_value
      - .address_space:  global
        .offset:         96
        .size:           8
        .value_kind:     global_buffer
      - .offset:         104
        .size:           4
        .value_kind:     by_value
      - .offset:         112
        .size:           8
        .value_kind:     by_value
      - .offset:         120
        .size:           4
        .value_kind:     by_value
      - .offset:         124
        .size:           4
        .value_kind:     by_value
    .group_segment_fixed_size: 3072
    .kernarg_segment_align: 8
    .kernarg_segment_size: 128
    .language:       OpenCL C
    .language_version:
      - 2
      - 0
    .max_flat_workgroup_size: 256
    .name:           _ZN12_GLOBAL__N_120geam_min_plus_kernelIDF16_Dv2_DF16_S1_Li8ELi32ELi64ELi128ELi4ELi4ELi64ELi4ELi64ELc84ELc78ELb0ELb0ELb0EDF16_KDF16_DF16_EEviiiT16_PT17_ilS5_ilS3_S5_ilPT18_ili26rocblas_geam_ex_operation_
    .private_segment_fixed_size: 0
    .sgpr_count:     34
    .sgpr_spill_count: 0
    .symbol:         _ZN12_GLOBAL__N_120geam_min_plus_kernelIDF16_Dv2_DF16_S1_Li8ELi32ELi64ELi128ELi4ELi4ELi64ELi4ELi64ELc84ELc78ELb0ELb0ELb0EDF16_KDF16_DF16_EEviiiT16_PT17_ilS5_ilS3_S5_ilPT18_ili26rocblas_geam_ex_operation_.kd
    .uniform_work_group_size: 1
    .uses_dynamic_stack: false
    .vgpr_count:     123
    .vgpr_spill_count: 0
    .wavefront_size: 64
  - .agpr_count:     0
    .args:
      - .offset:         0
        .size:           4
        .value_kind:     by_value
      - .offset:         4
        .size:           4
        .value_kind:     by_value
      - .offset:         8
        .size:           4
        .value_kind:     by_value
      - .address_space:  global
        .offset:         16
        .size:           8
        .value_kind:     global_buffer
      - .address_space:  global
        .offset:         24
        .size:           8
        .value_kind:     global_buffer
      - .offset:         32
        .size:           4
        .value_kind:     by_value
      - .offset:         40
        .size:           8
        .value_kind:     by_value
      - .address_space:  global
        .offset:         48
        .size:           8
        .value_kind:     global_buffer
      - .offset:         56
        .size:           4
        .value_kind:     by_value
      - .offset:         64
        .size:           8
        .value_kind:     by_value
      - .address_space:  global
        .offset:         72
        .size:           8
        .value_kind:     global_buffer
      - .address_space:  global
        .offset:         80
        .size:           8
        .value_kind:     global_buffer
      - .offset:         88
        .size:           4
        .value_kind:     by_value
      - .offset:         96
        .size:           8
        .value_kind:     by_value
      - .address_space:  global
        .offset:         104
        .size:           8
        .value_kind:     global_buffer
      - .offset:         112
        .size:           4
        .value_kind:     by_value
      - .offset:         120
        .size:           8
        .value_kind:     by_value
      - .offset:         128
        .size:           4
        .value_kind:     by_value
      - .offset:         132
        .size:           4
        .value_kind:     by_value
    .group_segment_fixed_size: 3072
    .kernarg_segment_align: 8
    .kernarg_segment_size: 136
    .language:       OpenCL C
    .language_version:
      - 2
      - 0
    .max_flat_workgroup_size: 256
    .name:           _ZN12_GLOBAL__N_120geam_min_plus_kernelIDF16_Dv2_DF16_S1_Li8ELi32ELi64ELi128ELi4ELi4ELi64ELi4ELi64ELc84ELc78ELb0ELb1ELb0EPKDF16_S2_DF16_EEviiiT16_PT17_ilS6_ilS4_S6_ilPT18_ili26rocblas_geam_ex_operation_
    .private_segment_fixed_size: 0
    .sgpr_count:     42
    .sgpr_spill_count: 0
    .symbol:         _ZN12_GLOBAL__N_120geam_min_plus_kernelIDF16_Dv2_DF16_S1_Li8ELi32ELi64ELi128ELi4ELi4ELi64ELi4ELi64ELc84ELc78ELb0ELb1ELb0EPKDF16_S2_DF16_EEviiiT16_PT17_ilS6_ilS4_S6_ilPT18_ili26rocblas_geam_ex_operation_.kd
    .uniform_work_group_size: 1
    .uses_dynamic_stack: false
    .vgpr_count:     122
    .vgpr_spill_count: 0
    .wavefront_size: 64
  - .agpr_count:     0
    .args:
      - .offset:         0
        .size:           4
        .value_kind:     by_value
      - .offset:         4
        .size:           4
        .value_kind:     by_value
      - .offset:         8
        .size:           4
        .value_kind:     by_value
      - .offset:         12
        .size:           2
        .value_kind:     by_value
      - .address_space:  global
        .offset:         16
        .size:           8
        .value_kind:     global_buffer
      - .offset:         24
        .size:           4
        .value_kind:     by_value
      - .offset:         32
        .size:           8
        .value_kind:     by_value
      - .address_space:  global
        .offset:         40
        .size:           8
        .value_kind:     global_buffer
      - .offset:         48
        .size:           4
        .value_kind:     by_value
      - .offset:         56
        .size:           8
        .value_kind:     by_value
      - .offset:         64
        .size:           2
        .value_kind:     by_value
      - .address_space:  global
        .offset:         72
        .size:           8
        .value_kind:     global_buffer
      - .offset:         80
        .size:           4
        .value_kind:     by_value
      - .offset:         88
        .size:           8
        .value_kind:     by_value
      - .address_space:  global
        .offset:         96
        .size:           8
        .value_kind:     global_buffer
      - .offset:         104
        .size:           4
        .value_kind:     by_value
      - .offset:         112
        .size:           8
        .value_kind:     by_value
      - .offset:         120
        .size:           4
        .value_kind:     by_value
      - .offset:         124
        .size:           4
        .value_kind:     by_value
    .group_segment_fixed_size: 3072
    .kernarg_segment_align: 8
    .kernarg_segment_size: 128
    .language:       OpenCL C
    .language_version:
      - 2
      - 0
    .max_flat_workgroup_size: 256
    .name:           _ZN12_GLOBAL__N_120geam_min_plus_kernelIDF16_Dv2_DF16_S1_Li8ELi32ELi64ELi128ELi4ELi4ELi64ELi4ELi64ELc84ELc78ELb1ELb1ELb0EDF16_KDF16_DF16_EEviiiT16_PT17_ilS5_ilS3_S5_ilPT18_ili26rocblas_geam_ex_operation_
    .private_segment_fixed_size: 0
    .sgpr_count:     42
    .sgpr_spill_count: 0
    .symbol:         _ZN12_GLOBAL__N_120geam_min_plus_kernelIDF16_Dv2_DF16_S1_Li8ELi32ELi64ELi128ELi4ELi4ELi64ELi4ELi64ELc84ELc78ELb1ELb1ELb0EDF16_KDF16_DF16_EEviiiT16_PT17_ilS5_ilS3_S5_ilPT18_ili26rocblas_geam_ex_operation_.kd
    .uniform_work_group_size: 1
    .uses_dynamic_stack: false
    .vgpr_count:     122
    .vgpr_spill_count: 0
    .wavefront_size: 64
  - .agpr_count:     0
    .args:
      - .offset:         0
        .size:           4
        .value_kind:     by_value
      - .offset:         4
        .size:           4
        .value_kind:     by_value
      - .offset:         8
        .size:           4
        .value_kind:     by_value
      - .offset:         12
        .size:           2
        .value_kind:     by_value
      - .address_space:  global
        .offset:         16
        .size:           8
        .value_kind:     global_buffer
      - .offset:         24
        .size:           4
        .value_kind:     by_value
      - .offset:         32
        .size:           8
        .value_kind:     by_value
      - .address_space:  global
        .offset:         40
        .size:           8
        .value_kind:     global_buffer
      - .offset:         48
        .size:           4
        .value_kind:     by_value
      - .offset:         56
        .size:           8
        .value_kind:     by_value
      - .offset:         64
        .size:           2
        .value_kind:     by_value
      - .address_space:  global
        .offset:         72
        .size:           8
        .value_kind:     global_buffer
      - .offset:         80
        .size:           4
        .value_kind:     by_value
      - .offset:         88
        .size:           8
        .value_kind:     by_value
      - .address_space:  global
        .offset:         96
        .size:           8
        .value_kind:     global_buffer
      - .offset:         104
        .size:           4
        .value_kind:     by_value
      - .offset:         112
        .size:           8
        .value_kind:     by_value
      - .offset:         120
        .size:           4
        .value_kind:     by_value
      - .offset:         124
        .size:           4
        .value_kind:     by_value
    .group_segment_fixed_size: 3072
    .kernarg_segment_align: 8
    .kernarg_segment_size: 128
    .language:       OpenCL C
    .language_version:
      - 2
      - 0
    .max_flat_workgroup_size: 256
    .name:           _ZN12_GLOBAL__N_120geam_min_plus_kernelIDF16_Dv2_DF16_S1_Li8ELi32ELi64ELi128ELi4ELi4ELi64ELi4ELi64ELc84ELc78ELb0ELb1ELb0EDF16_KDF16_DF16_EEviiiT16_PT17_ilS5_ilS3_S5_ilPT18_ili26rocblas_geam_ex_operation_
    .private_segment_fixed_size: 0
    .sgpr_count:     46
    .sgpr_spill_count: 0
    .symbol:         _ZN12_GLOBAL__N_120geam_min_plus_kernelIDF16_Dv2_DF16_S1_Li8ELi32ELi64ELi128ELi4ELi4ELi64ELi4ELi64ELc84ELc78ELb0ELb1ELb0EDF16_KDF16_DF16_EEviiiT16_PT17_ilS5_ilS3_S5_ilPT18_ili26rocblas_geam_ex_operation_.kd
    .uniform_work_group_size: 1
    .uses_dynamic_stack: false
    .vgpr_count:     120
    .vgpr_spill_count: 0
    .wavefront_size: 64
  - .agpr_count:     0
    .args:
      - .offset:         0
        .size:           4
        .value_kind:     by_value
      - .offset:         4
        .size:           4
        .value_kind:     by_value
      - .offset:         8
        .size:           4
        .value_kind:     by_value
      - .address_space:  global
        .offset:         16
        .size:           8
        .value_kind:     global_buffer
      - .address_space:  global
        .offset:         24
        .size:           8
        .value_kind:     global_buffer
      - .offset:         32
        .size:           4
        .value_kind:     by_value
      - .offset:         40
        .size:           8
        .value_kind:     by_value
      - .address_space:  global
        .offset:         48
        .size:           8
        .value_kind:     global_buffer
      - .offset:         56
        .size:           4
        .value_kind:     by_value
      - .offset:         64
        .size:           8
        .value_kind:     by_value
      - .address_space:  global
        .offset:         72
        .size:           8
        .value_kind:     global_buffer
      - .address_space:  global
        .offset:         80
        .size:           8
        .value_kind:     global_buffer
      - .offset:         88
        .size:           4
        .value_kind:     by_value
      - .offset:         96
        .size:           8
        .value_kind:     by_value
      - .address_space:  global
        .offset:         104
        .size:           8
        .value_kind:     global_buffer
      - .offset:         112
        .size:           4
        .value_kind:     by_value
      - .offset:         120
        .size:           8
        .value_kind:     by_value
      - .offset:         128
        .size:           4
        .value_kind:     by_value
      - .offset:         132
        .size:           4
        .value_kind:     by_value
    .group_segment_fixed_size: 3072
    .kernarg_segment_align: 8
    .kernarg_segment_size: 136
    .language:       OpenCL C
    .language_version:
      - 2
      - 0
    .max_flat_workgroup_size: 256
    .name:           _ZN12_GLOBAL__N_120geam_min_plus_kernelIDF16_Dv2_DF16_S1_Li8ELi32ELi64ELi128ELi4ELi64ELi4ELi64ELi4ELc78ELc84ELb0ELb0ELb0EPKDF16_S2_DF16_EEviiiT16_PT17_ilS6_ilS4_S6_ilPT18_ili26rocblas_geam_ex_operation_
    .private_segment_fixed_size: 0
    .sgpr_count:     32
    .sgpr_spill_count: 0
    .symbol:         _ZN12_GLOBAL__N_120geam_min_plus_kernelIDF16_Dv2_DF16_S1_Li8ELi32ELi64ELi128ELi4ELi64ELi4ELi64ELi4ELc78ELc84ELb0ELb0ELb0EPKDF16_S2_DF16_EEviiiT16_PT17_ilS6_ilS4_S6_ilPT18_ili26rocblas_geam_ex_operation_.kd
    .uniform_work_group_size: 1
    .uses_dynamic_stack: false
    .vgpr_count:     126
    .vgpr_spill_count: 0
    .wavefront_size: 64
  - .agpr_count:     0
    .args:
      - .offset:         0
        .size:           4
        .value_kind:     by_value
      - .offset:         4
        .size:           4
        .value_kind:     by_value
      - .offset:         8
        .size:           4
        .value_kind:     by_value
      - .offset:         12
        .size:           2
        .value_kind:     by_value
      - .address_space:  global
        .offset:         16
        .size:           8
        .value_kind:     global_buffer
      - .offset:         24
        .size:           4
        .value_kind:     by_value
      - .offset:         32
        .size:           8
        .value_kind:     by_value
      - .address_space:  global
        .offset:         40
        .size:           8
        .value_kind:     global_buffer
      - .offset:         48
        .size:           4
        .value_kind:     by_value
      - .offset:         56
        .size:           8
        .value_kind:     by_value
      - .offset:         64
        .size:           2
        .value_kind:     by_value
      - .address_space:  global
        .offset:         72
        .size:           8
        .value_kind:     global_buffer
      - .offset:         80
        .size:           4
        .value_kind:     by_value
      - .offset:         88
        .size:           8
        .value_kind:     by_value
      - .address_space:  global
        .offset:         96
        .size:           8
        .value_kind:     global_buffer
      - .offset:         104
        .size:           4
        .value_kind:     by_value
      - .offset:         112
        .size:           8
        .value_kind:     by_value
      - .offset:         120
        .size:           4
        .value_kind:     by_value
      - .offset:         124
        .size:           4
        .value_kind:     by_value
    .group_segment_fixed_size: 3072
    .kernarg_segment_align: 8
    .kernarg_segment_size: 128
    .language:       OpenCL C
    .language_version:
      - 2
      - 0
    .max_flat_workgroup_size: 256
    .name:           _ZN12_GLOBAL__N_120geam_min_plus_kernelIDF16_Dv2_DF16_S1_Li8ELi32ELi64ELi128ELi4ELi64ELi4ELi64ELi4ELc78ELc84ELb1ELb0ELb0EDF16_KDF16_DF16_EEviiiT16_PT17_ilS5_ilS3_S5_ilPT18_ili26rocblas_geam_ex_operation_
    .private_segment_fixed_size: 0
    .sgpr_count:     32
    .sgpr_spill_count: 0
    .symbol:         _ZN12_GLOBAL__N_120geam_min_plus_kernelIDF16_Dv2_DF16_S1_Li8ELi32ELi64ELi128ELi4ELi64ELi4ELi64ELi4ELc78ELc84ELb1ELb0ELb0EDF16_KDF16_DF16_EEviiiT16_PT17_ilS5_ilS3_S5_ilPT18_ili26rocblas_geam_ex_operation_.kd
    .uniform_work_group_size: 1
    .uses_dynamic_stack: false
    .vgpr_count:     87
    .vgpr_spill_count: 0
    .wavefront_size: 64
  - .agpr_count:     0
    .args:
      - .offset:         0
        .size:           4
        .value_kind:     by_value
      - .offset:         4
        .size:           4
        .value_kind:     by_value
      - .offset:         8
        .size:           4
        .value_kind:     by_value
      - .offset:         12
        .size:           2
        .value_kind:     by_value
      - .address_space:  global
        .offset:         16
        .size:           8
        .value_kind:     global_buffer
      - .offset:         24
        .size:           4
        .value_kind:     by_value
      - .offset:         32
        .size:           8
        .value_kind:     by_value
      - .address_space:  global
        .offset:         40
        .size:           8
        .value_kind:     global_buffer
      - .offset:         48
        .size:           4
        .value_kind:     by_value
      - .offset:         56
        .size:           8
        .value_kind:     by_value
      - .offset:         64
        .size:           2
        .value_kind:     by_value
      - .address_space:  global
        .offset:         72
        .size:           8
        .value_kind:     global_buffer
      - .offset:         80
        .size:           4
        .value_kind:     by_value
      - .offset:         88
        .size:           8
        .value_kind:     by_value
      - .address_space:  global
        .offset:         96
        .size:           8
        .value_kind:     global_buffer
      - .offset:         104
        .size:           4
        .value_kind:     by_value
      - .offset:         112
        .size:           8
        .value_kind:     by_value
      - .offset:         120
        .size:           4
        .value_kind:     by_value
      - .offset:         124
        .size:           4
        .value_kind:     by_value
    .group_segment_fixed_size: 3072
    .kernarg_segment_align: 8
    .kernarg_segment_size: 128
    .language:       OpenCL C
    .language_version:
      - 2
      - 0
    .max_flat_workgroup_size: 256
    .name:           _ZN12_GLOBAL__N_120geam_min_plus_kernelIDF16_Dv2_DF16_S1_Li8ELi32ELi64ELi128ELi4ELi64ELi4ELi64ELi4ELc78ELc84ELb0ELb0ELb0EDF16_KDF16_DF16_EEviiiT16_PT17_ilS5_ilS3_S5_ilPT18_ili26rocblas_geam_ex_operation_
    .private_segment_fixed_size: 0
    .sgpr_count:     36
    .sgpr_spill_count: 0
    .symbol:         _ZN12_GLOBAL__N_120geam_min_plus_kernelIDF16_Dv2_DF16_S1_Li8ELi32ELi64ELi128ELi4ELi64ELi4ELi64ELi4ELc78ELc84ELb0ELb0ELb0EDF16_KDF16_DF16_EEviiiT16_PT17_ilS5_ilS3_S5_ilPT18_ili26rocblas_geam_ex_operation_.kd
    .uniform_work_group_size: 1
    .uses_dynamic_stack: false
    .vgpr_count:     124
    .vgpr_spill_count: 0
    .wavefront_size: 64
  - .agpr_count:     0
    .args:
      - .offset:         0
        .size:           4
        .value_kind:     by_value
      - .offset:         4
        .size:           4
        .value_kind:     by_value
      - .offset:         8
        .size:           4
        .value_kind:     by_value
      - .address_space:  global
        .offset:         16
        .size:           8
        .value_kind:     global_buffer
      - .address_space:  global
        .offset:         24
        .size:           8
        .value_kind:     global_buffer
      - .offset:         32
        .size:           4
        .value_kind:     by_value
      - .offset:         40
        .size:           8
        .value_kind:     by_value
      - .address_space:  global
        .offset:         48
        .size:           8
        .value_kind:     global_buffer
      - .offset:         56
        .size:           4
        .value_kind:     by_value
      - .offset:         64
        .size:           8
        .value_kind:     by_value
      - .address_space:  global
        .offset:         72
        .size:           8
        .value_kind:     global_buffer
      - .address_space:  global
        .offset:         80
        .size:           8
        .value_kind:     global_buffer
      - .offset:         88
        .size:           4
        .value_kind:     by_value
      - .offset:         96
        .size:           8
        .value_kind:     by_value
      - .address_space:  global
        .offset:         104
        .size:           8
        .value_kind:     global_buffer
      - .offset:         112
        .size:           4
        .value_kind:     by_value
      - .offset:         120
        .size:           8
        .value_kind:     by_value
      - .offset:         128
        .size:           4
        .value_kind:     by_value
      - .offset:         132
        .size:           4
        .value_kind:     by_value
    .group_segment_fixed_size: 3072
    .kernarg_segment_align: 8
    .kernarg_segment_size: 136
    .language:       OpenCL C
    .language_version:
      - 2
      - 0
    .max_flat_workgroup_size: 256
    .name:           _ZN12_GLOBAL__N_120geam_min_plus_kernelIDF16_Dv2_DF16_S1_Li8ELi32ELi64ELi128ELi4ELi64ELi4ELi64ELi4ELc78ELc84ELb0ELb1ELb0EPKDF16_S2_DF16_EEviiiT16_PT17_ilS6_ilS4_S6_ilPT18_ili26rocblas_geam_ex_operation_
    .private_segment_fixed_size: 0
    .sgpr_count:     44
    .sgpr_spill_count: 0
    .symbol:         _ZN12_GLOBAL__N_120geam_min_plus_kernelIDF16_Dv2_DF16_S1_Li8ELi32ELi64ELi128ELi4ELi64ELi4ELi64ELi4ELc78ELc84ELb0ELb1ELb0EPKDF16_S2_DF16_EEviiiT16_PT17_ilS6_ilS4_S6_ilPT18_ili26rocblas_geam_ex_operation_.kd
    .uniform_work_group_size: 1
    .uses_dynamic_stack: false
    .vgpr_count:     125
    .vgpr_spill_count: 0
    .wavefront_size: 64
  - .agpr_count:     0
    .args:
      - .offset:         0
        .size:           4
        .value_kind:     by_value
      - .offset:         4
        .size:           4
        .value_kind:     by_value
      - .offset:         8
        .size:           4
        .value_kind:     by_value
      - .offset:         12
        .size:           2
        .value_kind:     by_value
      - .address_space:  global
        .offset:         16
        .size:           8
        .value_kind:     global_buffer
      - .offset:         24
        .size:           4
        .value_kind:     by_value
      - .offset:         32
        .size:           8
        .value_kind:     by_value
      - .address_space:  global
        .offset:         40
        .size:           8
        .value_kind:     global_buffer
      - .offset:         48
        .size:           4
        .value_kind:     by_value
      - .offset:         56
        .size:           8
        .value_kind:     by_value
      - .offset:         64
        .size:           2
        .value_kind:     by_value
      - .address_space:  global
        .offset:         72
        .size:           8
        .value_kind:     global_buffer
      - .offset:         80
        .size:           4
        .value_kind:     by_value
      - .offset:         88
        .size:           8
        .value_kind:     by_value
      - .address_space:  global
        .offset:         96
        .size:           8
        .value_kind:     global_buffer
      - .offset:         104
        .size:           4
        .value_kind:     by_value
      - .offset:         112
        .size:           8
        .value_kind:     by_value
      - .offset:         120
        .size:           4
        .value_kind:     by_value
      - .offset:         124
        .size:           4
        .value_kind:     by_value
    .group_segment_fixed_size: 3072
    .kernarg_segment_align: 8
    .kernarg_segment_size: 128
    .language:       OpenCL C
    .language_version:
      - 2
      - 0
    .max_flat_workgroup_size: 256
    .name:           _ZN12_GLOBAL__N_120geam_min_plus_kernelIDF16_Dv2_DF16_S1_Li8ELi32ELi64ELi128ELi4ELi64ELi4ELi64ELi4ELc78ELc84ELb1ELb1ELb0EDF16_KDF16_DF16_EEviiiT16_PT17_ilS5_ilS3_S5_ilPT18_ili26rocblas_geam_ex_operation_
    .private_segment_fixed_size: 0
    .sgpr_count:     42
    .sgpr_spill_count: 0
    .symbol:         _ZN12_GLOBAL__N_120geam_min_plus_kernelIDF16_Dv2_DF16_S1_Li8ELi32ELi64ELi128ELi4ELi64ELi4ELi64ELi4ELc78ELc84ELb1ELb1ELb0EDF16_KDF16_DF16_EEviiiT16_PT17_ilS5_ilS3_S5_ilPT18_ili26rocblas_geam_ex_operation_.kd
    .uniform_work_group_size: 1
    .uses_dynamic_stack: false
    .vgpr_count:     127
    .vgpr_spill_count: 0
    .wavefront_size: 64
  - .agpr_count:     0
    .args:
      - .offset:         0
        .size:           4
        .value_kind:     by_value
      - .offset:         4
        .size:           4
        .value_kind:     by_value
      - .offset:         8
        .size:           4
        .value_kind:     by_value
      - .offset:         12
        .size:           2
        .value_kind:     by_value
      - .address_space:  global
        .offset:         16
        .size:           8
        .value_kind:     global_buffer
      - .offset:         24
        .size:           4
        .value_kind:     by_value
      - .offset:         32
        .size:           8
        .value_kind:     by_value
      - .address_space:  global
        .offset:         40
        .size:           8
        .value_kind:     global_buffer
      - .offset:         48
        .size:           4
        .value_kind:     by_value
      - .offset:         56
        .size:           8
        .value_kind:     by_value
      - .offset:         64
        .size:           2
        .value_kind:     by_value
      - .address_space:  global
        .offset:         72
        .size:           8
        .value_kind:     global_buffer
      - .offset:         80
        .size:           4
        .value_kind:     by_value
      - .offset:         88
        .size:           8
        .value_kind:     by_value
      - .address_space:  global
        .offset:         96
        .size:           8
        .value_kind:     global_buffer
      - .offset:         104
        .size:           4
        .value_kind:     by_value
      - .offset:         112
        .size:           8
        .value_kind:     by_value
      - .offset:         120
        .size:           4
        .value_kind:     by_value
      - .offset:         124
        .size:           4
        .value_kind:     by_value
    .group_segment_fixed_size: 3072
    .kernarg_segment_align: 8
    .kernarg_segment_size: 128
    .language:       OpenCL C
    .language_version:
      - 2
      - 0
    .max_flat_workgroup_size: 256
    .name:           _ZN12_GLOBAL__N_120geam_min_plus_kernelIDF16_Dv2_DF16_S1_Li8ELi32ELi64ELi128ELi4ELi64ELi4ELi64ELi4ELc78ELc84ELb0ELb1ELb0EDF16_KDF16_DF16_EEviiiT16_PT17_ilS5_ilS3_S5_ilPT18_ili26rocblas_geam_ex_operation_
    .private_segment_fixed_size: 0
    .sgpr_count:     46
    .sgpr_spill_count: 0
    .symbol:         _ZN12_GLOBAL__N_120geam_min_plus_kernelIDF16_Dv2_DF16_S1_Li8ELi32ELi64ELi128ELi4ELi64ELi4ELi64ELi4ELc78ELc84ELb0ELb1ELb0EDF16_KDF16_DF16_EEviiiT16_PT17_ilS5_ilS3_S5_ilPT18_ili26rocblas_geam_ex_operation_.kd
    .uniform_work_group_size: 1
    .uses_dynamic_stack: false
    .vgpr_count:     123
    .vgpr_spill_count: 0
    .wavefront_size: 64
  - .agpr_count:     0
    .args:
      - .offset:         0
        .size:           4
        .value_kind:     by_value
      - .offset:         4
        .size:           4
        .value_kind:     by_value
      - .offset:         8
        .size:           4
        .value_kind:     by_value
      - .address_space:  global
        .offset:         16
        .size:           8
        .value_kind:     global_buffer
      - .address_space:  global
        .offset:         24
        .size:           8
        .value_kind:     global_buffer
      - .offset:         32
        .size:           4
        .value_kind:     by_value
      - .offset:         40
        .size:           8
        .value_kind:     by_value
      - .address_space:  global
        .offset:         48
        .size:           8
        .value_kind:     global_buffer
      - .offset:         56
        .size:           4
        .value_kind:     by_value
      - .offset:         64
        .size:           8
        .value_kind:     by_value
      - .address_space:  global
        .offset:         72
        .size:           8
        .value_kind:     global_buffer
      - .address_space:  global
        .offset:         80
        .size:           8
        .value_kind:     global_buffer
      - .offset:         88
        .size:           4
        .value_kind:     by_value
      - .offset:         96
        .size:           8
        .value_kind:     by_value
      - .address_space:  global
        .offset:         104
        .size:           8
        .value_kind:     global_buffer
      - .offset:         112
        .size:           4
        .value_kind:     by_value
      - .offset:         120
        .size:           8
        .value_kind:     by_value
      - .offset:         128
        .size:           4
        .value_kind:     by_value
      - .offset:         132
        .size:           4
        .value_kind:     by_value
    .group_segment_fixed_size: 3072
    .kernarg_segment_align: 8
    .kernarg_segment_size: 136
    .language:       OpenCL C
    .language_version:
      - 2
      - 0
    .max_flat_workgroup_size: 256
    .name:           _ZN12_GLOBAL__N_120geam_min_plus_kernelIDF16_Dv2_DF16_S1_Li8ELi32ELi64ELi128ELi4ELi4ELi64ELi64ELi4ELc84ELc84ELb0ELb0ELb0EPKDF16_S2_DF16_EEviiiT16_PT17_ilS6_ilS4_S6_ilPT18_ili26rocblas_geam_ex_operation_
    .private_segment_fixed_size: 0
    .sgpr_count:     30
    .sgpr_spill_count: 0
    .symbol:         _ZN12_GLOBAL__N_120geam_min_plus_kernelIDF16_Dv2_DF16_S1_Li8ELi32ELi64ELi128ELi4ELi4ELi64ELi64ELi4ELc84ELc84ELb0ELb0ELb0EPKDF16_S2_DF16_EEviiiT16_PT17_ilS6_ilS4_S6_ilPT18_ili26rocblas_geam_ex_operation_.kd
    .uniform_work_group_size: 1
    .uses_dynamic_stack: false
    .vgpr_count:     122
    .vgpr_spill_count: 0
    .wavefront_size: 64
  - .agpr_count:     0
    .args:
      - .offset:         0
        .size:           4
        .value_kind:     by_value
      - .offset:         4
        .size:           4
        .value_kind:     by_value
      - .offset:         8
        .size:           4
        .value_kind:     by_value
      - .offset:         12
        .size:           2
        .value_kind:     by_value
      - .address_space:  global
        .offset:         16
        .size:           8
        .value_kind:     global_buffer
      - .offset:         24
        .size:           4
        .value_kind:     by_value
      - .offset:         32
        .size:           8
        .value_kind:     by_value
      - .address_space:  global
        .offset:         40
        .size:           8
        .value_kind:     global_buffer
      - .offset:         48
        .size:           4
        .value_kind:     by_value
      - .offset:         56
        .size:           8
        .value_kind:     by_value
      - .offset:         64
        .size:           2
        .value_kind:     by_value
      - .address_space:  global
        .offset:         72
        .size:           8
        .value_kind:     global_buffer
      - .offset:         80
        .size:           4
        .value_kind:     by_value
      - .offset:         88
        .size:           8
        .value_kind:     by_value
      - .address_space:  global
        .offset:         96
        .size:           8
        .value_kind:     global_buffer
      - .offset:         104
        .size:           4
        .value_kind:     by_value
      - .offset:         112
        .size:           8
        .value_kind:     by_value
      - .offset:         120
        .size:           4
        .value_kind:     by_value
      - .offset:         124
        .size:           4
        .value_kind:     by_value
    .group_segment_fixed_size: 3072
    .kernarg_segment_align: 8
    .kernarg_segment_size: 128
    .language:       OpenCL C
    .language_version:
      - 2
      - 0
    .max_flat_workgroup_size: 256
    .name:           _ZN12_GLOBAL__N_120geam_min_plus_kernelIDF16_Dv2_DF16_S1_Li8ELi32ELi64ELi128ELi4ELi4ELi64ELi64ELi4ELc84ELc84ELb1ELb0ELb0EDF16_KDF16_DF16_EEviiiT16_PT17_ilS5_ilS3_S5_ilPT18_ili26rocblas_geam_ex_operation_
    .private_segment_fixed_size: 0
    .sgpr_count:     30
    .sgpr_spill_count: 0
    .symbol:         _ZN12_GLOBAL__N_120geam_min_plus_kernelIDF16_Dv2_DF16_S1_Li8ELi32ELi64ELi128ELi4ELi4ELi64ELi64ELi4ELc84ELc84ELb1ELb0ELb0EDF16_KDF16_DF16_EEviiiT16_PT17_ilS5_ilS3_S5_ilPT18_ili26rocblas_geam_ex_operation_.kd
    .uniform_work_group_size: 1
    .uses_dynamic_stack: false
    .vgpr_count:     83
    .vgpr_spill_count: 0
    .wavefront_size: 64
  - .agpr_count:     0
    .args:
      - .offset:         0
        .size:           4
        .value_kind:     by_value
      - .offset:         4
        .size:           4
        .value_kind:     by_value
      - .offset:         8
        .size:           4
        .value_kind:     by_value
      - .offset:         12
        .size:           2
        .value_kind:     by_value
      - .address_space:  global
        .offset:         16
        .size:           8
        .value_kind:     global_buffer
      - .offset:         24
        .size:           4
        .value_kind:     by_value
      - .offset:         32
        .size:           8
        .value_kind:     by_value
      - .address_space:  global
        .offset:         40
        .size:           8
        .value_kind:     global_buffer
      - .offset:         48
        .size:           4
        .value_kind:     by_value
      - .offset:         56
        .size:           8
        .value_kind:     by_value
      - .offset:         64
        .size:           2
        .value_kind:     by_value
      - .address_space:  global
        .offset:         72
        .size:           8
        .value_kind:     global_buffer
      - .offset:         80
        .size:           4
        .value_kind:     by_value
      - .offset:         88
        .size:           8
        .value_kind:     by_value
      - .address_space:  global
        .offset:         96
        .size:           8
        .value_kind:     global_buffer
      - .offset:         104
        .size:           4
        .value_kind:     by_value
      - .offset:         112
        .size:           8
        .value_kind:     by_value
      - .offset:         120
        .size:           4
        .value_kind:     by_value
      - .offset:         124
        .size:           4
        .value_kind:     by_value
    .group_segment_fixed_size: 3072
    .kernarg_segment_align: 8
    .kernarg_segment_size: 128
    .language:       OpenCL C
    .language_version:
      - 2
      - 0
    .max_flat_workgroup_size: 256
    .name:           _ZN12_GLOBAL__N_120geam_min_plus_kernelIDF16_Dv2_DF16_S1_Li8ELi32ELi64ELi128ELi4ELi4ELi64ELi64ELi4ELc84ELc84ELb0ELb0ELb0EDF16_KDF16_DF16_EEviiiT16_PT17_ilS5_ilS3_S5_ilPT18_ili26rocblas_geam_ex_operation_
    .private_segment_fixed_size: 0
    .sgpr_count:     34
    .sgpr_spill_count: 0
    .symbol:         _ZN12_GLOBAL__N_120geam_min_plus_kernelIDF16_Dv2_DF16_S1_Li8ELi32ELi64ELi128ELi4ELi4ELi64ELi64ELi4ELc84ELc84ELb0ELb0ELb0EDF16_KDF16_DF16_EEviiiT16_PT17_ilS5_ilS3_S5_ilPT18_ili26rocblas_geam_ex_operation_.kd
    .uniform_work_group_size: 1
    .uses_dynamic_stack: false
    .vgpr_count:     120
    .vgpr_spill_count: 0
    .wavefront_size: 64
  - .agpr_count:     0
    .args:
      - .offset:         0
        .size:           4
        .value_kind:     by_value
      - .offset:         4
        .size:           4
        .value_kind:     by_value
      - .offset:         8
        .size:           4
        .value_kind:     by_value
      - .address_space:  global
        .offset:         16
        .size:           8
        .value_kind:     global_buffer
      - .address_space:  global
        .offset:         24
        .size:           8
        .value_kind:     global_buffer
      - .offset:         32
        .size:           4
        .value_kind:     by_value
      - .offset:         40
        .size:           8
        .value_kind:     by_value
      - .address_space:  global
        .offset:         48
        .size:           8
        .value_kind:     global_buffer
      - .offset:         56
        .size:           4
        .value_kind:     by_value
      - .offset:         64
        .size:           8
        .value_kind:     by_value
      - .address_space:  global
        .offset:         72
        .size:           8
        .value_kind:     global_buffer
      - .address_space:  global
        .offset:         80
        .size:           8
        .value_kind:     global_buffer
      - .offset:         88
        .size:           4
        .value_kind:     by_value
      - .offset:         96
        .size:           8
        .value_kind:     by_value
      - .address_space:  global
        .offset:         104
        .size:           8
        .value_kind:     global_buffer
      - .offset:         112
        .size:           4
        .value_kind:     by_value
      - .offset:         120
        .size:           8
        .value_kind:     by_value
      - .offset:         128
        .size:           4
        .value_kind:     by_value
      - .offset:         132
        .size:           4
        .value_kind:     by_value
    .group_segment_fixed_size: 3072
    .kernarg_segment_align: 8
    .kernarg_segment_size: 136
    .language:       OpenCL C
    .language_version:
      - 2
      - 0
    .max_flat_workgroup_size: 256
    .name:           _ZN12_GLOBAL__N_120geam_min_plus_kernelIDF16_Dv2_DF16_S1_Li8ELi32ELi64ELi128ELi4ELi4ELi64ELi64ELi4ELc84ELc84ELb0ELb1ELb0EPKDF16_S2_DF16_EEviiiT16_PT17_ilS6_ilS4_S6_ilPT18_ili26rocblas_geam_ex_operation_
    .private_segment_fixed_size: 0
    .sgpr_count:     44
    .sgpr_spill_count: 0
    .symbol:         _ZN12_GLOBAL__N_120geam_min_plus_kernelIDF16_Dv2_DF16_S1_Li8ELi32ELi64ELi128ELi4ELi4ELi64ELi64ELi4ELc84ELc84ELb0ELb1ELb0EPKDF16_S2_DF16_EEviiiT16_PT17_ilS6_ilS4_S6_ilPT18_ili26rocblas_geam_ex_operation_.kd
    .uniform_work_group_size: 1
    .uses_dynamic_stack: false
    .vgpr_count:     121
    .vgpr_spill_count: 0
    .wavefront_size: 64
  - .agpr_count:     0
    .args:
      - .offset:         0
        .size:           4
        .value_kind:     by_value
      - .offset:         4
        .size:           4
        .value_kind:     by_value
      - .offset:         8
        .size:           4
        .value_kind:     by_value
      - .offset:         12
        .size:           2
        .value_kind:     by_value
      - .address_space:  global
        .offset:         16
        .size:           8
        .value_kind:     global_buffer
      - .offset:         24
        .size:           4
        .value_kind:     by_value
      - .offset:         32
        .size:           8
        .value_kind:     by_value
      - .address_space:  global
        .offset:         40
        .size:           8
        .value_kind:     global_buffer
      - .offset:         48
        .size:           4
        .value_kind:     by_value
      - .offset:         56
        .size:           8
        .value_kind:     by_value
      - .offset:         64
        .size:           2
        .value_kind:     by_value
      - .address_space:  global
        .offset:         72
        .size:           8
        .value_kind:     global_buffer
      - .offset:         80
        .size:           4
        .value_kind:     by_value
      - .offset:         88
        .size:           8
        .value_kind:     by_value
      - .address_space:  global
        .offset:         96
        .size:           8
        .value_kind:     global_buffer
      - .offset:         104
        .size:           4
        .value_kind:     by_value
      - .offset:         112
        .size:           8
        .value_kind:     by_value
      - .offset:         120
        .size:           4
        .value_kind:     by_value
      - .offset:         124
        .size:           4
        .value_kind:     by_value
    .group_segment_fixed_size: 3072
    .kernarg_segment_align: 8
    .kernarg_segment_size: 128
    .language:       OpenCL C
    .language_version:
      - 2
      - 0
    .max_flat_workgroup_size: 256
    .name:           _ZN12_GLOBAL__N_120geam_min_plus_kernelIDF16_Dv2_DF16_S1_Li8ELi32ELi64ELi128ELi4ELi4ELi64ELi64ELi4ELc84ELc84ELb1ELb1ELb0EDF16_KDF16_DF16_EEviiiT16_PT17_ilS5_ilS3_S5_ilPT18_ili26rocblas_geam_ex_operation_
    .private_segment_fixed_size: 0
    .sgpr_count:     42
    .sgpr_spill_count: 0
    .symbol:         _ZN12_GLOBAL__N_120geam_min_plus_kernelIDF16_Dv2_DF16_S1_Li8ELi32ELi64ELi128ELi4ELi4ELi64ELi64ELi4ELc84ELc84ELb1ELb1ELb0EDF16_KDF16_DF16_EEviiiT16_PT17_ilS5_ilS3_S5_ilPT18_ili26rocblas_geam_ex_operation_.kd
    .uniform_work_group_size: 1
    .uses_dynamic_stack: false
    .vgpr_count:     123
    .vgpr_spill_count: 0
    .wavefront_size: 64
  - .agpr_count:     0
    .args:
      - .offset:         0
        .size:           4
        .value_kind:     by_value
      - .offset:         4
        .size:           4
        .value_kind:     by_value
      - .offset:         8
        .size:           4
        .value_kind:     by_value
      - .offset:         12
        .size:           2
        .value_kind:     by_value
      - .address_space:  global
        .offset:         16
        .size:           8
        .value_kind:     global_buffer
      - .offset:         24
        .size:           4
        .value_kind:     by_value
      - .offset:         32
        .size:           8
        .value_kind:     by_value
      - .address_space:  global
        .offset:         40
        .size:           8
        .value_kind:     global_buffer
      - .offset:         48
        .size:           4
        .value_kind:     by_value
      - .offset:         56
        .size:           8
        .value_kind:     by_value
      - .offset:         64
        .size:           2
        .value_kind:     by_value
      - .address_space:  global
        .offset:         72
        .size:           8
        .value_kind:     global_buffer
      - .offset:         80
        .size:           4
        .value_kind:     by_value
      - .offset:         88
        .size:           8
        .value_kind:     by_value
      - .address_space:  global
        .offset:         96
        .size:           8
        .value_kind:     global_buffer
      - .offset:         104
        .size:           4
        .value_kind:     by_value
      - .offset:         112
        .size:           8
        .value_kind:     by_value
      - .offset:         120
        .size:           4
        .value_kind:     by_value
      - .offset:         124
        .size:           4
        .value_kind:     by_value
    .group_segment_fixed_size: 3072
    .kernarg_segment_align: 8
    .kernarg_segment_size: 128
    .language:       OpenCL C
    .language_version:
      - 2
      - 0
    .max_flat_workgroup_size: 256
    .name:           _ZN12_GLOBAL__N_120geam_min_plus_kernelIDF16_Dv2_DF16_S1_Li8ELi32ELi64ELi128ELi4ELi4ELi64ELi64ELi4ELc84ELc84ELb0ELb1ELb0EDF16_KDF16_DF16_EEviiiT16_PT17_ilS5_ilS3_S5_ilPT18_ili26rocblas_geam_ex_operation_
    .private_segment_fixed_size: 0
    .sgpr_count:     46
    .sgpr_spill_count: 0
    .symbol:         _ZN12_GLOBAL__N_120geam_min_plus_kernelIDF16_Dv2_DF16_S1_Li8ELi32ELi64ELi128ELi4ELi4ELi64ELi64ELi4ELc84ELc84ELb0ELb1ELb0EDF16_KDF16_DF16_EEviiiT16_PT17_ilS5_ilS3_S5_ilPT18_ili26rocblas_geam_ex_operation_.kd
    .uniform_work_group_size: 1
    .uses_dynamic_stack: false
    .vgpr_count:     119
    .vgpr_spill_count: 0
    .wavefront_size: 64
amdhsa.target:   amdgcn-amd-amdhsa--gfx942
amdhsa.version:
  - 1
  - 2
...

	.end_amdgpu_metadata
